;; amdgpu-corpus repo=ROCm/rocBLAS kind=compiled arch=gfx1030 opt=O3
	.amdgcn_target "amdgcn-amd-amdhsa--gfx1030"
	.amdhsa_code_object_version 6
	.section	.text._ZN12_GLOBAL__N_120geam_ex_scale_kernelILi32ELi32EffPKPKfPKPfEEviiT2_T3_lilT4_lil,"axG",@progbits,_ZN12_GLOBAL__N_120geam_ex_scale_kernelILi32ELi32EffPKPKfPKPfEEviiT2_T3_lilT4_lil,comdat
	.globl	_ZN12_GLOBAL__N_120geam_ex_scale_kernelILi32ELi32EffPKPKfPKPfEEviiT2_T3_lilT4_lil ; -- Begin function _ZN12_GLOBAL__N_120geam_ex_scale_kernelILi32ELi32EffPKPKfPKPfEEviiT2_T3_lilT4_lil
	.p2align	8
	.type	_ZN12_GLOBAL__N_120geam_ex_scale_kernelILi32ELi32EffPKPKfPKPfEEviiT2_T3_lilT4_lil,@function
_ZN12_GLOBAL__N_120geam_ex_scale_kernelILi32ELi32EffPKPKfPKPfEEviiT2_T3_lilT4_lil: ; @_ZN12_GLOBAL__N_120geam_ex_scale_kernelILi32ELi32EffPKPKfPKPfEEviiT2_T3_lilT4_lil
; %bb.0:
	s_load_dwordx4 s[0:3], s[4:5], 0x0
	s_mov_b32 s14, s7
	s_mov_b32 s15, 0
	s_waitcnt lgkmcnt(0)
	v_cmp_eq_f32_e64 s3, s2, 0
	s_and_b32 vcc_lo, exec_lo, s3
	s_cbranch_vccnz .LBB0_2
; %bb.1:
	s_load_dwordx4 s[8:11], s[4:5], 0x10
	s_lshl_b64 s[12:13], s[14:15], 3
	s_waitcnt lgkmcnt(0)
	s_add_u32 s8, s8, s12
	s_addc_u32 s9, s9, s13
	s_lshl_b64 s[10:11], s[10:11], 2
	s_load_dwordx2 s[8:9], s[8:9], 0x0
	s_waitcnt lgkmcnt(0)
	s_add_u32 s12, s8, s10
	s_addc_u32 s13, s9, s11
	s_branch .LBB0_3
.LBB0_2:
	s_mov_b64 s[12:13], 0
.LBB0_3:
	s_add_i32 s7, s0, -1
	s_ashr_i32 s8, s7, 31
	s_lshr_b32 s8, s8, 27
	s_add_i32 s7, s7, s8
	s_ashr_i32 s7, s7, 5
	s_add_i32 s8, s7, 1
	s_not_b32 s7, s7
	v_cvt_f32_u32_e32 v2, s8
	v_rcp_iflag_f32_e32 v2, v2
	v_mul_f32_e32 v2, 0x4f7ffffe, v2
	v_cvt_u32_f32_e32 v2, v2
	v_readfirstlane_b32 s9, v2
	s_mul_i32 s7, s7, s9
	s_mul_hi_u32 s7, s9, s7
	s_add_i32 s9, s9, s7
	s_mul_hi_u32 s7, s6, s9
	s_mul_i32 s9, s7, s8
	s_add_i32 s10, s7, 1
	s_sub_i32 s9, s6, s9
	s_sub_i32 s11, s9, s8
	s_cmp_ge_u32 s9, s8
	s_cselect_b32 s7, s10, s7
	s_cselect_b32 s9, s11, s9
	s_add_i32 s10, s7, 1
	s_cmp_ge_u32 s9, s8
	s_cselect_b32 s7, s10, s7
	s_mul_i32 s8, s7, s8
	v_lshl_add_u32 v4, s7, 5, v1
	s_sub_i32 s6, s6, s8
	v_lshl_add_u32 v0, s6, 5, v0
	s_mov_b32 s6, -1
	v_cmp_gt_u32_e32 vcc_lo, s0, v0
	v_cmp_gt_u32_e64 s0, s1, v4
	s_and_b32 s0, vcc_lo, s0
	s_and_saveexec_b32 s1, s0
	s_cbranch_execz .LBB0_9
; %bb.4:
	s_load_dwordx4 s[8:11], s[4:5], 0x30
	s_lshl_b64 s[0:1], s[14:15], 3
	v_mov_b32_e32 v1, 0
	v_mov_b32_e32 v3, v1
	;; [unrolled: 1-line block ×3, first 2 shown]
	s_waitcnt lgkmcnt(0)
	s_add_u32 s0, s8, s0
	s_addc_u32 s1, s9, s1
	s_andn2_b32 vcc_lo, exec_lo, s3
	s_load_dwordx2 s[0:1], s[0:1], 0x0
	s_cbranch_vccnz .LBB0_6
; %bb.5:
	v_mov_b32_e32 v3, 0
	v_mov_b32_e32 v2, v0
	s_mov_b32 s6, 0
.LBB0_6:
	s_andn2_b32 vcc_lo, exec_lo, s6
	s_cbranch_vccnz .LBB0_8
; %bb.7:
	s_load_dword s3, s[4:5], 0x20
	v_lshlrev_b64 v[0:1], 2, v[0:1]
	s_waitcnt lgkmcnt(0)
	v_mad_u64_u32 v[5:6], null, v4, s3, 0
	s_ashr_i32 s3, s3, 31
	v_mad_u64_u32 v[6:7], null, v4, s3, v[6:7]
	v_lshlrev_b64 v[5:6], 2, v[5:6]
	v_add_co_u32 v5, vcc_lo, s12, v5
	v_add_co_ci_u32_e64 v6, null, s13, v6, vcc_lo
	v_add_co_u32 v0, vcc_lo, v5, v0
	v_add_co_ci_u32_e64 v1, null, v6, v1, vcc_lo
	flat_load_dword v0, v[0:1]
	s_waitcnt vmcnt(0) lgkmcnt(0)
	v_mul_f32_e32 v1, s2, v0
.LBB0_8:
	s_load_dword s4, s[4:5], 0x40
	s_lshl_b64 s[2:3], s[10:11], 2
	v_lshlrev_b64 v[2:3], 2, v[2:3]
	s_waitcnt lgkmcnt(0)
	s_add_u32 s0, s0, s2
	s_addc_u32 s1, s1, s3
	v_mad_u64_u32 v[5:6], null, v4, s4, 0
	s_ashr_i32 s2, s4, 31
	v_mov_b32_e32 v0, v6
	v_mad_u64_u32 v[6:7], null, v4, s2, v[0:1]
	v_lshlrev_b64 v[4:5], 2, v[5:6]
	v_add_co_u32 v0, vcc_lo, s0, v4
	v_add_co_ci_u32_e64 v4, null, s1, v5, vcc_lo
	v_add_co_u32 v2, vcc_lo, v0, v2
	v_add_co_ci_u32_e64 v3, null, v4, v3, vcc_lo
	flat_store_dword v[2:3], v1
.LBB0_9:
	s_endpgm
	.section	.rodata,"a",@progbits
	.p2align	6, 0x0
	.amdhsa_kernel _ZN12_GLOBAL__N_120geam_ex_scale_kernelILi32ELi32EffPKPKfPKPfEEviiT2_T3_lilT4_lil
		.amdhsa_group_segment_fixed_size 0
		.amdhsa_private_segment_fixed_size 0
		.amdhsa_kernarg_size 80
		.amdhsa_user_sgpr_count 6
		.amdhsa_user_sgpr_private_segment_buffer 1
		.amdhsa_user_sgpr_dispatch_ptr 0
		.amdhsa_user_sgpr_queue_ptr 0
		.amdhsa_user_sgpr_kernarg_segment_ptr 1
		.amdhsa_user_sgpr_dispatch_id 0
		.amdhsa_user_sgpr_flat_scratch_init 0
		.amdhsa_user_sgpr_private_segment_size 0
		.amdhsa_wavefront_size32 1
		.amdhsa_uses_dynamic_stack 0
		.amdhsa_system_sgpr_private_segment_wavefront_offset 0
		.amdhsa_system_sgpr_workgroup_id_x 1
		.amdhsa_system_sgpr_workgroup_id_y 0
		.amdhsa_system_sgpr_workgroup_id_z 1
		.amdhsa_system_sgpr_workgroup_info 0
		.amdhsa_system_vgpr_workitem_id 1
		.amdhsa_next_free_vgpr 8
		.amdhsa_next_free_sgpr 16
		.amdhsa_reserve_vcc 1
		.amdhsa_reserve_flat_scratch 0
		.amdhsa_float_round_mode_32 0
		.amdhsa_float_round_mode_16_64 0
		.amdhsa_float_denorm_mode_32 3
		.amdhsa_float_denorm_mode_16_64 3
		.amdhsa_dx10_clamp 1
		.amdhsa_ieee_mode 1
		.amdhsa_fp16_overflow 0
		.amdhsa_workgroup_processor_mode 1
		.amdhsa_memory_ordered 1
		.amdhsa_forward_progress 1
		.amdhsa_shared_vgpr_count 0
		.amdhsa_exception_fp_ieee_invalid_op 0
		.amdhsa_exception_fp_denorm_src 0
		.amdhsa_exception_fp_ieee_div_zero 0
		.amdhsa_exception_fp_ieee_overflow 0
		.amdhsa_exception_fp_ieee_underflow 0
		.amdhsa_exception_fp_ieee_inexact 0
		.amdhsa_exception_int_div_zero 0
	.end_amdhsa_kernel
	.section	.text._ZN12_GLOBAL__N_120geam_ex_scale_kernelILi32ELi32EffPKPKfPKPfEEviiT2_T3_lilT4_lil,"axG",@progbits,_ZN12_GLOBAL__N_120geam_ex_scale_kernelILi32ELi32EffPKPKfPKPfEEviiT2_T3_lilT4_lil,comdat
.Lfunc_end0:
	.size	_ZN12_GLOBAL__N_120geam_ex_scale_kernelILi32ELi32EffPKPKfPKPfEEviiT2_T3_lilT4_lil, .Lfunc_end0-_ZN12_GLOBAL__N_120geam_ex_scale_kernelILi32ELi32EffPKPKfPKPfEEviiT2_T3_lilT4_lil
                                        ; -- End function
	.set _ZN12_GLOBAL__N_120geam_ex_scale_kernelILi32ELi32EffPKPKfPKPfEEviiT2_T3_lilT4_lil.num_vgpr, 8
	.set _ZN12_GLOBAL__N_120geam_ex_scale_kernelILi32ELi32EffPKPKfPKPfEEviiT2_T3_lilT4_lil.num_agpr, 0
	.set _ZN12_GLOBAL__N_120geam_ex_scale_kernelILi32ELi32EffPKPKfPKPfEEviiT2_T3_lilT4_lil.numbered_sgpr, 16
	.set _ZN12_GLOBAL__N_120geam_ex_scale_kernelILi32ELi32EffPKPKfPKPfEEviiT2_T3_lilT4_lil.num_named_barrier, 0
	.set _ZN12_GLOBAL__N_120geam_ex_scale_kernelILi32ELi32EffPKPKfPKPfEEviiT2_T3_lilT4_lil.private_seg_size, 0
	.set _ZN12_GLOBAL__N_120geam_ex_scale_kernelILi32ELi32EffPKPKfPKPfEEviiT2_T3_lilT4_lil.uses_vcc, 1
	.set _ZN12_GLOBAL__N_120geam_ex_scale_kernelILi32ELi32EffPKPKfPKPfEEviiT2_T3_lilT4_lil.uses_flat_scratch, 0
	.set _ZN12_GLOBAL__N_120geam_ex_scale_kernelILi32ELi32EffPKPKfPKPfEEviiT2_T3_lilT4_lil.has_dyn_sized_stack, 0
	.set _ZN12_GLOBAL__N_120geam_ex_scale_kernelILi32ELi32EffPKPKfPKPfEEviiT2_T3_lilT4_lil.has_recursion, 0
	.set _ZN12_GLOBAL__N_120geam_ex_scale_kernelILi32ELi32EffPKPKfPKPfEEviiT2_T3_lilT4_lil.has_indirect_call, 0
	.section	.AMDGPU.csdata,"",@progbits
; Kernel info:
; codeLenInByte = 528
; TotalNumSgprs: 18
; NumVgprs: 8
; ScratchSize: 0
; MemoryBound: 0
; FloatMode: 240
; IeeeMode: 1
; LDSByteSize: 0 bytes/workgroup (compile time only)
; SGPRBlocks: 0
; VGPRBlocks: 0
; NumSGPRsForWavesPerEU: 18
; NumVGPRsForWavesPerEU: 8
; Occupancy: 16
; WaveLimiterHint : 1
; COMPUTE_PGM_RSRC2:SCRATCH_EN: 0
; COMPUTE_PGM_RSRC2:USER_SGPR: 6
; COMPUTE_PGM_RSRC2:TRAP_HANDLER: 0
; COMPUTE_PGM_RSRC2:TGID_X_EN: 1
; COMPUTE_PGM_RSRC2:TGID_Y_EN: 0
; COMPUTE_PGM_RSRC2:TGID_Z_EN: 1
; COMPUTE_PGM_RSRC2:TIDIG_COMP_CNT: 1
	.section	.text._ZN12_GLOBAL__N_120geam_ex_scale_kernelILi32ELi32EfPKfPKS2_PKPfEEviiT2_T3_lilT4_lil,"axG",@progbits,_ZN12_GLOBAL__N_120geam_ex_scale_kernelILi32ELi32EfPKfPKS2_PKPfEEviiT2_T3_lilT4_lil,comdat
	.globl	_ZN12_GLOBAL__N_120geam_ex_scale_kernelILi32ELi32EfPKfPKS2_PKPfEEviiT2_T3_lilT4_lil ; -- Begin function _ZN12_GLOBAL__N_120geam_ex_scale_kernelILi32ELi32EfPKfPKS2_PKPfEEviiT2_T3_lilT4_lil
	.p2align	8
	.type	_ZN12_GLOBAL__N_120geam_ex_scale_kernelILi32ELi32EfPKfPKS2_PKPfEEviiT2_T3_lilT4_lil,@function
_ZN12_GLOBAL__N_120geam_ex_scale_kernelILi32ELi32EfPKfPKS2_PKPfEEviiT2_T3_lilT4_lil: ; @_ZN12_GLOBAL__N_120geam_ex_scale_kernelILi32ELi32EfPKfPKS2_PKPfEEviiT2_T3_lilT4_lil
; %bb.0:
	s_load_dwordx4 s[0:3], s[4:5], 0x8
	s_mov_b32 s10, s7
	s_mov_b32 s11, 0
	s_waitcnt lgkmcnt(0)
	s_load_dword s7, s[0:1], 0x0
	s_waitcnt lgkmcnt(0)
	v_cmp_eq_f32_e64 s12, s7, 0
	s_and_b32 vcc_lo, exec_lo, s12
	s_cbranch_vccnz .LBB1_2
; %bb.1:
	s_lshl_b64 s[0:1], s[10:11], 3
	s_load_dwordx2 s[8:9], s[4:5], 0x18
	s_add_u32 s0, s2, s0
	s_addc_u32 s1, s3, s1
	s_load_dwordx2 s[0:1], s[0:1], 0x0
	s_waitcnt lgkmcnt(0)
	s_lshl_b64 s[2:3], s[8:9], 2
	s_add_u32 s8, s0, s2
	s_addc_u32 s9, s1, s3
	s_branch .LBB1_3
.LBB1_2:
	s_mov_b64 s[8:9], 0
.LBB1_3:
	s_load_dwordx2 s[0:1], s[4:5], 0x0
	s_waitcnt lgkmcnt(0)
	s_add_i32 s2, s0, -1
	s_ashr_i32 s3, s2, 31
	s_lshr_b32 s3, s3, 27
	s_add_i32 s2, s2, s3
	s_ashr_i32 s2, s2, 5
	s_add_i32 s3, s2, 1
	s_not_b32 s2, s2
	v_cvt_f32_u32_e32 v2, s3
	v_rcp_iflag_f32_e32 v2, v2
	v_mul_f32_e32 v2, 0x4f7ffffe, v2
	v_cvt_u32_f32_e32 v2, v2
	v_readfirstlane_b32 s13, v2
	s_mul_i32 s2, s2, s13
	s_mul_hi_u32 s2, s13, s2
	s_add_i32 s13, s13, s2
	s_mul_hi_u32 s2, s6, s13
	s_mul_i32 s13, s2, s3
	s_add_i32 s14, s2, 1
	s_sub_i32 s13, s6, s13
	s_sub_i32 s15, s13, s3
	s_cmp_ge_u32 s13, s3
	s_cselect_b32 s2, s14, s2
	s_cselect_b32 s13, s15, s13
	s_add_i32 s14, s2, 1
	s_cmp_ge_u32 s13, s3
	s_cselect_b32 s2, s14, s2
	s_mul_i32 s3, s2, s3
	v_lshl_add_u32 v4, s2, 5, v1
	s_sub_i32 s3, s6, s3
	s_mov_b32 s6, -1
	v_lshl_add_u32 v0, s3, 5, v0
	v_cmp_gt_u32_e32 vcc_lo, s0, v0
	v_cmp_gt_u32_e64 s0, s1, v4
	s_and_b32 s0, vcc_lo, s0
	s_and_saveexec_b32 s1, s0
	s_cbranch_execz .LBB1_9
; %bb.4:
	s_load_dwordx4 s[0:3], s[4:5], 0x30
	s_lshl_b64 s[10:11], s[10:11], 3
	v_mov_b32_e32 v1, 0
	v_mov_b32_e32 v3, v1
	;; [unrolled: 1-line block ×3, first 2 shown]
	s_waitcnt lgkmcnt(0)
	s_add_u32 s0, s0, s10
	s_addc_u32 s1, s1, s11
	s_andn2_b32 vcc_lo, exec_lo, s12
	s_load_dwordx2 s[0:1], s[0:1], 0x0
	s_cbranch_vccnz .LBB1_6
; %bb.5:
	v_mov_b32_e32 v3, 0
	v_mov_b32_e32 v2, v0
	s_mov_b32 s6, 0
.LBB1_6:
	s_andn2_b32 vcc_lo, exec_lo, s6
	s_cbranch_vccnz .LBB1_8
; %bb.7:
	s_load_dword s6, s[4:5], 0x20
	v_lshlrev_b64 v[0:1], 2, v[0:1]
	s_waitcnt lgkmcnt(0)
	v_mad_u64_u32 v[5:6], null, v4, s6, 0
	s_ashr_i32 s6, s6, 31
	v_mad_u64_u32 v[6:7], null, v4, s6, v[6:7]
	v_lshlrev_b64 v[5:6], 2, v[5:6]
	v_add_co_u32 v5, vcc_lo, s8, v5
	v_add_co_ci_u32_e64 v6, null, s9, v6, vcc_lo
	v_add_co_u32 v0, vcc_lo, v5, v0
	v_add_co_ci_u32_e64 v1, null, v6, v1, vcc_lo
	flat_load_dword v0, v[0:1]
	s_waitcnt vmcnt(0) lgkmcnt(0)
	v_mul_f32_e32 v1, s7, v0
.LBB1_8:
	s_load_dword s4, s[4:5], 0x40
	s_lshl_b64 s[2:3], s[2:3], 2
	v_lshlrev_b64 v[2:3], 2, v[2:3]
	s_waitcnt lgkmcnt(0)
	s_add_u32 s0, s0, s2
	s_addc_u32 s1, s1, s3
	v_mad_u64_u32 v[5:6], null, v4, s4, 0
	s_ashr_i32 s2, s4, 31
	v_mov_b32_e32 v0, v6
	v_mad_u64_u32 v[6:7], null, v4, s2, v[0:1]
	v_lshlrev_b64 v[4:5], 2, v[5:6]
	v_add_co_u32 v0, vcc_lo, s0, v4
	v_add_co_ci_u32_e64 v4, null, s1, v5, vcc_lo
	v_add_co_u32 v2, vcc_lo, v0, v2
	v_add_co_ci_u32_e64 v3, null, v4, v3, vcc_lo
	flat_store_dword v[2:3], v1
.LBB1_9:
	s_endpgm
	.section	.rodata,"a",@progbits
	.p2align	6, 0x0
	.amdhsa_kernel _ZN12_GLOBAL__N_120geam_ex_scale_kernelILi32ELi32EfPKfPKS2_PKPfEEviiT2_T3_lilT4_lil
		.amdhsa_group_segment_fixed_size 0
		.amdhsa_private_segment_fixed_size 0
		.amdhsa_kernarg_size 80
		.amdhsa_user_sgpr_count 6
		.amdhsa_user_sgpr_private_segment_buffer 1
		.amdhsa_user_sgpr_dispatch_ptr 0
		.amdhsa_user_sgpr_queue_ptr 0
		.amdhsa_user_sgpr_kernarg_segment_ptr 1
		.amdhsa_user_sgpr_dispatch_id 0
		.amdhsa_user_sgpr_flat_scratch_init 0
		.amdhsa_user_sgpr_private_segment_size 0
		.amdhsa_wavefront_size32 1
		.amdhsa_uses_dynamic_stack 0
		.amdhsa_system_sgpr_private_segment_wavefront_offset 0
		.amdhsa_system_sgpr_workgroup_id_x 1
		.amdhsa_system_sgpr_workgroup_id_y 0
		.amdhsa_system_sgpr_workgroup_id_z 1
		.amdhsa_system_sgpr_workgroup_info 0
		.amdhsa_system_vgpr_workitem_id 1
		.amdhsa_next_free_vgpr 8
		.amdhsa_next_free_sgpr 16
		.amdhsa_reserve_vcc 1
		.amdhsa_reserve_flat_scratch 0
		.amdhsa_float_round_mode_32 0
		.amdhsa_float_round_mode_16_64 0
		.amdhsa_float_denorm_mode_32 3
		.amdhsa_float_denorm_mode_16_64 3
		.amdhsa_dx10_clamp 1
		.amdhsa_ieee_mode 1
		.amdhsa_fp16_overflow 0
		.amdhsa_workgroup_processor_mode 1
		.amdhsa_memory_ordered 1
		.amdhsa_forward_progress 1
		.amdhsa_shared_vgpr_count 0
		.amdhsa_exception_fp_ieee_invalid_op 0
		.amdhsa_exception_fp_denorm_src 0
		.amdhsa_exception_fp_ieee_div_zero 0
		.amdhsa_exception_fp_ieee_overflow 0
		.amdhsa_exception_fp_ieee_underflow 0
		.amdhsa_exception_fp_ieee_inexact 0
		.amdhsa_exception_int_div_zero 0
	.end_amdhsa_kernel
	.section	.text._ZN12_GLOBAL__N_120geam_ex_scale_kernelILi32ELi32EfPKfPKS2_PKPfEEviiT2_T3_lilT4_lil,"axG",@progbits,_ZN12_GLOBAL__N_120geam_ex_scale_kernelILi32ELi32EfPKfPKS2_PKPfEEviiT2_T3_lilT4_lil,comdat
.Lfunc_end1:
	.size	_ZN12_GLOBAL__N_120geam_ex_scale_kernelILi32ELi32EfPKfPKS2_PKPfEEviiT2_T3_lilT4_lil, .Lfunc_end1-_ZN12_GLOBAL__N_120geam_ex_scale_kernelILi32ELi32EfPKfPKS2_PKPfEEviiT2_T3_lilT4_lil
                                        ; -- End function
	.set _ZN12_GLOBAL__N_120geam_ex_scale_kernelILi32ELi32EfPKfPKS2_PKPfEEviiT2_T3_lilT4_lil.num_vgpr, 8
	.set _ZN12_GLOBAL__N_120geam_ex_scale_kernelILi32ELi32EfPKfPKS2_PKPfEEviiT2_T3_lilT4_lil.num_agpr, 0
	.set _ZN12_GLOBAL__N_120geam_ex_scale_kernelILi32ELi32EfPKfPKS2_PKPfEEviiT2_T3_lilT4_lil.numbered_sgpr, 16
	.set _ZN12_GLOBAL__N_120geam_ex_scale_kernelILi32ELi32EfPKfPKS2_PKPfEEviiT2_T3_lilT4_lil.num_named_barrier, 0
	.set _ZN12_GLOBAL__N_120geam_ex_scale_kernelILi32ELi32EfPKfPKS2_PKPfEEviiT2_T3_lilT4_lil.private_seg_size, 0
	.set _ZN12_GLOBAL__N_120geam_ex_scale_kernelILi32ELi32EfPKfPKS2_PKPfEEviiT2_T3_lilT4_lil.uses_vcc, 1
	.set _ZN12_GLOBAL__N_120geam_ex_scale_kernelILi32ELi32EfPKfPKS2_PKPfEEviiT2_T3_lilT4_lil.uses_flat_scratch, 0
	.set _ZN12_GLOBAL__N_120geam_ex_scale_kernelILi32ELi32EfPKfPKS2_PKPfEEviiT2_T3_lilT4_lil.has_dyn_sized_stack, 0
	.set _ZN12_GLOBAL__N_120geam_ex_scale_kernelILi32ELi32EfPKfPKS2_PKPfEEviiT2_T3_lilT4_lil.has_recursion, 0
	.set _ZN12_GLOBAL__N_120geam_ex_scale_kernelILi32ELi32EfPKfPKS2_PKPfEEviiT2_T3_lilT4_lil.has_indirect_call, 0
	.section	.AMDGPU.csdata,"",@progbits
; Kernel info:
; codeLenInByte = 548
; TotalNumSgprs: 18
; NumVgprs: 8
; ScratchSize: 0
; MemoryBound: 0
; FloatMode: 240
; IeeeMode: 1
; LDSByteSize: 0 bytes/workgroup (compile time only)
; SGPRBlocks: 0
; VGPRBlocks: 0
; NumSGPRsForWavesPerEU: 18
; NumVGPRsForWavesPerEU: 8
; Occupancy: 16
; WaveLimiterHint : 1
; COMPUTE_PGM_RSRC2:SCRATCH_EN: 0
; COMPUTE_PGM_RSRC2:USER_SGPR: 6
; COMPUTE_PGM_RSRC2:TRAP_HANDLER: 0
; COMPUTE_PGM_RSRC2:TGID_X_EN: 1
; COMPUTE_PGM_RSRC2:TGID_Y_EN: 0
; COMPUTE_PGM_RSRC2:TGID_Z_EN: 1
; COMPUTE_PGM_RSRC2:TIDIG_COMP_CNT: 1
	.section	.text._ZN12_GLOBAL__N_120geam_ex_round_kernelILi32ELi32EffPKPKfPKPfEEviiT2_T3_lilT4_lil,"axG",@progbits,_ZN12_GLOBAL__N_120geam_ex_round_kernelILi32ELi32EffPKPKfPKPfEEviiT2_T3_lilT4_lil,comdat
	.globl	_ZN12_GLOBAL__N_120geam_ex_round_kernelILi32ELi32EffPKPKfPKPfEEviiT2_T3_lilT4_lil ; -- Begin function _ZN12_GLOBAL__N_120geam_ex_round_kernelILi32ELi32EffPKPKfPKPfEEviiT2_T3_lilT4_lil
	.p2align	8
	.type	_ZN12_GLOBAL__N_120geam_ex_round_kernelILi32ELi32EffPKPKfPKPfEEviiT2_T3_lilT4_lil,@function
_ZN12_GLOBAL__N_120geam_ex_round_kernelILi32ELi32EffPKPKfPKPfEEviiT2_T3_lilT4_lil: ; @_ZN12_GLOBAL__N_120geam_ex_round_kernelILi32ELi32EffPKPKfPKPfEEviiT2_T3_lilT4_lil
; %bb.0:
	s_load_dwordx4 s[0:3], s[4:5], 0x0
	s_mov_b32 s14, s7
	s_mov_b32 s15, 0
	s_waitcnt lgkmcnt(0)
	v_cmp_eq_f32_e64 s3, s2, 0
	s_and_b32 vcc_lo, exec_lo, s3
	s_cbranch_vccnz .LBB2_2
; %bb.1:
	s_load_dwordx4 s[8:11], s[4:5], 0x10
	s_lshl_b64 s[12:13], s[14:15], 3
	s_waitcnt lgkmcnt(0)
	s_add_u32 s8, s8, s12
	s_addc_u32 s9, s9, s13
	s_lshl_b64 s[10:11], s[10:11], 2
	s_load_dwordx2 s[8:9], s[8:9], 0x0
	s_waitcnt lgkmcnt(0)
	s_add_u32 s12, s8, s10
	s_addc_u32 s13, s9, s11
	s_branch .LBB2_3
.LBB2_2:
	s_mov_b64 s[12:13], 0
.LBB2_3:
	s_add_i32 s7, s0, -1
	s_ashr_i32 s8, s7, 31
	s_lshr_b32 s8, s8, 27
	s_add_i32 s7, s7, s8
	s_ashr_i32 s7, s7, 5
	s_add_i32 s8, s7, 1
	s_not_b32 s7, s7
	v_cvt_f32_u32_e32 v2, s8
	v_rcp_iflag_f32_e32 v2, v2
	v_mul_f32_e32 v2, 0x4f7ffffe, v2
	v_cvt_u32_f32_e32 v2, v2
	v_readfirstlane_b32 s9, v2
	s_mul_i32 s7, s7, s9
	s_mul_hi_u32 s7, s9, s7
	s_add_i32 s9, s9, s7
	s_mul_hi_u32 s7, s6, s9
	s_mul_i32 s9, s7, s8
	s_add_i32 s10, s7, 1
	s_sub_i32 s9, s6, s9
	s_sub_i32 s11, s9, s8
	s_cmp_ge_u32 s9, s8
	s_cselect_b32 s7, s10, s7
	s_cselect_b32 s9, s11, s9
	s_add_i32 s10, s7, 1
	s_cmp_ge_u32 s9, s8
	s_cselect_b32 s7, s10, s7
	s_mul_i32 s8, s7, s8
	v_lshl_add_u32 v4, s7, 5, v1
	s_sub_i32 s6, s6, s8
	v_lshl_add_u32 v0, s6, 5, v0
	s_mov_b32 s6, -1
	v_cmp_gt_u32_e32 vcc_lo, s0, v0
	v_cmp_gt_u32_e64 s0, s1, v4
	s_and_b32 s0, vcc_lo, s0
	s_and_saveexec_b32 s1, s0
	s_cbranch_execz .LBB2_9
; %bb.4:
	s_load_dwordx4 s[8:11], s[4:5], 0x30
	s_lshl_b64 s[0:1], s[14:15], 3
	v_mov_b32_e32 v1, 0
	v_mov_b32_e32 v3, v1
	;; [unrolled: 1-line block ×3, first 2 shown]
	s_waitcnt lgkmcnt(0)
	s_add_u32 s0, s8, s0
	s_addc_u32 s1, s9, s1
	s_andn2_b32 vcc_lo, exec_lo, s3
	s_load_dwordx2 s[0:1], s[0:1], 0x0
	s_cbranch_vccnz .LBB2_6
; %bb.5:
	v_mov_b32_e32 v3, 0
	v_mov_b32_e32 v2, v0
	s_mov_b32 s6, 0
.LBB2_6:
	s_andn2_b32 vcc_lo, exec_lo, s6
	s_cbranch_vccnz .LBB2_8
; %bb.7:
	s_load_dword s3, s[4:5], 0x20
	v_lshlrev_b64 v[0:1], 2, v[0:1]
	s_waitcnt lgkmcnt(0)
	v_mad_u64_u32 v[5:6], null, v4, s3, 0
	s_ashr_i32 s3, s3, 31
	v_mad_u64_u32 v[6:7], null, v4, s3, v[6:7]
	v_lshlrev_b64 v[5:6], 2, v[5:6]
	v_add_co_u32 v5, vcc_lo, s12, v5
	v_add_co_ci_u32_e64 v6, null, s13, v6, vcc_lo
	v_add_co_u32 v0, vcc_lo, v5, v0
	v_add_co_ci_u32_e64 v1, null, v6, v1, vcc_lo
	flat_load_dword v0, v[0:1]
	s_waitcnt vmcnt(0) lgkmcnt(0)
	v_mul_f32_e32 v1, s2, v0
.LBB2_8:
	s_load_dword s4, s[4:5], 0x40
	s_lshl_b64 s[2:3], s[10:11], 2
	v_lshlrev_b64 v[2:3], 2, v[2:3]
	s_waitcnt lgkmcnt(0)
	s_add_u32 s0, s0, s2
	s_addc_u32 s1, s1, s3
	v_mad_u64_u32 v[5:6], null, v4, s4, 0
	s_ashr_i32 s2, s4, 31
	v_mov_b32_e32 v0, v6
	v_mad_u64_u32 v[6:7], null, v4, s2, v[0:1]
	v_lshlrev_b64 v[4:5], 2, v[5:6]
	v_add_co_u32 v0, vcc_lo, s0, v4
	v_add_co_ci_u32_e64 v4, null, s1, v5, vcc_lo
	v_add_co_u32 v2, vcc_lo, v0, v2
	v_add_co_ci_u32_e64 v3, null, v4, v3, vcc_lo
	v_cmp_nlt_f32_e32 vcc_lo, 0, v1
	v_cndmask_b32_e32 v0, 0, v1, vcc_lo
	flat_store_dword v[2:3], v0
.LBB2_9:
	s_endpgm
	.section	.rodata,"a",@progbits
	.p2align	6, 0x0
	.amdhsa_kernel _ZN12_GLOBAL__N_120geam_ex_round_kernelILi32ELi32EffPKPKfPKPfEEviiT2_T3_lilT4_lil
		.amdhsa_group_segment_fixed_size 0
		.amdhsa_private_segment_fixed_size 0
		.amdhsa_kernarg_size 80
		.amdhsa_user_sgpr_count 6
		.amdhsa_user_sgpr_private_segment_buffer 1
		.amdhsa_user_sgpr_dispatch_ptr 0
		.amdhsa_user_sgpr_queue_ptr 0
		.amdhsa_user_sgpr_kernarg_segment_ptr 1
		.amdhsa_user_sgpr_dispatch_id 0
		.amdhsa_user_sgpr_flat_scratch_init 0
		.amdhsa_user_sgpr_private_segment_size 0
		.amdhsa_wavefront_size32 1
		.amdhsa_uses_dynamic_stack 0
		.amdhsa_system_sgpr_private_segment_wavefront_offset 0
		.amdhsa_system_sgpr_workgroup_id_x 1
		.amdhsa_system_sgpr_workgroup_id_y 0
		.amdhsa_system_sgpr_workgroup_id_z 1
		.amdhsa_system_sgpr_workgroup_info 0
		.amdhsa_system_vgpr_workitem_id 1
		.amdhsa_next_free_vgpr 8
		.amdhsa_next_free_sgpr 16
		.amdhsa_reserve_vcc 1
		.amdhsa_reserve_flat_scratch 0
		.amdhsa_float_round_mode_32 0
		.amdhsa_float_round_mode_16_64 0
		.amdhsa_float_denorm_mode_32 3
		.amdhsa_float_denorm_mode_16_64 3
		.amdhsa_dx10_clamp 1
		.amdhsa_ieee_mode 1
		.amdhsa_fp16_overflow 0
		.amdhsa_workgroup_processor_mode 1
		.amdhsa_memory_ordered 1
		.amdhsa_forward_progress 1
		.amdhsa_shared_vgpr_count 0
		.amdhsa_exception_fp_ieee_invalid_op 0
		.amdhsa_exception_fp_denorm_src 0
		.amdhsa_exception_fp_ieee_div_zero 0
		.amdhsa_exception_fp_ieee_overflow 0
		.amdhsa_exception_fp_ieee_underflow 0
		.amdhsa_exception_fp_ieee_inexact 0
		.amdhsa_exception_int_div_zero 0
	.end_amdhsa_kernel
	.section	.text._ZN12_GLOBAL__N_120geam_ex_round_kernelILi32ELi32EffPKPKfPKPfEEviiT2_T3_lilT4_lil,"axG",@progbits,_ZN12_GLOBAL__N_120geam_ex_round_kernelILi32ELi32EffPKPKfPKPfEEviiT2_T3_lilT4_lil,comdat
.Lfunc_end2:
	.size	_ZN12_GLOBAL__N_120geam_ex_round_kernelILi32ELi32EffPKPKfPKPfEEviiT2_T3_lilT4_lil, .Lfunc_end2-_ZN12_GLOBAL__N_120geam_ex_round_kernelILi32ELi32EffPKPKfPKPfEEviiT2_T3_lilT4_lil
                                        ; -- End function
	.set _ZN12_GLOBAL__N_120geam_ex_round_kernelILi32ELi32EffPKPKfPKPfEEviiT2_T3_lilT4_lil.num_vgpr, 8
	.set _ZN12_GLOBAL__N_120geam_ex_round_kernelILi32ELi32EffPKPKfPKPfEEviiT2_T3_lilT4_lil.num_agpr, 0
	.set _ZN12_GLOBAL__N_120geam_ex_round_kernelILi32ELi32EffPKPKfPKPfEEviiT2_T3_lilT4_lil.numbered_sgpr, 16
	.set _ZN12_GLOBAL__N_120geam_ex_round_kernelILi32ELi32EffPKPKfPKPfEEviiT2_T3_lilT4_lil.num_named_barrier, 0
	.set _ZN12_GLOBAL__N_120geam_ex_round_kernelILi32ELi32EffPKPKfPKPfEEviiT2_T3_lilT4_lil.private_seg_size, 0
	.set _ZN12_GLOBAL__N_120geam_ex_round_kernelILi32ELi32EffPKPKfPKPfEEviiT2_T3_lilT4_lil.uses_vcc, 1
	.set _ZN12_GLOBAL__N_120geam_ex_round_kernelILi32ELi32EffPKPKfPKPfEEviiT2_T3_lilT4_lil.uses_flat_scratch, 0
	.set _ZN12_GLOBAL__N_120geam_ex_round_kernelILi32ELi32EffPKPKfPKPfEEviiT2_T3_lilT4_lil.has_dyn_sized_stack, 0
	.set _ZN12_GLOBAL__N_120geam_ex_round_kernelILi32ELi32EffPKPKfPKPfEEviiT2_T3_lilT4_lil.has_recursion, 0
	.set _ZN12_GLOBAL__N_120geam_ex_round_kernelILi32ELi32EffPKPKfPKPfEEviiT2_T3_lilT4_lil.has_indirect_call, 0
	.section	.AMDGPU.csdata,"",@progbits
; Kernel info:
; codeLenInByte = 536
; TotalNumSgprs: 18
; NumVgprs: 8
; ScratchSize: 0
; MemoryBound: 0
; FloatMode: 240
; IeeeMode: 1
; LDSByteSize: 0 bytes/workgroup (compile time only)
; SGPRBlocks: 0
; VGPRBlocks: 0
; NumSGPRsForWavesPerEU: 18
; NumVGPRsForWavesPerEU: 8
; Occupancy: 16
; WaveLimiterHint : 1
; COMPUTE_PGM_RSRC2:SCRATCH_EN: 0
; COMPUTE_PGM_RSRC2:USER_SGPR: 6
; COMPUTE_PGM_RSRC2:TRAP_HANDLER: 0
; COMPUTE_PGM_RSRC2:TGID_X_EN: 1
; COMPUTE_PGM_RSRC2:TGID_Y_EN: 0
; COMPUTE_PGM_RSRC2:TGID_Z_EN: 1
; COMPUTE_PGM_RSRC2:TIDIG_COMP_CNT: 1
	.section	.text._ZN12_GLOBAL__N_120geam_min_plus_kernelIf15HIP_vector_typeIfLj2EEfLi32ELi8ELi256ELi64ELi4ELi64ELi4ELi4ELi64ELc78ELc78ELb0ELb0ELb1EPKfKS4_KPfEEviiiT16_PT17_ilSA_ilS8_SA_ilPT18_ili26rocblas_geam_ex_operation_,"axG",@progbits,_ZN12_GLOBAL__N_120geam_min_plus_kernelIf15HIP_vector_typeIfLj2EEfLi32ELi8ELi256ELi64ELi4ELi64ELi4ELi4ELi64ELc78ELc78ELb0ELb0ELb1EPKfKS4_KPfEEviiiT16_PT17_ilSA_ilS8_SA_ilPT18_ili26rocblas_geam_ex_operation_,comdat
	.globl	_ZN12_GLOBAL__N_120geam_min_plus_kernelIf15HIP_vector_typeIfLj2EEfLi32ELi8ELi256ELi64ELi4ELi64ELi4ELi4ELi64ELc78ELc78ELb0ELb0ELb1EPKfKS4_KPfEEviiiT16_PT17_ilSA_ilS8_SA_ilPT18_ili26rocblas_geam_ex_operation_ ; -- Begin function _ZN12_GLOBAL__N_120geam_min_plus_kernelIf15HIP_vector_typeIfLj2EEfLi32ELi8ELi256ELi64ELi4ELi64ELi4ELi4ELi64ELc78ELc78ELb0ELb0ELb1EPKfKS4_KPfEEviiiT16_PT17_ilSA_ilS8_SA_ilPT18_ili26rocblas_geam_ex_operation_
	.p2align	8
	.type	_ZN12_GLOBAL__N_120geam_min_plus_kernelIf15HIP_vector_typeIfLj2EEfLi32ELi8ELi256ELi64ELi4ELi64ELi4ELi4ELi64ELc78ELc78ELb0ELb0ELb1EPKfKS4_KPfEEviiiT16_PT17_ilSA_ilS8_SA_ilPT18_ili26rocblas_geam_ex_operation_,@function
_ZN12_GLOBAL__N_120geam_min_plus_kernelIf15HIP_vector_typeIfLj2EEfLi32ELi8ELi256ELi64ELi4ELi64ELi4ELi4ELi64ELc78ELc78ELb0ELb0ELb1EPKfKS4_KPfEEviiiT16_PT17_ilSA_ilS8_SA_ilPT18_ili26rocblas_geam_ex_operation_: ; @_ZN12_GLOBAL__N_120geam_min_plus_kernelIf15HIP_vector_typeIfLj2EEfLi32ELi8ELi256ELi64ELi4ELi64ELi4ELi4ELi64ELc78ELc78ELb0ELb0ELb1EPKfKS4_KPfEEviiiT16_PT17_ilSA_ilS8_SA_ilPT18_ili26rocblas_geam_ex_operation_
; %bb.0:
	s_clause 0x1
	s_load_dwordx4 s[0:3], s[4:5], 0x10
	s_load_dwordx4 s[8:11], s[4:5], 0x28
	s_mov_b32 s18, s7
	s_mov_b32 s19, 0
	s_lshl_b64 s[16:17], s[18:19], 2
	s_waitcnt lgkmcnt(0)
	s_add_u32 s0, s0, s16
	s_addc_u32 s1, s1, s17
	s_load_dword s24, s[0:1], 0x0
	s_clause 0x1
	s_load_dwordx4 s[12:15], s[4:5], 0x40
	s_load_dwordx2 s[20:21], s[4:5], 0x50
	s_waitcnt lgkmcnt(0)
	v_cmp_eq_f32_e64 s1, s24, 0
	s_add_u32 s22, s14, s16
	v_cmp_neq_f32_e64 s0, s24, 0
	s_addc_u32 s23, s15, s17
	s_mov_b64 s[16:17], 0
	s_and_b32 s1, exec_lo, s1
	s_mov_b64 s[14:15], 0
	s_mov_b32 vcc_lo, s1
	s_cbranch_vccnz .LBB3_2
; %bb.1:
	s_lshl_b64 s[14:15], s[18:19], 3
	s_add_u32 s2, s2, s14
	s_addc_u32 s3, s3, s15
	s_lshl_b64 s[8:9], s[8:9], 2
	s_load_dwordx2 s[2:3], s[2:3], 0x0
	s_waitcnt lgkmcnt(0)
	s_add_u32 s14, s2, s8
	s_addc_u32 s15, s3, s9
.LBB3_2:
	s_load_dword s3, s[22:23], 0x0
	v_cndmask_b32_e64 v2, 0, 1, s0
	s_andn2_b32 vcc_lo, exec_lo, s0
	v_cmp_ne_u32_e64 s2, 1, v2
	s_cbranch_vccnz .LBB3_4
; %bb.3:
	s_lshl_b64 s[8:9], s[18:19], 3
	s_add_u32 s8, s10, s8
	s_addc_u32 s9, s11, s9
	s_lshl_b64 s[10:11], s[12:13], 2
	s_load_dwordx2 s[8:9], s[8:9], 0x0
	s_waitcnt lgkmcnt(0)
	s_add_u32 s16, s8, s10
	s_addc_u32 s17, s9, s11
.LBB3_4:
	s_load_dwordx4 s[8:11], s[4:5], 0x60
	s_waitcnt lgkmcnt(0)
	v_cmp_eq_f32_e64 s0, s3, 0
	s_and_b32 s0, exec_lo, s0
	s_mov_b32 vcc_lo, s0
	s_cbranch_vccnz .LBB3_6
; %bb.5:
	s_lshl_b64 s[12:13], s[18:19], 3
	s_add_u32 s12, s20, s12
	s_addc_u32 s13, s21, s13
	s_lshl_b64 s[8:9], s[8:9], 2
	s_load_dwordx2 s[12:13], s[12:13], 0x0
	s_waitcnt lgkmcnt(0)
	s_add_u32 s8, s12, s8
	s_addc_u32 s9, s13, s9
	s_branch .LBB3_7
.LBB3_6:
	s_mov_b64 s[8:9], 0
.LBB3_7:
	s_clause 0x1
	s_load_dword s7, s[4:5], 0x0
	s_load_dword s12, s[4:5], 0x20
	s_lshl_b64 s[18:19], s[18:19], 3
	v_lshl_add_u32 v9, v1, 5, v0
	s_add_u32 s10, s10, s18
	s_addc_u32 s11, s11, s19
	v_mov_b32_e32 v4, 0
	v_lshrrev_b32_e32 v66, 6, v9
	v_and_b32_e32 v67, 63, v9
	s_waitcnt lgkmcnt(0)
	s_add_i32 s7, s7, -1
	s_ashr_i32 s13, s7, 31
	s_lshr_b32 s13, s13, 24
	s_add_i32 s7, s7, s13
	s_ashr_i32 s7, s7, 8
	s_add_i32 s13, s7, 1
	s_not_b32 s7, s7
	v_cvt_f32_u32_e32 v2, s13
	v_rcp_iflag_f32_e32 v2, v2
	v_mul_f32_e32 v2, 0x4f7ffffe, v2
	v_cvt_u32_f32_e32 v2, v2
	v_readfirstlane_b32 s18, v2
	v_mad_i64_i32 v[2:3], null, s12, v66, 0
	s_mul_i32 s7, s7, s18
	s_mul_hi_u32 s7, s18, s7
	v_lshlrev_b64 v[5:6], 2, v[2:3]
	s_add_i32 s18, s18, s7
	s_mul_hi_u32 s7, s6, s18
	s_mul_i32 s18, s7, s13
	s_add_i32 s19, s7, 1
	s_sub_i32 s18, s6, s18
	v_add_co_u32 v10, vcc_lo, s14, v5
	s_sub_i32 s20, s18, s13
	s_cmp_ge_u32 s18, s13
	v_add_co_ci_u32_e64 v11, null, s15, v6, vcc_lo
	s_cselect_b32 s7, s19, s7
	s_cselect_b32 s18, s20, s18
	s_add_i32 s19, s7, 1
	s_cmp_ge_u32 s18, s13
	v_mov_b32_e32 v5, 0
	s_cselect_b32 s19, s19, s7
	s_and_b32 vcc_lo, exec_lo, s2
	s_mul_i32 s7, s19, s13
	s_mov_b32 s20, -1
	s_sub_i32 s13, s6, s7
	s_lshl_b32 s18, s13, 8
	v_or_b32_e32 v2, s18, v67
	v_ashrrev_i32_e32 v3, 31, v2
	s_cbranch_vccnz .LBB3_9
; %bb.8:
	v_lshlrev_b64 v[4:5], 2, v[2:3]
	v_add_co_u32 v4, vcc_lo, v10, v4
	v_add_co_ci_u32_e64 v5, null, v11, v5, vcc_lo
	s_clause 0x1
	flat_load_dword v6, v[4:5]
	flat_load_dword v4, v[4:5] offset:256
	s_waitcnt vmcnt(1) lgkmcnt(1)
	v_mul_f32_e32 v5, s24, v6
	s_waitcnt vmcnt(0) lgkmcnt(0)
	v_mul_f32_e32 v4, s24, v4
.LBB3_9:
	s_ashr_i32 s13, s12, 31
	s_mov_b32 vcc_lo, s1
                                        ; implicit-def: $vgpr6
	s_cbranch_vccz .LBB3_11
; %bb.10:
	s_mov_b32 s20, 0
	v_mov_b32_e32 v6, s20
.LBB3_11:
	v_mov_b32_e32 v7, 0
	v_mov_b32_e32 v8, 0
	s_andn2_b32 vcc_lo, exec_lo, s20
	s_cbranch_vccnz .LBB3_13
; %bb.12:
	v_lshlrev_b64 v[12:13], 2, v[2:3]
	v_add_co_u32 v10, vcc_lo, v10, v12
	v_add_co_ci_u32_e64 v11, null, v11, v13, vcc_lo
	s_clause 0x1
	flat_load_dword v6, v[10:11] offset:512
	flat_load_dword v8, v[10:11] offset:768
	s_waitcnt vmcnt(1) lgkmcnt(1)
	v_mul_f32_e32 v6, s24, v6
	s_waitcnt vmcnt(0) lgkmcnt(0)
	v_mul_f32_e32 v8, s24, v8
.LBB3_13:
	s_load_dword s20, s[4:5], 0x38
	v_lshrrev_b32_e32 v9, 2, v9
	v_and_b32_e32 v10, 3, v0
	s_lshl_b32 s19, s19, 6
	s_and_b32 vcc_lo, exec_lo, s2
	v_add_nc_u32_e32 v69, s19, v9
	v_lshlrev_b32_e32 v68, 2, v10
	s_cbranch_vccnz .LBB3_15
; %bb.14:
	s_waitcnt lgkmcnt(0)
	v_mad_i64_i32 v[10:11], null, v69, s20, 0
	v_lshlrev_b64 v[10:11], 2, v[10:11]
	v_add_co_u32 v7, vcc_lo, s16, v10
	v_add_co_ci_u32_e64 v11, null, s17, v11, vcc_lo
	v_add_co_u32 v10, vcc_lo, v7, v68
	v_add_co_ci_u32_e64 v11, null, 0, v11, vcc_lo
	flat_load_dword v7, v[10:11]
	s_waitcnt vmcnt(0) lgkmcnt(0)
	v_mul_f32_e32 v7, s24, v7
.LBB3_15:
	v_add_nc_u32_e32 v10, 4, v66
	v_mov_b32_e32 v70, 0
	v_mov_b32_e32 v71, 0
	v_mad_i64_i32 v[10:11], null, s12, v10, 0
	v_lshlrev_b64 v[10:11], 2, v[10:11]
	v_add_co_u32 v10, vcc_lo, s14, v10
	v_add_co_ci_u32_e64 v11, null, s15, v11, vcc_lo
	s_and_b32 vcc_lo, exec_lo, s2
	s_cbranch_vccnz .LBB3_17
; %bb.16:
	v_lshlrev_b64 v[12:13], 2, v[2:3]
	v_add_co_u32 v12, vcc_lo, v10, v12
	v_add_co_ci_u32_e64 v13, null, v11, v13, vcc_lo
	s_clause 0x1
	flat_load_dword v14, v[12:13]
	flat_load_dword v12, v[12:13] offset:256
	s_waitcnt vmcnt(1) lgkmcnt(0)
	v_mul_f32_e32 v71, s24, v14
	s_waitcnt vmcnt(0)
	v_mul_f32_e32 v70, s24, v12
.LBB3_17:
	s_mov_b32 vcc_lo, s1
	s_cbranch_vccz .LBB3_19
; %bb.18:
	s_mov_b32 s21, 0
	v_mov_b32_e32 v72, s21
	v_mov_b32_e32 v73, 0
	;; [unrolled: 1-line block ×3, first 2 shown]
	s_cbranch_execz .LBB3_20
	s_branch .LBB3_21
.LBB3_19:
                                        ; implicit-def: $vgpr72
	v_mov_b32_e32 v73, 0
	v_mov_b32_e32 v74, 0
.LBB3_20:
	v_lshlrev_b64 v[2:3], 2, v[2:3]
	v_add_co_u32 v2, vcc_lo, v10, v2
	v_add_co_ci_u32_e64 v3, null, v11, v3, vcc_lo
	s_clause 0x1
	flat_load_dword v10, v[2:3] offset:512
	flat_load_dword v2, v[2:3] offset:768
	s_waitcnt vmcnt(1) lgkmcnt(0)
	v_mul_f32_e32 v72, s24, v10
	s_waitcnt vmcnt(0)
	v_mul_f32_e32 v74, s24, v2
.LBB3_21:
	s_and_b32 vcc_lo, exec_lo, s2
	s_cbranch_vccnz .LBB3_23
; %bb.22:
	s_waitcnt lgkmcnt(0)
	v_mad_i64_i32 v[2:3], null, v69, s20, 0
	v_lshlrev_b64 v[2:3], 2, v[2:3]
	v_add_co_u32 v2, vcc_lo, s16, v2
	v_add_co_ci_u32_e64 v3, null, s17, v3, vcc_lo
	v_add_co_u32 v2, vcc_lo, v2, v68
	v_add_co_ci_u32_e64 v3, null, 0, v3, vcc_lo
	flat_load_dword v2, v[2:3] offset:16
	s_waitcnt vmcnt(0) lgkmcnt(0)
	v_mul_f32_e32 v73, s24, v2
.LBB3_23:
	v_lshlrev_b32_e32 v2, 4, v67
	v_lshl_or_b32 v75, v9, 4, v68
	v_lshlrev_b32_e32 v76, 4, v0
	s_load_dwordx2 s[10:11], s[10:11], 0x0
	s_load_dword s21, s[4:5], 0x8
	v_lshlrev_b32_e32 v77, 4, v1
	v_lshl_add_u32 v78, v66, 2, v2
	ds_write2st64_b32 v78, v5, v4 offset1:4
	ds_write2st64_b32 v78, v6, v8 offset0:8 offset1:12
	ds_write_b32 v75, v7 offset:8192
	s_waitcnt lgkmcnt(0)
	s_barrier
	buffer_gl0_inv
	ds_read_b128 v[34:37], v76
	ds_read_b128 v[30:33], v76 offset:512
	ds_read_b128 v[26:29], v76 offset:1024
	;; [unrolled: 1-line block ×15, first 2 shown]
	ds_write2st64_b32 v78, v71, v70 offset0:16 offset1:20
	ds_write2st64_b32 v78, v72, v74 offset0:24 offset1:28
	ds_write_b32 v75, v73 offset:9216
	s_waitcnt lgkmcnt(0)
	s_barrier
	buffer_gl0_inv
	s_cmp_lt_i32 s21, 9
	v_add_f32_e32 v79, v35, v63
	v_add_f32_e32 v80, v34, v62
	;; [unrolled: 1-line block ×3, first 2 shown]
	v_min3_f32 v79, v80, v79, 0x7f7fffff
	v_add_f32_e32 v80, v31, v63
	v_add_f32_e32 v122, v6, v38
	v_min3_f32 v115, v81, v80, 0x7f7fffff
	v_add_f32_e32 v80, v27, v63
	v_add_f32_e32 v81, v26, v62
	v_min3_f32 v116, v81, v80, 0x7f7fffff
	v_add_f32_e32 v80, v19, v63
	v_add_f32_e32 v81, v18, v62
	v_min3_f32 v117, v81, v80, 0x7f7fffff
	v_add_f32_e32 v80, v15, v63
	v_add_f32_e32 v81, v14, v62
	v_min3_f32 v118, v81, v80, 0x7f7fffff
	v_add_f32_e32 v80, v11, v63
	v_add_f32_e32 v81, v10, v62
	v_min3_f32 v119, v81, v80, 0x7f7fffff
	v_add_f32_e32 v80, v7, v63
	v_add_f32_e32 v81, v6, v62
	v_add_f32_e32 v63, v3, v63
	v_add_f32_e32 v62, v2, v62
	v_min3_f32 v120, v81, v80, 0x7f7fffff
	v_min3_f32 v121, v62, v63, 0x7f7fffff
	v_add_f32_e32 v62, v35, v59
	v_add_f32_e32 v63, v34, v58
	v_min3_f32 v114, v63, v62, 0x7f7fffff
	v_add_f32_e32 v62, v31, v59
	v_add_f32_e32 v63, v30, v58
	v_min3_f32 v113, v63, v62, 0x7f7fffff
	v_add_f32_e32 v62, v27, v59
	v_add_f32_e32 v63, v26, v58
	v_min3_f32 v112, v63, v62, 0x7f7fffff
	v_add_f32_e32 v62, v19, v59
	v_add_f32_e32 v63, v18, v58
	v_min3_f32 v111, v63, v62, 0x7f7fffff
	v_add_f32_e32 v62, v15, v59
	v_add_f32_e32 v63, v14, v58
	v_min3_f32 v110, v63, v62, 0x7f7fffff
	v_add_f32_e32 v62, v11, v59
	v_add_f32_e32 v63, v10, v58
	v_min3_f32 v109, v63, v62, 0x7f7fffff
	v_add_f32_e32 v62, v7, v59
	v_add_f32_e32 v63, v6, v58
	v_add_f32_e32 v59, v3, v59
	v_add_f32_e32 v58, v2, v58
	v_min3_f32 v108, v63, v62, 0x7f7fffff
	v_min3_f32 v107, v58, v59, 0x7f7fffff
	v_add_f32_e32 v58, v35, v55
	v_add_f32_e32 v59, v34, v54
	;; [unrolled: 24-line block ×5, first 2 shown]
	v_min3_f32 v82, v47, v46, 0x7f7fffff
	v_add_f32_e32 v46, v31, v43
	v_add_f32_e32 v47, v30, v42
	v_min3_f32 v81, v47, v46, 0x7f7fffff
	v_add_f32_e32 v46, v27, v43
	v_add_f32_e32 v47, v26, v42
	;; [unrolled: 3-line block ×6, first 2 shown]
	v_add_f32_e32 v43, v3, v43
	v_add_f32_e32 v42, v2, v42
	;; [unrolled: 1-line block ×3, first 2 shown]
	v_min3_f32 v58, v47, v46, 0x7f7fffff
	v_min3_f32 v55, v42, v43, 0x7f7fffff
	v_add_f32_e32 v42, v35, v39
	v_add_f32_e32 v43, v34, v38
	;; [unrolled: 1-line block ×4, first 2 shown]
	v_min3_f32 v54, v43, v42, 0x7f7fffff
	v_add_f32_e32 v42, v31, v39
	v_add_f32_e32 v43, v30, v38
	v_min3_f32 v34, v34, v35, 0x7f7fffff
	v_add_f32_e32 v31, v31, v23
	v_add_f32_e32 v30, v30, v22
	;; [unrolled: 3-line block ×9, first 2 shown]
	v_add_f32_e32 v38, v2, v38
	v_add_f32_e32 v2, v2, v22
	v_min3_f32 v14, v14, v15, 0x7f7fffff
	v_add_f32_e32 v11, v11, v23
	v_min3_f32 v43, v43, v42, 0x7f7fffff
	v_add_f32_e32 v42, v7, v39
	v_add_f32_e32 v39, v3, v39
	;; [unrolled: 1-line block ×5, first 2 shown]
	v_min3_f32 v42, v122, v42, 0x7f7fffff
	v_min3_f32 v38, v38, v39, 0x7f7fffff
	;; [unrolled: 1-line block ×4, first 2 shown]
	v_add_f32_e32 v3, v37, v65
	v_add_f32_e32 v7, v36, v64
	v_min3_f32 v10, v10, v11, 0x7f7fffff
	v_min3_f32 v143, v7, v3, v79
	v_add_f32_e32 v3, v33, v65
	v_add_f32_e32 v7, v32, v64
	v_min3_f32 v140, v7, v3, v115
	v_add_f32_e32 v3, v29, v65
	v_add_f32_e32 v7, v28, v64
	;; [unrolled: 3-line block ×55, first 2 shown]
	v_add_f32_e32 v4, v4, v24
	v_min3_f32 v87, v7, v3, v38
	v_add_f32_e32 v3, v37, v25
	v_add_f32_e32 v7, v36, v24
	v_min3_f32 v88, v7, v3, v34
	v_add_f32_e32 v3, v33, v25
	;; [unrolled: 3-line block ×8, first 2 shown]
	v_min3_f32 v84, v4, v3, v2
	s_cbranch_scc1 .LBB3_46
; %bb.24:
	v_mad_i64_i32 v[2:3], null, s20, v69, 0
	v_lshl_or_b32 v4, s6, 8, v67
	s_lshl_b32 s6, s7, 8
	v_add_nc_u32_e32 v5, 12, v66
	v_add_nc_u32_e32 v6, 8, v66
	;; [unrolled: 1-line block ×3, first 2 shown]
	v_subrev_nc_u32_e32 v4, s6, v4
	v_lshlrev_b64 v[2:3], 2, v[2:3]
	v_add_nc_u32_e32 v146, 0x2400, v75
	v_mad_i64_i32 v[6:7], null, v6, s12, 0
	v_or_b32_e32 v144, 0x2000, v77
	v_or_b32_e32 v145, 0x1000, v78
	v_add_co_u32 v8, vcc_lo, v2, v68
	v_add_co_ci_u32_e64 v9, null, 0, v3, vcc_lo
	v_mad_i64_i32 v[2:3], null, v5, s12, 0
	v_ashrrev_i32_e32 v5, 31, v4
	v_add_co_u32 v8, vcc_lo, s16, v8
	v_add_co_ci_u32_e64 v9, null, s17, v9, vcc_lo
	v_lshlrev_b64 v[4:5], 2, v[4:5]
	v_add_co_u32 v70, vcc_lo, v8, 32
	v_add_co_ci_u32_e64 v71, null, 0, v9, vcc_lo
	v_lshlrev_b64 v[72:73], 2, v[2:3]
	v_add_co_u32 v149, vcc_lo, s14, v4
	v_lshlrev_b64 v[74:75], 2, v[6:7]
	v_lshl_or_b32 v147, v0, 4, 0x1000
	v_lshl_add_u32 v148, v1, 4, 0x2400
	v_add_co_ci_u32_e64 v150, null, s15, v5, vcc_lo
	s_add_i32 s20, s21, -8
	s_lshl_b64 s[6:7], s[12:13], 5
	s_mov_b32 s12, 0
	s_mov_b32 s13, 0
	s_branch .LBB3_26
.LBB3_25:                               ;   in Loop: Header=BB3_26 Depth=1
	v_add_f32_e32 v3, v39, v67
	v_add_f32_e32 v4, v38, v66
	;; [unrolled: 1-line block ×6, first 2 shown]
	v_min3_f32 v143, v4, v3, v143
	v_add_f32_e32 v3, v27, v67
	v_min3_f32 v155, v155, v5, v140
	v_add_f32_e32 v4, v26, v66
	;; [unrolled: 2-line block ×3, first 2 shown]
	v_add_f32_e32 v140, v22, v66
	v_add_f32_e32 v157, v19, v67
	;; [unrolled: 1-line block ×7, first 2 shown]
	v_min3_f32 v161, v4, v3, v79
	v_min3_f32 v141, v140, v5, v142
	v_add_f32_e32 v3, v39, v63
	v_add_f32_e32 v4, v38, v62
	v_min3_f32 v140, v66, v67, v135
	v_add_f32_e32 v5, v35, v63
	v_add_f32_e32 v66, v34, v62
	v_min3_f32 v137, v158, v157, v137
	v_min3_f32 v138, v160, v159, v138
	v_add_f32_e32 v67, v31, v63
	v_add_f32_e32 v79, v30, v62
	v_add_f32_e32 v142, v27, v63
	v_add_f32_e32 v157, v26, v62
	v_add_f32_e32 v158, v23, v63
	v_add_f32_e32 v159, v22, v62
	v_min3_f32 v136, v4, v3, v136
	v_min3_f32 v135, v66, v5, v133
	v_add_f32_e32 v3, v19, v63
	v_add_f32_e32 v4, v18, v62
	v_add_f32_e32 v5, v15, v63
	v_add_f32_e32 v66, v14, v62
	;; [unrolled: 8-line block ×3, first 2 shown]
	v_min3_f32 v134, v4, v3, v128
	v_min3_f32 v128, v66, v5, v130
	;; [unrolled: 1-line block ×3, first 2 shown]
	v_add_f32_e32 v3, v31, v59
	v_add_f32_e32 v4, v30, v58
	v_add_f32_e32 v5, v27, v59
	v_add_f32_e32 v62, v26, v58
	v_min3_f32 v129, v79, v67, v129
	v_min3_f32 v126, v157, v142, v126
	v_add_f32_e32 v63, v23, v59
	v_add_f32_e32 v66, v22, v58
	v_add_f32_e32 v67, v19, v59
	v_add_f32_e32 v79, v18, v58
	v_add_f32_e32 v142, v15, v59
	v_add_f32_e32 v157, v14, v58
	v_min3_f32 v130, v4, v3, v125
	v_min3_f32 v123, v62, v5, v123
	v_add_f32_e32 v3, v7, v59
	v_add_f32_e32 v4, v6, v58
	;; [unrolled: 8-line block ×3, first 2 shown]
	v_add_f32_e32 v67, v27, v55
	v_add_f32_e32 v79, v26, v54
	v_min3_f32 v125, v4, v3, v119
	v_min3_f32 v119, v58, v5, v120
	;; [unrolled: 1-line block ×3, first 2 shown]
	v_add_f32_e32 v3, v23, v55
	v_add_f32_e32 v4, v22, v54
	;; [unrolled: 1-line block ×8, first 2 shown]
	v_min3_f32 v118, v66, v63, v118
	v_add_f32_e32 v63, v39, v51
	v_add_f32_e32 v66, v38, v50
	v_min3_f32 v115, v4, v3, v115
	v_min3_f32 v113, v58, v5, v113
	;; [unrolled: 1-line block ×4, first 2 shown]
	v_add_f32_e32 v3, v35, v51
	v_add_f32_e32 v4, v34, v50
	v_add_f32_e32 v5, v31, v51
	v_add_f32_e32 v54, v30, v50
	v_add_f32_e32 v55, v27, v51
	v_add_f32_e32 v58, v26, v50
	v_add_f32_e32 v59, v23, v51
	v_add_f32_e32 v62, v22, v50
	v_min3_f32 v116, v79, v67, v116
	v_min3_f32 v112, v66, v63, v112
	v_add_f32_e32 v63, v19, v51
	v_add_f32_e32 v66, v18, v50
	v_min3_f32 v109, v4, v3, v109
	v_min3_f32 v79, v54, v5, v110
	;; [unrolled: 1-line block ×4, first 2 shown]
	v_add_f32_e32 v3, v15, v51
	v_add_f32_e32 v4, v14, v50
	;; [unrolled: 1-line block ×10, first 2 shown]
	v_min3_f32 v106, v66, v63, v106
	v_min3_f32 v105, v4, v3, v105
	;; [unrolled: 1-line block ×6, first 2 shown]
	v_add_f32_e32 v3, v27, v47
	v_add_f32_e32 v4, v26, v46
	;; [unrolled: 1-line block ×10, first 2 shown]
	v_min3_f32 v99, v4, v3, v99
	v_min3_f32 v54, v50, v5, v100
	;; [unrolled: 1-line block ×5, first 2 shown]
	v_add_f32_e32 v3, v39, v43
	v_add_f32_e32 v4, v38, v42
	;; [unrolled: 1-line block ×10, first 2 shown]
	v_min3_f32 v95, v4, v3, v96
	v_min3_f32 v46, v46, v5, v93
	;; [unrolled: 1-line block ×4, first 2 shown]
	v_add_f32_e32 v3, v19, v43
	v_add_f32_e32 v4, v18, v42
	;; [unrolled: 1-line block ×6, first 2 shown]
	v_min3_f32 v51, v100, v98, v92
	v_add_f32_e32 v92, v35, v11
	v_min3_f32 v35, v4, v3, v89
	v_min3_f32 v3, v91, v5, v90
	;; [unrolled: 1-line block ×3, first 2 shown]
	v_add_f32_e32 v31, v31, v11
	v_add_f32_e32 v30, v30, v10
	;; [unrolled: 1-line block ×13, first 2 shown]
	v_min3_f32 v14, v30, v31, v85
	v_min3_f32 v22, v26, v27, v82
	v_min3_f32 v23, v38, v23, v83
	v_min3_f32 v26, v18, v19, v80
	v_min3_f32 v27, v39, v15, v81
	v_add_f32_e32 v7, v7, v11
	v_add_f32_e32 v6, v6, v10
	;; [unrolled: 1-line block ×10, first 2 shown]
	v_min3_f32 v4, v42, v43, v87
	v_min3_f32 v7, v6, v7, v84
	v_min3_f32 v11, v11, v10, v143
	v_min3_f32 v80, v18, v15, v155
	v_min3_f32 v81, v30, v19, v156
	v_min3_f32 v82, v38, v31, v161
	v_add_f32_e32 v6, v25, v69
	v_add_f32_e32 v10, v24, v68
	;; [unrolled: 1-line block ×10, first 2 shown]
	v_min3_f32 v132, v159, v158, v132
	v_min3_f32 v34, v34, v92, v86
	;; [unrolled: 1-line block ×7, first 2 shown]
	v_add_f32_e32 v6, v37, v65
	v_add_f32_e32 v10, v36, v64
	;; [unrolled: 1-line block ×10, first 2 shown]
	v_min3_f32 v87, v10, v6, v135
	v_min3_f32 v88, v18, v15, v133
	v_min3_f32 v89, v30, v19, v131
	v_min3_f32 v90, v38, v31, v132
	v_min3_f32 v91, v42, v39, v134
	v_add_f32_e32 v6, v17, v65
	v_add_f32_e32 v10, v16, v64
	;; [unrolled: 1-line block ×10, first 2 shown]
	v_min3_f32 v122, v157, v142, v122
	v_min3_f32 v92, v10, v6, v128
	;; [unrolled: 1-line block ×6, first 2 shown]
	v_add_f32_e32 v6, v29, v61
	v_add_f32_e32 v10, v28, v60
	v_add_f32_e32 v15, v25, v61
	v_add_f32_e32 v18, v24, v60
	v_add_f32_e32 v19, v21, v61
	v_add_f32_e32 v30, v20, v60
	v_add_f32_e32 v31, v17, v61
	v_add_f32_e32 v38, v16, v60
	v_add_f32_e32 v39, v9, v61
	v_add_f32_e32 v42, v8, v60
	v_min3_f32 v98, v10, v6, v123
	v_min3_f32 v100, v18, v15, v124
	v_min3_f32 v101, v30, v19, v121
	v_min3_f32 v102, v38, v31, v122
	v_min3_f32 v103, v42, v39, v125
	v_add_f32_e32 v6, v41, v57
	v_add_f32_e32 v10, v40, v56
	v_add_f32_e32 v15, v37, v57
	v_add_f32_e32 v18, v36, v56
	v_add_f32_e32 v19, v33, v57
	v_add_f32_e32 v30, v32, v56
	v_add_f32_e32 v31, v29, v57
	v_add_f32_e32 v38, v28, v56
	v_add_f32_e32 v39, v25, v57
	v_add_f32_e32 v42, v24, v56
	v_min3_f32 v104, v10, v6, v119
	v_min3_f32 v110, v18, v15, v117
	v_min3_f32 v117, v30, v19, v118
	v_min3_f32 v116, v38, v31, v116
	v_min3_f32 v115, v42, v39, v115
	;; [unrolled: 15-line block ×8, first 2 shown]
	v_add_f32_e32 v10, v29, v13
	v_add_f32_e32 v25, v25, v13
	;; [unrolled: 1-line block ×6, first 2 shown]
	ds_read_b128 v[3:6], v76
	ds_read_b128 v[61:64], v144
	v_add_f32_e32 v9, v9, v13
	ds_read_b128 v[13:16], v76 offset:512
	ds_read_b128 v[17:20], v76 offset:1024
	v_add_f32_e32 v28, v28, v12
	v_add_f32_e32 v24, v24, v12
	;; [unrolled: 1-line block ×3, first 2 shown]
	v_min3_f32 v137, v29, v21, v26
	v_min3_f32 v138, v31, v30, v27
	;; [unrolled: 1-line block ×5, first 2 shown]
	ds_read_b128 v[33:36], v76 offset:1536
	ds_read_b128 v[29:32], v76 offset:2048
	;; [unrolled: 1-line block ×12, first 2 shown]
	v_add_co_u32 v70, vcc_lo, v70, 32
	v_add_co_ci_u32_e64 v71, null, 0, v71, vcc_lo
	v_add_co_u32 v149, vcc_lo, v149, s6
	s_waitcnt lgkmcnt(14)
	v_add_f32_e32 v141, v4, v62
	v_add_f32_e32 v142, v3, v61
	s_waitcnt lgkmcnt(13)
	v_add_f32_e32 v143, v14, v62
	v_add_f32_e32 v155, v13, v61
	;; [unrolled: 3-line block ×3, first 2 shown]
	v_min3_f32 v11, v142, v141, v11
	s_waitcnt lgkmcnt(11)
	v_add_f32_e32 v141, v34, v62
	v_min3_f32 v80, v155, v143, v80
	v_add_f32_e32 v142, v33, v61
	v_min3_f32 v81, v157, v156, v81
	s_waitcnt lgkmcnt(10)
	v_add_f32_e32 v143, v30, v62
	v_add_f32_e32 v155, v29, v61
	s_waitcnt lgkmcnt(9)
	v_add_f32_e32 v156, v26, v62
	v_add_f32_e32 v157, v25, v61
	;; [unrolled: 3-line block ×4, first 2 shown]
	v_min3_f32 v82, v142, v141, v82
	v_min3_f32 v69, v155, v143, v69
	;; [unrolled: 1-line block ×5, first 2 shown]
	s_waitcnt lgkmcnt(6)
	v_add_f32_e32 v62, v4, v66
	v_add_f32_e32 v85, v3, v65
	;; [unrolled: 1-line block ×10, first 2 shown]
	v_min3_f32 v62, v85, v62, v86
	v_min3_f32 v85, v142, v141, v87
	;; [unrolled: 1-line block ×5, first 2 shown]
	v_add_f32_e32 v89, v26, v66
	v_add_f32_e32 v90, v25, v65
	;; [unrolled: 1-line block ×6, first 2 shown]
	s_waitcnt lgkmcnt(5)
	v_add_f32_e32 v143, v4, v58
	v_add_f32_e32 v155, v3, v57
	;; [unrolled: 1-line block ×4, first 2 shown]
	v_min3_f32 v89, v90, v89, v91
	v_min3_f32 v90, v142, v141, v92
	;; [unrolled: 1-line block ×5, first 2 shown]
	v_add_f32_e32 v92, v18, v58
	v_add_f32_e32 v93, v17, v57
	;; [unrolled: 1-line block ×10, first 2 shown]
	v_min3_f32 v92, v93, v92, v97
	v_min3_f32 v93, v96, v94, v98
	;; [unrolled: 1-line block ×5, first 2 shown]
	v_add_f32_e32 v58, v8, v58
	v_add_f32_e32 v57, v7, v57
	s_waitcnt lgkmcnt(4)
	v_add_f32_e32 v98, v4, v54
	v_add_f32_e32 v100, v3, v53
	;; [unrolled: 1-line block ×8, first 2 shown]
	v_min3_f32 v57, v57, v58, v103
	v_min3_f32 v58, v100, v98, v104
	;; [unrolled: 1-line block ×5, first 2 shown]
	v_add_f32_e32 v102, v30, v54
	v_add_f32_e32 v103, v29, v53
	;; [unrolled: 1-line block ×8, first 2 shown]
	s_waitcnt lgkmcnt(3)
	v_add_f32_e32 v141, v4, v50
	v_add_f32_e32 v142, v3, v49
	v_min3_f32 v102, v103, v102, v115
	v_min3_f32 v103, v110, v104, v113
	;; [unrolled: 1-line block ×5, first 2 shown]
	v_add_f32_e32 v110, v14, v50
	v_add_f32_e32 v111, v13, v49
	;; [unrolled: 1-line block ×10, first 2 shown]
	v_min3_f32 v109, v111, v110, v109
	v_min3_f32 v110, v113, v112, v79
	;; [unrolled: 1-line block ×4, first 2 shown]
	v_add_f32_e32 v79, v22, v50
	v_add_f32_e32 v111, v21, v49
	;; [unrolled: 1-line block ×4, first 2 shown]
	s_waitcnt lgkmcnt(2)
	v_add_f32_e32 v112, v4, v46
	v_add_f32_e32 v113, v3, v45
	;; [unrolled: 1-line block ×6, first 2 shown]
	v_min3_f32 v105, v111, v79, v105
	v_min3_f32 v49, v49, v50, v118
	;; [unrolled: 1-line block ×5, first 2 shown]
	v_add_f32_e32 v79, v34, v46
	v_add_f32_e32 v111, v33, v45
	v_add_f32_e32 v112, v30, v46
	v_add_f32_e32 v113, v29, v45
	v_add_f32_e32 v114, v26, v46
	v_add_f32_e32 v115, v25, v45
	v_add_f32_e32 v116, v22, v46
	v_add_f32_e32 v117, v21, v45
	v_add_f32_e32 v46, v8, v46
	v_add_f32_e32 v45, v7, v45
	v_min3_f32 v99, v111, v79, v99
	v_min3_f32 v157, v113, v112, v122
	s_waitcnt lgkmcnt(1)
	v_add_f32_e32 v79, v3, v41
	v_add_f32_e32 v111, v14, v42
	v_min3_f32 v45, v45, v46, v125
	v_add_f32_e32 v46, v4, v42
	v_add_f32_e32 v112, v13, v41
	s_waitcnt lgkmcnt(0)
	v_add_f32_e32 v4, v4, v38
	v_add_f32_e32 v3, v3, v37
	;; [unrolled: 1-line block ×4, first 2 shown]
	v_min3_f32 v158, v115, v114, v123
	v_add_f32_e32 v113, v18, v42
	v_add_f32_e32 v114, v17, v41
	v_min3_f32 v160, v112, v111, v126
	v_add_f32_e32 v111, v22, v42
	v_add_f32_e32 v112, v21, v41
	v_min3_f32 v3, v3, v4, v133
	v_min3_f32 v4, v13, v14, v134
	v_add_f32_e32 v13, v18, v38
	v_add_f32_e32 v14, v17, v37
	;; [unrolled: 1-line block ×6, first 2 shown]
	v_min3_f32 v159, v117, v116, v124
	v_add_f32_e32 v115, v34, v42
	v_add_f32_e32 v116, v33, v41
	;; [unrolled: 1-line block ×4, first 2 shown]
	v_min3_f32 v46, v79, v46, v95
	v_add_f32_e32 v79, v26, v42
	v_add_f32_e32 v95, v25, v41
	;; [unrolled: 1-line block ×4, first 2 shown]
	v_min3_f32 v12, v18, v17, v12
	v_min3_f32 v18, v21, v22, v138
	v_add_f32_e32 v8, v8, v38
	v_add_f32_e32 v7, v7, v37
	;; [unrolled: 1-line block ×8, first 2 shown]
	v_min3_f32 v7, v7, v8, v140
	v_min3_f32 v143, v22, v21, v11
	v_add_f32_e32 v8, v32, v64
	v_add_f32_e32 v11, v31, v63
	v_min3_f32 v106, v142, v141, v106
	v_min3_f32 v13, v14, v13, v135
	;; [unrolled: 1-line block ×4, first 2 shown]
	v_add_f32_e32 v25, v16, v64
	v_add_f32_e32 v26, v15, v63
	;; [unrolled: 1-line block ×8, first 2 shown]
	v_min3_f32 v142, v11, v8, v69
	v_add_f32_e32 v8, v16, v68
	v_add_f32_e32 v11, v15, v67
	v_min3_f32 v164, v95, v79, v130
	v_min3_f32 v140, v26, v25, v80
	;; [unrolled: 1-line block ×4, first 2 shown]
	v_add_f32_e32 v25, v24, v64
	v_add_f32_e32 v26, v23, v63
	;; [unrolled: 1-line block ×6, first 2 shown]
	v_min3_f32 v137, v22, v21, v83
	v_add_f32_e32 v21, v20, v68
	v_add_f32_e32 v22, v19, v67
	v_min3_f32 v133, v11, v8, v85
	v_add_f32_e32 v8, v24, v68
	v_add_f32_e32 v11, v23, v67
	v_min3_f32 v138, v26, v25, v84
	v_min3_f32 v135, v30, v29, v61
	;; [unrolled: 1-line block ×3, first 2 shown]
	v_add_f32_e32 v25, v36, v68
	v_add_f32_e32 v26, v35, v67
	;; [unrolled: 1-line block ×6, first 2 shown]
	v_min3_f32 v134, v22, v21, v86
	v_add_f32_e32 v21, v10, v68
	v_add_f32_e32 v22, v9, v67
	v_min3_f32 v130, v11, v8, v90
	v_add_f32_e32 v8, v36, v60
	v_add_f32_e32 v11, v35, v59
	v_min3_f32 v161, v114, v113, v127
	v_min3_f32 v162, v116, v115, v128
	;; [unrolled: 1-line block ×7, first 2 shown]
	v_add_f32_e32 v25, v6, v60
	v_add_f32_e32 v26, v5, v59
	v_add_f32_e32 v29, v16, v60
	v_add_f32_e32 v30, v15, v59
	v_add_f32_e32 v33, v20, v60
	v_add_f32_e32 v34, v19, v59
	v_min3_f32 v127, v22, v21, v65
	v_add_f32_e32 v21, v32, v60
	v_add_f32_e32 v22, v31, v59
	v_min3_f32 v123, v11, v8, v93
	v_add_f32_e32 v8, v6, v56
	v_add_f32_e32 v11, v5, v55
	v_min3_f32 v163, v118, v117, v129
	v_min3_f32 v129, v26, v25, v66
	;; [unrolled: 1-line block ×4, first 2 shown]
	v_add_f32_e32 v25, v28, v60
	v_add_f32_e32 v26, v27, v59
	v_add_f32_e32 v29, v24, v60
	v_add_f32_e32 v30, v23, v59
	v_add_f32_e32 v33, v10, v60
	v_add_f32_e32 v34, v9, v59
	v_min3_f32 v124, v22, v21, v94
	v_add_f32_e32 v21, v16, v56
	v_add_f32_e32 v22, v15, v55
	v_min3_f32 v120, v11, v8, v58
	v_add_f32_e32 v8, v28, v56
	v_add_f32_e32 v11, v27, v55
	v_min3_f32 v121, v26, v25, v96
	v_min3_f32 v122, v30, v29, v97
	v_min3_f32 v119, v34, v33, v57
	v_add_f32_e32 v25, v20, v56
	v_add_f32_e32 v26, v19, v55
	v_add_f32_e32 v29, v36, v56
	v_add_f32_e32 v30, v35, v55
	v_add_f32_e32 v33, v32, v56
	v_add_f32_e32 v34, v31, v55
	v_min3_f32 v117, v22, v21, v98
	v_add_f32_e32 v21, v24, v56
	v_add_f32_e32 v22, v23, v55
	v_min3_f32 v113, v11, v8, v103
	v_add_f32_e32 v8, v20, v52
	v_add_f32_e32 v11, v19, v51
	v_min3_f32 v118, v26, v25, v100
	v_min3_f32 v116, v30, v29, v101
	v_min3_f32 v115, v34, v33, v102
	;; [unrolled: 15-line block ×5, first 2 shown]
	v_add_f32_e32 v25, v24, v48
	v_add_f32_e32 v26, v23, v47
	;; [unrolled: 1-line block ×6, first 2 shown]
	v_min3_f32 v97, v22, v21, v158
	v_add_f32_e32 v21, v20, v44
	v_add_f32_e32 v22, v19, v43
	v_min3_f32 v93, v11, v8, v160
	v_add_f32_e32 v8, v24, v44
	v_add_f32_e32 v11, v23, v43
	;; [unrolled: 1-line block ×8, first 2 shown]
	v_min3_f32 v98, v26, v25, v159
	v_min3_f32 v95, v30, v29, v45
	;; [unrolled: 1-line block ×3, first 2 shown]
	v_add_f32_e32 v25, v36, v44
	v_add_f32_e32 v26, v35, v43
	;; [unrolled: 1-line block ×6, first 2 shown]
	v_min3_f32 v94, v22, v21, v161
	v_add_f32_e32 v21, v10, v44
	v_add_f32_e32 v22, v9, v43
	v_min3_f32 v90, v11, v8, v165
	v_min3_f32 v88, v5, v6, v3
	;; [unrolled: 1-line block ×4, first 2 shown]
	v_add_f32_e32 v3, v36, v40
	v_add_f32_e32 v4, v35, v39
	;; [unrolled: 1-line block ×10, first 2 shown]
	v_min3_f32 v91, v26, v25, v162
	v_min3_f32 v92, v30, v29, v163
	;; [unrolled: 1-line block ×9, first 2 shown]
	v_add_co_ci_u32_e64 v150, null, s7, v150, vcc_lo
	s_add_i32 s13, s13, 8
	ds_write2st64_b32 v145, v2, v151 offset1:4
	ds_write2st64_b32 v145, v152, v154 offset0:8 offset1:12
	ds_write_b32 v146, v153
	s_cmp_ge_i32 s13, s20
	s_waitcnt lgkmcnt(0)
	s_barrier
	buffer_gl0_inv
	s_cbranch_scc1 .LBB3_46
.LBB3_26:                               ; =>This Inner Loop Header: Depth=1
	s_mov_b32 s14, -1
	s_mov_b32 vcc_lo, s1
                                        ; implicit-def: $vgpr2_vgpr3_vgpr4_vgpr5
	s_cbranch_vccnz .LBB3_37
; %bb.27:                               ;   in Loop: Header=BB3_26 Depth=1
	v_mov_b32_e32 v3, 0
	s_andn2_b32 vcc_lo, exec_lo, s14
	s_cbranch_vccz .LBB3_38
.LBB3_28:                               ;   in Loop: Header=BB3_26 Depth=1
	s_mov_b32 s14, -1
	s_mov_b32 vcc_lo, s1
                                        ; implicit-def: $vgpr4
	s_cbranch_vccnz .LBB3_39
.LBB3_29:                               ;   in Loop: Header=BB3_26 Depth=1
	v_mov_b32_e32 v5, 0
	v_mov_b32_e32 v151, 0
	s_andn2_b32 vcc_lo, exec_lo, s14
	s_cbranch_vccz .LBB3_40
.LBB3_30:                               ;   in Loop: Header=BB3_26 Depth=1
	s_and_b32 vcc_lo, exec_lo, s2
	s_cbranch_vccnz .LBB3_32
.LBB3_31:                               ;   in Loop: Header=BB3_26 Depth=1
	flat_load_dword v5, v[70:71]
	s_waitcnt vmcnt(0) lgkmcnt(0)
	v_mul_f32_e32 v5, s24, v5
.LBB3_32:                               ;   in Loop: Header=BB3_26 Depth=1
	ds_read_b128 v[38:41], v147
	ds_read_b128 v[34:37], v147 offset:512
	ds_read_b128 v[30:33], v147 offset:1024
	;; [unrolled: 1-line block ×7, first 2 shown]
	ds_read_b128 v[66:69], v148
	ds_read_b128 v[62:65], v148 offset:128
	ds_read_b128 v[58:61], v148 offset:256
	;; [unrolled: 1-line block ×7, first 2 shown]
	s_mov_b32 s14, -1
	s_mov_b32 vcc_lo, s1
	ds_write2st64_b32 v78, v2, v3 offset1:4
	ds_write2st64_b32 v78, v4, v151 offset0:8 offset1:12
	ds_write_b32 v139, v5
	s_waitcnt lgkmcnt(0)
	s_barrier
	buffer_gl0_inv
                                        ; implicit-def: $vgpr2_vgpr3_vgpr4_vgpr5
	s_cbranch_vccnz .LBB3_41
; %bb.33:                               ;   in Loop: Header=BB3_26 Depth=1
	v_mov_b32_e32 v151, 0
	s_andn2_b32 vcc_lo, exec_lo, s14
	s_cbranch_vccz .LBB3_42
.LBB3_34:                               ;   in Loop: Header=BB3_26 Depth=1
	s_mov_b32 s14, -1
	s_mov_b32 vcc_lo, s1
                                        ; implicit-def: $vgpr152
	s_cbranch_vccnz .LBB3_43
.LBB3_35:                               ;   in Loop: Header=BB3_26 Depth=1
	v_mov_b32_e32 v153, 0
	v_mov_b32_e32 v154, 0
	s_andn2_b32 vcc_lo, exec_lo, s14
	s_cbranch_vccz .LBB3_44
.LBB3_36:                               ;   in Loop: Header=BB3_26 Depth=1
	s_and_b32 vcc_lo, exec_lo, s2
	s_cbranch_vccz .LBB3_45
	s_branch .LBB3_25
.LBB3_37:                               ;   in Loop: Header=BB3_26 Depth=1
	v_mov_b32_e32 v2, s12
	v_mov_b32_e32 v3, 0
	s_cbranch_execnz .LBB3_28
.LBB3_38:                               ;   in Loop: Header=BB3_26 Depth=1
	v_add_co_u32 v2, vcc_lo, v149, v74
	v_add_co_ci_u32_e64 v3, null, v150, v75, vcc_lo
	s_clause 0x1
	flat_load_dword v4, v[2:3]
	flat_load_dword v3, v[2:3] offset:256
	s_waitcnt vmcnt(1) lgkmcnt(1)
	v_mul_f32_e32 v2, s24, v4
	s_waitcnt vmcnt(0) lgkmcnt(0)
	v_mul_f32_e32 v3, s24, v3
	s_mov_b32 s14, -1
	s_mov_b32 vcc_lo, s1
                                        ; implicit-def: $vgpr4
	s_cbranch_vccz .LBB3_29
.LBB3_39:                               ;   in Loop: Header=BB3_26 Depth=1
	v_mov_b32_e32 v4, s12
	v_mov_b32_e32 v5, 0
	;; [unrolled: 1-line block ×3, first 2 shown]
	s_cbranch_execnz .LBB3_30
.LBB3_40:                               ;   in Loop: Header=BB3_26 Depth=1
	v_add_co_u32 v6, vcc_lo, v149, v74
	v_add_co_ci_u32_e64 v7, null, v150, v75, vcc_lo
	s_clause 0x1
	flat_load_dword v4, v[6:7] offset:512
	flat_load_dword v6, v[6:7] offset:768
	s_waitcnt vmcnt(1) lgkmcnt(1)
	v_mul_f32_e32 v4, s24, v4
	s_waitcnt vmcnt(0) lgkmcnt(0)
	v_mul_f32_e32 v151, s24, v6
	s_and_b32 vcc_lo, exec_lo, s2
	s_cbranch_vccz .LBB3_31
	s_branch .LBB3_32
.LBB3_41:                               ;   in Loop: Header=BB3_26 Depth=1
	v_mov_b32_e32 v2, s12
	v_mov_b32_e32 v151, 0
	s_cbranch_execnz .LBB3_34
.LBB3_42:                               ;   in Loop: Header=BB3_26 Depth=1
	v_add_co_u32 v2, vcc_lo, v149, v72
	v_add_co_ci_u32_e64 v3, null, v150, v73, vcc_lo
	s_clause 0x1
	flat_load_dword v4, v[2:3]
	flat_load_dword v3, v[2:3] offset:256
	s_waitcnt vmcnt(1) lgkmcnt(1)
	v_mul_f32_e32 v2, s24, v4
	s_waitcnt vmcnt(0) lgkmcnt(0)
	v_mul_f32_e32 v151, s24, v3
	s_mov_b32 s14, -1
	s_mov_b32 vcc_lo, s1
                                        ; implicit-def: $vgpr152
	s_cbranch_vccz .LBB3_35
.LBB3_43:                               ;   in Loop: Header=BB3_26 Depth=1
	v_mov_b32_e32 v152, s12
	v_mov_b32_e32 v153, 0
	;; [unrolled: 1-line block ×3, first 2 shown]
	s_cbranch_execnz .LBB3_36
.LBB3_44:                               ;   in Loop: Header=BB3_26 Depth=1
	v_add_co_u32 v3, vcc_lo, v149, v72
	v_add_co_ci_u32_e64 v4, null, v150, v73, vcc_lo
	s_clause 0x1
	flat_load_dword v5, v[3:4] offset:512
	flat_load_dword v3, v[3:4] offset:768
	s_waitcnt vmcnt(1) lgkmcnt(1)
	v_mul_f32_e32 v152, s24, v5
	s_waitcnt vmcnt(0) lgkmcnt(0)
	v_mul_f32_e32 v154, s24, v3
	s_and_b32 vcc_lo, exec_lo, s2
	s_cbranch_vccnz .LBB3_25
.LBB3_45:                               ;   in Loop: Header=BB3_26 Depth=1
	flat_load_dword v3, v[70:71] offset:16
	s_waitcnt vmcnt(0) lgkmcnt(0)
	v_mul_f32_e32 v153, s24, v3
	s_branch .LBB3_25
.LBB3_46:
	ds_read_b128 v[34:37], v76 offset:4096
	ds_read_b128 v[62:65], v77 offset:9216
	s_clause 0x2
	s_load_dwordx2 s[6:7], s[4:5], 0x78
	s_load_dword s1, s[4:5], 0x58
	s_load_dword s2, s[4:5], 0x70
	ds_read_b128 v[30:33], v76 offset:4608
	ds_read_b128 v[26:29], v76 offset:5120
	;; [unrolled: 1-line block ×12, first 2 shown]
	v_add_nc_u32_e32 v139, s19, v1
	v_add_nc_u32_e32 v76, s18, v0
	s_waitcnt lgkmcnt(0)
	s_lshl_b64 s[4:5], s[6:7], 2
	v_add_f32_e32 v0, v35, v63
	v_add_f32_e32 v6, v34, v62
	v_mad_i64_i32 v[66:67], null, v139, s2, 0
	v_mad_i64_i32 v[68:69], null, v139, s1, 0
	v_min3_f32 v1, v6, v0, v143
	ds_read_b128 v[38:41], v77 offset:9984
	ds_read_b128 v[6:9], v77 offset:10112
	v_add_f32_e32 v70, v37, v65
	v_add_f32_e32 v71, v36, v64
	v_lshlrev_b64 v[66:67], 2, v[66:67]
	s_add_u32 s4, s10, s4
	v_lshlrev_b64 v[68:69], 2, v[68:69]
	v_ashrrev_i32_e32 v77, 31, v76
	v_add_nc_u32_e32 v0, 32, v76
	v_min3_f32 v70, v71, v70, v1
	s_addc_u32 s5, s11, s5
	v_add_co_u32 v143, vcc_lo, s4, v66
	v_add_co_ci_u32_e64 v144, null, s5, v67, vcc_lo
	v_add_co_u32 v145, vcc_lo, s8, v68
	v_lshlrev_b64 v[66:67], 2, v[76:77]
	v_ashrrev_i32_e32 v1, 31, v0
	v_add_co_ci_u32_e64 v146, null, s9, v69, vcc_lo
	v_max_f32_e32 v68, v70, v70
	s_mov_b32 s6, -1
	s_mov_b32 vcc_lo, s0
	s_cbranch_vccz .LBB3_48
; %bb.47:
	v_add_co_u32 v69, vcc_lo, v143, v66
	v_min_f32_e32 v71, 0, v68
	v_add_co_ci_u32_e64 v70, null, v144, v67, vcc_lo
	s_mov_b32 s6, 0
	flat_store_dword v[69:70], v71
.LBB3_48:
	v_lshlrev_b64 v[0:1], 2, v[0:1]
	v_mov_b32_e32 v69, 0
	s_andn2_b32 vcc_lo, exec_lo, s6
	s_cbranch_vccnz .LBB3_50
; %bb.49:
	v_add_co_u32 v69, vcc_lo, v145, v66
	v_add_co_ci_u32_e64 v70, null, v146, v67, vcc_lo
	flat_load_dword v69, v[69:70]
	s_waitcnt vmcnt(0) lgkmcnt(0)
	v_mul_f32_e32 v71, s3, v69
	v_add_co_u32 v69, vcc_lo, v143, v66
	v_add_co_ci_u32_e64 v70, null, v144, v67, vcc_lo
	v_min_f32_e32 v68, v71, v68
	v_add_co_u32 v71, vcc_lo, v145, v0
	v_add_co_ci_u32_e64 v72, null, v146, v1, vcc_lo
	flat_store_dword v[69:70], v68
	flat_load_dword v68, v[71:72]
	s_waitcnt vmcnt(0) lgkmcnt(0)
	v_mul_f32_e32 v69, s3, v68
.LBB3_50:
	v_add_f32_e32 v68, v31, v63
	v_add_f32_e32 v70, v30, v62
	;; [unrolled: 1-line block ×6, first 2 shown]
	v_min3_f32 v75, v70, v68, v140
	v_add_nc_u32_e32 v70, 64, v76
	v_min3_f32 v77, v72, v71, v141
	v_add_f32_e32 v78, v28, v64
	v_min_f32_e32 v71, v74, v73
	v_add_f32_e32 v74, v29, v65
	v_add_co_u32 v72, vcc_lo, v143, v0
	v_add_nc_u32_e32 v68, 0x60, v76
	v_min3_f32 v75, v69, v71, v75
	v_ashrrev_i32_e32 v71, 31, v70
	v_add_co_ci_u32_e64 v73, null, v144, v1, vcc_lo
	v_min3_f32 v74, v78, v74, v77
	v_ashrrev_i32_e32 v69, 31, v68
	v_lshlrev_b64 v[70:71], 2, v[70:71]
	flat_store_dword v[72:73], v75
	s_mov_b32 s6, -1
	v_max_f32_e32 v72, v74, v74
	s_mov_b32 vcc_lo, s0
	s_cbranch_vccz .LBB3_52
; %bb.51:
	v_add_co_u32 v73, vcc_lo, v143, v70
	v_min_f32_e32 v75, 0, v72
	v_add_co_ci_u32_e64 v74, null, v144, v71, vcc_lo
	s_mov_b32 s6, 0
	flat_store_dword v[73:74], v75
.LBB3_52:
	v_lshlrev_b64 v[68:69], 2, v[68:69]
	v_mov_b32_e32 v73, 0
	s_andn2_b32 vcc_lo, exec_lo, s6
	s_cbranch_vccnz .LBB3_54
; %bb.53:
	v_add_co_u32 v73, vcc_lo, v145, v70
	v_add_co_ci_u32_e64 v74, null, v146, v71, vcc_lo
	flat_load_dword v73, v[73:74]
	s_waitcnt vmcnt(0) lgkmcnt(0)
	v_mul_f32_e32 v75, s3, v73
	v_add_co_u32 v73, vcc_lo, v143, v70
	v_add_co_ci_u32_e64 v74, null, v144, v71, vcc_lo
	v_add_co_u32 v77, vcc_lo, v145, v68
	v_min_f32_e32 v72, v75, v72
	v_add_co_ci_u32_e64 v78, null, v146, v69, vcc_lo
	flat_store_dword v[73:74], v72
	flat_load_dword v72, v[77:78]
	s_waitcnt vmcnt(0) lgkmcnt(0)
	v_mul_f32_e32 v73, s3, v72
.LBB3_54:
	v_add_f32_e32 v72, v23, v63
	v_add_f32_e32 v74, v22, v62
	;; [unrolled: 1-line block ×6, first 2 shown]
	v_min3_f32 v79, v74, v72, v79
	v_add_nc_u32_e32 v74, 0x80, v76
	v_min3_f32 v141, v77, v75, v142
	v_add_f32_e32 v142, v20, v64
	v_min_f32_e32 v75, v140, v78
	v_add_f32_e32 v140, v21, v65
	v_add_co_u32 v77, vcc_lo, v143, v68
	v_add_nc_u32_e32 v72, 0xa0, v76
	v_min3_f32 v79, v73, v75, v79
	v_ashrrev_i32_e32 v75, 31, v74
	v_add_co_ci_u32_e64 v78, null, v144, v69, vcc_lo
	v_min3_f32 v140, v142, v140, v141
	v_ashrrev_i32_e32 v73, 31, v72
	v_lshlrev_b64 v[74:75], 2, v[74:75]
	flat_store_dword v[77:78], v79
	s_mov_b32 s6, -1
	v_max_f32_e32 v77, v140, v140
	s_mov_b32 vcc_lo, s0
	s_cbranch_vccz .LBB3_56
; %bb.55:
	v_add_co_u32 v78, vcc_lo, v143, v74
	v_min_f32_e32 v140, 0, v77
	v_add_co_ci_u32_e64 v79, null, v144, v75, vcc_lo
	s_mov_b32 s6, 0
	flat_store_dword v[78:79], v140
.LBB3_56:
	v_lshlrev_b64 v[72:73], 2, v[72:73]
	v_mov_b32_e32 v79, 0
	s_andn2_b32 vcc_lo, exec_lo, s6
	s_cbranch_vccnz .LBB3_58
; %bb.57:
	v_add_co_u32 v78, vcc_lo, v145, v74
	v_add_co_ci_u32_e64 v79, null, v146, v75, vcc_lo
	flat_load_dword v78, v[78:79]
	s_waitcnt vmcnt(0) lgkmcnt(0)
	v_mul_f32_e32 v140, s3, v78
	v_add_co_u32 v78, vcc_lo, v143, v74
	v_add_co_ci_u32_e64 v79, null, v144, v75, vcc_lo
	v_min_f32_e32 v77, v140, v77
	v_add_co_u32 v140, vcc_lo, v145, v72
	v_add_co_ci_u32_e64 v141, null, v146, v73, vcc_lo
	flat_store_dword v[78:79], v77
	flat_load_dword v77, v[140:141]
	s_waitcnt vmcnt(0) lgkmcnt(0)
	v_mul_f32_e32 v79, s3, v77
.LBB3_58:
	v_add_f32_e32 v77, v15, v63
	v_add_f32_e32 v78, v14, v62
	v_add_f32_e32 v140, v11, v63
	v_add_f32_e32 v141, v10, v62
	v_add_f32_e32 v142, v17, v65
	v_add_f32_e32 v147, v16, v64
	v_min3_f32 v77, v78, v77, v137
	v_add_nc_u32_e32 v137, 0xc0, v76
	v_min3_f32 v140, v141, v140, v138
	v_add_f32_e32 v141, v13, v65
	v_min_f32_e32 v138, v147, v142
	v_add_f32_e32 v142, v12, v64
	v_add_nc_u32_e32 v78, 0xe0, v76
	v_add_co_u32 v76, vcc_lo, v143, v72
	v_min3_f32 v147, v79, v138, v77
	v_add_co_ci_u32_e64 v77, null, v144, v73, vcc_lo
	v_ashrrev_i32_e32 v138, 31, v137
	v_min3_f32 v140, v142, v141, v140
	v_ashrrev_i32_e32 v79, 31, v78
	flat_store_dword v[76:77], v147
	s_mov_b32 s6, -1
	v_lshlrev_b64 v[76:77], 2, v[137:138]
	v_max_f32_e32 v137, v140, v140
	s_mov_b32 vcc_lo, s0
	s_cbranch_vccz .LBB3_60
; %bb.59:
	v_add_co_u32 v140, vcc_lo, v143, v76
	v_min_f32_e32 v138, 0, v137
	v_add_co_ci_u32_e64 v141, null, v144, v77, vcc_lo
	s_mov_b32 s6, 0
	flat_store_dword v[140:141], v138
.LBB3_60:
	v_lshlrev_b64 v[78:79], 2, v[78:79]
	v_mov_b32_e32 v138, 0
	s_andn2_b32 vcc_lo, exec_lo, s6
	s_cbranch_vccnz .LBB3_62
; %bb.61:
	v_add_co_u32 v140, vcc_lo, v145, v76
	v_add_co_ci_u32_e64 v141, null, v146, v77, vcc_lo
	flat_load_dword v138, v[140:141]
	v_add_co_u32 v140, vcc_lo, v143, v76
	v_add_co_ci_u32_e64 v141, null, v144, v77, vcc_lo
	s_waitcnt vmcnt(0) lgkmcnt(0)
	v_mul_f32_e32 v138, s3, v138
	v_min_f32_e32 v142, v138, v137
	v_add_co_u32 v137, vcc_lo, v145, v78
	v_add_co_ci_u32_e64 v138, null, v146, v79, vcc_lo
	flat_store_dword v[140:141], v142
	flat_load_dword v137, v[137:138]
	s_waitcnt vmcnt(0) lgkmcnt(0)
	v_mul_f32_e32 v138, s3, v137
.LBB3_62:
	v_add_f32_e32 v63, v3, v63
	v_add_f32_e32 v62, v2, v62
	;; [unrolled: 1-line block ×6, first 2 shown]
	v_min3_f32 v62, v62, v63, v135
	v_add_f32_e32 v141, v36, v60
	v_min_f32_e32 v63, v64, v65
	v_add_nc_u32_e32 v64, 8, v139
	v_min3_f32 v137, v140, v137, v136
	v_add_f32_e32 v140, v37, v61
	v_add_co_u32 v135, vcc_lo, v143, v78
	v_min3_f32 v138, v138, v63, v62
	v_mad_i64_i32 v[62:63], null, v64, s2, 0
	v_mad_i64_i32 v[64:65], null, v64, s1, 0
	v_add_co_ci_u32_e64 v136, null, v144, v79, vcc_lo
	v_min3_f32 v137, v141, v140, v137
	s_mov_b32 s6, -1
	v_lshlrev_b64 v[62:63], 2, v[62:63]
	flat_store_dword v[135:136], v138
	v_lshlrev_b64 v[64:65], 2, v[64:65]
	v_max_f32_e32 v135, v137, v137
	v_add_co_u32 v62, vcc_lo, s4, v62
	v_add_co_ci_u32_e64 v63, null, s5, v63, vcc_lo
	v_add_co_u32 v64, vcc_lo, s8, v64
	v_add_co_ci_u32_e64 v65, null, s9, v65, vcc_lo
	s_mov_b32 vcc_lo, s0
	s_cbranch_vccz .LBB3_64
; %bb.63:
	v_add_co_u32 v136, vcc_lo, v62, v66
	v_min_f32_e32 v138, 0, v135
	v_add_co_ci_u32_e64 v137, null, v63, v67, vcc_lo
	s_mov_b32 s6, 0
	flat_store_dword v[136:137], v138
.LBB3_64:
	v_mov_b32_e32 v136, 0
	s_andn2_b32 vcc_lo, exec_lo, s6
	s_cbranch_vccnz .LBB3_66
; %bb.65:
	v_add_co_u32 v136, vcc_lo, v64, v66
	v_add_co_ci_u32_e64 v137, null, v65, v67, vcc_lo
	flat_load_dword v136, v[136:137]
	s_waitcnt vmcnt(0) lgkmcnt(0)
	v_mul_f32_e32 v138, s3, v136
	v_add_co_u32 v136, vcc_lo, v62, v66
	v_add_co_ci_u32_e64 v137, null, v63, v67, vcc_lo
	v_add_co_u32 v140, vcc_lo, v64, v0
	v_min_f32_e32 v135, v138, v135
	v_add_co_ci_u32_e64 v141, null, v65, v1, vcc_lo
	flat_store_dword v[136:137], v135
	flat_load_dword v135, v[140:141]
	s_waitcnt vmcnt(0) lgkmcnt(0)
	v_mul_f32_e32 v136, s3, v135
.LBB3_66:
	v_add_f32_e32 v135, v31, v59
	v_add_f32_e32 v137, v30, v58
	;; [unrolled: 1-line block ×6, first 2 shown]
	v_min3_f32 v133, v137, v135, v133
	s_mov_b32 s6, -1
	v_min_f32_e32 v135, v140, v138
	v_add_f32_e32 v138, v29, v61
	v_min3_f32 v137, v142, v141, v134
	v_add_f32_e32 v140, v28, v60
	v_min3_f32 v135, v136, v135, v133
	v_add_co_u32 v133, vcc_lo, v62, v0
	v_add_co_ci_u32_e64 v134, null, v63, v1, vcc_lo
	v_min3_f32 v136, v140, v138, v137
	s_mov_b32 vcc_lo, s0
	flat_store_dword v[133:134], v135
	v_max_f32_e32 v133, v136, v136
	s_cbranch_vccz .LBB3_68
; %bb.67:
	v_add_co_u32 v134, vcc_lo, v62, v70
	v_min_f32_e32 v136, 0, v133
	v_add_co_ci_u32_e64 v135, null, v63, v71, vcc_lo
	s_mov_b32 s6, 0
	flat_store_dword v[134:135], v136
.LBB3_68:
	v_mov_b32_e32 v134, 0
	s_andn2_b32 vcc_lo, exec_lo, s6
	s_cbranch_vccnz .LBB3_70
; %bb.69:
	v_add_co_u32 v134, vcc_lo, v64, v70
	v_add_co_ci_u32_e64 v135, null, v65, v71, vcc_lo
	flat_load_dword v134, v[134:135]
	s_waitcnt vmcnt(0) lgkmcnt(0)
	v_mul_f32_e32 v136, s3, v134
	v_add_co_u32 v134, vcc_lo, v62, v70
	v_add_co_ci_u32_e64 v135, null, v63, v71, vcc_lo
	v_min_f32_e32 v133, v136, v133
	v_add_co_u32 v136, vcc_lo, v64, v68
	v_add_co_ci_u32_e64 v137, null, v65, v69, vcc_lo
	flat_store_dword v[134:135], v133
	flat_load_dword v133, v[136:137]
	s_waitcnt vmcnt(0) lgkmcnt(0)
	v_mul_f32_e32 v134, s3, v133
.LBB3_70:
	v_add_f32_e32 v133, v23, v59
	v_add_f32_e32 v135, v22, v58
	;; [unrolled: 1-line block ×6, first 2 shown]
	v_min3_f32 v131, v135, v133, v131
	s_mov_b32 s6, -1
	v_min_f32_e32 v133, v137, v136
	v_add_f32_e32 v136, v21, v61
	v_min3_f32 v135, v140, v138, v132
	v_add_f32_e32 v137, v20, v60
	v_min3_f32 v133, v134, v133, v131
	v_add_co_u32 v131, vcc_lo, v62, v68
	v_add_co_ci_u32_e64 v132, null, v63, v69, vcc_lo
	v_min3_f32 v134, v137, v136, v135
	s_mov_b32 vcc_lo, s0
	flat_store_dword v[131:132], v133
	v_max_f32_e32 v131, v134, v134
	s_cbranch_vccz .LBB3_72
; %bb.71:
	v_add_co_u32 v132, vcc_lo, v62, v74
	v_min_f32_e32 v134, 0, v131
	v_add_co_ci_u32_e64 v133, null, v63, v75, vcc_lo
	s_mov_b32 s6, 0
	flat_store_dword v[132:133], v134
.LBB3_72:
	v_mov_b32_e32 v132, 0
	s_andn2_b32 vcc_lo, exec_lo, s6
	s_cbranch_vccnz .LBB3_74
; %bb.73:
	v_add_co_u32 v132, vcc_lo, v64, v74
	v_add_co_ci_u32_e64 v133, null, v65, v75, vcc_lo
	flat_load_dword v132, v[132:133]
	s_waitcnt vmcnt(0) lgkmcnt(0)
	v_mul_f32_e32 v134, s3, v132
	v_add_co_u32 v132, vcc_lo, v62, v74
	v_add_co_ci_u32_e64 v133, null, v63, v75, vcc_lo
	v_min_f32_e32 v131, v134, v131
	v_add_co_u32 v134, vcc_lo, v64, v72
	v_add_co_ci_u32_e64 v135, null, v65, v73, vcc_lo
	flat_store_dword v[132:133], v131
	flat_load_dword v131, v[134:135]
	s_waitcnt vmcnt(0) lgkmcnt(0)
	v_mul_f32_e32 v132, s3, v131
.LBB3_74:
	v_add_f32_e32 v131, v15, v59
	v_add_f32_e32 v133, v14, v58
	;; [unrolled: 1-line block ×6, first 2 shown]
	v_min3_f32 v128, v133, v131, v128
	s_mov_b32 s6, -1
	v_min_f32_e32 v131, v135, v134
	v_add_f32_e32 v134, v13, v61
	v_min3_f32 v133, v137, v136, v130
	v_add_f32_e32 v135, v12, v60
	v_add_co_u32 v130, vcc_lo, v62, v72
	v_min3_f32 v128, v132, v131, v128
	v_add_co_ci_u32_e64 v131, null, v63, v73, vcc_lo
	v_min3_f32 v132, v135, v134, v133
	s_mov_b32 vcc_lo, s0
	flat_store_dword v[130:131], v128
	v_max_f32_e32 v128, v132, v132
	s_cbranch_vccz .LBB3_76
; %bb.75:
	v_add_co_u32 v130, vcc_lo, v62, v76
	v_min_f32_e32 v132, 0, v128
	v_add_co_ci_u32_e64 v131, null, v63, v77, vcc_lo
	s_mov_b32 s6, 0
	flat_store_dword v[130:131], v132
.LBB3_76:
	v_mov_b32_e32 v130, 0
	s_andn2_b32 vcc_lo, exec_lo, s6
	s_cbranch_vccnz .LBB3_78
; %bb.77:
	v_add_co_u32 v130, vcc_lo, v64, v76
	v_add_co_ci_u32_e64 v131, null, v65, v77, vcc_lo
	flat_load_dword v130, v[130:131]
	s_waitcnt vmcnt(0) lgkmcnt(0)
	v_mul_f32_e32 v132, s3, v130
	v_add_co_u32 v130, vcc_lo, v62, v76
	v_add_co_ci_u32_e64 v131, null, v63, v77, vcc_lo
	v_add_co_u32 v64, vcc_lo, v64, v78
	v_min_f32_e32 v128, v132, v128
	v_add_co_ci_u32_e64 v65, null, v65, v79, vcc_lo
	flat_store_dword v[130:131], v128
	flat_load_dword v64, v[64:65]
	s_waitcnt vmcnt(0) lgkmcnt(0)
	v_mul_f32_e32 v130, s3, v64
.LBB3_78:
	v_add_f32_e32 v59, v3, v59
	v_add_f32_e32 v58, v2, v58
	;; [unrolled: 1-line block ×6, first 2 shown]
	v_min3_f32 v58, v58, v59, v127
	v_add_f32_e32 v127, v36, v56
	v_min_f32_e32 v59, v60, v61
	v_add_nc_u32_e32 v60, 16, v139
	v_min3_f32 v64, v65, v64, v129
	v_add_f32_e32 v65, v37, v57
	v_add_co_u32 v62, vcc_lo, v62, v78
	v_min3_f32 v128, v130, v59, v58
	v_mad_i64_i32 v[58:59], null, v60, s2, 0
	v_mad_i64_i32 v[60:61], null, v60, s1, 0
	v_add_co_ci_u32_e64 v63, null, v63, v79, vcc_lo
	v_min3_f32 v64, v127, v65, v64
	s_mov_b32 s6, -1
	v_lshlrev_b64 v[58:59], 2, v[58:59]
	flat_store_dword v[62:63], v128
	v_lshlrev_b64 v[60:61], 2, v[60:61]
	v_max_f32_e32 v62, v64, v64
	v_add_co_u32 v58, vcc_lo, s4, v58
	v_add_co_ci_u32_e64 v59, null, s5, v59, vcc_lo
	v_add_co_u32 v60, vcc_lo, s8, v60
	v_add_co_ci_u32_e64 v61, null, s9, v61, vcc_lo
	s_mov_b32 vcc_lo, s0
	s_cbranch_vccz .LBB3_80
; %bb.79:
	v_add_co_u32 v63, vcc_lo, v58, v66
	v_min_f32_e32 v65, 0, v62
	v_add_co_ci_u32_e64 v64, null, v59, v67, vcc_lo
	s_mov_b32 s6, 0
	flat_store_dword v[63:64], v65
.LBB3_80:
	v_mov_b32_e32 v63, 0
	s_andn2_b32 vcc_lo, exec_lo, s6
	s_cbranch_vccnz .LBB3_82
; %bb.81:
	v_add_co_u32 v63, vcc_lo, v60, v66
	v_add_co_ci_u32_e64 v64, null, v61, v67, vcc_lo
	flat_load_dword v63, v[63:64]
	s_waitcnt vmcnt(0) lgkmcnt(0)
	v_mul_f32_e32 v65, s3, v63
	v_add_co_u32 v63, vcc_lo, v58, v66
	v_add_co_ci_u32_e64 v64, null, v59, v67, vcc_lo
	v_add_co_u32 v127, vcc_lo, v60, v0
	v_min_f32_e32 v62, v65, v62
	v_add_co_ci_u32_e64 v128, null, v61, v1, vcc_lo
	flat_store_dword v[63:64], v62
	flat_load_dword v62, v[127:128]
	s_waitcnt vmcnt(0) lgkmcnt(0)
	v_mul_f32_e32 v63, s3, v62
.LBB3_82:
	v_add_f32_e32 v62, v31, v55
	v_add_f32_e32 v64, v30, v54
	v_add_f32_e32 v65, v33, v57
	v_add_f32_e32 v127, v32, v56
	v_add_f32_e32 v128, v27, v55
	v_add_f32_e32 v129, v26, v54
	v_min3_f32 v62, v64, v62, v126
	v_add_f32_e32 v126, v28, v56
	v_min_f32_e32 v64, v127, v65
	s_mov_b32 s6, -1
	v_min3_f32 v65, v129, v128, v125
	v_add_f32_e32 v125, v29, v57
	v_min3_f32 v64, v63, v64, v62
	v_add_co_u32 v62, vcc_lo, v58, v0
	v_add_co_ci_u32_e64 v63, null, v59, v1, vcc_lo
	v_min3_f32 v65, v126, v125, v65
	s_mov_b32 vcc_lo, s0
	flat_store_dword v[62:63], v64
	v_max_f32_e32 v62, v65, v65
	s_cbranch_vccz .LBB3_84
; %bb.83:
	v_add_co_u32 v63, vcc_lo, v58, v70
	v_min_f32_e32 v65, 0, v62
	v_add_co_ci_u32_e64 v64, null, v59, v71, vcc_lo
	s_mov_b32 s6, 0
	flat_store_dword v[63:64], v65
.LBB3_84:
	v_mov_b32_e32 v63, 0
	s_andn2_b32 vcc_lo, exec_lo, s6
	s_cbranch_vccnz .LBB3_86
; %bb.85:
	v_add_co_u32 v63, vcc_lo, v60, v70
	v_add_co_ci_u32_e64 v64, null, v61, v71, vcc_lo
	flat_load_dword v63, v[63:64]
	s_waitcnt vmcnt(0) lgkmcnt(0)
	v_mul_f32_e32 v65, s3, v63
	v_add_co_u32 v63, vcc_lo, v58, v70
	v_add_co_ci_u32_e64 v64, null, v59, v71, vcc_lo
	v_add_co_u32 v125, vcc_lo, v60, v68
	v_min_f32_e32 v62, v65, v62
	v_add_co_ci_u32_e64 v126, null, v61, v69, vcc_lo
	flat_store_dword v[63:64], v62
	flat_load_dword v62, v[125:126]
	s_waitcnt vmcnt(0) lgkmcnt(0)
	v_mul_f32_e32 v63, s3, v62
.LBB3_86:
	v_add_f32_e32 v62, v23, v55
	v_add_f32_e32 v64, v22, v54
	v_add_f32_e32 v65, v25, v57
	v_add_f32_e32 v125, v24, v56
	v_add_f32_e32 v126, v19, v55
	v_add_f32_e32 v127, v18, v54
	v_min3_f32 v62, v64, v62, v123
	v_add_f32_e32 v123, v21, v57
	v_min_f32_e32 v64, v125, v65
	s_mov_b32 s6, -1
	v_min3_f32 v65, v127, v126, v124
	v_add_f32_e32 v124, v20, v56
	v_min3_f32 v64, v63, v64, v62
	v_add_co_u32 v62, vcc_lo, v58, v68
	v_add_co_ci_u32_e64 v63, null, v59, v69, vcc_lo
	v_min3_f32 v65, v124, v123, v65
	s_mov_b32 vcc_lo, s0
	flat_store_dword v[62:63], v64
	v_max_f32_e32 v62, v65, v65
	;; [unrolled: 46-line block ×3, first 2 shown]
	s_cbranch_vccz .LBB3_92
; %bb.91:
	v_add_co_u32 v63, vcc_lo, v58, v76
	v_min_f32_e32 v65, 0, v62
	v_add_co_ci_u32_e64 v64, null, v59, v77, vcc_lo
	s_mov_b32 s6, 0
	flat_store_dword v[63:64], v65
.LBB3_92:
	v_mov_b32_e32 v63, 0
	s_andn2_b32 vcc_lo, exec_lo, s6
	s_cbranch_vccnz .LBB3_94
; %bb.93:
	v_add_co_u32 v63, vcc_lo, v60, v76
	v_add_co_ci_u32_e64 v64, null, v61, v77, vcc_lo
	flat_load_dword v63, v[63:64]
	s_waitcnt vmcnt(0) lgkmcnt(0)
	v_mul_f32_e32 v65, s3, v63
	v_add_co_u32 v63, vcc_lo, v58, v76
	v_add_co_ci_u32_e64 v64, null, v59, v77, vcc_lo
	v_add_co_u32 v60, vcc_lo, v60, v78
	v_min_f32_e32 v62, v65, v62
	v_add_co_ci_u32_e64 v61, null, v61, v79, vcc_lo
	flat_store_dword v[63:64], v62
	flat_load_dword v60, v[60:61]
	s_waitcnt vmcnt(0) lgkmcnt(0)
	v_mul_f32_e32 v63, s3, v60
.LBB3_94:
	v_add_f32_e32 v55, v3, v55
	v_add_f32_e32 v54, v2, v54
	;; [unrolled: 1-line block ×6, first 2 shown]
	v_min3_f32 v54, v54, v55, v119
	v_add_f32_e32 v62, v36, v52
	v_min_f32_e32 v55, v56, v57
	v_add_nc_u32_e32 v56, 24, v139
	v_min3_f32 v60, v61, v60, v120
	v_add_f32_e32 v61, v37, v53
	v_add_co_u32 v58, vcc_lo, v58, v78
	v_min3_f32 v63, v63, v55, v54
	v_mad_i64_i32 v[54:55], null, v56, s2, 0
	v_mad_i64_i32 v[56:57], null, v56, s1, 0
	v_add_co_ci_u32_e64 v59, null, v59, v79, vcc_lo
	v_min3_f32 v60, v62, v61, v60
	s_mov_b32 s6, -1
	v_lshlrev_b64 v[54:55], 2, v[54:55]
	flat_store_dword v[58:59], v63
	v_lshlrev_b64 v[56:57], 2, v[56:57]
	v_max_f32_e32 v58, v60, v60
	v_add_co_u32 v54, vcc_lo, s4, v54
	v_add_co_ci_u32_e64 v55, null, s5, v55, vcc_lo
	v_add_co_u32 v56, vcc_lo, s8, v56
	v_add_co_ci_u32_e64 v57, null, s9, v57, vcc_lo
	s_mov_b32 vcc_lo, s0
	s_cbranch_vccz .LBB3_96
; %bb.95:
	v_add_co_u32 v59, vcc_lo, v54, v66
	v_min_f32_e32 v61, 0, v58
	v_add_co_ci_u32_e64 v60, null, v55, v67, vcc_lo
	s_mov_b32 s6, 0
	flat_store_dword v[59:60], v61
.LBB3_96:
	v_mov_b32_e32 v59, 0
	s_andn2_b32 vcc_lo, exec_lo, s6
	s_cbranch_vccnz .LBB3_98
; %bb.97:
	v_add_co_u32 v59, vcc_lo, v56, v66
	v_add_co_ci_u32_e64 v60, null, v57, v67, vcc_lo
	flat_load_dword v59, v[59:60]
	s_waitcnt vmcnt(0) lgkmcnt(0)
	v_mul_f32_e32 v61, s3, v59
	v_add_co_u32 v59, vcc_lo, v54, v66
	v_add_co_ci_u32_e64 v60, null, v55, v67, vcc_lo
	v_min_f32_e32 v58, v61, v58
	v_add_co_u32 v61, vcc_lo, v56, v0
	v_add_co_ci_u32_e64 v62, null, v57, v1, vcc_lo
	flat_store_dword v[59:60], v58
	flat_load_dword v58, v[61:62]
	s_waitcnt vmcnt(0) lgkmcnt(0)
	v_mul_f32_e32 v59, s3, v58
.LBB3_98:
	v_add_f32_e32 v58, v31, v51
	v_add_f32_e32 v60, v30, v50
	v_add_f32_e32 v61, v33, v53
	v_add_f32_e32 v62, v32, v52
	v_add_f32_e32 v63, v27, v51
	v_add_f32_e32 v64, v26, v50
	v_min3_f32 v58, v60, v58, v117
	s_mov_b32 s6, -1
	v_min_f32_e32 v60, v62, v61
	v_add_f32_e32 v62, v29, v53
	v_min3_f32 v61, v64, v63, v118
	v_add_f32_e32 v63, v28, v52
	v_min3_f32 v60, v59, v60, v58
	v_add_co_u32 v58, vcc_lo, v54, v0
	v_add_co_ci_u32_e64 v59, null, v55, v1, vcc_lo
	v_min3_f32 v61, v63, v62, v61
	s_mov_b32 vcc_lo, s0
	flat_store_dword v[58:59], v60
	v_max_f32_e32 v58, v61, v61
	s_cbranch_vccz .LBB3_100
; %bb.99:
	v_add_co_u32 v59, vcc_lo, v54, v70
	v_min_f32_e32 v61, 0, v58
	v_add_co_ci_u32_e64 v60, null, v55, v71, vcc_lo
	s_mov_b32 s6, 0
	flat_store_dword v[59:60], v61
.LBB3_100:
	v_mov_b32_e32 v59, 0
	s_andn2_b32 vcc_lo, exec_lo, s6
	s_cbranch_vccnz .LBB3_102
; %bb.101:
	v_add_co_u32 v59, vcc_lo, v56, v70
	v_add_co_ci_u32_e64 v60, null, v57, v71, vcc_lo
	flat_load_dword v59, v[59:60]
	s_waitcnt vmcnt(0) lgkmcnt(0)
	v_mul_f32_e32 v61, s3, v59
	v_add_co_u32 v59, vcc_lo, v54, v70
	v_add_co_ci_u32_e64 v60, null, v55, v71, vcc_lo
	v_min_f32_e32 v58, v61, v58
	v_add_co_u32 v61, vcc_lo, v56, v68
	v_add_co_ci_u32_e64 v62, null, v57, v69, vcc_lo
	flat_store_dword v[59:60], v58
	flat_load_dword v58, v[61:62]
	s_waitcnt vmcnt(0) lgkmcnt(0)
	v_mul_f32_e32 v59, s3, v58
.LBB3_102:
	v_add_f32_e32 v58, v23, v51
	v_add_f32_e32 v60, v22, v50
	v_add_f32_e32 v61, v25, v53
	v_add_f32_e32 v62, v24, v52
	v_add_f32_e32 v63, v19, v51
	v_add_f32_e32 v64, v18, v50
	v_min3_f32 v58, v60, v58, v116
	s_mov_b32 s6, -1
	v_min_f32_e32 v60, v62, v61
	v_add_f32_e32 v62, v21, v53
	v_min3_f32 v61, v64, v63, v115
	v_add_f32_e32 v63, v20, v52
	v_min3_f32 v60, v59, v60, v58
	v_add_co_u32 v58, vcc_lo, v54, v68
	v_add_co_ci_u32_e64 v59, null, v55, v69, vcc_lo
	v_min3_f32 v61, v63, v62, v61
	s_mov_b32 vcc_lo, s0
	flat_store_dword v[58:59], v60
	v_max_f32_e32 v58, v61, v61
	;; [unrolled: 46-line block ×3, first 2 shown]
	s_cbranch_vccz .LBB3_108
; %bb.107:
	v_add_co_u32 v59, vcc_lo, v54, v76
	v_min_f32_e32 v61, 0, v58
	v_add_co_ci_u32_e64 v60, null, v55, v77, vcc_lo
	s_mov_b32 s6, 0
	flat_store_dword v[59:60], v61
.LBB3_108:
	v_mov_b32_e32 v59, 0
	s_andn2_b32 vcc_lo, exec_lo, s6
	s_cbranch_vccnz .LBB3_110
; %bb.109:
	v_add_co_u32 v59, vcc_lo, v56, v76
	v_add_co_ci_u32_e64 v60, null, v57, v77, vcc_lo
	flat_load_dword v59, v[59:60]
	s_waitcnt vmcnt(0) lgkmcnt(0)
	v_mul_f32_e32 v61, s3, v59
	v_add_co_u32 v59, vcc_lo, v54, v76
	v_add_co_ci_u32_e64 v60, null, v55, v77, vcc_lo
	v_add_co_u32 v56, vcc_lo, v56, v78
	v_min_f32_e32 v58, v61, v58
	v_add_co_ci_u32_e64 v57, null, v57, v79, vcc_lo
	flat_store_dword v[59:60], v58
	flat_load_dword v56, v[56:57]
	s_waitcnt vmcnt(0) lgkmcnt(0)
	v_mul_f32_e32 v59, s3, v56
.LBB3_110:
	v_add_f32_e32 v51, v3, v51
	v_add_f32_e32 v50, v2, v50
	;; [unrolled: 1-line block ×6, first 2 shown]
	v_min3_f32 v50, v50, v51, v111
	v_add_f32_e32 v58, v36, v48
	v_min_f32_e32 v51, v52, v53
	v_add_nc_u32_e32 v52, 32, v139
	v_min3_f32 v56, v57, v56, v112
	v_add_f32_e32 v57, v37, v49
	v_add_co_u32 v54, vcc_lo, v54, v78
	v_min3_f32 v59, v59, v51, v50
	v_mad_i64_i32 v[50:51], null, v52, s2, 0
	v_mad_i64_i32 v[52:53], null, v52, s1, 0
	v_add_co_ci_u32_e64 v55, null, v55, v79, vcc_lo
	v_min3_f32 v56, v58, v57, v56
	s_mov_b32 s6, -1
	v_lshlrev_b64 v[50:51], 2, v[50:51]
	flat_store_dword v[54:55], v59
	v_lshlrev_b64 v[52:53], 2, v[52:53]
	v_max_f32_e32 v54, v56, v56
	v_add_co_u32 v50, vcc_lo, s4, v50
	v_add_co_ci_u32_e64 v51, null, s5, v51, vcc_lo
	v_add_co_u32 v52, vcc_lo, s8, v52
	v_add_co_ci_u32_e64 v53, null, s9, v53, vcc_lo
	s_mov_b32 vcc_lo, s0
	s_cbranch_vccz .LBB3_112
; %bb.111:
	v_add_co_u32 v55, vcc_lo, v50, v66
	v_min_f32_e32 v57, 0, v54
	v_add_co_ci_u32_e64 v56, null, v51, v67, vcc_lo
	s_mov_b32 s6, 0
	flat_store_dword v[55:56], v57
.LBB3_112:
	v_mov_b32_e32 v55, 0
	s_andn2_b32 vcc_lo, exec_lo, s6
	s_cbranch_vccnz .LBB3_114
; %bb.113:
	v_add_co_u32 v55, vcc_lo, v52, v66
	v_add_co_ci_u32_e64 v56, null, v53, v67, vcc_lo
	flat_load_dword v55, v[55:56]
	s_waitcnt vmcnt(0) lgkmcnt(0)
	v_mul_f32_e32 v57, s3, v55
	v_add_co_u32 v55, vcc_lo, v50, v66
	v_add_co_ci_u32_e64 v56, null, v51, v67, vcc_lo
	v_min_f32_e32 v54, v57, v54
	v_add_co_u32 v57, vcc_lo, v52, v0
	v_add_co_ci_u32_e64 v58, null, v53, v1, vcc_lo
	flat_store_dword v[55:56], v54
	flat_load_dword v54, v[57:58]
	s_waitcnt vmcnt(0) lgkmcnt(0)
	v_mul_f32_e32 v55, s3, v54
.LBB3_114:
	v_add_f32_e32 v54, v31, v47
	v_add_f32_e32 v56, v30, v46
	v_add_f32_e32 v57, v33, v49
	v_add_f32_e32 v58, v32, v48
	v_add_f32_e32 v59, v27, v47
	v_add_f32_e32 v60, v26, v46
	v_min3_f32 v54, v56, v54, v109
	s_mov_b32 s6, -1
	v_min_f32_e32 v56, v58, v57
	v_add_f32_e32 v58, v29, v49
	v_min3_f32 v57, v60, v59, v110
	v_add_f32_e32 v59, v28, v48
	v_min3_f32 v56, v55, v56, v54
	v_add_co_u32 v54, vcc_lo, v50, v0
	v_add_co_ci_u32_e64 v55, null, v51, v1, vcc_lo
	v_min3_f32 v57, v59, v58, v57
	s_mov_b32 vcc_lo, s0
	flat_store_dword v[54:55], v56
	v_max_f32_e32 v54, v57, v57
	s_cbranch_vccz .LBB3_116
; %bb.115:
	v_add_co_u32 v55, vcc_lo, v50, v70
	v_min_f32_e32 v57, 0, v54
	v_add_co_ci_u32_e64 v56, null, v51, v71, vcc_lo
	s_mov_b32 s6, 0
	flat_store_dword v[55:56], v57
.LBB3_116:
	v_mov_b32_e32 v55, 0
	s_andn2_b32 vcc_lo, exec_lo, s6
	s_cbranch_vccnz .LBB3_118
; %bb.117:
	v_add_co_u32 v55, vcc_lo, v52, v70
	v_add_co_ci_u32_e64 v56, null, v53, v71, vcc_lo
	flat_load_dword v55, v[55:56]
	s_waitcnt vmcnt(0) lgkmcnt(0)
	v_mul_f32_e32 v57, s3, v55
	v_add_co_u32 v55, vcc_lo, v50, v70
	v_add_co_ci_u32_e64 v56, null, v51, v71, vcc_lo
	v_min_f32_e32 v54, v57, v54
	v_add_co_u32 v57, vcc_lo, v52, v68
	v_add_co_ci_u32_e64 v58, null, v53, v69, vcc_lo
	flat_store_dword v[55:56], v54
	flat_load_dword v54, v[57:58]
	s_waitcnt vmcnt(0) lgkmcnt(0)
	v_mul_f32_e32 v55, s3, v54
.LBB3_118:
	v_add_f32_e32 v54, v23, v47
	v_add_f32_e32 v56, v22, v46
	v_add_f32_e32 v57, v25, v49
	v_add_f32_e32 v58, v24, v48
	v_add_f32_e32 v59, v19, v47
	v_add_f32_e32 v60, v18, v46
	v_min3_f32 v54, v56, v54, v107
	s_mov_b32 s6, -1
	v_min_f32_e32 v56, v58, v57
	v_add_f32_e32 v58, v21, v49
	v_min3_f32 v57, v60, v59, v108
	v_add_f32_e32 v59, v20, v48
	v_min3_f32 v56, v55, v56, v54
	v_add_co_u32 v54, vcc_lo, v50, v68
	v_add_co_ci_u32_e64 v55, null, v51, v69, vcc_lo
	v_min3_f32 v57, v59, v58, v57
	s_mov_b32 vcc_lo, s0
	flat_store_dword v[54:55], v56
	v_max_f32_e32 v54, v57, v57
	;; [unrolled: 46-line block ×3, first 2 shown]
	s_cbranch_vccz .LBB3_124
; %bb.123:
	v_add_co_u32 v55, vcc_lo, v50, v76
	v_min_f32_e32 v57, 0, v54
	v_add_co_ci_u32_e64 v56, null, v51, v77, vcc_lo
	s_mov_b32 s6, 0
	flat_store_dword v[55:56], v57
.LBB3_124:
	v_mov_b32_e32 v55, 0
	s_andn2_b32 vcc_lo, exec_lo, s6
	s_cbranch_vccnz .LBB3_126
; %bb.125:
	v_add_co_u32 v55, vcc_lo, v52, v76
	v_add_co_ci_u32_e64 v56, null, v53, v77, vcc_lo
	flat_load_dword v55, v[55:56]
	s_waitcnt vmcnt(0) lgkmcnt(0)
	v_mul_f32_e32 v57, s3, v55
	v_add_co_u32 v55, vcc_lo, v50, v76
	v_add_co_ci_u32_e64 v56, null, v51, v77, vcc_lo
	v_add_co_u32 v52, vcc_lo, v52, v78
	v_min_f32_e32 v54, v57, v54
	v_add_co_ci_u32_e64 v53, null, v53, v79, vcc_lo
	flat_store_dword v[55:56], v54
	flat_load_dword v52, v[52:53]
	s_waitcnt vmcnt(0) lgkmcnt(0)
	v_mul_f32_e32 v55, s3, v52
.LBB3_126:
	v_add_f32_e32 v47, v3, v47
	v_add_f32_e32 v46, v2, v46
	;; [unrolled: 1-line block ×6, first 2 shown]
	v_min3_f32 v46, v46, v47, v103
	v_add_f32_e32 v54, v36, v44
	v_min_f32_e32 v47, v48, v49
	v_add_nc_u32_e32 v48, 40, v139
	v_min3_f32 v52, v53, v52, v104
	v_add_f32_e32 v53, v37, v45
	v_add_co_u32 v50, vcc_lo, v50, v78
	v_min3_f32 v55, v55, v47, v46
	v_mad_i64_i32 v[46:47], null, v48, s2, 0
	v_mad_i64_i32 v[48:49], null, v48, s1, 0
	v_add_co_ci_u32_e64 v51, null, v51, v79, vcc_lo
	v_min3_f32 v52, v54, v53, v52
	s_mov_b32 s6, -1
	v_lshlrev_b64 v[46:47], 2, v[46:47]
	flat_store_dword v[50:51], v55
	v_lshlrev_b64 v[48:49], 2, v[48:49]
	v_max_f32_e32 v50, v52, v52
	v_add_co_u32 v46, vcc_lo, s4, v46
	v_add_co_ci_u32_e64 v47, null, s5, v47, vcc_lo
	v_add_co_u32 v48, vcc_lo, s8, v48
	v_add_co_ci_u32_e64 v49, null, s9, v49, vcc_lo
	s_mov_b32 vcc_lo, s0
	s_cbranch_vccz .LBB3_128
; %bb.127:
	v_add_co_u32 v51, vcc_lo, v46, v66
	v_min_f32_e32 v53, 0, v50
	v_add_co_ci_u32_e64 v52, null, v47, v67, vcc_lo
	s_mov_b32 s6, 0
	flat_store_dword v[51:52], v53
.LBB3_128:
	v_mov_b32_e32 v51, 0
	s_andn2_b32 vcc_lo, exec_lo, s6
	s_cbranch_vccnz .LBB3_130
; %bb.129:
	v_add_co_u32 v51, vcc_lo, v48, v66
	v_add_co_ci_u32_e64 v52, null, v49, v67, vcc_lo
	flat_load_dword v51, v[51:52]
	s_waitcnt vmcnt(0) lgkmcnt(0)
	v_mul_f32_e32 v53, s3, v51
	v_add_co_u32 v51, vcc_lo, v46, v66
	v_add_co_ci_u32_e64 v52, null, v47, v67, vcc_lo
	v_min_f32_e32 v50, v53, v50
	v_add_co_u32 v53, vcc_lo, v48, v0
	v_add_co_ci_u32_e64 v54, null, v49, v1, vcc_lo
	flat_store_dword v[51:52], v50
	flat_load_dword v50, v[53:54]
	s_waitcnt vmcnt(0) lgkmcnt(0)
	v_mul_f32_e32 v51, s3, v50
.LBB3_130:
	v_add_f32_e32 v50, v31, v43
	v_add_f32_e32 v52, v30, v42
	v_add_f32_e32 v53, v33, v45
	v_add_f32_e32 v54, v32, v44
	v_add_f32_e32 v55, v27, v43
	v_add_f32_e32 v56, v26, v42
	v_min3_f32 v50, v52, v50, v101
	s_mov_b32 s6, -1
	v_min_f32_e32 v52, v54, v53
	v_add_f32_e32 v54, v29, v45
	v_min3_f32 v53, v56, v55, v102
	v_add_f32_e32 v55, v28, v44
	v_min3_f32 v52, v51, v52, v50
	v_add_co_u32 v50, vcc_lo, v46, v0
	v_add_co_ci_u32_e64 v51, null, v47, v1, vcc_lo
	v_min3_f32 v53, v55, v54, v53
	s_mov_b32 vcc_lo, s0
	flat_store_dword v[50:51], v52
	v_max_f32_e32 v50, v53, v53
	s_cbranch_vccz .LBB3_132
; %bb.131:
	v_add_co_u32 v51, vcc_lo, v46, v70
	v_min_f32_e32 v53, 0, v50
	v_add_co_ci_u32_e64 v52, null, v47, v71, vcc_lo
	s_mov_b32 s6, 0
	flat_store_dword v[51:52], v53
.LBB3_132:
	v_mov_b32_e32 v51, 0
	s_andn2_b32 vcc_lo, exec_lo, s6
	s_cbranch_vccnz .LBB3_134
; %bb.133:
	v_add_co_u32 v51, vcc_lo, v48, v70
	v_add_co_ci_u32_e64 v52, null, v49, v71, vcc_lo
	flat_load_dword v51, v[51:52]
	s_waitcnt vmcnt(0) lgkmcnt(0)
	v_mul_f32_e32 v53, s3, v51
	v_add_co_u32 v51, vcc_lo, v46, v70
	v_add_co_ci_u32_e64 v52, null, v47, v71, vcc_lo
	v_min_f32_e32 v50, v53, v50
	v_add_co_u32 v53, vcc_lo, v48, v68
	v_add_co_ci_u32_e64 v54, null, v49, v69, vcc_lo
	flat_store_dword v[51:52], v50
	flat_load_dword v50, v[53:54]
	s_waitcnt vmcnt(0) lgkmcnt(0)
	v_mul_f32_e32 v51, s3, v50
.LBB3_134:
	v_add_f32_e32 v50, v23, v43
	v_add_f32_e32 v52, v22, v42
	v_add_f32_e32 v53, v25, v45
	v_add_f32_e32 v54, v24, v44
	v_add_f32_e32 v55, v19, v43
	v_add_f32_e32 v56, v18, v42
	v_min3_f32 v50, v52, v50, v99
	s_mov_b32 s6, -1
	v_min_f32_e32 v52, v54, v53
	v_add_f32_e32 v54, v21, v45
	v_min3_f32 v53, v56, v55, v100
	v_add_f32_e32 v55, v20, v44
	v_min3_f32 v52, v51, v52, v50
	v_add_co_u32 v50, vcc_lo, v46, v68
	v_add_co_ci_u32_e64 v51, null, v47, v69, vcc_lo
	v_min3_f32 v53, v55, v54, v53
	s_mov_b32 vcc_lo, s0
	flat_store_dword v[50:51], v52
	v_max_f32_e32 v50, v53, v53
	s_cbranch_vccz .LBB3_136
; %bb.135:
	v_add_co_u32 v51, vcc_lo, v46, v74
	v_min_f32_e32 v53, 0, v50
	v_add_co_ci_u32_e64 v52, null, v47, v75, vcc_lo
	s_mov_b32 s6, 0
	flat_store_dword v[51:52], v53
.LBB3_136:
	v_mov_b32_e32 v51, 0
	s_andn2_b32 vcc_lo, exec_lo, s6
	s_cbranch_vccnz .LBB3_138
; %bb.137:
	v_add_co_u32 v51, vcc_lo, v48, v74
	v_add_co_ci_u32_e64 v52, null, v49, v75, vcc_lo
	flat_load_dword v51, v[51:52]
	s_waitcnt vmcnt(0) lgkmcnt(0)
	v_mul_f32_e32 v53, s3, v51
	v_add_co_u32 v51, vcc_lo, v46, v74
	v_add_co_ci_u32_e64 v52, null, v47, v75, vcc_lo
	v_min_f32_e32 v50, v53, v50
	v_add_co_u32 v53, vcc_lo, v48, v72
	v_add_co_ci_u32_e64 v54, null, v49, v73, vcc_lo
	flat_store_dword v[51:52], v50
	flat_load_dword v50, v[53:54]
	s_waitcnt vmcnt(0) lgkmcnt(0)
	v_mul_f32_e32 v51, s3, v50
.LBB3_138:
	v_add_f32_e32 v50, v15, v43
	v_add_f32_e32 v52, v14, v42
	v_add_f32_e32 v53, v17, v45
	v_add_f32_e32 v54, v16, v44
	v_add_f32_e32 v55, v11, v43
	v_add_f32_e32 v56, v10, v42
	v_min3_f32 v50, v52, v50, v97
	s_mov_b32 s6, -1
	v_min_f32_e32 v52, v54, v53
	v_add_f32_e32 v54, v13, v45
	v_min3_f32 v53, v56, v55, v98
	v_add_f32_e32 v55, v12, v44
	v_min3_f32 v52, v51, v52, v50
	v_add_co_u32 v50, vcc_lo, v46, v72
	v_add_co_ci_u32_e64 v51, null, v47, v73, vcc_lo
	v_min3_f32 v53, v55, v54, v53
	s_mov_b32 vcc_lo, s0
	flat_store_dword v[50:51], v52
	v_max_f32_e32 v50, v53, v53
	s_cbranch_vccz .LBB3_140
; %bb.139:
	v_add_co_u32 v51, vcc_lo, v46, v76
	v_min_f32_e32 v53, 0, v50
	v_add_co_ci_u32_e64 v52, null, v47, v77, vcc_lo
	s_mov_b32 s6, 0
	flat_store_dword v[51:52], v53
.LBB3_140:
	v_mov_b32_e32 v51, 0
	s_andn2_b32 vcc_lo, exec_lo, s6
	s_cbranch_vccnz .LBB3_142
; %bb.141:
	v_add_co_u32 v51, vcc_lo, v48, v76
	v_add_co_ci_u32_e64 v52, null, v49, v77, vcc_lo
	flat_load_dword v51, v[51:52]
	s_waitcnt vmcnt(0) lgkmcnt(0)
	v_mul_f32_e32 v53, s3, v51
	v_add_co_u32 v51, vcc_lo, v46, v76
	v_add_co_ci_u32_e64 v52, null, v47, v77, vcc_lo
	v_add_co_u32 v48, vcc_lo, v48, v78
	v_min_f32_e32 v50, v53, v50
	v_add_co_ci_u32_e64 v49, null, v49, v79, vcc_lo
	flat_store_dword v[51:52], v50
	flat_load_dword v48, v[48:49]
	s_waitcnt vmcnt(0) lgkmcnt(0)
	v_mul_f32_e32 v51, s3, v48
.LBB3_142:
	v_add_f32_e32 v43, v3, v43
	v_add_f32_e32 v42, v2, v42
	;; [unrolled: 1-line block ×4, first 2 shown]
	s_waitcnt lgkmcnt(24)
	v_add_f32_e32 v48, v35, v39
	v_add_f32_e32 v49, v34, v38
	v_min3_f32 v42, v42, v43, v95
	v_add_f32_e32 v50, v36, v40
	v_min_f32_e32 v43, v44, v45
	v_add_nc_u32_e32 v44, 48, v139
	v_min3_f32 v48, v49, v48, v96
	v_add_f32_e32 v49, v37, v41
	v_add_co_u32 v46, vcc_lo, v46, v78
	v_min3_f32 v51, v51, v43, v42
	v_mad_i64_i32 v[42:43], null, v44, s2, 0
	v_mad_i64_i32 v[44:45], null, v44, s1, 0
	v_add_co_ci_u32_e64 v47, null, v47, v79, vcc_lo
	v_min3_f32 v48, v50, v49, v48
	s_mov_b32 s6, -1
	v_lshlrev_b64 v[42:43], 2, v[42:43]
	flat_store_dword v[46:47], v51
	v_lshlrev_b64 v[44:45], 2, v[44:45]
	v_max_f32_e32 v46, v48, v48
	v_add_co_u32 v42, vcc_lo, s4, v42
	v_add_co_ci_u32_e64 v43, null, s5, v43, vcc_lo
	v_add_co_u32 v44, vcc_lo, s8, v44
	v_add_co_ci_u32_e64 v45, null, s9, v45, vcc_lo
	s_mov_b32 vcc_lo, s0
	s_cbranch_vccz .LBB3_144
; %bb.143:
	v_add_co_u32 v47, vcc_lo, v42, v66
	v_min_f32_e32 v49, 0, v46
	v_add_co_ci_u32_e64 v48, null, v43, v67, vcc_lo
	s_mov_b32 s6, 0
	flat_store_dword v[47:48], v49
.LBB3_144:
	v_mov_b32_e32 v47, 0
	s_andn2_b32 vcc_lo, exec_lo, s6
	s_cbranch_vccnz .LBB3_146
; %bb.145:
	v_add_co_u32 v47, vcc_lo, v44, v66
	v_add_co_ci_u32_e64 v48, null, v45, v67, vcc_lo
	flat_load_dword v47, v[47:48]
	s_waitcnt vmcnt(0) lgkmcnt(0)
	v_mul_f32_e32 v49, s3, v47
	v_add_co_u32 v47, vcc_lo, v42, v66
	v_add_co_ci_u32_e64 v48, null, v43, v67, vcc_lo
	v_min_f32_e32 v46, v49, v46
	v_add_co_u32 v49, vcc_lo, v44, v0
	v_add_co_ci_u32_e64 v50, null, v45, v1, vcc_lo
	flat_store_dword v[47:48], v46
	flat_load_dword v46, v[49:50]
	s_waitcnt vmcnt(0) lgkmcnt(0)
	v_mul_f32_e32 v47, s3, v46
.LBB3_146:
	v_add_f32_e32 v46, v31, v39
	v_add_f32_e32 v48, v30, v38
	v_add_f32_e32 v49, v33, v41
	v_add_f32_e32 v50, v32, v40
	v_add_f32_e32 v51, v27, v39
	v_add_f32_e32 v52, v26, v38
	v_min3_f32 v46, v48, v46, v93
	s_mov_b32 s6, -1
	v_min_f32_e32 v48, v50, v49
	v_add_f32_e32 v50, v29, v41
	v_min3_f32 v49, v52, v51, v94
	v_add_f32_e32 v51, v28, v40
	v_min3_f32 v48, v47, v48, v46
	v_add_co_u32 v46, vcc_lo, v42, v0
	v_add_co_ci_u32_e64 v47, null, v43, v1, vcc_lo
	v_min3_f32 v49, v51, v50, v49
	s_mov_b32 vcc_lo, s0
	flat_store_dword v[46:47], v48
	v_max_f32_e32 v46, v49, v49
	s_cbranch_vccz .LBB3_148
; %bb.147:
	v_add_co_u32 v47, vcc_lo, v42, v70
	v_min_f32_e32 v49, 0, v46
	v_add_co_ci_u32_e64 v48, null, v43, v71, vcc_lo
	s_mov_b32 s6, 0
	flat_store_dword v[47:48], v49
.LBB3_148:
	v_mov_b32_e32 v47, 0
	s_andn2_b32 vcc_lo, exec_lo, s6
	s_cbranch_vccnz .LBB3_150
; %bb.149:
	v_add_co_u32 v47, vcc_lo, v44, v70
	v_add_co_ci_u32_e64 v48, null, v45, v71, vcc_lo
	flat_load_dword v47, v[47:48]
	s_waitcnt vmcnt(0) lgkmcnt(0)
	v_mul_f32_e32 v49, s3, v47
	v_add_co_u32 v47, vcc_lo, v42, v70
	v_add_co_ci_u32_e64 v48, null, v43, v71, vcc_lo
	v_min_f32_e32 v46, v49, v46
	v_add_co_u32 v49, vcc_lo, v44, v68
	v_add_co_ci_u32_e64 v50, null, v45, v69, vcc_lo
	flat_store_dword v[47:48], v46
	flat_load_dword v46, v[49:50]
	s_waitcnt vmcnt(0) lgkmcnt(0)
	v_mul_f32_e32 v47, s3, v46
.LBB3_150:
	v_add_f32_e32 v46, v23, v39
	v_add_f32_e32 v48, v22, v38
	v_add_f32_e32 v49, v25, v41
	v_add_f32_e32 v50, v24, v40
	v_add_f32_e32 v51, v19, v39
	v_add_f32_e32 v52, v18, v38
	v_min3_f32 v46, v48, v46, v91
	s_mov_b32 s6, -1
	v_min_f32_e32 v48, v50, v49
	v_add_f32_e32 v50, v21, v41
	v_min3_f32 v49, v52, v51, v92
	v_add_f32_e32 v51, v20, v40
	v_min3_f32 v48, v47, v48, v46
	v_add_co_u32 v46, vcc_lo, v42, v68
	v_add_co_ci_u32_e64 v47, null, v43, v69, vcc_lo
	v_min3_f32 v49, v51, v50, v49
	s_mov_b32 vcc_lo, s0
	flat_store_dword v[46:47], v48
	v_max_f32_e32 v46, v49, v49
	;; [unrolled: 46-line block ×3, first 2 shown]
	s_cbranch_vccz .LBB3_156
; %bb.155:
	v_add_co_u32 v47, vcc_lo, v42, v76
	v_min_f32_e32 v49, 0, v46
	v_add_co_ci_u32_e64 v48, null, v43, v77, vcc_lo
	s_mov_b32 s6, 0
	flat_store_dword v[47:48], v49
.LBB3_156:
	v_mov_b32_e32 v47, 0
	s_andn2_b32 vcc_lo, exec_lo, s6
	s_cbranch_vccnz .LBB3_158
; %bb.157:
	v_add_co_u32 v47, vcc_lo, v44, v76
	v_add_co_ci_u32_e64 v48, null, v45, v77, vcc_lo
	flat_load_dword v47, v[47:48]
	s_waitcnt vmcnt(0) lgkmcnt(0)
	v_mul_f32_e32 v49, s3, v47
	v_add_co_u32 v47, vcc_lo, v42, v76
	v_add_co_ci_u32_e64 v48, null, v43, v77, vcc_lo
	v_add_co_u32 v44, vcc_lo, v44, v78
	v_min_f32_e32 v46, v49, v46
	v_add_co_ci_u32_e64 v45, null, v45, v79, vcc_lo
	flat_store_dword v[47:48], v46
	flat_load_dword v44, v[44:45]
	s_waitcnt vmcnt(0) lgkmcnt(0)
	v_mul_f32_e32 v47, s3, v44
.LBB3_158:
	v_add_f32_e32 v39, v3, v39
	v_add_f32_e32 v38, v2, v38
	;; [unrolled: 1-line block ×4, first 2 shown]
	s_waitcnt lgkmcnt(27)
	v_add_f32_e32 v35, v35, v7
	v_add_f32_e32 v34, v34, v6
	v_min3_f32 v38, v38, v39, v87
	v_add_f32_e32 v44, v37, v9
	v_min_f32_e32 v39, v40, v41
	v_add_nc_u32_e32 v41, 56, v139
	v_min3_f32 v40, v34, v35, v88
	v_add_f32_e32 v45, v36, v8
	v_min3_f32 v46, v47, v39, v38
	v_mad_i64_i32 v[34:35], null, v41, s2, 0
	v_mad_i64_i32 v[36:37], null, v41, s1, 0
	v_add_co_u32 v38, vcc_lo, v42, v78
	v_add_co_ci_u32_e64 v39, null, v43, v79, vcc_lo
	v_lshlrev_b64 v[34:35], 2, v[34:35]
	v_min3_f32 v40, v45, v44, v40
	v_lshlrev_b64 v[36:37], 2, v[36:37]
	flat_store_dword v[38:39], v46
	s_mov_b32 s1, -1
	v_add_co_u32 v34, vcc_lo, s4, v34
	v_add_co_ci_u32_e64 v35, null, s5, v35, vcc_lo
	v_add_co_u32 v36, vcc_lo, s8, v36
	v_add_co_ci_u32_e64 v37, null, s9, v37, vcc_lo
	v_max_f32_e32 v38, v40, v40
	s_mov_b32 vcc_lo, s0
	s_cbranch_vccz .LBB3_160
; %bb.159:
	v_add_co_u32 v39, vcc_lo, v34, v66
	v_min_f32_e32 v41, 0, v38
	v_add_co_ci_u32_e64 v40, null, v35, v67, vcc_lo
	s_mov_b32 s1, 0
	flat_store_dword v[39:40], v41
.LBB3_160:
	v_mov_b32_e32 v39, 0
	s_andn2_b32 vcc_lo, exec_lo, s1
	s_cbranch_vccnz .LBB3_162
; %bb.161:
	v_add_co_u32 v39, vcc_lo, v36, v66
	v_add_co_ci_u32_e64 v40, null, v37, v67, vcc_lo
	flat_load_dword v39, v[39:40]
	s_waitcnt vmcnt(0) lgkmcnt(0)
	v_mul_f32_e32 v41, s3, v39
	v_add_co_u32 v39, vcc_lo, v34, v66
	v_add_co_ci_u32_e64 v40, null, v35, v67, vcc_lo
	v_min_f32_e32 v38, v41, v38
	v_add_co_u32 v41, vcc_lo, v36, v0
	v_add_co_ci_u32_e64 v42, null, v37, v1, vcc_lo
	flat_store_dword v[39:40], v38
	flat_load_dword v38, v[41:42]
	s_waitcnt vmcnt(0) lgkmcnt(0)
	v_mul_f32_e32 v39, s3, v38
.LBB3_162:
	v_add_f32_e32 v31, v31, v7
	v_add_f32_e32 v30, v30, v6
	;; [unrolled: 1-line block ×6, first 2 shown]
	v_min3_f32 v30, v30, v31, v86
	v_add_f32_e32 v28, v28, v8
	v_min_f32_e32 v31, v32, v33
	v_add_co_u32 v0, vcc_lo, v34, v0
	v_min3_f32 v26, v26, v27, v85
	v_add_f32_e32 v27, v29, v9
	v_min3_f32 v29, v39, v31, v30
	v_add_co_ci_u32_e64 v1, null, v35, v1, vcc_lo
	s_mov_b32 s1, -1
	v_min3_f32 v26, v28, v27, v26
	s_mov_b32 vcc_lo, s0
	flat_store_dword v[0:1], v29
	v_max_f32_e32 v0, v26, v26
	s_cbranch_vccz .LBB3_164
; %bb.163:
	v_add_co_u32 v26, vcc_lo, v34, v70
	v_min_f32_e32 v1, 0, v0
	v_add_co_ci_u32_e64 v27, null, v35, v71, vcc_lo
	s_mov_b32 s1, 0
	flat_store_dword v[26:27], v1
.LBB3_164:
	v_mov_b32_e32 v1, 0
	s_andn2_b32 vcc_lo, exec_lo, s1
	s_cbranch_vccnz .LBB3_166
; %bb.165:
	v_add_co_u32 v26, vcc_lo, v36, v70
	v_add_co_ci_u32_e64 v27, null, v37, v71, vcc_lo
	flat_load_dword v1, v[26:27]
	v_add_co_u32 v26, vcc_lo, v34, v70
	v_add_co_ci_u32_e64 v27, null, v35, v71, vcc_lo
	s_waitcnt vmcnt(0) lgkmcnt(0)
	v_mul_f32_e32 v1, s3, v1
	v_min_f32_e32 v28, v1, v0
	v_add_co_u32 v0, vcc_lo, v36, v68
	v_add_co_ci_u32_e64 v1, null, v37, v69, vcc_lo
	flat_store_dword v[26:27], v28
	flat_load_dword v0, v[0:1]
	s_waitcnt vmcnt(0) lgkmcnt(0)
	v_mul_f32_e32 v1, s3, v0
.LBB3_166:
	v_add_f32_e32 v0, v23, v7
	v_add_f32_e32 v22, v22, v6
	;; [unrolled: 1-line block ×6, first 2 shown]
	v_min3_f32 v0, v22, v0, v82
	v_add_f32_e32 v20, v20, v8
	v_min_f32_e32 v22, v24, v23
	s_mov_b32 s1, -1
	v_min3_f32 v18, v18, v19, v83
	v_add_f32_e32 v19, v21, v9
	v_min3_f32 v21, v1, v22, v0
	v_add_co_u32 v0, vcc_lo, v34, v68
	v_add_co_ci_u32_e64 v1, null, v35, v69, vcc_lo
	v_min3_f32 v18, v20, v19, v18
	s_mov_b32 vcc_lo, s0
	flat_store_dword v[0:1], v21
	v_max_f32_e32 v0, v18, v18
	s_cbranch_vccz .LBB3_168
; %bb.167:
	v_add_co_u32 v18, vcc_lo, v34, v74
	v_min_f32_e32 v1, 0, v0
	v_add_co_ci_u32_e64 v19, null, v35, v75, vcc_lo
	s_mov_b32 s1, 0
	flat_store_dword v[18:19], v1
.LBB3_168:
	v_mov_b32_e32 v1, 0
	s_andn2_b32 vcc_lo, exec_lo, s1
	s_cbranch_vccnz .LBB3_170
; %bb.169:
	v_add_co_u32 v18, vcc_lo, v36, v74
	v_add_co_ci_u32_e64 v19, null, v37, v75, vcc_lo
	flat_load_dword v1, v[18:19]
	v_add_co_u32 v18, vcc_lo, v34, v74
	v_add_co_ci_u32_e64 v19, null, v35, v75, vcc_lo
	s_waitcnt vmcnt(0) lgkmcnt(0)
	v_mul_f32_e32 v1, s3, v1
	v_min_f32_e32 v20, v1, v0
	v_add_co_u32 v0, vcc_lo, v36, v72
	v_add_co_ci_u32_e64 v1, null, v37, v73, vcc_lo
	flat_store_dword v[18:19], v20
	flat_load_dword v0, v[0:1]
	s_waitcnt vmcnt(0) lgkmcnt(0)
	v_mul_f32_e32 v1, s3, v0
.LBB3_170:
	v_add_f32_e32 v0, v15, v7
	v_add_f32_e32 v14, v14, v6
	;; [unrolled: 1-line block ×6, first 2 shown]
	v_min3_f32 v0, v14, v0, v80
	v_add_f32_e32 v12, v12, v8
	v_min_f32_e32 v14, v16, v15
	s_mov_b32 s1, -1
	v_min3_f32 v10, v10, v11, v81
	v_add_f32_e32 v11, v13, v9
	v_min3_f32 v13, v1, v14, v0
	v_add_co_u32 v0, vcc_lo, v34, v72
	v_add_co_ci_u32_e64 v1, null, v35, v73, vcc_lo
	v_min3_f32 v10, v12, v11, v10
	s_mov_b32 vcc_lo, s0
	flat_store_dword v[0:1], v13
	v_max_f32_e32 v0, v10, v10
	s_cbranch_vccz .LBB3_172
; %bb.171:
	v_add_co_u32 v10, vcc_lo, v34, v76
	v_min_f32_e32 v1, 0, v0
	v_add_co_ci_u32_e64 v11, null, v35, v77, vcc_lo
	s_mov_b32 s1, 0
	flat_store_dword v[10:11], v1
.LBB3_172:
	v_mov_b32_e32 v1, 0
	s_andn2_b32 vcc_lo, exec_lo, s1
	s_cbranch_vccnz .LBB3_174
; %bb.173:
	v_add_co_u32 v10, vcc_lo, v36, v76
	v_add_co_ci_u32_e64 v11, null, v37, v77, vcc_lo
	flat_load_dword v1, v[10:11]
	v_add_co_u32 v10, vcc_lo, v34, v76
	v_add_co_ci_u32_e64 v11, null, v35, v77, vcc_lo
	s_waitcnt vmcnt(0) lgkmcnt(0)
	v_mul_f32_e32 v1, s3, v1
	v_min_f32_e32 v12, v1, v0
	v_add_co_u32 v0, vcc_lo, v36, v78
	v_add_co_ci_u32_e64 v1, null, v37, v79, vcc_lo
	flat_store_dword v[10:11], v12
	flat_load_dword v0, v[0:1]
	s_waitcnt vmcnt(0) lgkmcnt(0)
	v_mul_f32_e32 v1, s3, v0
.LBB3_174:
	v_add_f32_e32 v0, v5, v9
	v_add_f32_e32 v4, v4, v8
	;; [unrolled: 1-line block ×4, first 2 shown]
	v_min_f32_e32 v0, v4, v0
	v_min3_f32 v2, v2, v3, v84
	v_min3_f32 v2, v1, v0, v2
	v_add_co_u32 v0, vcc_lo, v34, v78
	v_add_co_ci_u32_e64 v1, null, v35, v79, vcc_lo
	flat_store_dword v[0:1], v2
	s_endpgm
	.section	.rodata,"a",@progbits
	.p2align	6, 0x0
	.amdhsa_kernel _ZN12_GLOBAL__N_120geam_min_plus_kernelIf15HIP_vector_typeIfLj2EEfLi32ELi8ELi256ELi64ELi4ELi64ELi4ELi4ELi64ELc78ELc78ELb0ELb0ELb1EPKfKS4_KPfEEviiiT16_PT17_ilSA_ilS8_SA_ilPT18_ili26rocblas_geam_ex_operation_
		.amdhsa_group_segment_fixed_size 10240
		.amdhsa_private_segment_fixed_size 0
		.amdhsa_kernarg_size 136
		.amdhsa_user_sgpr_count 6
		.amdhsa_user_sgpr_private_segment_buffer 1
		.amdhsa_user_sgpr_dispatch_ptr 0
		.amdhsa_user_sgpr_queue_ptr 0
		.amdhsa_user_sgpr_kernarg_segment_ptr 1
		.amdhsa_user_sgpr_dispatch_id 0
		.amdhsa_user_sgpr_flat_scratch_init 0
		.amdhsa_user_sgpr_private_segment_size 0
		.amdhsa_wavefront_size32 1
		.amdhsa_uses_dynamic_stack 0
		.amdhsa_system_sgpr_private_segment_wavefront_offset 0
		.amdhsa_system_sgpr_workgroup_id_x 1
		.amdhsa_system_sgpr_workgroup_id_y 0
		.amdhsa_system_sgpr_workgroup_id_z 1
		.amdhsa_system_sgpr_workgroup_info 0
		.amdhsa_system_vgpr_workitem_id 1
		.amdhsa_next_free_vgpr 166
		.amdhsa_next_free_sgpr 25
		.amdhsa_reserve_vcc 1
		.amdhsa_reserve_flat_scratch 1
		.amdhsa_float_round_mode_32 0
		.amdhsa_float_round_mode_16_64 0
		.amdhsa_float_denorm_mode_32 3
		.amdhsa_float_denorm_mode_16_64 3
		.amdhsa_dx10_clamp 1
		.amdhsa_ieee_mode 1
		.amdhsa_fp16_overflow 0
		.amdhsa_workgroup_processor_mode 1
		.amdhsa_memory_ordered 1
		.amdhsa_forward_progress 1
		.amdhsa_shared_vgpr_count 0
		.amdhsa_exception_fp_ieee_invalid_op 0
		.amdhsa_exception_fp_denorm_src 0
		.amdhsa_exception_fp_ieee_div_zero 0
		.amdhsa_exception_fp_ieee_overflow 0
		.amdhsa_exception_fp_ieee_underflow 0
		.amdhsa_exception_fp_ieee_inexact 0
		.amdhsa_exception_int_div_zero 0
	.end_amdhsa_kernel
	.section	.text._ZN12_GLOBAL__N_120geam_min_plus_kernelIf15HIP_vector_typeIfLj2EEfLi32ELi8ELi256ELi64ELi4ELi64ELi4ELi4ELi64ELc78ELc78ELb0ELb0ELb1EPKfKS4_KPfEEviiiT16_PT17_ilSA_ilS8_SA_ilPT18_ili26rocblas_geam_ex_operation_,"axG",@progbits,_ZN12_GLOBAL__N_120geam_min_plus_kernelIf15HIP_vector_typeIfLj2EEfLi32ELi8ELi256ELi64ELi4ELi64ELi4ELi4ELi64ELc78ELc78ELb0ELb0ELb1EPKfKS4_KPfEEviiiT16_PT17_ilSA_ilS8_SA_ilPT18_ili26rocblas_geam_ex_operation_,comdat
.Lfunc_end3:
	.size	_ZN12_GLOBAL__N_120geam_min_plus_kernelIf15HIP_vector_typeIfLj2EEfLi32ELi8ELi256ELi64ELi4ELi64ELi4ELi4ELi64ELc78ELc78ELb0ELb0ELb1EPKfKS4_KPfEEviiiT16_PT17_ilSA_ilS8_SA_ilPT18_ili26rocblas_geam_ex_operation_, .Lfunc_end3-_ZN12_GLOBAL__N_120geam_min_plus_kernelIf15HIP_vector_typeIfLj2EEfLi32ELi8ELi256ELi64ELi4ELi64ELi4ELi4ELi64ELc78ELc78ELb0ELb0ELb1EPKfKS4_KPfEEviiiT16_PT17_ilSA_ilS8_SA_ilPT18_ili26rocblas_geam_ex_operation_
                                        ; -- End function
	.set _ZN12_GLOBAL__N_120geam_min_plus_kernelIf15HIP_vector_typeIfLj2EEfLi32ELi8ELi256ELi64ELi4ELi64ELi4ELi4ELi64ELc78ELc78ELb0ELb0ELb1EPKfKS4_KPfEEviiiT16_PT17_ilSA_ilS8_SA_ilPT18_ili26rocblas_geam_ex_operation_.num_vgpr, 166
	.set _ZN12_GLOBAL__N_120geam_min_plus_kernelIf15HIP_vector_typeIfLj2EEfLi32ELi8ELi256ELi64ELi4ELi64ELi4ELi4ELi64ELc78ELc78ELb0ELb0ELb1EPKfKS4_KPfEEviiiT16_PT17_ilSA_ilS8_SA_ilPT18_ili26rocblas_geam_ex_operation_.num_agpr, 0
	.set _ZN12_GLOBAL__N_120geam_min_plus_kernelIf15HIP_vector_typeIfLj2EEfLi32ELi8ELi256ELi64ELi4ELi64ELi4ELi4ELi64ELc78ELc78ELb0ELb0ELb1EPKfKS4_KPfEEviiiT16_PT17_ilSA_ilS8_SA_ilPT18_ili26rocblas_geam_ex_operation_.numbered_sgpr, 25
	.set _ZN12_GLOBAL__N_120geam_min_plus_kernelIf15HIP_vector_typeIfLj2EEfLi32ELi8ELi256ELi64ELi4ELi64ELi4ELi4ELi64ELc78ELc78ELb0ELb0ELb1EPKfKS4_KPfEEviiiT16_PT17_ilSA_ilS8_SA_ilPT18_ili26rocblas_geam_ex_operation_.num_named_barrier, 0
	.set _ZN12_GLOBAL__N_120geam_min_plus_kernelIf15HIP_vector_typeIfLj2EEfLi32ELi8ELi256ELi64ELi4ELi64ELi4ELi4ELi64ELc78ELc78ELb0ELb0ELb1EPKfKS4_KPfEEviiiT16_PT17_ilSA_ilS8_SA_ilPT18_ili26rocblas_geam_ex_operation_.private_seg_size, 0
	.set _ZN12_GLOBAL__N_120geam_min_plus_kernelIf15HIP_vector_typeIfLj2EEfLi32ELi8ELi256ELi64ELi4ELi64ELi4ELi4ELi64ELc78ELc78ELb0ELb0ELb1EPKfKS4_KPfEEviiiT16_PT17_ilSA_ilS8_SA_ilPT18_ili26rocblas_geam_ex_operation_.uses_vcc, 1
	.set _ZN12_GLOBAL__N_120geam_min_plus_kernelIf15HIP_vector_typeIfLj2EEfLi32ELi8ELi256ELi64ELi4ELi64ELi4ELi4ELi64ELc78ELc78ELb0ELb0ELb1EPKfKS4_KPfEEviiiT16_PT17_ilSA_ilS8_SA_ilPT18_ili26rocblas_geam_ex_operation_.uses_flat_scratch, 1
	.set _ZN12_GLOBAL__N_120geam_min_plus_kernelIf15HIP_vector_typeIfLj2EEfLi32ELi8ELi256ELi64ELi4ELi64ELi4ELi4ELi64ELc78ELc78ELb0ELb0ELb1EPKfKS4_KPfEEviiiT16_PT17_ilSA_ilS8_SA_ilPT18_ili26rocblas_geam_ex_operation_.has_dyn_sized_stack, 0
	.set _ZN12_GLOBAL__N_120geam_min_plus_kernelIf15HIP_vector_typeIfLj2EEfLi32ELi8ELi256ELi64ELi4ELi64ELi4ELi4ELi64ELc78ELc78ELb0ELb0ELb1EPKfKS4_KPfEEviiiT16_PT17_ilSA_ilS8_SA_ilPT18_ili26rocblas_geam_ex_operation_.has_recursion, 0
	.set _ZN12_GLOBAL__N_120geam_min_plus_kernelIf15HIP_vector_typeIfLj2EEfLi32ELi8ELi256ELi64ELi4ELi64ELi4ELi4ELi64ELc78ELc78ELb0ELb0ELb1EPKfKS4_KPfEEviiiT16_PT17_ilSA_ilS8_SA_ilPT18_ili26rocblas_geam_ex_operation_.has_indirect_call, 0
	.section	.AMDGPU.csdata,"",@progbits
; Kernel info:
; codeLenInByte = 17556
; TotalNumSgprs: 27
; NumVgprs: 166
; ScratchSize: 0
; MemoryBound: 0
; FloatMode: 240
; IeeeMode: 1
; LDSByteSize: 10240 bytes/workgroup (compile time only)
; SGPRBlocks: 0
; VGPRBlocks: 20
; NumSGPRsForWavesPerEU: 27
; NumVGPRsForWavesPerEU: 166
; Occupancy: 5
; WaveLimiterHint : 1
; COMPUTE_PGM_RSRC2:SCRATCH_EN: 0
; COMPUTE_PGM_RSRC2:USER_SGPR: 6
; COMPUTE_PGM_RSRC2:TRAP_HANDLER: 0
; COMPUTE_PGM_RSRC2:TGID_X_EN: 1
; COMPUTE_PGM_RSRC2:TGID_Y_EN: 0
; COMPUTE_PGM_RSRC2:TGID_Z_EN: 1
; COMPUTE_PGM_RSRC2:TIDIG_COMP_CNT: 1
	.section	.text._ZN12_GLOBAL__N_120geam_min_plus_kernelIf15HIP_vector_typeIfLj2EEfLi32ELi8ELi256ELi64ELi4ELi64ELi4ELi4ELi64ELc78ELc78ELb1ELb0ELb1EfKPKfKPfEEviiiT16_PT17_ilSA_ilS8_SA_ilPT18_ili26rocblas_geam_ex_operation_,"axG",@progbits,_ZN12_GLOBAL__N_120geam_min_plus_kernelIf15HIP_vector_typeIfLj2EEfLi32ELi8ELi256ELi64ELi4ELi64ELi4ELi4ELi64ELc78ELc78ELb1ELb0ELb1EfKPKfKPfEEviiiT16_PT17_ilSA_ilS8_SA_ilPT18_ili26rocblas_geam_ex_operation_,comdat
	.globl	_ZN12_GLOBAL__N_120geam_min_plus_kernelIf15HIP_vector_typeIfLj2EEfLi32ELi8ELi256ELi64ELi4ELi64ELi4ELi4ELi64ELc78ELc78ELb1ELb0ELb1EfKPKfKPfEEviiiT16_PT17_ilSA_ilS8_SA_ilPT18_ili26rocblas_geam_ex_operation_ ; -- Begin function _ZN12_GLOBAL__N_120geam_min_plus_kernelIf15HIP_vector_typeIfLj2EEfLi32ELi8ELi256ELi64ELi4ELi64ELi4ELi4ELi64ELc78ELc78ELb1ELb0ELb1EfKPKfKPfEEviiiT16_PT17_ilSA_ilS8_SA_ilPT18_ili26rocblas_geam_ex_operation_
	.p2align	8
	.type	_ZN12_GLOBAL__N_120geam_min_plus_kernelIf15HIP_vector_typeIfLj2EEfLi32ELi8ELi256ELi64ELi4ELi64ELi4ELi4ELi64ELc78ELc78ELb1ELb0ELb1EfKPKfKPfEEviiiT16_PT17_ilSA_ilS8_SA_ilPT18_ili26rocblas_geam_ex_operation_,@function
_ZN12_GLOBAL__N_120geam_min_plus_kernelIf15HIP_vector_typeIfLj2EEfLi32ELi8ELi256ELi64ELi4ELi64ELi4ELi4ELi64ELc78ELc78ELb1ELb0ELb1EfKPKfKPfEEviiiT16_PT17_ilSA_ilS8_SA_ilPT18_ili26rocblas_geam_ex_operation_: ; @_ZN12_GLOBAL__N_120geam_min_plus_kernelIf15HIP_vector_typeIfLj2EEfLi32ELi8ELi256ELi64ELi4ELi64ELi4ELi4ELi64ELc78ELc78ELb1ELb0ELb1EfKPKfKPfEEviiiT16_PT17_ilSA_ilS8_SA_ilPT18_ili26rocblas_geam_ex_operation_
; %bb.0:
	s_clause 0x1
	s_load_dwordx2 s[14:15], s[4:5], 0x8
	s_load_dwordx4 s[0:3], s[4:5], 0x20
	s_mov_b32 s8, s7
	s_mov_b32 s9, 0
	s_waitcnt lgkmcnt(0)
	v_cmp_eq_f32_e64 s7, s15, 0
	s_and_b32 vcc_lo, exec_lo, s7
	s_cbranch_vccnz .LBB4_3
; %bb.1:
	s_load_dwordx2 s[10:11], s[4:5], 0x10
	s_lshl_b64 s[12:13], s[8:9], 3
	s_waitcnt lgkmcnt(0)
	s_add_u32 s10, s10, s12
	s_addc_u32 s11, s11, s13
	s_lshl_b64 s[0:1], s[0:1], 2
	s_load_dwordx2 s[10:11], s[10:11], 0x0
	s_waitcnt lgkmcnt(0)
	s_add_u32 s16, s10, s0
	s_addc_u32 s17, s11, s1
	s_andn2_b32 vcc_lo, exec_lo, s7
	s_cbranch_vccnz .LBB4_4
.LBB4_2:
	s_mov_b32 s21, 0
	s_mov_b32 s20, s8
	;; [unrolled: 1-line block ×3, first 2 shown]
	s_mov_b64 s[12:13], 0
	s_andn2_b32 vcc_lo, exec_lo, s0
	s_mov_b64 s[18:19], 0
	s_cbranch_vccz .LBB4_5
	s_branch .LBB4_6
.LBB4_3:
	s_mov_b64 s[16:17], 0
	s_andn2_b32 vcc_lo, exec_lo, s7
	s_cbranch_vccz .LBB4_2
.LBB4_4:
	s_mov_b64 s[20:21], s[8:9]
	s_mov_b64 s[12:13], 0
	;; [unrolled: 1-line block ×3, first 2 shown]
.LBB4_5:
	s_lshl_b64 s[0:1], s[8:9], 3
	s_load_dwordx2 s[8:9], s[4:5], 0x38
	s_add_u32 s0, s2, s0
	s_addc_u32 s1, s3, s1
	s_load_dwordx2 s[0:1], s[0:1], 0x0
	s_waitcnt lgkmcnt(0)
	s_lshl_b64 s[2:3], s[8:9], 2
	s_add_u32 s18, s0, s2
	s_addc_u32 s19, s1, s3
.LBB4_6:
	s_clause 0x1
	s_load_dword s1, s[4:5], 0x40
	s_load_dwordx4 s[8:11], s[4:5], 0x58
	s_waitcnt lgkmcnt(0)
	v_cmp_eq_f32_e64 s0, s1, 0
	s_and_b32 s0, exec_lo, s0
	s_mov_b32 vcc_lo, s0
	s_cbranch_vccnz .LBB4_8
; %bb.7:
	s_load_dwordx2 s[2:3], s[4:5], 0x48
	s_lshl_b64 s[12:13], s[20:21], 3
	s_waitcnt lgkmcnt(0)
	s_add_u32 s2, s2, s12
	s_addc_u32 s3, s3, s13
	s_lshl_b64 s[8:9], s[8:9], 2
	s_load_dwordx2 s[2:3], s[2:3], 0x0
	s_waitcnt lgkmcnt(0)
	s_add_u32 s12, s2, s8
	s_addc_u32 s13, s3, s9
.LBB4_8:
	s_clause 0x2
	s_load_dword s7, s[4:5], 0x0
	s_load_dword s8, s[4:5], 0x18
	;; [unrolled: 1-line block ×3, first 2 shown]
	s_lshl_b64 s[2:3], s[20:21], 3
	v_and_b32_e32 v5, 3, v0
	s_add_u32 s2, s10, s2
	s_addc_u32 s3, s11, s3
	v_lshlrev_b32_e32 v73, 4, v0
	s_load_dwordx2 s[2:3], s[2:3], 0x0
	v_lshlrev_b32_e32 v71, 2, v5
	v_lshlrev_b32_e32 v72, 4, v1
	s_waitcnt lgkmcnt(0)
	s_add_i32 s7, s7, -1
	s_ashr_i32 s10, s7, 31
	s_lshr_b32 s10, s10, 24
	s_add_i32 s7, s7, s10
	s_ashr_i32 s7, s7, 8
	s_add_i32 s10, s7, 1
	s_not_b32 s7, s7
	v_cvt_f32_u32_e32 v2, s10
	v_rcp_iflag_f32_e32 v2, v2
	v_mul_f32_e32 v2, 0x4f7ffffe, v2
	v_cvt_u32_f32_e32 v2, v2
	v_readfirstlane_b32 s11, v2
	v_lshl_add_u32 v2, v1, 5, v0
	s_mul_i32 s7, s7, s11
	v_lshrrev_b32_e32 v70, 6, v2
	s_mul_hi_u32 s7, s11, s7
	v_and_b32_e32 v6, 63, v2
	s_add_i32 s11, s11, s7
	v_lshrrev_b32_e32 v7, 2, v2
	s_mul_hi_u32 s7, s6, s11
	v_mad_i64_i32 v[3:4], null, s8, v70, 0
	s_mul_i32 s11, s7, s10
	s_add_i32 s15, s7, 1
	s_sub_i32 s11, s6, s11
	v_lshl_or_b32 v78, v7, 4, v71
	s_sub_i32 s20, s11, s10
	s_cmp_ge_u32 s11, s10
	v_lshlrev_b64 v[3:4], 2, v[3:4]
	s_cselect_b32 s7, s15, s7
	s_cselect_b32 s11, s20, s11
	s_add_i32 s15, s7, 1
	s_cmp_ge_u32 s11, s10
	s_cselect_b32 s7, s15, s7
	v_add_co_u32 v8, vcc_lo, s16, v3
	s_mul_i32 s10, s7, s10
	v_add_co_ci_u32_e64 v4, null, s17, v4, vcc_lo
	s_sub_i32 s6, s6, s10
	s_lshl_b32 s10, s7, 6
	s_lshl_b32 s11, s6, 8
	s_cmp_lt_i32 s14, 9
	v_or_b32_e32 v2, s11, v6
	v_ashrrev_i32_e32 v3, 31, v2
	v_lshlrev_b64 v[66:67], 2, v[2:3]
	v_add_co_u32 v2, vcc_lo, v8, v66
	v_add_co_ci_u32_e64 v3, null, v4, v67, vcc_lo
	s_clause 0x3
	flat_load_dword v8, v[2:3]
	flat_load_dword v9, v[2:3] offset:256
	flat_load_dword v10, v[2:3] offset:512
	;; [unrolled: 1-line block ×3, first 2 shown]
	v_add_nc_u32_e32 v2, s10, v7
	v_add_nc_u32_e32 v4, 4, v70
	v_mad_i64_i32 v[2:3], null, v2, s9, 0
	v_mad_i64_i32 v[4:5], null, s8, v4, 0
	v_lshlrev_b64 v[68:69], 2, v[2:3]
	v_lshlrev_b64 v[4:5], 2, v[4:5]
	v_add_co_u32 v2, vcc_lo, s18, v68
	v_add_co_ci_u32_e64 v3, null, s19, v69, vcc_lo
	v_add_co_u32 v2, vcc_lo, v2, v71
	v_add_co_ci_u32_e64 v3, null, 0, v3, vcc_lo
	;; [unrolled: 2-line block ×3, first 2 shown]
	flat_load_dword v12, v[2:3]
	v_add_co_u32 v4, vcc_lo, v4, v66
	v_add_co_ci_u32_e64 v5, null, v5, v67, vcc_lo
	s_clause 0x3
	flat_load_dword v75, v[4:5]
	flat_load_dword v76, v[4:5] offset:256
	flat_load_dword v77, v[4:5] offset:512
	;; [unrolled: 1-line block ×4, first 2 shown]
	v_lshlrev_b32_e32 v2, 4, v6
	v_lshl_add_u32 v74, v70, 2, v2
	s_waitcnt vmcnt(8) lgkmcnt(8)
	ds_write2st64_b32 v74, v8, v9 offset1:4
	s_waitcnt vmcnt(6) lgkmcnt(7)
	ds_write2st64_b32 v74, v10, v11 offset0:8 offset1:12
	s_waitcnt vmcnt(5) lgkmcnt(7)
	ds_write_b32 v78, v12 offset:8192
	s_waitcnt vmcnt(0) lgkmcnt(0)
	s_barrier
	buffer_gl0_inv
	ds_read_b128 v[34:37], v73
	ds_read_b128 v[26:29], v73 offset:512
	ds_read_b128 v[22:25], v73 offset:1024
	;; [unrolled: 1-line block ×15, first 2 shown]
	ds_write2st64_b32 v74, v75, v76 offset0:16 offset1:20
	ds_write2st64_b32 v74, v77, v79 offset0:24 offset1:28
	ds_write_b32 v78, v91 offset:9216
	s_waitcnt lgkmcnt(0)
	s_barrier
	buffer_gl0_inv
	v_add_f32_e32 v80, v35, v63
	v_add_f32_e32 v81, v34, v62
	v_min3_f32 v116, v81, v80, 0x7f7fffff
	v_add_f32_e32 v80, v27, v63
	v_add_f32_e32 v81, v26, v62
	;; [unrolled: 1-line block ×3, first 2 shown]
	v_min3_f32 v117, v81, v80, 0x7f7fffff
	v_add_f32_e32 v80, v23, v63
	v_add_f32_e32 v81, v22, v62
	v_min3_f32 v118, v81, v80, 0x7f7fffff
	v_add_f32_e32 v80, v19, v63
	v_add_f32_e32 v81, v18, v62
	v_min3_f32 v119, v81, v80, 0x7f7fffff
	v_add_f32_e32 v80, v15, v63
	v_add_f32_e32 v81, v14, v62
	v_min3_f32 v120, v81, v80, 0x7f7fffff
	v_add_f32_e32 v80, v11, v63
	v_add_f32_e32 v81, v10, v62
	v_min3_f32 v121, v81, v80, 0x7f7fffff
	v_add_f32_e32 v80, v7, v63
	v_add_f32_e32 v81, v6, v62
	v_add_f32_e32 v63, v3, v63
	v_add_f32_e32 v62, v2, v62
	v_min3_f32 v122, v81, v80, 0x7f7fffff
	v_min3_f32 v123, v62, v63, 0x7f7fffff
	v_add_f32_e32 v62, v35, v59
	v_add_f32_e32 v63, v34, v58
	v_min3_f32 v115, v63, v62, 0x7f7fffff
	v_add_f32_e32 v62, v27, v59
	v_add_f32_e32 v63, v26, v58
	v_min3_f32 v114, v63, v62, 0x7f7fffff
	v_add_f32_e32 v62, v23, v59
	v_add_f32_e32 v63, v22, v58
	v_min3_f32 v113, v63, v62, 0x7f7fffff
	v_add_f32_e32 v62, v19, v59
	v_add_f32_e32 v63, v18, v58
	v_min3_f32 v112, v63, v62, 0x7f7fffff
	v_add_f32_e32 v62, v15, v59
	v_add_f32_e32 v63, v14, v58
	v_min3_f32 v111, v63, v62, 0x7f7fffff
	v_add_f32_e32 v62, v11, v59
	v_add_f32_e32 v63, v10, v58
	v_min3_f32 v110, v63, v62, 0x7f7fffff
	v_add_f32_e32 v62, v7, v59
	v_add_f32_e32 v63, v6, v58
	v_add_f32_e32 v59, v3, v59
	v_add_f32_e32 v58, v2, v58
	v_min3_f32 v109, v63, v62, 0x7f7fffff
	v_min3_f32 v108, v58, v59, 0x7f7fffff
	v_add_f32_e32 v58, v35, v55
	v_add_f32_e32 v59, v34, v54
	v_min3_f32 v107, v59, v58, 0x7f7fffff
	v_add_f32_e32 v58, v27, v55
	v_add_f32_e32 v59, v26, v54
	;; [unrolled: 24-line block ×5, first 2 shown]
	v_min3_f32 v81, v47, v46, 0x7f7fffff
	v_add_f32_e32 v46, v23, v43
	v_add_f32_e32 v47, v22, v42
	v_min3_f32 v80, v47, v46, 0x7f7fffff
	v_add_f32_e32 v46, v19, v43
	v_add_f32_e32 v47, v18, v42
	;; [unrolled: 3-line block ×5, first 2 shown]
	v_add_f32_e32 v43, v3, v43
	v_add_f32_e32 v42, v2, v42
	;; [unrolled: 1-line block ×3, first 2 shown]
	v_min3_f32 v58, v47, v46, 0x7f7fffff
	v_min3_f32 v55, v42, v43, 0x7f7fffff
	v_add_f32_e32 v42, v35, v39
	v_add_f32_e32 v43, v34, v38
	v_add_f32_e32 v35, v35, v31
	v_add_f32_e32 v34, v34, v30
	v_min3_f32 v54, v43, v42, 0x7f7fffff
	v_add_f32_e32 v42, v27, v39
	v_add_f32_e32 v43, v26, v38
	v_min3_f32 v34, v34, v35, 0x7f7fffff
	v_add_f32_e32 v27, v27, v31
	v_add_f32_e32 v26, v26, v30
	;; [unrolled: 3-line block ×9, first 2 shown]
	v_add_f32_e32 v38, v2, v38
	v_add_f32_e32 v2, v2, v30
	v_min3_f32 v14, v14, v15, 0x7f7fffff
	v_add_f32_e32 v11, v11, v31
	v_min3_f32 v43, v43, v42, 0x7f7fffff
	v_add_f32_e32 v42, v7, v39
	v_add_f32_e32 v39, v3, v39
	;; [unrolled: 1-line block ×5, first 2 shown]
	v_min3_f32 v42, v124, v42, 0x7f7fffff
	v_min3_f32 v38, v38, v39, 0x7f7fffff
	;; [unrolled: 1-line block ×4, first 2 shown]
	v_add_f32_e32 v3, v37, v65
	v_add_f32_e32 v7, v36, v64
	v_min3_f32 v10, v10, v11, 0x7f7fffff
	v_min3_f32 v146, v7, v3, v116
	v_add_f32_e32 v3, v29, v65
	v_add_f32_e32 v7, v28, v64
	v_min3_f32 v143, v7, v3, v117
	v_add_f32_e32 v3, v25, v65
	v_add_f32_e32 v7, v24, v64
	;; [unrolled: 3-line block ×55, first 2 shown]
	v_add_f32_e32 v4, v4, v32
	v_min3_f32 v86, v7, v3, v38
	v_add_f32_e32 v3, v37, v33
	v_add_f32_e32 v7, v36, v32
	v_min3_f32 v87, v7, v3, v34
	v_add_f32_e32 v3, v29, v33
	;; [unrolled: 3-line block ×8, first 2 shown]
	v_min3_f32 v123, v4, v3, v2
	s_cbranch_scc1 .LBB4_11
; %bb.9:
	v_add_nc_u32_e32 v2, 8, v70
	v_add_nc_u32_e32 v4, 12, v70
	v_add_co_u32 v6, vcc_lo, v68, v71
	v_add_co_ci_u32_e64 v7, null, 0, v69, vcc_lo
	v_mad_i64_i32 v[2:3], null, v2, s8, 0
	v_mad_i64_i32 v[4:5], null, v4, s8, 0
	v_add_co_u32 v93, vcc_lo, s16, v66
	v_add_co_ci_u32_e64 v94, null, s17, v67, vcc_lo
	v_add_co_u32 v6, vcc_lo, s18, v6
	v_add_co_ci_u32_e64 v7, null, s19, v7, vcc_lo
	v_lshlrev_b64 v[66:67], 2, v[2:3]
	v_add_co_u32 v70, vcc_lo, v6, 48
	v_lshlrev_b64 v[68:69], 2, v[4:5]
	v_add_nc_u32_e32 v75, 0x2000, v78
	v_or_b32_e32 v76, 0x2000, v72
	v_add_nc_u32_e32 v77, 0x1000, v74
	v_add_nc_u32_e32 v78, 0x2400, v78
	v_lshl_or_b32 v79, v0, 4, 0x1000
	v_lshl_add_u32 v91, v1, 4, 0x2400
	v_add_co_ci_u32_e64 v71, null, 0, v7, vcc_lo
	s_ashr_i32 s9, s8, 31
	s_add_i32 s14, s14, -8
	s_lshl_b64 s[6:7], s[8:9], 5
	s_mov_b32 s8, 0
.LBB4_10:                               ; =>This Inner Loop Header: Depth=1
	v_add_co_u32 v2, vcc_lo, v93, v66
	v_add_co_ci_u32_e64 v3, null, v94, v67, vcc_lo
	s_add_i32 s8, s8, 8
	s_clause 0x3
	flat_load_dword v147, v[2:3]
	flat_load_dword v148, v[2:3] offset:256
	flat_load_dword v149, v[2:3] offset:512
	flat_load_dword v150, v[2:3] offset:768
	v_add_co_u32 v2, vcc_lo, -16, v70
	v_add_co_ci_u32_e64 v3, null, -1, v71, vcc_lo
	s_cmp_ge_i32 s8, s14
	flat_load_dword v151, v[2:3]
	ds_read_b128 v[30:33], v79
	ds_read_b128 v[26:29], v79 offset:512
	ds_read_b128 v[22:25], v79 offset:1024
	;; [unrolled: 1-line block ×7, first 2 shown]
	ds_read_b128 v[62:65], v91
	ds_read_b128 v[58:61], v91 offset:128
	ds_read_b128 v[54:57], v91 offset:256
	;; [unrolled: 1-line block ×7, first 2 shown]
	s_waitcnt vmcnt(3) lgkmcnt(19)
	ds_write2st64_b32 v74, v147, v148 offset1:4
	s_waitcnt vmcnt(1) lgkmcnt(18)
	ds_write2st64_b32 v74, v149, v150 offset0:8 offset1:12
	s_waitcnt vmcnt(0) lgkmcnt(18)
	ds_write_b32 v75, v151
	s_waitcnt lgkmcnt(10)
	v_add_f32_e32 v152, v31, v63
	v_add_f32_e32 v153, v30, v62
	s_waitcnt lgkmcnt(0)
	s_barrier
	buffer_gl0_inv
	v_min3_f32 v146, v153, v152, v146
	v_add_f32_e32 v152, v27, v63
	v_add_f32_e32 v153, v26, v62
	v_min3_f32 v152, v153, v152, v143
	v_add_f32_e32 v143, v23, v63
	v_add_f32_e32 v153, v22, v62
	v_min3_f32 v153, v153, v143, v144
	v_add_f32_e32 v143, v19, v63
	v_add_f32_e32 v144, v18, v62
	v_min3_f32 v154, v144, v143, v140
	v_add_f32_e32 v140, v15, v63
	v_add_f32_e32 v143, v14, v62
	v_min3_f32 v155, v143, v140, v141
	v_add_f32_e32 v140, v11, v63
	v_add_f32_e32 v141, v10, v62
	v_min3_f32 v156, v141, v140, v135
	v_add_f32_e32 v135, v7, v63
	v_add_f32_e32 v140, v6, v62
	v_add_f32_e32 v63, v3, v63
	v_add_f32_e32 v62, v2, v62
	v_min3_f32 v157, v140, v135, v136
	v_min3_f32 v158, v62, v63, v131
	v_add_f32_e32 v62, v31, v59
	v_add_f32_e32 v63, v30, v58
	v_min3_f32 v144, v63, v62, v145
	v_add_f32_e32 v62, v27, v59
	v_add_f32_e32 v63, v26, v58
	v_min3_f32 v143, v63, v62, v139
	v_add_f32_e32 v62, v23, v59
	v_add_f32_e32 v63, v22, v58
	v_min3_f32 v141, v63, v62, v142
	v_add_f32_e32 v62, v19, v59
	v_add_f32_e32 v63, v18, v58
	v_min3_f32 v140, v63, v62, v137
	v_add_f32_e32 v62, v15, v59
	v_add_f32_e32 v63, v14, v58
	v_min3_f32 v139, v63, v62, v138
	v_add_f32_e32 v62, v11, v59
	v_add_f32_e32 v63, v10, v58
	v_min3_f32 v138, v63, v62, v132
	v_add_f32_e32 v62, v7, v59
	v_add_f32_e32 v63, v6, v58
	v_add_f32_e32 v59, v3, v59
	v_add_f32_e32 v58, v2, v58
	v_min3_f32 v137, v63, v62, v133
	v_min3_f32 v136, v58, v59, v129
	v_add_f32_e32 v58, v31, v55
	v_add_f32_e32 v59, v30, v54
	;; [unrolled: 24-line block ×6, first 2 shown]
	v_add_f32_e32 v31, v31, v35
	v_add_f32_e32 v30, v30, v34
	v_min3_f32 v54, v43, v42, v100
	v_add_f32_e32 v42, v27, v39
	v_add_f32_e32 v43, v26, v38
	v_min3_f32 v30, v30, v31, v87
	;; [unrolled: 3-line block ×3, first 2 shown]
	v_add_f32_e32 v42, v23, v39
	v_add_f32_e32 v43, v22, v38
	v_add_f32_e32 v23, v23, v35
	v_add_f32_e32 v22, v22, v34
	v_min3_f32 v26, v26, v27, v84
	v_min3_f32 v50, v43, v42, v97
	v_add_f32_e32 v42, v19, v39
	v_add_f32_e32 v43, v18, v38
	v_min3_f32 v22, v22, v23, v85
	v_add_f32_e32 v19, v19, v35
	v_add_f32_e32 v18, v18, v34
	;; [unrolled: 3-line block ×3, first 2 shown]
	v_add_f32_e32 v15, v15, v35
	v_add_f32_e32 v14, v14, v34
	v_min3_f32 v18, v18, v19, v82
	v_min3_f32 v46, v43, v42, v92
	v_add_f32_e32 v42, v11, v39
	v_add_f32_e32 v43, v10, v38
	v_min3_f32 v14, v14, v15, v83
	v_add_f32_e32 v11, v11, v35
	v_add_f32_e32 v10, v10, v34
	;; [unrolled: 3-line block ×3, first 2 shown]
	v_add_f32_e32 v39, v3, v39
	v_add_f32_e32 v38, v2, v38
	;; [unrolled: 1-line block ×6, first 2 shown]
	v_min3_f32 v38, v38, v39, v86
	v_min3_f32 v10, v10, v11, v80
	;; [unrolled: 1-line block ×3, first 2 shown]
	v_add_f32_e32 v7, v32, v64
	v_min3_f32 v2, v2, v3, v123
	v_add_f32_e32 v3, v33, v65
	v_min3_f32 v42, v88, v42, v89
	v_min3_f32 v87, v7, v3, v146
	v_add_f32_e32 v3, v29, v65
	v_add_f32_e32 v7, v28, v64
	v_min3_f32 v86, v7, v3, v152
	v_add_f32_e32 v3, v25, v65
	v_add_f32_e32 v7, v24, v64
	;; [unrolled: 3-line block ×55, first 2 shown]
	v_add_f32_e32 v4, v4, v36
	v_min3_f32 v165, v7, v3, v38
	v_add_f32_e32 v3, v33, v37
	v_add_f32_e32 v7, v32, v36
	v_min3_f32 v166, v7, v3, v30
	v_add_f32_e32 v3, v29, v37
	;; [unrolled: 3-line block ×8, first 2 shown]
	v_min3_f32 v173, v4, v3, v2
	v_add_co_u32 v2, vcc_lo, v93, v68
	v_add_co_ci_u32_e64 v3, null, v94, v69, vcc_lo
	s_clause 0x3
	flat_load_dword v147, v[2:3]
	flat_load_dword v148, v[2:3] offset:256
	flat_load_dword v149, v[2:3] offset:512
	flat_load_dword v150, v[2:3] offset:768
	flat_load_dword v151, v[70:71]
	ds_read_b128 v[34:37], v73
	ds_read_b128 v[30:33], v73 offset:512
	ds_read_b128 v[26:29], v73 offset:1024
	;; [unrolled: 1-line block ×7, first 2 shown]
	ds_read_b128 v[62:65], v76
	ds_read_b128 v[58:61], v76 offset:128
	ds_read_b128 v[54:57], v76 offset:256
	;; [unrolled: 1-line block ×7, first 2 shown]
	v_add_co_u32 v70, vcc_lo, v70, 32
	v_add_co_ci_u32_e64 v71, null, 0, v71, vcc_lo
	v_add_co_u32 v93, vcc_lo, v93, s6
	v_add_co_ci_u32_e64 v94, null, s7, v94, vcc_lo
	s_waitcnt vmcnt(3) lgkmcnt(19)
	ds_write2st64_b32 v77, v147, v148 offset1:4
	s_waitcnt vmcnt(1) lgkmcnt(18)
	ds_write2st64_b32 v77, v149, v150 offset0:8 offset1:12
	s_waitcnt vmcnt(0) lgkmcnt(18)
	ds_write_b32 v78, v151
	s_waitcnt lgkmcnt(10)
	v_add_f32_e32 v103, v35, v63
	v_add_f32_e32 v104, v34, v62
	s_waitcnt lgkmcnt(0)
	s_barrier
	buffer_gl0_inv
	v_min3_f32 v118, v104, v103, v87
	v_add_f32_e32 v87, v31, v63
	v_add_f32_e32 v103, v30, v62
	v_min3_f32 v119, v103, v87, v86
	v_add_f32_e32 v86, v27, v63
	v_add_f32_e32 v87, v26, v62
	;; [unrolled: 3-line block ×6, first 2 shown]
	v_add_f32_e32 v63, v3, v63
	v_add_f32_e32 v62, v2, v62
	v_min3_f32 v126, v83, v82, v81
	v_min3_f32 v127, v62, v63, v80
	v_add_f32_e32 v62, v35, v59
	v_add_f32_e32 v63, v34, v58
	v_min3_f32 v117, v63, v62, v88
	v_add_f32_e32 v62, v31, v59
	v_add_f32_e32 v63, v30, v58
	;; [unrolled: 3-line block ×7, first 2 shown]
	v_add_f32_e32 v59, v3, v59
	v_add_f32_e32 v58, v2, v58
	v_min3_f32 v111, v63, v62, v97
	v_min3_f32 v110, v58, v59, v98
	v_add_f32_e32 v58, v35, v55
	v_add_f32_e32 v59, v34, v54
	v_min3_f32 v109, v59, v58, v99
	v_add_f32_e32 v58, v31, v55
	v_add_f32_e32 v59, v30, v54
	;; [unrolled: 3-line block ×7, first 2 shown]
	v_add_f32_e32 v55, v3, v55
	v_add_f32_e32 v54, v2, v54
	v_add_f32_e32 v121, v6, v38
	v_min3_f32 v103, v59, v58, v123
	v_min3_f32 v102, v54, v55, v128
	v_add_f32_e32 v54, v35, v51
	v_add_f32_e32 v55, v34, v50
	v_min3_f32 v101, v55, v54, v129
	v_add_f32_e32 v54, v31, v51
	v_add_f32_e32 v55, v30, v50
	v_min3_f32 v100, v55, v54, v130
	v_add_f32_e32 v54, v27, v51
	v_add_f32_e32 v55, v26, v50
	v_min3_f32 v99, v55, v54, v131
	v_add_f32_e32 v54, v23, v51
	v_add_f32_e32 v55, v22, v50
	v_min3_f32 v98, v55, v54, v132
	v_add_f32_e32 v54, v19, v51
	v_add_f32_e32 v55, v18, v50
	v_min3_f32 v97, v55, v54, v133
	v_add_f32_e32 v54, v11, v51
	v_add_f32_e32 v55, v10, v50
	v_min3_f32 v96, v55, v54, v134
	v_add_f32_e32 v54, v7, v51
	v_add_f32_e32 v55, v6, v50
	v_add_f32_e32 v51, v3, v51
	v_add_f32_e32 v50, v2, v50
	v_min3_f32 v95, v55, v54, v135
	v_min3_f32 v92, v50, v51, v136
	v_add_f32_e32 v50, v35, v47
	v_add_f32_e32 v51, v34, v46
	v_min3_f32 v90, v51, v50, v137
	v_add_f32_e32 v50, v31, v47
	v_add_f32_e32 v51, v30, v46
	v_min3_f32 v89, v51, v50, v138
	v_add_f32_e32 v50, v27, v47
	v_add_f32_e32 v51, v26, v46
	v_min3_f32 v88, v51, v50, v139
	v_add_f32_e32 v50, v23, v47
	v_add_f32_e32 v51, v22, v46
	v_min3_f32 v87, v51, v50, v140
	v_add_f32_e32 v50, v19, v47
	v_add_f32_e32 v51, v18, v46
	v_min3_f32 v86, v51, v50, v141
	v_add_f32_e32 v50, v11, v47
	v_add_f32_e32 v51, v10, v46
	v_min3_f32 v85, v51, v50, v142
	v_add_f32_e32 v50, v7, v47
	;; [unrolled: 24-line block ×3, first 2 shown]
	v_add_f32_e32 v47, v6, v42
	v_add_f32_e32 v43, v3, v43
	;; [unrolled: 1-line block ×4, first 2 shown]
	v_min3_f32 v58, v47, v46, v156
	v_min3_f32 v55, v42, v43, v157
	v_add_f32_e32 v42, v35, v39
	v_add_f32_e32 v43, v34, v38
	;; [unrolled: 1-line block ×4, first 2 shown]
	v_min3_f32 v54, v43, v42, v158
	v_add_f32_e32 v42, v31, v39
	v_add_f32_e32 v43, v30, v38
	v_min3_f32 v34, v34, v35, v166
	v_add_f32_e32 v31, v31, v15
	v_add_f32_e32 v30, v30, v14
	;; [unrolled: 3-line block ×9, first 2 shown]
	v_add_f32_e32 v38, v2, v38
	v_add_f32_e32 v2, v2, v14
	v_min3_f32 v18, v18, v19, v170
	v_add_f32_e32 v11, v11, v15
	v_min3_f32 v43, v43, v42, v163
	v_add_f32_e32 v42, v7, v39
	v_add_f32_e32 v39, v3, v39
	;; [unrolled: 1-line block ×5, first 2 shown]
	v_min3_f32 v42, v121, v42, v164
	v_min3_f32 v38, v38, v39, v165
	;; [unrolled: 1-line block ×4, first 2 shown]
	v_add_f32_e32 v3, v37, v65
	v_add_f32_e32 v7, v36, v64
	v_min3_f32 v10, v10, v11, v171
	v_min3_f32 v146, v7, v3, v118
	v_add_f32_e32 v3, v33, v65
	v_add_f32_e32 v7, v32, v64
	v_min3_f32 v143, v7, v3, v119
	v_add_f32_e32 v3, v29, v65
	v_add_f32_e32 v7, v28, v64
	;; [unrolled: 3-line block ×55, first 2 shown]
	v_add_f32_e32 v4, v4, v16
	v_min3_f32 v86, v7, v3, v38
	v_add_f32_e32 v3, v37, v17
	v_add_f32_e32 v7, v36, v16
	v_min3_f32 v87, v7, v3, v34
	v_add_f32_e32 v3, v33, v17
	;; [unrolled: 3-line block ×8, first 2 shown]
	v_min3_f32 v123, v4, v3, v2
	s_cbranch_scc0 .LBB4_10
.LBB4_11:
	ds_read_b128 v[34:37], v73 offset:4096
	ds_read_b128 v[62:65], v72 offset:9216
	s_clause 0x2
	s_load_dwordx2 s[8:9], s[4:5], 0x70
	s_load_dword s6, s[4:5], 0x50
	s_load_dword s4, s[4:5], 0x68
	ds_read_b128 v[30:33], v73 offset:4608
	ds_read_b128 v[26:29], v73 offset:5120
	;; [unrolled: 1-line block ×12, first 2 shown]
	v_add_nc_u32_e32 v91, s10, v1
	v_add_nc_u32_e32 v76, s11, v0
	s_mov_b32 s5, -1
	v_ashrrev_i32_e32 v77, 31, v76
	s_waitcnt lgkmcnt(0)
	s_lshl_b64 s[8:9], s[8:9], 2
	v_add_f32_e32 v0, v35, v63
	v_add_f32_e32 v6, v34, v62
	v_mad_i64_i32 v[66:67], null, v91, s4, 0
	v_mad_i64_i32 v[68:69], null, v91, s6, 0
	v_min3_f32 v1, v6, v0, v146
	ds_read_b128 v[38:41], v72 offset:9984
	ds_read_b128 v[6:9], v72 offset:10112
	v_add_f32_e32 v70, v37, v65
	v_add_f32_e32 v71, v36, v64
	v_lshlrev_b64 v[66:67], 2, v[66:67]
	s_add_u32 s2, s2, s8
	v_lshlrev_b64 v[68:69], 2, v[68:69]
	v_add_nc_u32_e32 v0, 32, v76
	v_min3_f32 v70, v71, v70, v1
	s_addc_u32 s3, s3, s9
	v_add_co_u32 v93, vcc_lo, s2, v66
	v_add_co_ci_u32_e64 v94, null, s3, v67, vcc_lo
	v_add_co_u32 v146, vcc_lo, s12, v68
	v_lshlrev_b64 v[66:67], 2, v[76:77]
	v_ashrrev_i32_e32 v1, 31, v0
	v_add_co_ci_u32_e64 v147, null, s13, v69, vcc_lo
	v_max_f32_e32 v68, v70, v70
	s_mov_b32 vcc_lo, s0
	s_cbranch_vccz .LBB4_13
; %bb.12:
	v_add_co_u32 v69, vcc_lo, v93, v66
	v_min_f32_e32 v71, 0, v68
	v_add_co_ci_u32_e64 v70, null, v94, v67, vcc_lo
	s_mov_b32 s5, 0
	flat_store_dword v[69:70], v71
.LBB4_13:
	v_lshlrev_b64 v[0:1], 2, v[0:1]
	v_mov_b32_e32 v69, 0
	s_andn2_b32 vcc_lo, exec_lo, s5
	s_cbranch_vccnz .LBB4_15
; %bb.14:
	v_add_co_u32 v69, vcc_lo, v146, v66
	v_add_co_ci_u32_e64 v70, null, v147, v67, vcc_lo
	flat_load_dword v69, v[69:70]
	s_waitcnt vmcnt(0) lgkmcnt(0)
	v_mul_f32_e32 v71, s1, v69
	v_add_co_u32 v69, vcc_lo, v93, v66
	v_add_co_ci_u32_e64 v70, null, v94, v67, vcc_lo
	v_min_f32_e32 v68, v71, v68
	v_add_co_u32 v71, vcc_lo, v146, v0
	v_add_co_ci_u32_e64 v72, null, v147, v1, vcc_lo
	flat_store_dword v[69:70], v68
	flat_load_dword v68, v[71:72]
	s_waitcnt vmcnt(0) lgkmcnt(0)
	v_mul_f32_e32 v69, s1, v68
.LBB4_15:
	v_add_f32_e32 v68, v31, v63
	v_add_f32_e32 v70, v30, v62
	;; [unrolled: 1-line block ×6, first 2 shown]
	v_min3_f32 v75, v70, v68, v143
	v_add_nc_u32_e32 v70, 64, v76
	v_min3_f32 v77, v72, v71, v144
	v_add_f32_e32 v78, v28, v64
	v_min_f32_e32 v71, v74, v73
	v_add_f32_e32 v74, v29, v65
	v_add_co_u32 v72, vcc_lo, v93, v0
	v_add_nc_u32_e32 v68, 0x60, v76
	v_min3_f32 v75, v69, v71, v75
	v_ashrrev_i32_e32 v71, 31, v70
	v_add_co_ci_u32_e64 v73, null, v94, v1, vcc_lo
	v_min3_f32 v74, v78, v74, v77
	v_ashrrev_i32_e32 v69, 31, v68
	v_lshlrev_b64 v[70:71], 2, v[70:71]
	flat_store_dword v[72:73], v75
	s_mov_b32 s5, -1
	v_max_f32_e32 v72, v74, v74
	s_mov_b32 vcc_lo, s0
	s_cbranch_vccz .LBB4_17
; %bb.16:
	v_add_co_u32 v73, vcc_lo, v93, v70
	v_min_f32_e32 v75, 0, v72
	v_add_co_ci_u32_e64 v74, null, v94, v71, vcc_lo
	s_mov_b32 s5, 0
	flat_store_dword v[73:74], v75
.LBB4_17:
	v_lshlrev_b64 v[68:69], 2, v[68:69]
	v_mov_b32_e32 v73, 0
	s_andn2_b32 vcc_lo, exec_lo, s5
	s_cbranch_vccnz .LBB4_19
; %bb.18:
	v_add_co_u32 v73, vcc_lo, v146, v70
	v_add_co_ci_u32_e64 v74, null, v147, v71, vcc_lo
	flat_load_dword v73, v[73:74]
	s_waitcnt vmcnt(0) lgkmcnt(0)
	v_mul_f32_e32 v75, s1, v73
	v_add_co_u32 v73, vcc_lo, v93, v70
	v_add_co_ci_u32_e64 v74, null, v94, v71, vcc_lo
	v_add_co_u32 v77, vcc_lo, v146, v68
	v_min_f32_e32 v72, v75, v72
	v_add_co_ci_u32_e64 v78, null, v147, v69, vcc_lo
	flat_store_dword v[73:74], v72
	flat_load_dword v72, v[77:78]
	s_waitcnt vmcnt(0) lgkmcnt(0)
	v_mul_f32_e32 v73, s1, v72
.LBB4_19:
	v_add_f32_e32 v72, v23, v63
	v_add_f32_e32 v74, v22, v62
	;; [unrolled: 1-line block ×6, first 2 shown]
	v_min3_f32 v140, v74, v72, v140
	v_add_nc_u32_e32 v74, 0x80, v76
	v_min3_f32 v141, v77, v75, v141
	v_add_f32_e32 v143, v20, v64
	v_min_f32_e32 v75, v79, v78
	v_add_f32_e32 v79, v21, v65
	v_add_co_u32 v77, vcc_lo, v93, v68
	v_add_nc_u32_e32 v72, 0xa0, v76
	v_min3_f32 v140, v73, v75, v140
	v_ashrrev_i32_e32 v75, 31, v74
	v_add_co_ci_u32_e64 v78, null, v94, v69, vcc_lo
	v_min3_f32 v79, v143, v79, v141
	v_ashrrev_i32_e32 v73, 31, v72
	v_lshlrev_b64 v[74:75], 2, v[74:75]
	flat_store_dword v[77:78], v140
	s_mov_b32 s5, -1
	v_max_f32_e32 v77, v79, v79
	s_mov_b32 vcc_lo, s0
	s_cbranch_vccz .LBB4_21
; %bb.20:
	v_add_co_u32 v78, vcc_lo, v93, v74
	v_min_f32_e32 v140, 0, v77
	v_add_co_ci_u32_e64 v79, null, v94, v75, vcc_lo
	s_mov_b32 s5, 0
	flat_store_dword v[78:79], v140
.LBB4_21:
	v_lshlrev_b64 v[72:73], 2, v[72:73]
	v_mov_b32_e32 v79, 0
	s_andn2_b32 vcc_lo, exec_lo, s5
	s_cbranch_vccnz .LBB4_23
; %bb.22:
	v_add_co_u32 v78, vcc_lo, v146, v74
	v_add_co_ci_u32_e64 v79, null, v147, v75, vcc_lo
	flat_load_dword v78, v[78:79]
	s_waitcnt vmcnt(0) lgkmcnt(0)
	v_mul_f32_e32 v140, s1, v78
	v_add_co_u32 v78, vcc_lo, v93, v74
	v_add_co_ci_u32_e64 v79, null, v94, v75, vcc_lo
	v_min_f32_e32 v77, v140, v77
	v_add_co_u32 v140, vcc_lo, v146, v72
	v_add_co_ci_u32_e64 v141, null, v147, v73, vcc_lo
	flat_store_dword v[78:79], v77
	flat_load_dword v77, v[140:141]
	s_waitcnt vmcnt(0) lgkmcnt(0)
	v_mul_f32_e32 v79, s1, v77
.LBB4_23:
	v_add_f32_e32 v77, v15, v63
	v_add_f32_e32 v78, v14, v62
	;; [unrolled: 1-line block ×6, first 2 shown]
	v_min3_f32 v77, v78, v77, v135
	v_add_nc_u32_e32 v135, 0xc0, v76
	v_min3_f32 v140, v141, v140, v136
	v_add_f32_e32 v141, v13, v65
	v_min_f32_e32 v136, v144, v143
	v_add_f32_e32 v143, v12, v64
	v_add_nc_u32_e32 v78, 0xe0, v76
	v_add_co_u32 v76, vcc_lo, v93, v72
	v_min3_f32 v144, v79, v136, v77
	v_add_co_ci_u32_e64 v77, null, v94, v73, vcc_lo
	v_ashrrev_i32_e32 v136, 31, v135
	v_min3_f32 v140, v143, v141, v140
	v_ashrrev_i32_e32 v79, 31, v78
	flat_store_dword v[76:77], v144
	s_mov_b32 s5, -1
	v_lshlrev_b64 v[76:77], 2, v[135:136]
	v_max_f32_e32 v135, v140, v140
	s_mov_b32 vcc_lo, s0
	s_cbranch_vccz .LBB4_25
; %bb.24:
	v_add_co_u32 v140, vcc_lo, v93, v76
	v_min_f32_e32 v136, 0, v135
	v_add_co_ci_u32_e64 v141, null, v94, v77, vcc_lo
	s_mov_b32 s5, 0
	flat_store_dword v[140:141], v136
.LBB4_25:
	v_lshlrev_b64 v[78:79], 2, v[78:79]
	v_mov_b32_e32 v136, 0
	s_andn2_b32 vcc_lo, exec_lo, s5
	s_cbranch_vccnz .LBB4_27
; %bb.26:
	v_add_co_u32 v140, vcc_lo, v146, v76
	v_add_co_ci_u32_e64 v141, null, v147, v77, vcc_lo
	flat_load_dword v136, v[140:141]
	v_add_co_u32 v140, vcc_lo, v93, v76
	v_add_co_ci_u32_e64 v141, null, v94, v77, vcc_lo
	s_waitcnt vmcnt(0) lgkmcnt(0)
	v_mul_f32_e32 v136, s1, v136
	v_min_f32_e32 v143, v136, v135
	v_add_co_u32 v135, vcc_lo, v146, v78
	v_add_co_ci_u32_e64 v136, null, v147, v79, vcc_lo
	flat_store_dword v[140:141], v143
	flat_load_dword v135, v[135:136]
	s_waitcnt vmcnt(0) lgkmcnt(0)
	v_mul_f32_e32 v136, s1, v135
.LBB4_27:
	v_add_f32_e32 v63, v3, v63
	v_add_f32_e32 v62, v2, v62
	;; [unrolled: 1-line block ×6, first 2 shown]
	v_min3_f32 v62, v62, v63, v131
	v_add_co_u32 v93, vcc_lo, v93, v78
	v_min_f32_e32 v63, v64, v65
	v_add_nc_u32_e32 v64, 8, v91
	v_min3_f32 v131, v140, v135, v145
	v_add_f32_e32 v135, v37, v61
	v_add_f32_e32 v140, v36, v60
	v_min3_f32 v136, v136, v63, v62
	v_mad_i64_i32 v[62:63], null, v64, s4, 0
	v_mad_i64_i32 v[64:65], null, v64, s6, 0
	v_add_co_ci_u32_e64 v94, null, v94, v79, vcc_lo
	v_min3_f32 v131, v140, v135, v131
	s_mov_b32 s5, -1
	v_lshlrev_b64 v[62:63], 2, v[62:63]
	flat_store_dword v[93:94], v136
	v_lshlrev_b64 v[64:65], 2, v[64:65]
	v_max_f32_e32 v93, v131, v131
	v_add_co_u32 v62, vcc_lo, s2, v62
	v_add_co_ci_u32_e64 v63, null, s3, v63, vcc_lo
	v_add_co_u32 v64, vcc_lo, s12, v64
	v_add_co_ci_u32_e64 v65, null, s13, v65, vcc_lo
	s_mov_b32 vcc_lo, s0
	s_cbranch_vccz .LBB4_29
; %bb.28:
	v_add_co_u32 v135, vcc_lo, v62, v66
	v_min_f32_e32 v94, 0, v93
	v_add_co_ci_u32_e64 v136, null, v63, v67, vcc_lo
	s_mov_b32 s5, 0
	flat_store_dword v[135:136], v94
.LBB4_29:
	v_mov_b32_e32 v94, 0
	s_andn2_b32 vcc_lo, exec_lo, s5
	s_cbranch_vccnz .LBB4_31
; %bb.30:
	v_add_co_u32 v135, vcc_lo, v64, v66
	v_add_co_ci_u32_e64 v136, null, v65, v67, vcc_lo
	flat_load_dword v94, v[135:136]
	v_add_co_u32 v135, vcc_lo, v62, v66
	v_add_co_ci_u32_e64 v136, null, v63, v67, vcc_lo
	s_waitcnt vmcnt(0) lgkmcnt(0)
	v_mul_f32_e32 v94, s1, v94
	v_min_f32_e32 v131, v94, v93
	v_add_co_u32 v93, vcc_lo, v64, v0
	v_add_co_ci_u32_e64 v94, null, v65, v1, vcc_lo
	flat_store_dword v[135:136], v131
	flat_load_dword v93, v[93:94]
	s_waitcnt vmcnt(0) lgkmcnt(0)
	v_mul_f32_e32 v94, s1, v93
.LBB4_31:
	v_add_f32_e32 v93, v31, v59
	v_add_f32_e32 v131, v30, v58
	;; [unrolled: 1-line block ×6, first 2 shown]
	v_min3_f32 v93, v131, v93, v139
	v_add_f32_e32 v139, v28, v60
	v_min_f32_e32 v131, v136, v135
	v_add_f32_e32 v136, v29, v61
	v_min3_f32 v135, v141, v140, v142
	s_mov_b32 s5, -1
	v_min3_f32 v131, v94, v131, v93
	v_add_co_u32 v93, vcc_lo, v62, v0
	v_add_co_ci_u32_e64 v94, null, v63, v1, vcc_lo
	v_min3_f32 v135, v139, v136, v135
	s_mov_b32 vcc_lo, s0
	flat_store_dword v[93:94], v131
	v_max_f32_e32 v93, v135, v135
	s_cbranch_vccz .LBB4_33
; %bb.32:
	v_add_co_u32 v135, vcc_lo, v62, v70
	v_min_f32_e32 v94, 0, v93
	v_add_co_ci_u32_e64 v136, null, v63, v71, vcc_lo
	s_mov_b32 s5, 0
	flat_store_dword v[135:136], v94
.LBB4_33:
	v_mov_b32_e32 v94, 0
	s_andn2_b32 vcc_lo, exec_lo, s5
	s_cbranch_vccnz .LBB4_35
; %bb.34:
	v_add_co_u32 v135, vcc_lo, v64, v70
	v_add_co_ci_u32_e64 v136, null, v65, v71, vcc_lo
	flat_load_dword v94, v[135:136]
	v_add_co_u32 v135, vcc_lo, v62, v70
	v_add_co_ci_u32_e64 v136, null, v63, v71, vcc_lo
	s_waitcnt vmcnt(0) lgkmcnt(0)
	v_mul_f32_e32 v94, s1, v94
	v_min_f32_e32 v131, v94, v93
	v_add_co_u32 v93, vcc_lo, v64, v68
	v_add_co_ci_u32_e64 v94, null, v65, v69, vcc_lo
	flat_store_dword v[135:136], v131
	flat_load_dword v93, v[93:94]
	s_waitcnt vmcnt(0) lgkmcnt(0)
	v_mul_f32_e32 v94, s1, v93
.LBB4_35:
	v_add_f32_e32 v93, v23, v59
	v_add_f32_e32 v131, v22, v58
	;; [unrolled: 1-line block ×6, first 2 shown]
	v_min3_f32 v93, v131, v93, v137
	v_add_f32_e32 v137, v20, v60
	v_min_f32_e32 v131, v136, v135
	v_add_f32_e32 v136, v21, v61
	v_min3_f32 v135, v140, v139, v138
	s_mov_b32 s5, -1
	v_min3_f32 v131, v94, v131, v93
	v_add_co_u32 v93, vcc_lo, v62, v68
	v_add_co_ci_u32_e64 v94, null, v63, v69, vcc_lo
	v_min3_f32 v135, v137, v136, v135
	s_mov_b32 vcc_lo, s0
	flat_store_dword v[93:94], v131
	v_max_f32_e32 v93, v135, v135
	s_cbranch_vccz .LBB4_37
; %bb.36:
	v_add_co_u32 v135, vcc_lo, v62, v74
	v_min_f32_e32 v94, 0, v93
	v_add_co_ci_u32_e64 v136, null, v63, v75, vcc_lo
	s_mov_b32 s5, 0
	flat_store_dword v[135:136], v94
.LBB4_37:
	v_mov_b32_e32 v94, 0
	s_andn2_b32 vcc_lo, exec_lo, s5
	s_cbranch_vccnz .LBB4_39
; %bb.38:
	v_add_co_u32 v135, vcc_lo, v64, v74
	v_add_co_ci_u32_e64 v136, null, v65, v75, vcc_lo
	flat_load_dword v94, v[135:136]
	v_add_co_u32 v135, vcc_lo, v62, v74
	v_add_co_ci_u32_e64 v136, null, v63, v75, vcc_lo
	s_waitcnt vmcnt(0) lgkmcnt(0)
	v_mul_f32_e32 v94, s1, v94
	v_min_f32_e32 v131, v94, v93
	v_add_co_u32 v93, vcc_lo, v64, v72
	v_add_co_ci_u32_e64 v94, null, v65, v73, vcc_lo
	flat_store_dword v[135:136], v131
	flat_load_dword v93, v[93:94]
	s_waitcnt vmcnt(0) lgkmcnt(0)
	v_mul_f32_e32 v94, s1, v93
.LBB4_39:
	v_add_f32_e32 v93, v15, v59
	v_add_f32_e32 v131, v14, v58
	;; [unrolled: 1-line block ×6, first 2 shown]
	v_min3_f32 v93, v131, v93, v132
	s_mov_b32 s5, -1
	v_min_f32_e32 v131, v136, v135
	v_add_f32_e32 v135, v12, v60
	v_min3_f32 v132, v138, v137, v133
	v_add_f32_e32 v133, v13, v61
	v_min3_f32 v131, v94, v131, v93
	v_add_co_u32 v93, vcc_lo, v62, v72
	v_add_co_ci_u32_e64 v94, null, v63, v73, vcc_lo
	v_min3_f32 v132, v135, v133, v132
	s_mov_b32 vcc_lo, s0
	flat_store_dword v[93:94], v131
	v_max_f32_e32 v93, v132, v132
	s_cbranch_vccz .LBB4_41
; %bb.40:
	v_add_co_u32 v131, vcc_lo, v62, v76
	v_min_f32_e32 v94, 0, v93
	v_add_co_ci_u32_e64 v132, null, v63, v77, vcc_lo
	s_mov_b32 s5, 0
	flat_store_dword v[131:132], v94
.LBB4_41:
	v_mov_b32_e32 v94, 0
	s_andn2_b32 vcc_lo, exec_lo, s5
	s_cbranch_vccnz .LBB4_43
; %bb.42:
	v_add_co_u32 v131, vcc_lo, v64, v76
	v_add_co_ci_u32_e64 v132, null, v65, v77, vcc_lo
	flat_load_dword v94, v[131:132]
	v_add_co_u32 v131, vcc_lo, v62, v76
	v_add_co_ci_u32_e64 v132, null, v63, v77, vcc_lo
	v_add_co_u32 v64, vcc_lo, v64, v78
	v_add_co_ci_u32_e64 v65, null, v65, v79, vcc_lo
	s_waitcnt vmcnt(0) lgkmcnt(0)
	v_mul_f32_e32 v94, s1, v94
	v_min_f32_e32 v93, v94, v93
	flat_store_dword v[131:132], v93
	flat_load_dword v64, v[64:65]
	s_waitcnt vmcnt(0) lgkmcnt(0)
	v_mul_f32_e32 v94, s1, v64
.LBB4_43:
	v_add_f32_e32 v59, v3, v59
	v_add_f32_e32 v58, v2, v58
	;; [unrolled: 1-line block ×6, first 2 shown]
	v_min3_f32 v58, v58, v59, v129
	v_add_f32_e32 v93, v36, v56
	v_min_f32_e32 v59, v60, v61
	v_add_nc_u32_e32 v60, 16, v91
	v_min3_f32 v64, v65, v64, v134
	v_add_f32_e32 v65, v37, v57
	v_add_co_u32 v62, vcc_lo, v62, v78
	v_min3_f32 v94, v94, v59, v58
	v_mad_i64_i32 v[58:59], null, v60, s4, 0
	v_mad_i64_i32 v[60:61], null, v60, s6, 0
	v_add_co_ci_u32_e64 v63, null, v63, v79, vcc_lo
	v_min3_f32 v64, v93, v65, v64
	s_mov_b32 s5, -1
	v_lshlrev_b64 v[58:59], 2, v[58:59]
	flat_store_dword v[62:63], v94
	v_lshlrev_b64 v[60:61], 2, v[60:61]
	v_max_f32_e32 v62, v64, v64
	v_add_co_u32 v58, vcc_lo, s2, v58
	v_add_co_ci_u32_e64 v59, null, s3, v59, vcc_lo
	v_add_co_u32 v60, vcc_lo, s12, v60
	v_add_co_ci_u32_e64 v61, null, s13, v61, vcc_lo
	s_mov_b32 vcc_lo, s0
	s_cbranch_vccz .LBB4_45
; %bb.44:
	v_add_co_u32 v63, vcc_lo, v58, v66
	v_min_f32_e32 v65, 0, v62
	v_add_co_ci_u32_e64 v64, null, v59, v67, vcc_lo
	s_mov_b32 s5, 0
	flat_store_dword v[63:64], v65
.LBB4_45:
	v_mov_b32_e32 v63, 0
	s_andn2_b32 vcc_lo, exec_lo, s5
	s_cbranch_vccnz .LBB4_47
; %bb.46:
	v_add_co_u32 v63, vcc_lo, v60, v66
	v_add_co_ci_u32_e64 v64, null, v61, v67, vcc_lo
	flat_load_dword v63, v[63:64]
	s_waitcnt vmcnt(0) lgkmcnt(0)
	v_mul_f32_e32 v65, s1, v63
	v_add_co_u32 v63, vcc_lo, v58, v66
	v_add_co_ci_u32_e64 v64, null, v59, v67, vcc_lo
	v_add_co_u32 v93, vcc_lo, v60, v0
	v_min_f32_e32 v62, v65, v62
	v_add_co_ci_u32_e64 v94, null, v61, v1, vcc_lo
	flat_store_dword v[63:64], v62
	flat_load_dword v62, v[93:94]
	s_waitcnt vmcnt(0) lgkmcnt(0)
	v_mul_f32_e32 v63, s1, v62
.LBB4_47:
	v_add_f32_e32 v62, v31, v55
	v_add_f32_e32 v64, v30, v54
	v_add_f32_e32 v65, v33, v57
	v_add_f32_e32 v93, v32, v56
	v_add_f32_e32 v94, v27, v55
	v_add_f32_e32 v129, v26, v54
	v_min3_f32 v62, v64, v62, v128
	s_mov_b32 s5, -1
	v_min_f32_e32 v64, v93, v65
	v_add_f32_e32 v93, v29, v57
	v_min3_f32 v65, v129, v94, v130
	v_add_f32_e32 v94, v28, v56
	v_min3_f32 v64, v63, v64, v62
	v_add_co_u32 v62, vcc_lo, v58, v0
	v_add_co_ci_u32_e64 v63, null, v59, v1, vcc_lo
	v_min3_f32 v65, v94, v93, v65
	s_mov_b32 vcc_lo, s0
	flat_store_dword v[62:63], v64
	v_max_f32_e32 v62, v65, v65
	s_cbranch_vccz .LBB4_49
; %bb.48:
	v_add_co_u32 v63, vcc_lo, v58, v70
	v_min_f32_e32 v65, 0, v62
	v_add_co_ci_u32_e64 v64, null, v59, v71, vcc_lo
	s_mov_b32 s5, 0
	flat_store_dword v[63:64], v65
.LBB4_49:
	v_mov_b32_e32 v63, 0
	s_andn2_b32 vcc_lo, exec_lo, s5
	s_cbranch_vccnz .LBB4_51
; %bb.50:
	v_add_co_u32 v63, vcc_lo, v60, v70
	v_add_co_ci_u32_e64 v64, null, v61, v71, vcc_lo
	flat_load_dword v63, v[63:64]
	s_waitcnt vmcnt(0) lgkmcnt(0)
	v_mul_f32_e32 v65, s1, v63
	v_add_co_u32 v63, vcc_lo, v58, v70
	v_add_co_ci_u32_e64 v64, null, v59, v71, vcc_lo
	v_add_co_u32 v93, vcc_lo, v60, v68
	v_min_f32_e32 v62, v65, v62
	v_add_co_ci_u32_e64 v94, null, v61, v69, vcc_lo
	flat_store_dword v[63:64], v62
	flat_load_dword v62, v[93:94]
	s_waitcnt vmcnt(0) lgkmcnt(0)
	v_mul_f32_e32 v63, s1, v62
.LBB4_51:
	v_add_f32_e32 v62, v23, v55
	v_add_f32_e32 v64, v22, v54
	v_add_f32_e32 v65, v25, v57
	v_add_f32_e32 v93, v24, v56
	v_add_f32_e32 v94, v19, v55
	v_add_f32_e32 v128, v18, v54
	v_min3_f32 v62, v64, v62, v126
	s_mov_b32 s5, -1
	v_min_f32_e32 v64, v93, v65
	v_add_f32_e32 v93, v21, v57
	v_min3_f32 v65, v128, v94, v127
	v_add_f32_e32 v94, v20, v56
	v_min3_f32 v64, v63, v64, v62
	v_add_co_u32 v62, vcc_lo, v58, v68
	v_add_co_ci_u32_e64 v63, null, v59, v69, vcc_lo
	v_min3_f32 v65, v94, v93, v65
	s_mov_b32 vcc_lo, s0
	flat_store_dword v[62:63], v64
	v_max_f32_e32 v62, v65, v65
	;; [unrolled: 46-line block ×3, first 2 shown]
	s_cbranch_vccz .LBB4_57
; %bb.56:
	v_add_co_u32 v63, vcc_lo, v58, v76
	v_min_f32_e32 v65, 0, v62
	v_add_co_ci_u32_e64 v64, null, v59, v77, vcc_lo
	s_mov_b32 s5, 0
	flat_store_dword v[63:64], v65
.LBB4_57:
	v_mov_b32_e32 v63, 0
	s_andn2_b32 vcc_lo, exec_lo, s5
	s_cbranch_vccnz .LBB4_59
; %bb.58:
	v_add_co_u32 v63, vcc_lo, v60, v76
	v_add_co_ci_u32_e64 v64, null, v61, v77, vcc_lo
	flat_load_dword v63, v[63:64]
	s_waitcnt vmcnt(0) lgkmcnt(0)
	v_mul_f32_e32 v65, s1, v63
	v_add_co_u32 v63, vcc_lo, v58, v76
	v_add_co_ci_u32_e64 v64, null, v59, v77, vcc_lo
	v_add_co_u32 v60, vcc_lo, v60, v78
	v_min_f32_e32 v62, v65, v62
	v_add_co_ci_u32_e64 v61, null, v61, v79, vcc_lo
	flat_store_dword v[63:64], v62
	flat_load_dword v60, v[60:61]
	s_waitcnt vmcnt(0) lgkmcnt(0)
	v_mul_f32_e32 v63, s1, v60
.LBB4_59:
	v_add_f32_e32 v55, v3, v55
	v_add_f32_e32 v54, v2, v54
	;; [unrolled: 1-line block ×6, first 2 shown]
	v_min3_f32 v54, v54, v55, v119
	v_add_f32_e32 v62, v36, v52
	v_min_f32_e32 v55, v56, v57
	v_add_nc_u32_e32 v56, 24, v91
	v_min3_f32 v60, v61, v60, v125
	v_add_f32_e32 v61, v37, v53
	v_add_co_u32 v58, vcc_lo, v58, v78
	v_min3_f32 v63, v63, v55, v54
	v_mad_i64_i32 v[54:55], null, v56, s4, 0
	v_mad_i64_i32 v[56:57], null, v56, s6, 0
	v_add_co_ci_u32_e64 v59, null, v59, v79, vcc_lo
	v_min3_f32 v60, v62, v61, v60
	s_mov_b32 s5, -1
	v_lshlrev_b64 v[54:55], 2, v[54:55]
	flat_store_dword v[58:59], v63
	v_lshlrev_b64 v[56:57], 2, v[56:57]
	v_max_f32_e32 v58, v60, v60
	v_add_co_u32 v54, vcc_lo, s2, v54
	v_add_co_ci_u32_e64 v55, null, s3, v55, vcc_lo
	v_add_co_u32 v56, vcc_lo, s12, v56
	v_add_co_ci_u32_e64 v57, null, s13, v57, vcc_lo
	s_mov_b32 vcc_lo, s0
	s_cbranch_vccz .LBB4_61
; %bb.60:
	v_add_co_u32 v59, vcc_lo, v54, v66
	v_min_f32_e32 v61, 0, v58
	v_add_co_ci_u32_e64 v60, null, v55, v67, vcc_lo
	s_mov_b32 s5, 0
	flat_store_dword v[59:60], v61
.LBB4_61:
	v_mov_b32_e32 v59, 0
	s_andn2_b32 vcc_lo, exec_lo, s5
	s_cbranch_vccnz .LBB4_63
; %bb.62:
	v_add_co_u32 v59, vcc_lo, v56, v66
	v_add_co_ci_u32_e64 v60, null, v57, v67, vcc_lo
	flat_load_dword v59, v[59:60]
	s_waitcnt vmcnt(0) lgkmcnt(0)
	v_mul_f32_e32 v61, s1, v59
	v_add_co_u32 v59, vcc_lo, v54, v66
	v_add_co_ci_u32_e64 v60, null, v55, v67, vcc_lo
	v_min_f32_e32 v58, v61, v58
	v_add_co_u32 v61, vcc_lo, v56, v0
	v_add_co_ci_u32_e64 v62, null, v57, v1, vcc_lo
	flat_store_dword v[59:60], v58
	flat_load_dword v58, v[61:62]
	s_waitcnt vmcnt(0) lgkmcnt(0)
	v_mul_f32_e32 v59, s1, v58
.LBB4_63:
	v_add_f32_e32 v58, v31, v51
	v_add_f32_e32 v60, v30, v50
	v_add_f32_e32 v61, v33, v53
	v_add_f32_e32 v62, v32, v52
	v_add_f32_e32 v63, v27, v51
	v_add_f32_e32 v64, v26, v50
	v_min3_f32 v58, v60, v58, v118
	s_mov_b32 s5, -1
	v_min_f32_e32 v60, v62, v61
	v_add_f32_e32 v62, v29, v53
	v_min3_f32 v61, v64, v63, v120
	v_add_f32_e32 v63, v28, v52
	v_min3_f32 v60, v59, v60, v58
	v_add_co_u32 v58, vcc_lo, v54, v0
	v_add_co_ci_u32_e64 v59, null, v55, v1, vcc_lo
	v_min3_f32 v61, v63, v62, v61
	s_mov_b32 vcc_lo, s0
	flat_store_dword v[58:59], v60
	v_max_f32_e32 v58, v61, v61
	s_cbranch_vccz .LBB4_65
; %bb.64:
	v_add_co_u32 v59, vcc_lo, v54, v70
	v_min_f32_e32 v61, 0, v58
	v_add_co_ci_u32_e64 v60, null, v55, v71, vcc_lo
	s_mov_b32 s5, 0
	flat_store_dword v[59:60], v61
.LBB4_65:
	v_mov_b32_e32 v59, 0
	s_andn2_b32 vcc_lo, exec_lo, s5
	s_cbranch_vccnz .LBB4_67
; %bb.66:
	v_add_co_u32 v59, vcc_lo, v56, v70
	v_add_co_ci_u32_e64 v60, null, v57, v71, vcc_lo
	flat_load_dword v59, v[59:60]
	s_waitcnt vmcnt(0) lgkmcnt(0)
	v_mul_f32_e32 v61, s1, v59
	v_add_co_u32 v59, vcc_lo, v54, v70
	v_add_co_ci_u32_e64 v60, null, v55, v71, vcc_lo
	v_min_f32_e32 v58, v61, v58
	v_add_co_u32 v61, vcc_lo, v56, v68
	v_add_co_ci_u32_e64 v62, null, v57, v69, vcc_lo
	flat_store_dword v[59:60], v58
	flat_load_dword v58, v[61:62]
	s_waitcnt vmcnt(0) lgkmcnt(0)
	v_mul_f32_e32 v59, s1, v58
.LBB4_67:
	v_add_f32_e32 v58, v23, v51
	v_add_f32_e32 v60, v22, v50
	v_add_f32_e32 v61, v25, v53
	v_add_f32_e32 v62, v24, v52
	v_add_f32_e32 v63, v19, v51
	v_add_f32_e32 v64, v18, v50
	v_min3_f32 v58, v60, v58, v114
	s_mov_b32 s5, -1
	v_min_f32_e32 v60, v62, v61
	v_add_f32_e32 v62, v21, v53
	v_min3_f32 v61, v64, v63, v116
	v_add_f32_e32 v63, v20, v52
	v_min3_f32 v60, v59, v60, v58
	v_add_co_u32 v58, vcc_lo, v54, v68
	v_add_co_ci_u32_e64 v59, null, v55, v69, vcc_lo
	v_min3_f32 v61, v63, v62, v61
	s_mov_b32 vcc_lo, s0
	flat_store_dword v[58:59], v60
	v_max_f32_e32 v58, v61, v61
	s_cbranch_vccz .LBB4_69
; %bb.68:
	v_add_co_u32 v59, vcc_lo, v54, v74
	v_min_f32_e32 v61, 0, v58
	v_add_co_ci_u32_e64 v60, null, v55, v75, vcc_lo
	s_mov_b32 s5, 0
	flat_store_dword v[59:60], v61
.LBB4_69:
	v_mov_b32_e32 v59, 0
	s_andn2_b32 vcc_lo, exec_lo, s5
	s_cbranch_vccnz .LBB4_71
; %bb.70:
	v_add_co_u32 v59, vcc_lo, v56, v74
	v_add_co_ci_u32_e64 v60, null, v57, v75, vcc_lo
	flat_load_dword v59, v[59:60]
	s_waitcnt vmcnt(0) lgkmcnt(0)
	v_mul_f32_e32 v61, s1, v59
	v_add_co_u32 v59, vcc_lo, v54, v74
	v_add_co_ci_u32_e64 v60, null, v55, v75, vcc_lo
	v_min_f32_e32 v58, v61, v58
	v_add_co_u32 v61, vcc_lo, v56, v72
	v_add_co_ci_u32_e64 v62, null, v57, v73, vcc_lo
	flat_store_dword v[59:60], v58
	flat_load_dword v58, v[61:62]
	s_waitcnt vmcnt(0) lgkmcnt(0)
	v_mul_f32_e32 v59, s1, v58
.LBB4_71:
	v_add_f32_e32 v58, v15, v51
	v_add_f32_e32 v60, v14, v50
	v_add_f32_e32 v61, v17, v53
	v_add_f32_e32 v62, v16, v52
	v_add_f32_e32 v63, v11, v51
	v_add_f32_e32 v64, v10, v50
	v_min3_f32 v58, v60, v58, v110
	s_mov_b32 s5, -1
	v_min_f32_e32 v60, v62, v61
	v_add_f32_e32 v62, v13, v53
	v_min3_f32 v61, v64, v63, v112
	v_add_f32_e32 v63, v12, v52
	v_min3_f32 v60, v59, v60, v58
	v_add_co_u32 v58, vcc_lo, v54, v72
	v_add_co_ci_u32_e64 v59, null, v55, v73, vcc_lo
	v_min3_f32 v61, v63, v62, v61
	s_mov_b32 vcc_lo, s0
	flat_store_dword v[58:59], v60
	v_max_f32_e32 v58, v61, v61
	s_cbranch_vccz .LBB4_73
; %bb.72:
	v_add_co_u32 v59, vcc_lo, v54, v76
	v_min_f32_e32 v61, 0, v58
	v_add_co_ci_u32_e64 v60, null, v55, v77, vcc_lo
	s_mov_b32 s5, 0
	flat_store_dword v[59:60], v61
.LBB4_73:
	v_mov_b32_e32 v59, 0
	s_andn2_b32 vcc_lo, exec_lo, s5
	s_cbranch_vccnz .LBB4_75
; %bb.74:
	v_add_co_u32 v59, vcc_lo, v56, v76
	v_add_co_ci_u32_e64 v60, null, v57, v77, vcc_lo
	flat_load_dword v59, v[59:60]
	s_waitcnt vmcnt(0) lgkmcnt(0)
	v_mul_f32_e32 v61, s1, v59
	v_add_co_u32 v59, vcc_lo, v54, v76
	v_add_co_ci_u32_e64 v60, null, v55, v77, vcc_lo
	v_add_co_u32 v56, vcc_lo, v56, v78
	v_min_f32_e32 v58, v61, v58
	v_add_co_ci_u32_e64 v57, null, v57, v79, vcc_lo
	flat_store_dword v[59:60], v58
	flat_load_dword v56, v[56:57]
	s_waitcnt vmcnt(0) lgkmcnt(0)
	v_mul_f32_e32 v59, s1, v56
.LBB4_75:
	v_add_f32_e32 v51, v3, v51
	v_add_f32_e32 v50, v2, v50
	;; [unrolled: 1-line block ×6, first 2 shown]
	v_min3_f32 v50, v50, v51, v106
	v_add_f32_e32 v58, v36, v48
	v_min_f32_e32 v51, v52, v53
	v_add_nc_u32_e32 v52, 32, v91
	v_min3_f32 v56, v57, v56, v121
	v_add_f32_e32 v57, v37, v49
	v_add_co_u32 v54, vcc_lo, v54, v78
	v_min3_f32 v59, v59, v51, v50
	v_mad_i64_i32 v[50:51], null, v52, s4, 0
	v_mad_i64_i32 v[52:53], null, v52, s6, 0
	v_add_co_ci_u32_e64 v55, null, v55, v79, vcc_lo
	v_min3_f32 v56, v58, v57, v56
	s_mov_b32 s5, -1
	v_lshlrev_b64 v[50:51], 2, v[50:51]
	flat_store_dword v[54:55], v59
	v_lshlrev_b64 v[52:53], 2, v[52:53]
	v_max_f32_e32 v54, v56, v56
	v_add_co_u32 v50, vcc_lo, s2, v50
	v_add_co_ci_u32_e64 v51, null, s3, v51, vcc_lo
	v_add_co_u32 v52, vcc_lo, s12, v52
	v_add_co_ci_u32_e64 v53, null, s13, v53, vcc_lo
	s_mov_b32 vcc_lo, s0
	s_cbranch_vccz .LBB4_77
; %bb.76:
	v_add_co_u32 v55, vcc_lo, v50, v66
	v_min_f32_e32 v57, 0, v54
	v_add_co_ci_u32_e64 v56, null, v51, v67, vcc_lo
	s_mov_b32 s5, 0
	flat_store_dword v[55:56], v57
.LBB4_77:
	v_mov_b32_e32 v55, 0
	s_andn2_b32 vcc_lo, exec_lo, s5
	s_cbranch_vccnz .LBB4_79
; %bb.78:
	v_add_co_u32 v55, vcc_lo, v52, v66
	v_add_co_ci_u32_e64 v56, null, v53, v67, vcc_lo
	flat_load_dword v55, v[55:56]
	s_waitcnt vmcnt(0) lgkmcnt(0)
	v_mul_f32_e32 v57, s1, v55
	v_add_co_u32 v55, vcc_lo, v50, v66
	v_add_co_ci_u32_e64 v56, null, v51, v67, vcc_lo
	v_min_f32_e32 v54, v57, v54
	v_add_co_u32 v57, vcc_lo, v52, v0
	v_add_co_ci_u32_e64 v58, null, v53, v1, vcc_lo
	flat_store_dword v[55:56], v54
	flat_load_dword v54, v[57:58]
	s_waitcnt vmcnt(0) lgkmcnt(0)
	v_mul_f32_e32 v55, s1, v54
.LBB4_79:
	v_add_f32_e32 v54, v31, v47
	v_add_f32_e32 v56, v30, v46
	v_add_f32_e32 v57, v33, v49
	v_add_f32_e32 v58, v32, v48
	v_add_f32_e32 v59, v27, v47
	v_add_f32_e32 v60, v26, v46
	v_min3_f32 v54, v56, v54, v115
	s_mov_b32 s5, -1
	v_min_f32_e32 v56, v58, v57
	v_add_f32_e32 v58, v29, v49
	v_min3_f32 v57, v60, v59, v117
	v_add_f32_e32 v59, v28, v48
	v_min3_f32 v56, v55, v56, v54
	v_add_co_u32 v54, vcc_lo, v50, v0
	v_add_co_ci_u32_e64 v55, null, v51, v1, vcc_lo
	v_min3_f32 v57, v59, v58, v57
	s_mov_b32 vcc_lo, s0
	flat_store_dword v[54:55], v56
	v_max_f32_e32 v54, v57, v57
	s_cbranch_vccz .LBB4_81
; %bb.80:
	v_add_co_u32 v55, vcc_lo, v50, v70
	v_min_f32_e32 v57, 0, v54
	v_add_co_ci_u32_e64 v56, null, v51, v71, vcc_lo
	s_mov_b32 s5, 0
	flat_store_dword v[55:56], v57
.LBB4_81:
	v_mov_b32_e32 v55, 0
	s_andn2_b32 vcc_lo, exec_lo, s5
	s_cbranch_vccnz .LBB4_83
; %bb.82:
	v_add_co_u32 v55, vcc_lo, v52, v70
	v_add_co_ci_u32_e64 v56, null, v53, v71, vcc_lo
	flat_load_dword v55, v[55:56]
	s_waitcnt vmcnt(0) lgkmcnt(0)
	v_mul_f32_e32 v57, s1, v55
	v_add_co_u32 v55, vcc_lo, v50, v70
	v_add_co_ci_u32_e64 v56, null, v51, v71, vcc_lo
	v_min_f32_e32 v54, v57, v54
	v_add_co_u32 v57, vcc_lo, v52, v68
	v_add_co_ci_u32_e64 v58, null, v53, v69, vcc_lo
	flat_store_dword v[55:56], v54
	flat_load_dword v54, v[57:58]
	s_waitcnt vmcnt(0) lgkmcnt(0)
	v_mul_f32_e32 v55, s1, v54
.LBB4_83:
	v_add_f32_e32 v54, v23, v47
	v_add_f32_e32 v56, v22, v46
	v_add_f32_e32 v57, v25, v49
	v_add_f32_e32 v58, v24, v48
	v_add_f32_e32 v59, v19, v47
	v_add_f32_e32 v60, v18, v46
	v_min3_f32 v54, v56, v54, v111
	s_mov_b32 s5, -1
	v_min_f32_e32 v56, v58, v57
	v_add_f32_e32 v58, v21, v49
	v_min3_f32 v57, v60, v59, v113
	v_add_f32_e32 v59, v20, v48
	v_min3_f32 v56, v55, v56, v54
	v_add_co_u32 v54, vcc_lo, v50, v68
	v_add_co_ci_u32_e64 v55, null, v51, v69, vcc_lo
	v_min3_f32 v57, v59, v58, v57
	s_mov_b32 vcc_lo, s0
	flat_store_dword v[54:55], v56
	v_max_f32_e32 v54, v57, v57
	;; [unrolled: 46-line block ×3, first 2 shown]
	s_cbranch_vccz .LBB4_89
; %bb.88:
	v_add_co_u32 v55, vcc_lo, v50, v76
	v_min_f32_e32 v57, 0, v54
	v_add_co_ci_u32_e64 v56, null, v51, v77, vcc_lo
	s_mov_b32 s5, 0
	flat_store_dword v[55:56], v57
.LBB4_89:
	v_mov_b32_e32 v55, 0
	s_andn2_b32 vcc_lo, exec_lo, s5
	s_cbranch_vccnz .LBB4_91
; %bb.90:
	v_add_co_u32 v55, vcc_lo, v52, v76
	v_add_co_ci_u32_e64 v56, null, v53, v77, vcc_lo
	flat_load_dword v55, v[55:56]
	s_waitcnt vmcnt(0) lgkmcnt(0)
	v_mul_f32_e32 v57, s1, v55
	v_add_co_u32 v55, vcc_lo, v50, v76
	v_add_co_ci_u32_e64 v56, null, v51, v77, vcc_lo
	v_add_co_u32 v52, vcc_lo, v52, v78
	v_min_f32_e32 v54, v57, v54
	v_add_co_ci_u32_e64 v53, null, v53, v79, vcc_lo
	flat_store_dword v[55:56], v54
	flat_load_dword v52, v[52:53]
	s_waitcnt vmcnt(0) lgkmcnt(0)
	v_mul_f32_e32 v55, s1, v52
.LBB4_91:
	v_add_f32_e32 v47, v3, v47
	v_add_f32_e32 v46, v2, v46
	;; [unrolled: 1-line block ×6, first 2 shown]
	v_min3_f32 v46, v46, v47, v103
	v_add_f32_e32 v54, v36, v44
	v_min_f32_e32 v47, v48, v49
	v_add_nc_u32_e32 v48, 40, v91
	v_min3_f32 v52, v53, v52, v109
	v_add_f32_e32 v53, v37, v45
	v_add_co_u32 v50, vcc_lo, v50, v78
	v_min3_f32 v55, v55, v47, v46
	v_mad_i64_i32 v[46:47], null, v48, s4, 0
	v_mad_i64_i32 v[48:49], null, v48, s6, 0
	v_add_co_ci_u32_e64 v51, null, v51, v79, vcc_lo
	v_min3_f32 v52, v54, v53, v52
	s_mov_b32 s5, -1
	v_lshlrev_b64 v[46:47], 2, v[46:47]
	flat_store_dword v[50:51], v55
	v_lshlrev_b64 v[48:49], 2, v[48:49]
	v_max_f32_e32 v50, v52, v52
	v_add_co_u32 v46, vcc_lo, s2, v46
	v_add_co_ci_u32_e64 v47, null, s3, v47, vcc_lo
	v_add_co_u32 v48, vcc_lo, s12, v48
	v_add_co_ci_u32_e64 v49, null, s13, v49, vcc_lo
	s_mov_b32 vcc_lo, s0
	s_cbranch_vccz .LBB4_93
; %bb.92:
	v_add_co_u32 v51, vcc_lo, v46, v66
	v_min_f32_e32 v53, 0, v50
	v_add_co_ci_u32_e64 v52, null, v47, v67, vcc_lo
	s_mov_b32 s5, 0
	flat_store_dword v[51:52], v53
.LBB4_93:
	v_mov_b32_e32 v51, 0
	s_andn2_b32 vcc_lo, exec_lo, s5
	s_cbranch_vccnz .LBB4_95
; %bb.94:
	v_add_co_u32 v51, vcc_lo, v48, v66
	v_add_co_ci_u32_e64 v52, null, v49, v67, vcc_lo
	flat_load_dword v51, v[51:52]
	s_waitcnt vmcnt(0) lgkmcnt(0)
	v_mul_f32_e32 v53, s1, v51
	v_add_co_u32 v51, vcc_lo, v46, v66
	v_add_co_ci_u32_e64 v52, null, v47, v67, vcc_lo
	v_min_f32_e32 v50, v53, v50
	v_add_co_u32 v53, vcc_lo, v48, v0
	v_add_co_ci_u32_e64 v54, null, v49, v1, vcc_lo
	flat_store_dword v[51:52], v50
	flat_load_dword v50, v[53:54]
	s_waitcnt vmcnt(0) lgkmcnt(0)
	v_mul_f32_e32 v51, s1, v50
.LBB4_95:
	v_add_f32_e32 v50, v31, v43
	v_add_f32_e32 v52, v30, v42
	v_add_f32_e32 v53, v33, v45
	v_add_f32_e32 v54, v32, v44
	v_add_f32_e32 v55, v27, v43
	v_add_f32_e32 v56, v26, v42
	v_min3_f32 v50, v52, v50, v104
	s_mov_b32 s5, -1
	v_min_f32_e32 v52, v54, v53
	v_add_f32_e32 v54, v29, v45
	v_min3_f32 v53, v56, v55, v105
	v_add_f32_e32 v55, v28, v44
	v_min3_f32 v52, v51, v52, v50
	v_add_co_u32 v50, vcc_lo, v46, v0
	v_add_co_ci_u32_e64 v51, null, v47, v1, vcc_lo
	v_min3_f32 v53, v55, v54, v53
	s_mov_b32 vcc_lo, s0
	flat_store_dword v[50:51], v52
	v_max_f32_e32 v50, v53, v53
	s_cbranch_vccz .LBB4_97
; %bb.96:
	v_add_co_u32 v51, vcc_lo, v46, v70
	v_min_f32_e32 v53, 0, v50
	v_add_co_ci_u32_e64 v52, null, v47, v71, vcc_lo
	s_mov_b32 s5, 0
	flat_store_dword v[51:52], v53
.LBB4_97:
	v_mov_b32_e32 v51, 0
	s_andn2_b32 vcc_lo, exec_lo, s5
	s_cbranch_vccnz .LBB4_99
; %bb.98:
	v_add_co_u32 v51, vcc_lo, v48, v70
	v_add_co_ci_u32_e64 v52, null, v49, v71, vcc_lo
	flat_load_dword v51, v[51:52]
	s_waitcnt vmcnt(0) lgkmcnt(0)
	v_mul_f32_e32 v53, s1, v51
	v_add_co_u32 v51, vcc_lo, v46, v70
	v_add_co_ci_u32_e64 v52, null, v47, v71, vcc_lo
	v_min_f32_e32 v50, v53, v50
	v_add_co_u32 v53, vcc_lo, v48, v68
	v_add_co_ci_u32_e64 v54, null, v49, v69, vcc_lo
	flat_store_dword v[51:52], v50
	flat_load_dword v50, v[53:54]
	s_waitcnt vmcnt(0) lgkmcnt(0)
	v_mul_f32_e32 v51, s1, v50
.LBB4_99:
	v_add_f32_e32 v50, v23, v43
	v_add_f32_e32 v52, v22, v42
	v_add_f32_e32 v53, v25, v45
	v_add_f32_e32 v54, v24, v44
	v_add_f32_e32 v55, v19, v43
	v_add_f32_e32 v56, v18, v42
	v_min3_f32 v50, v52, v50, v101
	s_mov_b32 s5, -1
	v_min_f32_e32 v52, v54, v53
	v_add_f32_e32 v54, v21, v45
	v_min3_f32 v53, v56, v55, v102
	v_add_f32_e32 v55, v20, v44
	v_min3_f32 v52, v51, v52, v50
	v_add_co_u32 v50, vcc_lo, v46, v68
	v_add_co_ci_u32_e64 v51, null, v47, v69, vcc_lo
	v_min3_f32 v53, v55, v54, v53
	s_mov_b32 vcc_lo, s0
	flat_store_dword v[50:51], v52
	v_max_f32_e32 v50, v53, v53
	;; [unrolled: 46-line block ×3, first 2 shown]
	s_cbranch_vccz .LBB4_105
; %bb.104:
	v_add_co_u32 v51, vcc_lo, v46, v76
	v_min_f32_e32 v53, 0, v50
	v_add_co_ci_u32_e64 v52, null, v47, v77, vcc_lo
	s_mov_b32 s5, 0
	flat_store_dword v[51:52], v53
.LBB4_105:
	v_mov_b32_e32 v51, 0
	s_andn2_b32 vcc_lo, exec_lo, s5
	s_cbranch_vccnz .LBB4_107
; %bb.106:
	v_add_co_u32 v51, vcc_lo, v48, v76
	v_add_co_ci_u32_e64 v52, null, v49, v77, vcc_lo
	flat_load_dword v51, v[51:52]
	s_waitcnt vmcnt(0) lgkmcnt(0)
	v_mul_f32_e32 v53, s1, v51
	v_add_co_u32 v51, vcc_lo, v46, v76
	v_add_co_ci_u32_e64 v52, null, v47, v77, vcc_lo
	v_add_co_u32 v48, vcc_lo, v48, v78
	v_min_f32_e32 v50, v53, v50
	v_add_co_ci_u32_e64 v49, null, v49, v79, vcc_lo
	flat_store_dword v[51:52], v50
	flat_load_dword v48, v[48:49]
	s_waitcnt vmcnt(0) lgkmcnt(0)
	v_mul_f32_e32 v51, s1, v48
.LBB4_107:
	v_add_f32_e32 v43, v3, v43
	v_add_f32_e32 v42, v2, v42
	;; [unrolled: 1-line block ×4, first 2 shown]
	s_waitcnt lgkmcnt(24)
	v_add_f32_e32 v48, v35, v39
	v_add_f32_e32 v49, v34, v38
	v_min3_f32 v42, v42, v43, v95
	v_add_f32_e32 v50, v36, v40
	v_min_f32_e32 v43, v44, v45
	v_add_nc_u32_e32 v44, 48, v91
	v_min3_f32 v48, v49, v48, v100
	v_add_f32_e32 v49, v37, v41
	v_add_co_u32 v46, vcc_lo, v46, v78
	v_min3_f32 v51, v51, v43, v42
	v_mad_i64_i32 v[42:43], null, v44, s4, 0
	v_mad_i64_i32 v[44:45], null, v44, s6, 0
	v_add_co_ci_u32_e64 v47, null, v47, v79, vcc_lo
	v_min3_f32 v48, v50, v49, v48
	s_mov_b32 s5, -1
	v_lshlrev_b64 v[42:43], 2, v[42:43]
	flat_store_dword v[46:47], v51
	v_lshlrev_b64 v[44:45], 2, v[44:45]
	v_max_f32_e32 v46, v48, v48
	v_add_co_u32 v42, vcc_lo, s2, v42
	v_add_co_ci_u32_e64 v43, null, s3, v43, vcc_lo
	v_add_co_u32 v44, vcc_lo, s12, v44
	v_add_co_ci_u32_e64 v45, null, s13, v45, vcc_lo
	s_mov_b32 vcc_lo, s0
	s_cbranch_vccz .LBB4_109
; %bb.108:
	v_add_co_u32 v47, vcc_lo, v42, v66
	v_min_f32_e32 v49, 0, v46
	v_add_co_ci_u32_e64 v48, null, v43, v67, vcc_lo
	s_mov_b32 s5, 0
	flat_store_dword v[47:48], v49
.LBB4_109:
	v_mov_b32_e32 v47, 0
	s_andn2_b32 vcc_lo, exec_lo, s5
	s_cbranch_vccnz .LBB4_111
; %bb.110:
	v_add_co_u32 v47, vcc_lo, v44, v66
	v_add_co_ci_u32_e64 v48, null, v45, v67, vcc_lo
	flat_load_dword v47, v[47:48]
	s_waitcnt vmcnt(0) lgkmcnt(0)
	v_mul_f32_e32 v49, s1, v47
	v_add_co_u32 v47, vcc_lo, v42, v66
	v_add_co_ci_u32_e64 v48, null, v43, v67, vcc_lo
	v_min_f32_e32 v46, v49, v46
	v_add_co_u32 v49, vcc_lo, v44, v0
	v_add_co_ci_u32_e64 v50, null, v45, v1, vcc_lo
	flat_store_dword v[47:48], v46
	flat_load_dword v46, v[49:50]
	s_waitcnt vmcnt(0) lgkmcnt(0)
	v_mul_f32_e32 v47, s1, v46
.LBB4_111:
	v_add_f32_e32 v46, v31, v39
	v_add_f32_e32 v48, v30, v38
	v_add_f32_e32 v49, v33, v41
	v_add_f32_e32 v50, v32, v40
	v_add_f32_e32 v51, v27, v39
	v_add_f32_e32 v52, v26, v38
	v_min3_f32 v46, v48, v46, v96
	s_mov_b32 s5, -1
	v_min_f32_e32 v48, v50, v49
	v_add_f32_e32 v50, v29, v41
	v_min3_f32 v49, v52, v51, v97
	v_add_f32_e32 v51, v28, v40
	v_min3_f32 v48, v47, v48, v46
	v_add_co_u32 v46, vcc_lo, v42, v0
	v_add_co_ci_u32_e64 v47, null, v43, v1, vcc_lo
	v_min3_f32 v49, v51, v50, v49
	s_mov_b32 vcc_lo, s0
	flat_store_dword v[46:47], v48
	v_max_f32_e32 v46, v49, v49
	s_cbranch_vccz .LBB4_113
; %bb.112:
	v_add_co_u32 v47, vcc_lo, v42, v70
	v_min_f32_e32 v49, 0, v46
	v_add_co_ci_u32_e64 v48, null, v43, v71, vcc_lo
	s_mov_b32 s5, 0
	flat_store_dword v[47:48], v49
.LBB4_113:
	v_mov_b32_e32 v47, 0
	s_andn2_b32 vcc_lo, exec_lo, s5
	s_cbranch_vccnz .LBB4_115
; %bb.114:
	v_add_co_u32 v47, vcc_lo, v44, v70
	v_add_co_ci_u32_e64 v48, null, v45, v71, vcc_lo
	flat_load_dword v47, v[47:48]
	s_waitcnt vmcnt(0) lgkmcnt(0)
	v_mul_f32_e32 v49, s1, v47
	v_add_co_u32 v47, vcc_lo, v42, v70
	v_add_co_ci_u32_e64 v48, null, v43, v71, vcc_lo
	v_min_f32_e32 v46, v49, v46
	v_add_co_u32 v49, vcc_lo, v44, v68
	v_add_co_ci_u32_e64 v50, null, v45, v69, vcc_lo
	flat_store_dword v[47:48], v46
	flat_load_dword v46, v[49:50]
	s_waitcnt vmcnt(0) lgkmcnt(0)
	v_mul_f32_e32 v47, s1, v46
.LBB4_115:
	v_add_f32_e32 v46, v23, v39
	v_add_f32_e32 v48, v22, v38
	v_add_f32_e32 v49, v25, v41
	v_add_f32_e32 v50, v24, v40
	v_add_f32_e32 v51, v19, v39
	v_add_f32_e32 v52, v18, v38
	v_min3_f32 v46, v48, v46, v90
	s_mov_b32 s5, -1
	v_min_f32_e32 v48, v50, v49
	v_add_f32_e32 v50, v21, v41
	v_min3_f32 v49, v52, v51, v92
	v_add_f32_e32 v51, v20, v40
	v_min3_f32 v48, v47, v48, v46
	v_add_co_u32 v46, vcc_lo, v42, v68
	v_add_co_ci_u32_e64 v47, null, v43, v69, vcc_lo
	v_min3_f32 v49, v51, v50, v49
	s_mov_b32 vcc_lo, s0
	flat_store_dword v[46:47], v48
	v_max_f32_e32 v46, v49, v49
	;; [unrolled: 46-line block ×3, first 2 shown]
	s_cbranch_vccz .LBB4_121
; %bb.120:
	v_add_co_u32 v47, vcc_lo, v42, v76
	v_min_f32_e32 v49, 0, v46
	v_add_co_ci_u32_e64 v48, null, v43, v77, vcc_lo
	s_mov_b32 s5, 0
	flat_store_dword v[47:48], v49
.LBB4_121:
	v_mov_b32_e32 v47, 0
	s_andn2_b32 vcc_lo, exec_lo, s5
	s_cbranch_vccnz .LBB4_123
; %bb.122:
	v_add_co_u32 v47, vcc_lo, v44, v76
	v_add_co_ci_u32_e64 v48, null, v45, v77, vcc_lo
	flat_load_dword v47, v[47:48]
	s_waitcnt vmcnt(0) lgkmcnt(0)
	v_mul_f32_e32 v49, s1, v47
	v_add_co_u32 v47, vcc_lo, v42, v76
	v_add_co_ci_u32_e64 v48, null, v43, v77, vcc_lo
	v_add_co_u32 v44, vcc_lo, v44, v78
	v_min_f32_e32 v46, v49, v46
	v_add_co_ci_u32_e64 v45, null, v45, v79, vcc_lo
	flat_store_dword v[47:48], v46
	flat_load_dword v44, v[44:45]
	s_waitcnt vmcnt(0) lgkmcnt(0)
	v_mul_f32_e32 v47, s1, v44
.LBB4_123:
	v_add_f32_e32 v39, v3, v39
	v_add_f32_e32 v38, v2, v38
	;; [unrolled: 1-line block ×4, first 2 shown]
	s_waitcnt lgkmcnt(27)
	v_add_f32_e32 v35, v35, v7
	v_add_f32_e32 v34, v34, v6
	v_min3_f32 v38, v38, v39, v86
	v_add_f32_e32 v44, v37, v9
	v_min_f32_e32 v39, v40, v41
	v_add_nc_u32_e32 v41, 56, v91
	v_min3_f32 v40, v34, v35, v87
	v_add_f32_e32 v45, v36, v8
	v_min3_f32 v46, v47, v39, v38
	v_mad_i64_i32 v[34:35], null, v41, s4, 0
	v_mad_i64_i32 v[36:37], null, v41, s6, 0
	v_add_co_u32 v38, vcc_lo, v42, v78
	v_add_co_ci_u32_e64 v39, null, v43, v79, vcc_lo
	v_lshlrev_b64 v[34:35], 2, v[34:35]
	v_min3_f32 v40, v45, v44, v40
	v_lshlrev_b64 v[36:37], 2, v[36:37]
	flat_store_dword v[38:39], v46
	v_add_co_u32 v34, vcc_lo, s2, v34
	v_add_co_ci_u32_e64 v35, null, s3, v35, vcc_lo
	v_add_co_u32 v36, vcc_lo, s12, v36
	v_add_co_ci_u32_e64 v37, null, s13, v37, vcc_lo
	v_max_f32_e32 v38, v40, v40
	s_mov_b32 s2, -1
	s_mov_b32 vcc_lo, s0
	s_cbranch_vccz .LBB4_125
; %bb.124:
	v_add_co_u32 v39, vcc_lo, v34, v66
	v_min_f32_e32 v41, 0, v38
	v_add_co_ci_u32_e64 v40, null, v35, v67, vcc_lo
	s_mov_b32 s2, 0
	flat_store_dword v[39:40], v41
.LBB4_125:
	v_mov_b32_e32 v39, 0
	s_andn2_b32 vcc_lo, exec_lo, s2
	s_cbranch_vccnz .LBB4_127
; %bb.126:
	v_add_co_u32 v39, vcc_lo, v36, v66
	v_add_co_ci_u32_e64 v40, null, v37, v67, vcc_lo
	flat_load_dword v39, v[39:40]
	s_waitcnt vmcnt(0) lgkmcnt(0)
	v_mul_f32_e32 v41, s1, v39
	v_add_co_u32 v39, vcc_lo, v34, v66
	v_add_co_ci_u32_e64 v40, null, v35, v67, vcc_lo
	v_min_f32_e32 v38, v41, v38
	v_add_co_u32 v41, vcc_lo, v36, v0
	v_add_co_ci_u32_e64 v42, null, v37, v1, vcc_lo
	flat_store_dword v[39:40], v38
	flat_load_dword v38, v[41:42]
	s_waitcnt vmcnt(0) lgkmcnt(0)
	v_mul_f32_e32 v39, s1, v38
.LBB4_127:
	v_add_f32_e32 v31, v31, v7
	v_add_f32_e32 v30, v30, v6
	;; [unrolled: 1-line block ×6, first 2 shown]
	v_min3_f32 v30, v30, v31, v84
	v_add_f32_e32 v28, v28, v8
	v_min_f32_e32 v31, v32, v33
	v_add_co_u32 v0, vcc_lo, v34, v0
	v_min3_f32 v26, v26, v27, v85
	v_add_f32_e32 v27, v29, v9
	v_min3_f32 v29, v39, v31, v30
	v_add_co_ci_u32_e64 v1, null, v35, v1, vcc_lo
	s_mov_b32 s2, -1
	v_min3_f32 v26, v28, v27, v26
	s_mov_b32 vcc_lo, s0
	flat_store_dword v[0:1], v29
	v_max_f32_e32 v0, v26, v26
	s_cbranch_vccz .LBB4_129
; %bb.128:
	v_add_co_u32 v26, vcc_lo, v34, v70
	v_min_f32_e32 v1, 0, v0
	v_add_co_ci_u32_e64 v27, null, v35, v71, vcc_lo
	s_mov_b32 s2, 0
	flat_store_dword v[26:27], v1
.LBB4_129:
	v_mov_b32_e32 v1, 0
	s_andn2_b32 vcc_lo, exec_lo, s2
	s_cbranch_vccnz .LBB4_131
; %bb.130:
	v_add_co_u32 v26, vcc_lo, v36, v70
	v_add_co_ci_u32_e64 v27, null, v37, v71, vcc_lo
	flat_load_dword v1, v[26:27]
	v_add_co_u32 v26, vcc_lo, v34, v70
	v_add_co_ci_u32_e64 v27, null, v35, v71, vcc_lo
	s_waitcnt vmcnt(0) lgkmcnt(0)
	v_mul_f32_e32 v1, s1, v1
	v_min_f32_e32 v28, v1, v0
	v_add_co_u32 v0, vcc_lo, v36, v68
	v_add_co_ci_u32_e64 v1, null, v37, v69, vcc_lo
	flat_store_dword v[26:27], v28
	flat_load_dword v0, v[0:1]
	s_waitcnt vmcnt(0) lgkmcnt(0)
	v_mul_f32_e32 v1, s1, v0
.LBB4_131:
	v_add_f32_e32 v0, v23, v7
	v_add_f32_e32 v22, v22, v6
	v_add_f32_e32 v23, v25, v9
	v_add_f32_e32 v24, v24, v8
	v_add_f32_e32 v19, v19, v7
	v_add_f32_e32 v18, v18, v6
	v_min3_f32 v0, v22, v0, v82
	v_add_f32_e32 v20, v20, v8
	v_min_f32_e32 v22, v24, v23
	s_mov_b32 s2, -1
	v_min3_f32 v18, v18, v19, v83
	v_add_f32_e32 v19, v21, v9
	v_min3_f32 v21, v1, v22, v0
	v_add_co_u32 v0, vcc_lo, v34, v68
	v_add_co_ci_u32_e64 v1, null, v35, v69, vcc_lo
	v_min3_f32 v18, v20, v19, v18
	s_mov_b32 vcc_lo, s0
	flat_store_dword v[0:1], v21
	v_max_f32_e32 v0, v18, v18
	s_cbranch_vccz .LBB4_133
; %bb.132:
	v_add_co_u32 v18, vcc_lo, v34, v74
	v_min_f32_e32 v1, 0, v0
	v_add_co_ci_u32_e64 v19, null, v35, v75, vcc_lo
	s_mov_b32 s2, 0
	flat_store_dword v[18:19], v1
.LBB4_133:
	v_mov_b32_e32 v1, 0
	s_andn2_b32 vcc_lo, exec_lo, s2
	s_cbranch_vccnz .LBB4_135
; %bb.134:
	v_add_co_u32 v18, vcc_lo, v36, v74
	v_add_co_ci_u32_e64 v19, null, v37, v75, vcc_lo
	flat_load_dword v1, v[18:19]
	v_add_co_u32 v18, vcc_lo, v34, v74
	v_add_co_ci_u32_e64 v19, null, v35, v75, vcc_lo
	s_waitcnt vmcnt(0) lgkmcnt(0)
	v_mul_f32_e32 v1, s1, v1
	v_min_f32_e32 v20, v1, v0
	v_add_co_u32 v0, vcc_lo, v36, v72
	v_add_co_ci_u32_e64 v1, null, v37, v73, vcc_lo
	flat_store_dword v[18:19], v20
	flat_load_dword v0, v[0:1]
	s_waitcnt vmcnt(0) lgkmcnt(0)
	v_mul_f32_e32 v1, s1, v0
.LBB4_135:
	v_add_f32_e32 v0, v15, v7
	v_add_f32_e32 v14, v14, v6
	;; [unrolled: 1-line block ×6, first 2 shown]
	v_min3_f32 v0, v14, v0, v80
	v_add_f32_e32 v12, v12, v8
	v_min_f32_e32 v14, v16, v15
	s_mov_b32 s2, -1
	v_min3_f32 v10, v10, v11, v81
	v_add_f32_e32 v11, v13, v9
	v_min3_f32 v13, v1, v14, v0
	v_add_co_u32 v0, vcc_lo, v34, v72
	v_add_co_ci_u32_e64 v1, null, v35, v73, vcc_lo
	v_min3_f32 v10, v12, v11, v10
	s_mov_b32 vcc_lo, s0
	flat_store_dword v[0:1], v13
	v_max_f32_e32 v0, v10, v10
	s_cbranch_vccz .LBB4_137
; %bb.136:
	v_add_co_u32 v10, vcc_lo, v34, v76
	v_min_f32_e32 v1, 0, v0
	v_add_co_ci_u32_e64 v11, null, v35, v77, vcc_lo
	s_mov_b32 s2, 0
	flat_store_dword v[10:11], v1
.LBB4_137:
	v_mov_b32_e32 v1, 0
	s_andn2_b32 vcc_lo, exec_lo, s2
	s_cbranch_vccnz .LBB4_139
; %bb.138:
	v_add_co_u32 v10, vcc_lo, v36, v76
	v_add_co_ci_u32_e64 v11, null, v37, v77, vcc_lo
	flat_load_dword v1, v[10:11]
	v_add_co_u32 v10, vcc_lo, v34, v76
	v_add_co_ci_u32_e64 v11, null, v35, v77, vcc_lo
	s_waitcnt vmcnt(0) lgkmcnt(0)
	v_mul_f32_e32 v1, s1, v1
	v_min_f32_e32 v12, v1, v0
	v_add_co_u32 v0, vcc_lo, v36, v78
	v_add_co_ci_u32_e64 v1, null, v37, v79, vcc_lo
	flat_store_dword v[10:11], v12
	flat_load_dword v0, v[0:1]
	s_waitcnt vmcnt(0) lgkmcnt(0)
	v_mul_f32_e32 v1, s1, v0
.LBB4_139:
	v_add_f32_e32 v0, v5, v9
	v_add_f32_e32 v4, v4, v8
	v_add_f32_e32 v3, v3, v7
	v_add_f32_e32 v2, v2, v6
	v_min_f32_e32 v0, v4, v0
	v_min3_f32 v2, v2, v3, v123
	v_min3_f32 v2, v1, v0, v2
	v_add_co_u32 v0, vcc_lo, v34, v78
	v_add_co_ci_u32_e64 v1, null, v35, v79, vcc_lo
	flat_store_dword v[0:1], v2
	s_endpgm
	.section	.rodata,"a",@progbits
	.p2align	6, 0x0
	.amdhsa_kernel _ZN12_GLOBAL__N_120geam_min_plus_kernelIf15HIP_vector_typeIfLj2EEfLi32ELi8ELi256ELi64ELi4ELi64ELi4ELi4ELi64ELc78ELc78ELb1ELb0ELb1EfKPKfKPfEEviiiT16_PT17_ilSA_ilS8_SA_ilPT18_ili26rocblas_geam_ex_operation_
		.amdhsa_group_segment_fixed_size 10240
		.amdhsa_private_segment_fixed_size 0
		.amdhsa_kernarg_size 128
		.amdhsa_user_sgpr_count 6
		.amdhsa_user_sgpr_private_segment_buffer 1
		.amdhsa_user_sgpr_dispatch_ptr 0
		.amdhsa_user_sgpr_queue_ptr 0
		.amdhsa_user_sgpr_kernarg_segment_ptr 1
		.amdhsa_user_sgpr_dispatch_id 0
		.amdhsa_user_sgpr_flat_scratch_init 0
		.amdhsa_user_sgpr_private_segment_size 0
		.amdhsa_wavefront_size32 1
		.amdhsa_uses_dynamic_stack 0
		.amdhsa_system_sgpr_private_segment_wavefront_offset 0
		.amdhsa_system_sgpr_workgroup_id_x 1
		.amdhsa_system_sgpr_workgroup_id_y 0
		.amdhsa_system_sgpr_workgroup_id_z 1
		.amdhsa_system_sgpr_workgroup_info 0
		.amdhsa_system_vgpr_workitem_id 1
		.amdhsa_next_free_vgpr 174
		.amdhsa_next_free_sgpr 22
		.amdhsa_reserve_vcc 1
		.amdhsa_reserve_flat_scratch 1
		.amdhsa_float_round_mode_32 0
		.amdhsa_float_round_mode_16_64 0
		.amdhsa_float_denorm_mode_32 3
		.amdhsa_float_denorm_mode_16_64 3
		.amdhsa_dx10_clamp 1
		.amdhsa_ieee_mode 1
		.amdhsa_fp16_overflow 0
		.amdhsa_workgroup_processor_mode 1
		.amdhsa_memory_ordered 1
		.amdhsa_forward_progress 1
		.amdhsa_shared_vgpr_count 0
		.amdhsa_exception_fp_ieee_invalid_op 0
		.amdhsa_exception_fp_denorm_src 0
		.amdhsa_exception_fp_ieee_div_zero 0
		.amdhsa_exception_fp_ieee_overflow 0
		.amdhsa_exception_fp_ieee_underflow 0
		.amdhsa_exception_fp_ieee_inexact 0
		.amdhsa_exception_int_div_zero 0
	.end_amdhsa_kernel
	.section	.text._ZN12_GLOBAL__N_120geam_min_plus_kernelIf15HIP_vector_typeIfLj2EEfLi32ELi8ELi256ELi64ELi4ELi64ELi4ELi4ELi64ELc78ELc78ELb1ELb0ELb1EfKPKfKPfEEviiiT16_PT17_ilSA_ilS8_SA_ilPT18_ili26rocblas_geam_ex_operation_,"axG",@progbits,_ZN12_GLOBAL__N_120geam_min_plus_kernelIf15HIP_vector_typeIfLj2EEfLi32ELi8ELi256ELi64ELi4ELi64ELi4ELi4ELi64ELc78ELc78ELb1ELb0ELb1EfKPKfKPfEEviiiT16_PT17_ilSA_ilS8_SA_ilPT18_ili26rocblas_geam_ex_operation_,comdat
.Lfunc_end4:
	.size	_ZN12_GLOBAL__N_120geam_min_plus_kernelIf15HIP_vector_typeIfLj2EEfLi32ELi8ELi256ELi64ELi4ELi64ELi4ELi4ELi64ELc78ELc78ELb1ELb0ELb1EfKPKfKPfEEviiiT16_PT17_ilSA_ilS8_SA_ilPT18_ili26rocblas_geam_ex_operation_, .Lfunc_end4-_ZN12_GLOBAL__N_120geam_min_plus_kernelIf15HIP_vector_typeIfLj2EEfLi32ELi8ELi256ELi64ELi4ELi64ELi4ELi4ELi64ELc78ELc78ELb1ELb0ELb1EfKPKfKPfEEviiiT16_PT17_ilSA_ilS8_SA_ilPT18_ili26rocblas_geam_ex_operation_
                                        ; -- End function
	.set _ZN12_GLOBAL__N_120geam_min_plus_kernelIf15HIP_vector_typeIfLj2EEfLi32ELi8ELi256ELi64ELi4ELi64ELi4ELi4ELi64ELc78ELc78ELb1ELb0ELb1EfKPKfKPfEEviiiT16_PT17_ilSA_ilS8_SA_ilPT18_ili26rocblas_geam_ex_operation_.num_vgpr, 174
	.set _ZN12_GLOBAL__N_120geam_min_plus_kernelIf15HIP_vector_typeIfLj2EEfLi32ELi8ELi256ELi64ELi4ELi64ELi4ELi4ELi64ELc78ELc78ELb1ELb0ELb1EfKPKfKPfEEviiiT16_PT17_ilSA_ilS8_SA_ilPT18_ili26rocblas_geam_ex_operation_.num_agpr, 0
	.set _ZN12_GLOBAL__N_120geam_min_plus_kernelIf15HIP_vector_typeIfLj2EEfLi32ELi8ELi256ELi64ELi4ELi64ELi4ELi4ELi64ELc78ELc78ELb1ELb0ELb1EfKPKfKPfEEviiiT16_PT17_ilSA_ilS8_SA_ilPT18_ili26rocblas_geam_ex_operation_.numbered_sgpr, 22
	.set _ZN12_GLOBAL__N_120geam_min_plus_kernelIf15HIP_vector_typeIfLj2EEfLi32ELi8ELi256ELi64ELi4ELi64ELi4ELi4ELi64ELc78ELc78ELb1ELb0ELb1EfKPKfKPfEEviiiT16_PT17_ilSA_ilS8_SA_ilPT18_ili26rocblas_geam_ex_operation_.num_named_barrier, 0
	.set _ZN12_GLOBAL__N_120geam_min_plus_kernelIf15HIP_vector_typeIfLj2EEfLi32ELi8ELi256ELi64ELi4ELi64ELi4ELi4ELi64ELc78ELc78ELb1ELb0ELb1EfKPKfKPfEEviiiT16_PT17_ilSA_ilS8_SA_ilPT18_ili26rocblas_geam_ex_operation_.private_seg_size, 0
	.set _ZN12_GLOBAL__N_120geam_min_plus_kernelIf15HIP_vector_typeIfLj2EEfLi32ELi8ELi256ELi64ELi4ELi64ELi4ELi4ELi64ELc78ELc78ELb1ELb0ELb1EfKPKfKPfEEviiiT16_PT17_ilSA_ilS8_SA_ilPT18_ili26rocblas_geam_ex_operation_.uses_vcc, 1
	.set _ZN12_GLOBAL__N_120geam_min_plus_kernelIf15HIP_vector_typeIfLj2EEfLi32ELi8ELi256ELi64ELi4ELi64ELi4ELi4ELi64ELc78ELc78ELb1ELb0ELb1EfKPKfKPfEEviiiT16_PT17_ilSA_ilS8_SA_ilPT18_ili26rocblas_geam_ex_operation_.uses_flat_scratch, 1
	.set _ZN12_GLOBAL__N_120geam_min_plus_kernelIf15HIP_vector_typeIfLj2EEfLi32ELi8ELi256ELi64ELi4ELi64ELi4ELi4ELi64ELc78ELc78ELb1ELb0ELb1EfKPKfKPfEEviiiT16_PT17_ilSA_ilS8_SA_ilPT18_ili26rocblas_geam_ex_operation_.has_dyn_sized_stack, 0
	.set _ZN12_GLOBAL__N_120geam_min_plus_kernelIf15HIP_vector_typeIfLj2EEfLi32ELi8ELi256ELi64ELi4ELi64ELi4ELi4ELi64ELc78ELc78ELb1ELb0ELb1EfKPKfKPfEEviiiT16_PT17_ilSA_ilS8_SA_ilPT18_ili26rocblas_geam_ex_operation_.has_recursion, 0
	.set _ZN12_GLOBAL__N_120geam_min_plus_kernelIf15HIP_vector_typeIfLj2EEfLi32ELi8ELi256ELi64ELi4ELi64ELi4ELi4ELi64ELc78ELc78ELb1ELb0ELb1EfKPKfKPfEEviiiT16_PT17_ilSA_ilS8_SA_ilPT18_ili26rocblas_geam_ex_operation_.has_indirect_call, 0
	.section	.AMDGPU.csdata,"",@progbits
; Kernel info:
; codeLenInByte = 16820
; TotalNumSgprs: 24
; NumVgprs: 174
; ScratchSize: 0
; MemoryBound: 0
; FloatMode: 240
; IeeeMode: 1
; LDSByteSize: 10240 bytes/workgroup (compile time only)
; SGPRBlocks: 0
; VGPRBlocks: 21
; NumSGPRsForWavesPerEU: 24
; NumVGPRsForWavesPerEU: 174
; Occupancy: 5
; WaveLimiterHint : 1
; COMPUTE_PGM_RSRC2:SCRATCH_EN: 0
; COMPUTE_PGM_RSRC2:USER_SGPR: 6
; COMPUTE_PGM_RSRC2:TRAP_HANDLER: 0
; COMPUTE_PGM_RSRC2:TGID_X_EN: 1
; COMPUTE_PGM_RSRC2:TGID_Y_EN: 0
; COMPUTE_PGM_RSRC2:TGID_Z_EN: 1
; COMPUTE_PGM_RSRC2:TIDIG_COMP_CNT: 1
	.section	.text._ZN12_GLOBAL__N_120geam_min_plus_kernelIf15HIP_vector_typeIfLj2EEfLi32ELi8ELi256ELi64ELi4ELi64ELi4ELi4ELi64ELc78ELc78ELb0ELb0ELb1EfKPKfKPfEEviiiT16_PT17_ilSA_ilS8_SA_ilPT18_ili26rocblas_geam_ex_operation_,"axG",@progbits,_ZN12_GLOBAL__N_120geam_min_plus_kernelIf15HIP_vector_typeIfLj2EEfLi32ELi8ELi256ELi64ELi4ELi64ELi4ELi4ELi64ELc78ELc78ELb0ELb0ELb1EfKPKfKPfEEviiiT16_PT17_ilSA_ilS8_SA_ilPT18_ili26rocblas_geam_ex_operation_,comdat
	.globl	_ZN12_GLOBAL__N_120geam_min_plus_kernelIf15HIP_vector_typeIfLj2EEfLi32ELi8ELi256ELi64ELi4ELi64ELi4ELi4ELi64ELc78ELc78ELb0ELb0ELb1EfKPKfKPfEEviiiT16_PT17_ilSA_ilS8_SA_ilPT18_ili26rocblas_geam_ex_operation_ ; -- Begin function _ZN12_GLOBAL__N_120geam_min_plus_kernelIf15HIP_vector_typeIfLj2EEfLi32ELi8ELi256ELi64ELi4ELi64ELi4ELi4ELi64ELc78ELc78ELb0ELb0ELb1EfKPKfKPfEEviiiT16_PT17_ilSA_ilS8_SA_ilPT18_ili26rocblas_geam_ex_operation_
	.p2align	8
	.type	_ZN12_GLOBAL__N_120geam_min_plus_kernelIf15HIP_vector_typeIfLj2EEfLi32ELi8ELi256ELi64ELi4ELi64ELi4ELi4ELi64ELc78ELc78ELb0ELb0ELb1EfKPKfKPfEEviiiT16_PT17_ilSA_ilS8_SA_ilPT18_ili26rocblas_geam_ex_operation_,@function
_ZN12_GLOBAL__N_120geam_min_plus_kernelIf15HIP_vector_typeIfLj2EEfLi32ELi8ELi256ELi64ELi4ELi64ELi4ELi4ELi64ELc78ELc78ELb0ELb0ELb1EfKPKfKPfEEviiiT16_PT17_ilSA_ilS8_SA_ilPT18_ili26rocblas_geam_ex_operation_: ; @_ZN12_GLOBAL__N_120geam_min_plus_kernelIf15HIP_vector_typeIfLj2EEfLi32ELi8ELi256ELi64ELi4ELi64ELi4ELi4ELi64ELc78ELc78ELb0ELb0ELb1EfKPKfKPfEEviiiT16_PT17_ilSA_ilS8_SA_ilPT18_ili26rocblas_geam_ex_operation_
; %bb.0:
	s_clause 0x1
	s_load_dwordx2 s[14:15], s[4:5], 0x8
	s_load_dwordx4 s[8:11], s[4:5], 0x20
	s_mov_b32 s2, s7
	s_mov_b32 s3, 0
	s_waitcnt lgkmcnt(0)
	v_cmp_eq_f32_e64 s0, s15, 0
	s_and_b32 s1, exec_lo, s0
	s_mov_b32 vcc_lo, s1
	s_cbranch_vccnz .LBB5_3
; %bb.1:
	s_load_dwordx2 s[12:13], s[4:5], 0x10
	s_lshl_b64 s[16:17], s[2:3], 3
	s_waitcnt lgkmcnt(0)
	s_add_u32 s12, s12, s16
	s_addc_u32 s13, s13, s17
	s_lshl_b64 s[8:9], s[8:9], 2
	s_load_dwordx2 s[12:13], s[12:13], 0x0
	s_waitcnt lgkmcnt(0)
	s_add_u32 s16, s12, s8
	s_addc_u32 s17, s13, s9
	s_andn2_b32 vcc_lo, exec_lo, s0
	s_cbranch_vccnz .LBB5_4
.LBB5_2:
	s_mov_b32 s21, 0
	s_mov_b32 s20, s2
	;; [unrolled: 1-line block ×3, first 2 shown]
	s_mov_b64 s[12:13], 0
	s_andn2_b32 vcc_lo, exec_lo, s0
	s_mov_b64 s[18:19], 0
	s_cbranch_vccz .LBB5_5
	s_branch .LBB5_6
.LBB5_3:
	s_mov_b64 s[16:17], 0
	s_andn2_b32 vcc_lo, exec_lo, s0
	s_cbranch_vccz .LBB5_2
.LBB5_4:
	s_mov_b64 s[20:21], s[2:3]
	s_mov_b64 s[12:13], 0
	;; [unrolled: 1-line block ×3, first 2 shown]
.LBB5_5:
	s_lshl_b64 s[2:3], s[2:3], 3
	s_load_dwordx2 s[8:9], s[4:5], 0x38
	s_add_u32 s2, s10, s2
	s_addc_u32 s3, s11, s3
	s_load_dwordx2 s[2:3], s[2:3], 0x0
	s_waitcnt lgkmcnt(0)
	s_lshl_b64 s[8:9], s[8:9], 2
	s_add_u32 s18, s2, s8
	s_addc_u32 s19, s3, s9
.LBB5_6:
	s_clause 0x1
	s_load_dword s3, s[4:5], 0x40
	s_load_dwordx4 s[8:11], s[4:5], 0x58
	v_cmp_neq_f32_e64 s22, s15, 0
	s_waitcnt lgkmcnt(0)
	v_cmp_eq_f32_e64 s0, s3, 0
	s_and_b32 s0, exec_lo, s0
	s_mov_b32 vcc_lo, s0
	s_cbranch_vccnz .LBB5_8
; %bb.7:
	s_load_dwordx2 s[12:13], s[4:5], 0x48
	s_lshl_b64 s[24:25], s[20:21], 3
	s_waitcnt lgkmcnt(0)
	s_add_u32 s12, s12, s24
	s_addc_u32 s13, s13, s25
	s_lshl_b64 s[8:9], s[8:9], 2
	s_load_dwordx2 s[12:13], s[12:13], 0x0
	s_waitcnt lgkmcnt(0)
	s_add_u32 s12, s12, s8
	s_addc_u32 s13, s13, s9
.LBB5_8:
	s_load_dword s2, s[4:5], 0x0
	s_lshl_b64 s[8:9], s[20:21], 3
	s_load_dword s20, s[4:5], 0x18
	s_add_u32 s8, s10, s8
	s_addc_u32 s9, s11, s9
	v_lshl_add_u32 v9, v1, 5, v0
	v_cndmask_b32_e64 v7, 0, 1, s22
	v_mov_b32_e32 v4, 0
	v_lshrrev_b32_e32 v66, 6, v9
	v_and_b32_e32 v67, 63, v9
	s_waitcnt lgkmcnt(0)
	s_add_i32 s2, s2, -1
	s_ashr_i32 s7, s2, 31
	s_lshr_b32 s7, s7, 24
	s_add_i32 s2, s2, s7
	s_ashr_i32 s2, s2, 8
	s_add_i32 s7, s2, 1
	s_not_b32 s2, s2
	v_cvt_f32_u32_e32 v2, s7
	v_rcp_iflag_f32_e32 v2, v2
	v_mul_f32_e32 v2, 0x4f7ffffe, v2
	v_cvt_u32_f32_e32 v2, v2
	v_readfirstlane_b32 s10, v2
	v_mad_i64_i32 v[2:3], null, s20, v66, 0
	s_mul_i32 s2, s2, s10
	s_mul_hi_u32 s2, s10, s2
	v_lshlrev_b64 v[5:6], 2, v[2:3]
	s_add_i32 s10, s10, s2
	s_mul_hi_u32 s2, s6, s10
	s_mul_i32 s10, s2, s7
	s_add_i32 s11, s2, 1
	s_sub_i32 s10, s6, s10
	v_add_co_u32 v10, vcc_lo, s16, v5
	s_sub_i32 s21, s10, s7
	s_cmp_ge_u32 s10, s7
	v_add_co_ci_u32_e64 v11, null, s17, v6, vcc_lo
	s_cselect_b32 s2, s11, s2
	s_cselect_b32 s10, s21, s10
	s_add_i32 s11, s2, 1
	s_cmp_ge_u32 s10, s7
	v_mov_b32_e32 v5, 0
	s_cselect_b32 s11, s11, s2
	s_andn2_b32 vcc_lo, exec_lo, s22
	s_mul_i32 s7, s11, s7
	s_mov_b32 s22, -1
	s_sub_i32 s2, s6, s7
	s_lshl_b32 s10, s2, 8
	v_cmp_ne_u32_e64 s2, 1, v7
	v_or_b32_e32 v2, s10, v67
	v_ashrrev_i32_e32 v3, 31, v2
	s_cbranch_vccnz .LBB5_10
; %bb.9:
	v_lshlrev_b64 v[4:5], 2, v[2:3]
	v_add_co_u32 v4, vcc_lo, v10, v4
	v_add_co_ci_u32_e64 v5, null, v11, v5, vcc_lo
	s_clause 0x1
	flat_load_dword v6, v[4:5]
	flat_load_dword v4, v[4:5] offset:256
	s_waitcnt vmcnt(1) lgkmcnt(1)
	v_mul_f32_e32 v5, s15, v6
	s_waitcnt vmcnt(0) lgkmcnt(0)
	v_mul_f32_e32 v4, s15, v4
.LBB5_10:
	s_ashr_i32 s21, s20, 31
	s_mov_b32 vcc_lo, s1
                                        ; implicit-def: $vgpr6
	s_cbranch_vccz .LBB5_12
; %bb.11:
	s_mov_b32 s22, 0
	v_mov_b32_e32 v6, s22
.LBB5_12:
	v_mov_b32_e32 v7, 0
	v_mov_b32_e32 v8, 0
	s_andn2_b32 vcc_lo, exec_lo, s22
	s_cbranch_vccnz .LBB5_14
; %bb.13:
	v_lshlrev_b64 v[12:13], 2, v[2:3]
	v_add_co_u32 v10, vcc_lo, v10, v12
	v_add_co_ci_u32_e64 v11, null, v11, v13, vcc_lo
	s_clause 0x1
	flat_load_dword v6, v[10:11] offset:512
	flat_load_dword v8, v[10:11] offset:768
	s_waitcnt vmcnt(1) lgkmcnt(1)
	v_mul_f32_e32 v6, s15, v6
	s_waitcnt vmcnt(0) lgkmcnt(0)
	v_mul_f32_e32 v8, s15, v8
.LBB5_14:
	s_load_dword s22, s[4:5], 0x30
	v_lshrrev_b32_e32 v9, 2, v9
	v_and_b32_e32 v10, 3, v0
	s_lshl_b32 s11, s11, 6
	s_and_b32 vcc_lo, exec_lo, s2
	v_add_nc_u32_e32 v69, s11, v9
	v_lshlrev_b32_e32 v68, 2, v10
	s_cbranch_vccnz .LBB5_16
; %bb.15:
	s_waitcnt lgkmcnt(0)
	v_mad_i64_i32 v[10:11], null, v69, s22, 0
	v_lshlrev_b64 v[10:11], 2, v[10:11]
	v_add_co_u32 v7, vcc_lo, s18, v10
	v_add_co_ci_u32_e64 v11, null, s19, v11, vcc_lo
	v_add_co_u32 v10, vcc_lo, v7, v68
	v_add_co_ci_u32_e64 v11, null, 0, v11, vcc_lo
	flat_load_dword v7, v[10:11]
	s_waitcnt vmcnt(0) lgkmcnt(0)
	v_mul_f32_e32 v7, s15, v7
.LBB5_16:
	v_add_nc_u32_e32 v10, 4, v66
	v_mov_b32_e32 v70, 0
	v_mov_b32_e32 v71, 0
	v_mad_i64_i32 v[10:11], null, s20, v10, 0
	v_lshlrev_b64 v[10:11], 2, v[10:11]
	v_add_co_u32 v10, vcc_lo, s16, v10
	v_add_co_ci_u32_e64 v11, null, s17, v11, vcc_lo
	s_and_b32 vcc_lo, exec_lo, s2
	s_cbranch_vccnz .LBB5_18
; %bb.17:
	v_lshlrev_b64 v[12:13], 2, v[2:3]
	v_add_co_u32 v12, vcc_lo, v10, v12
	v_add_co_ci_u32_e64 v13, null, v11, v13, vcc_lo
	s_clause 0x1
	flat_load_dword v14, v[12:13]
	flat_load_dword v12, v[12:13] offset:256
	s_waitcnt vmcnt(1) lgkmcnt(0)
	v_mul_f32_e32 v71, s15, v14
	s_waitcnt vmcnt(0)
	v_mul_f32_e32 v70, s15, v12
.LBB5_18:
	s_mov_b32 vcc_lo, s1
	s_cbranch_vccz .LBB5_20
; %bb.19:
	s_mov_b32 s23, 0
	v_mov_b32_e32 v72, s23
	v_mov_b32_e32 v73, 0
	;; [unrolled: 1-line block ×3, first 2 shown]
	s_cbranch_execz .LBB5_21
	s_branch .LBB5_22
.LBB5_20:
                                        ; implicit-def: $vgpr72
	v_mov_b32_e32 v73, 0
	v_mov_b32_e32 v74, 0
.LBB5_21:
	v_lshlrev_b64 v[2:3], 2, v[2:3]
	v_add_co_u32 v2, vcc_lo, v10, v2
	v_add_co_ci_u32_e64 v3, null, v11, v3, vcc_lo
	s_clause 0x1
	flat_load_dword v10, v[2:3] offset:512
	flat_load_dword v2, v[2:3] offset:768
	s_waitcnt vmcnt(1) lgkmcnt(0)
	v_mul_f32_e32 v72, s15, v10
	s_waitcnt vmcnt(0)
	v_mul_f32_e32 v74, s15, v2
.LBB5_22:
	s_and_b32 vcc_lo, exec_lo, s2
	s_cbranch_vccnz .LBB5_24
; %bb.23:
	s_waitcnt lgkmcnt(0)
	v_mad_i64_i32 v[2:3], null, v69, s22, 0
	v_lshlrev_b64 v[2:3], 2, v[2:3]
	v_add_co_u32 v2, vcc_lo, s18, v2
	v_add_co_ci_u32_e64 v3, null, s19, v3, vcc_lo
	v_add_co_u32 v2, vcc_lo, v2, v68
	v_add_co_ci_u32_e64 v3, null, 0, v3, vcc_lo
	flat_load_dword v2, v[2:3] offset:16
	s_waitcnt vmcnt(0) lgkmcnt(0)
	v_mul_f32_e32 v73, s15, v2
.LBB5_24:
	v_lshlrev_b32_e32 v2, 4, v67
	v_lshl_or_b32 v75, v9, 4, v68
	v_lshlrev_b32_e32 v76, 4, v0
	s_load_dwordx2 s[8:9], s[8:9], 0x0
	v_lshlrev_b32_e32 v77, 4, v1
	v_lshl_add_u32 v78, v66, 2, v2
	s_cmp_lt_i32 s14, 9
	ds_write2st64_b32 v78, v5, v4 offset1:4
	ds_write2st64_b32 v78, v6, v8 offset0:8 offset1:12
	ds_write_b32 v75, v7 offset:8192
	s_waitcnt lgkmcnt(0)
	s_barrier
	buffer_gl0_inv
	ds_read_b128 v[34:37], v76
	ds_read_b128 v[30:33], v76 offset:512
	ds_read_b128 v[26:29], v76 offset:1024
	;; [unrolled: 1-line block ×15, first 2 shown]
	ds_write2st64_b32 v78, v71, v70 offset0:16 offset1:20
	ds_write2st64_b32 v78, v72, v74 offset0:24 offset1:28
	ds_write_b32 v75, v73 offset:9216
	s_waitcnt lgkmcnt(0)
	s_barrier
	buffer_gl0_inv
	v_add_f32_e32 v79, v35, v63
	v_add_f32_e32 v80, v34, v62
	;; [unrolled: 1-line block ×3, first 2 shown]
	v_min3_f32 v79, v80, v79, 0x7f7fffff
	v_add_f32_e32 v80, v31, v63
	v_add_f32_e32 v122, v6, v38
	v_min3_f32 v115, v81, v80, 0x7f7fffff
	v_add_f32_e32 v80, v27, v63
	v_add_f32_e32 v81, v26, v62
	v_min3_f32 v116, v81, v80, 0x7f7fffff
	v_add_f32_e32 v80, v19, v63
	v_add_f32_e32 v81, v18, v62
	v_min3_f32 v117, v81, v80, 0x7f7fffff
	v_add_f32_e32 v80, v15, v63
	v_add_f32_e32 v81, v14, v62
	v_min3_f32 v118, v81, v80, 0x7f7fffff
	v_add_f32_e32 v80, v11, v63
	v_add_f32_e32 v81, v10, v62
	v_min3_f32 v119, v81, v80, 0x7f7fffff
	v_add_f32_e32 v80, v7, v63
	v_add_f32_e32 v81, v6, v62
	v_add_f32_e32 v63, v3, v63
	v_add_f32_e32 v62, v2, v62
	v_min3_f32 v120, v81, v80, 0x7f7fffff
	v_min3_f32 v121, v62, v63, 0x7f7fffff
	v_add_f32_e32 v62, v35, v59
	v_add_f32_e32 v63, v34, v58
	v_min3_f32 v114, v63, v62, 0x7f7fffff
	v_add_f32_e32 v62, v31, v59
	v_add_f32_e32 v63, v30, v58
	v_min3_f32 v113, v63, v62, 0x7f7fffff
	v_add_f32_e32 v62, v27, v59
	v_add_f32_e32 v63, v26, v58
	v_min3_f32 v112, v63, v62, 0x7f7fffff
	v_add_f32_e32 v62, v19, v59
	v_add_f32_e32 v63, v18, v58
	v_min3_f32 v111, v63, v62, 0x7f7fffff
	v_add_f32_e32 v62, v15, v59
	v_add_f32_e32 v63, v14, v58
	v_min3_f32 v110, v63, v62, 0x7f7fffff
	v_add_f32_e32 v62, v11, v59
	v_add_f32_e32 v63, v10, v58
	v_min3_f32 v109, v63, v62, 0x7f7fffff
	v_add_f32_e32 v62, v7, v59
	v_add_f32_e32 v63, v6, v58
	v_add_f32_e32 v59, v3, v59
	v_add_f32_e32 v58, v2, v58
	v_min3_f32 v108, v63, v62, 0x7f7fffff
	v_min3_f32 v107, v58, v59, 0x7f7fffff
	v_add_f32_e32 v58, v35, v55
	v_add_f32_e32 v59, v34, v54
	;; [unrolled: 24-line block ×5, first 2 shown]
	v_min3_f32 v82, v47, v46, 0x7f7fffff
	v_add_f32_e32 v46, v31, v43
	v_add_f32_e32 v47, v30, v42
	v_min3_f32 v81, v47, v46, 0x7f7fffff
	v_add_f32_e32 v46, v27, v43
	v_add_f32_e32 v47, v26, v42
	;; [unrolled: 3-line block ×6, first 2 shown]
	v_add_f32_e32 v43, v3, v43
	v_add_f32_e32 v42, v2, v42
	;; [unrolled: 1-line block ×3, first 2 shown]
	v_min3_f32 v58, v47, v46, 0x7f7fffff
	v_min3_f32 v55, v42, v43, 0x7f7fffff
	v_add_f32_e32 v42, v35, v39
	v_add_f32_e32 v43, v34, v38
	;; [unrolled: 1-line block ×4, first 2 shown]
	v_min3_f32 v54, v43, v42, 0x7f7fffff
	v_add_f32_e32 v42, v31, v39
	v_add_f32_e32 v43, v30, v38
	v_min3_f32 v34, v34, v35, 0x7f7fffff
	v_add_f32_e32 v31, v31, v23
	v_add_f32_e32 v30, v30, v22
	v_min3_f32 v51, v43, v42, 0x7f7fffff
	v_add_f32_e32 v42, v27, v39
	v_add_f32_e32 v43, v26, v38
	v_min3_f32 v30, v30, v31, 0x7f7fffff
	v_add_f32_e32 v27, v27, v23
	v_add_f32_e32 v26, v26, v22
	v_min3_f32 v50, v43, v42, 0x7f7fffff
	v_add_f32_e32 v42, v19, v39
	v_add_f32_e32 v43, v18, v38
	v_min3_f32 v26, v26, v27, 0x7f7fffff
	v_add_f32_e32 v19, v19, v23
	v_add_f32_e32 v18, v18, v22
	v_min3_f32 v47, v43, v42, 0x7f7fffff
	v_add_f32_e32 v42, v15, v39
	v_add_f32_e32 v43, v14, v38
	v_min3_f32 v18, v18, v19, 0x7f7fffff
	v_add_f32_e32 v15, v15, v23
	v_add_f32_e32 v14, v14, v22
	v_min3_f32 v46, v43, v42, 0x7f7fffff
	v_add_f32_e32 v42, v11, v39
	v_add_f32_e32 v43, v10, v38
	v_add_f32_e32 v38, v2, v38
	v_add_f32_e32 v2, v2, v22
	v_min3_f32 v14, v14, v15, 0x7f7fffff
	v_add_f32_e32 v11, v11, v23
	v_min3_f32 v43, v43, v42, 0x7f7fffff
	v_add_f32_e32 v42, v7, v39
	v_add_f32_e32 v39, v3, v39
	;; [unrolled: 1-line block ×5, first 2 shown]
	v_min3_f32 v42, v122, v42, 0x7f7fffff
	v_min3_f32 v38, v38, v39, 0x7f7fffff
	;; [unrolled: 1-line block ×4, first 2 shown]
	v_add_f32_e32 v3, v37, v65
	v_add_f32_e32 v7, v36, v64
	v_min3_f32 v10, v10, v11, 0x7f7fffff
	v_min3_f32 v143, v7, v3, v79
	v_add_f32_e32 v3, v33, v65
	v_add_f32_e32 v7, v32, v64
	v_min3_f32 v140, v7, v3, v115
	v_add_f32_e32 v3, v29, v65
	v_add_f32_e32 v7, v28, v64
	;; [unrolled: 3-line block ×55, first 2 shown]
	v_add_f32_e32 v4, v4, v24
	v_min3_f32 v87, v7, v3, v38
	v_add_f32_e32 v3, v37, v25
	v_add_f32_e32 v7, v36, v24
	v_min3_f32 v88, v7, v3, v34
	v_add_f32_e32 v3, v33, v25
	;; [unrolled: 3-line block ×8, first 2 shown]
	v_min3_f32 v84, v4, v3, v2
	s_cbranch_scc1 .LBB5_47
; %bb.25:
	v_mad_i64_i32 v[2:3], null, s22, v69, 0
	v_lshl_or_b32 v4, s6, 8, v67
	s_lshl_b32 s6, s7, 8
	v_add_nc_u32_e32 v5, 12, v66
	v_add_nc_u32_e32 v6, 8, v66
	;; [unrolled: 1-line block ×3, first 2 shown]
	v_subrev_nc_u32_e32 v4, s6, v4
	v_lshlrev_b64 v[2:3], 2, v[2:3]
	v_add_nc_u32_e32 v146, 0x2400, v75
	v_mad_i64_i32 v[6:7], null, v6, s20, 0
	v_or_b32_e32 v144, 0x2000, v77
	v_or_b32_e32 v145, 0x1000, v78
	v_add_co_u32 v8, vcc_lo, v2, v68
	v_add_co_ci_u32_e64 v9, null, 0, v3, vcc_lo
	v_mad_i64_i32 v[2:3], null, v5, s20, 0
	v_ashrrev_i32_e32 v5, 31, v4
	v_add_co_u32 v8, vcc_lo, s18, v8
	v_add_co_ci_u32_e64 v9, null, s19, v9, vcc_lo
	v_lshlrev_b64 v[4:5], 2, v[4:5]
	v_add_co_u32 v70, vcc_lo, v8, 32
	v_add_co_ci_u32_e64 v71, null, 0, v9, vcc_lo
	v_lshlrev_b64 v[72:73], 2, v[2:3]
	v_add_co_u32 v149, vcc_lo, s16, v4
	v_lshlrev_b64 v[74:75], 2, v[6:7]
	v_lshl_or_b32 v147, v0, 4, 0x1000
	v_lshl_add_u32 v148, v1, 4, 0x2400
	v_add_co_ci_u32_e64 v150, null, s17, v5, vcc_lo
	s_add_i32 s14, s14, -8
	s_lshl_b64 s[6:7], s[20:21], 5
	s_mov_b32 s16, 0
	s_mov_b32 s17, 0
	s_branch .LBB5_27
.LBB5_26:                               ;   in Loop: Header=BB5_27 Depth=1
	v_add_f32_e32 v3, v39, v67
	v_add_f32_e32 v4, v38, v66
	;; [unrolled: 1-line block ×6, first 2 shown]
	v_min3_f32 v143, v4, v3, v143
	v_add_f32_e32 v3, v27, v67
	v_min3_f32 v155, v155, v5, v140
	v_add_f32_e32 v4, v26, v66
	;; [unrolled: 2-line block ×3, first 2 shown]
	v_add_f32_e32 v140, v22, v66
	v_add_f32_e32 v157, v19, v67
	;; [unrolled: 1-line block ×7, first 2 shown]
	v_min3_f32 v161, v4, v3, v79
	v_min3_f32 v141, v140, v5, v142
	v_add_f32_e32 v3, v39, v63
	v_add_f32_e32 v4, v38, v62
	v_min3_f32 v140, v66, v67, v135
	v_add_f32_e32 v5, v35, v63
	v_add_f32_e32 v66, v34, v62
	v_min3_f32 v137, v158, v157, v137
	v_min3_f32 v138, v160, v159, v138
	v_add_f32_e32 v67, v31, v63
	v_add_f32_e32 v79, v30, v62
	v_add_f32_e32 v142, v27, v63
	v_add_f32_e32 v157, v26, v62
	v_add_f32_e32 v158, v23, v63
	v_add_f32_e32 v159, v22, v62
	v_min3_f32 v136, v4, v3, v136
	v_min3_f32 v135, v66, v5, v133
	v_add_f32_e32 v3, v19, v63
	v_add_f32_e32 v4, v18, v62
	v_add_f32_e32 v5, v15, v63
	v_add_f32_e32 v66, v14, v62
	;; [unrolled: 8-line block ×3, first 2 shown]
	v_min3_f32 v134, v4, v3, v128
	v_min3_f32 v128, v66, v5, v130
	;; [unrolled: 1-line block ×3, first 2 shown]
	v_add_f32_e32 v3, v31, v59
	v_add_f32_e32 v4, v30, v58
	v_add_f32_e32 v5, v27, v59
	v_add_f32_e32 v62, v26, v58
	v_min3_f32 v129, v79, v67, v129
	v_min3_f32 v126, v157, v142, v126
	v_add_f32_e32 v63, v23, v59
	v_add_f32_e32 v66, v22, v58
	v_add_f32_e32 v67, v19, v59
	v_add_f32_e32 v79, v18, v58
	v_add_f32_e32 v142, v15, v59
	v_add_f32_e32 v157, v14, v58
	v_min3_f32 v130, v4, v3, v125
	v_min3_f32 v123, v62, v5, v123
	v_add_f32_e32 v3, v7, v59
	v_add_f32_e32 v4, v6, v58
	v_add_f32_e32 v5, v39, v55
	v_add_f32_e32 v58, v38, v54
	v_add_f32_e32 v59, v35, v55
	v_add_f32_e32 v62, v34, v54
	v_min3_f32 v124, v66, v63, v124
	v_min3_f32 v121, v79, v67, v121
	v_add_f32_e32 v63, v31, v55
	v_add_f32_e32 v66, v30, v54
	v_add_f32_e32 v67, v27, v55
	v_add_f32_e32 v79, v26, v54
	v_min3_f32 v125, v4, v3, v119
	v_min3_f32 v119, v58, v5, v120
	;; [unrolled: 1-line block ×3, first 2 shown]
	v_add_f32_e32 v3, v23, v55
	v_add_f32_e32 v4, v22, v54
	;; [unrolled: 1-line block ×8, first 2 shown]
	v_min3_f32 v118, v66, v63, v118
	v_add_f32_e32 v63, v39, v51
	v_add_f32_e32 v66, v38, v50
	v_min3_f32 v115, v4, v3, v115
	v_min3_f32 v113, v58, v5, v113
	;; [unrolled: 1-line block ×4, first 2 shown]
	v_add_f32_e32 v3, v35, v51
	v_add_f32_e32 v4, v34, v50
	;; [unrolled: 1-line block ×8, first 2 shown]
	v_min3_f32 v116, v79, v67, v116
	v_min3_f32 v112, v66, v63, v112
	v_add_f32_e32 v63, v19, v51
	v_add_f32_e32 v66, v18, v50
	v_min3_f32 v109, v4, v3, v109
	v_min3_f32 v79, v54, v5, v110
	;; [unrolled: 1-line block ×4, first 2 shown]
	v_add_f32_e32 v3, v15, v51
	v_add_f32_e32 v4, v14, v50
	;; [unrolled: 1-line block ×10, first 2 shown]
	v_min3_f32 v106, v66, v63, v106
	v_min3_f32 v105, v4, v3, v105
	;; [unrolled: 1-line block ×6, first 2 shown]
	v_add_f32_e32 v3, v27, v47
	v_add_f32_e32 v4, v26, v46
	;; [unrolled: 1-line block ×10, first 2 shown]
	v_min3_f32 v99, v4, v3, v99
	v_min3_f32 v54, v50, v5, v100
	;; [unrolled: 1-line block ×5, first 2 shown]
	v_add_f32_e32 v3, v39, v43
	v_add_f32_e32 v4, v38, v42
	v_add_f32_e32 v5, v35, v43
	v_add_f32_e32 v46, v34, v42
	v_add_f32_e32 v47, v31, v43
	v_add_f32_e32 v50, v30, v42
	v_add_f32_e32 v51, v27, v43
	v_add_f32_e32 v97, v26, v42
	v_add_f32_e32 v98, v23, v43
	v_add_f32_e32 v100, v22, v42
	v_min3_f32 v95, v4, v3, v96
	v_min3_f32 v46, v46, v5, v93
	;; [unrolled: 1-line block ×4, first 2 shown]
	v_add_f32_e32 v3, v19, v43
	v_add_f32_e32 v4, v18, v42
	;; [unrolled: 1-line block ×6, first 2 shown]
	v_min3_f32 v51, v100, v98, v92
	v_add_f32_e32 v92, v35, v11
	v_min3_f32 v35, v4, v3, v89
	v_min3_f32 v3, v91, v5, v90
	;; [unrolled: 1-line block ×3, first 2 shown]
	v_add_f32_e32 v31, v31, v11
	v_add_f32_e32 v30, v30, v10
	;; [unrolled: 1-line block ×13, first 2 shown]
	v_min3_f32 v14, v30, v31, v85
	v_min3_f32 v22, v26, v27, v82
	;; [unrolled: 1-line block ×5, first 2 shown]
	v_add_f32_e32 v7, v7, v11
	v_add_f32_e32 v6, v6, v10
	;; [unrolled: 1-line block ×10, first 2 shown]
	v_min3_f32 v4, v42, v43, v87
	v_min3_f32 v7, v6, v7, v84
	;; [unrolled: 1-line block ×6, first 2 shown]
	v_add_f32_e32 v6, v25, v69
	v_add_f32_e32 v10, v24, v68
	v_add_f32_e32 v15, v21, v69
	v_add_f32_e32 v18, v20, v68
	v_add_f32_e32 v19, v17, v69
	v_add_f32_e32 v30, v16, v68
	v_add_f32_e32 v31, v9, v69
	v_add_f32_e32 v38, v8, v68
	v_add_f32_e32 v39, v41, v65
	v_add_f32_e32 v42, v40, v64
	v_min3_f32 v132, v159, v158, v132
	v_min3_f32 v34, v34, v92, v86
	;; [unrolled: 1-line block ×7, first 2 shown]
	v_add_f32_e32 v6, v37, v65
	v_add_f32_e32 v10, v36, v64
	;; [unrolled: 1-line block ×10, first 2 shown]
	v_min3_f32 v87, v10, v6, v135
	v_min3_f32 v88, v18, v15, v133
	;; [unrolled: 1-line block ×5, first 2 shown]
	v_add_f32_e32 v6, v17, v65
	v_add_f32_e32 v10, v16, v64
	;; [unrolled: 1-line block ×10, first 2 shown]
	v_min3_f32 v122, v157, v142, v122
	v_min3_f32 v92, v10, v6, v128
	;; [unrolled: 1-line block ×6, first 2 shown]
	v_add_f32_e32 v6, v29, v61
	v_add_f32_e32 v10, v28, v60
	v_add_f32_e32 v15, v25, v61
	v_add_f32_e32 v18, v24, v60
	v_add_f32_e32 v19, v21, v61
	v_add_f32_e32 v30, v20, v60
	v_add_f32_e32 v31, v17, v61
	v_add_f32_e32 v38, v16, v60
	v_add_f32_e32 v39, v9, v61
	v_add_f32_e32 v42, v8, v60
	v_min3_f32 v98, v10, v6, v123
	v_min3_f32 v100, v18, v15, v124
	v_min3_f32 v101, v30, v19, v121
	v_min3_f32 v102, v38, v31, v122
	v_min3_f32 v103, v42, v39, v125
	v_add_f32_e32 v6, v41, v57
	v_add_f32_e32 v10, v40, v56
	v_add_f32_e32 v15, v37, v57
	v_add_f32_e32 v18, v36, v56
	v_add_f32_e32 v19, v33, v57
	v_add_f32_e32 v30, v32, v56
	v_add_f32_e32 v31, v29, v57
	v_add_f32_e32 v38, v28, v56
	v_add_f32_e32 v39, v25, v57
	v_add_f32_e32 v42, v24, v56
	v_min3_f32 v104, v10, v6, v119
	v_min3_f32 v110, v18, v15, v117
	v_min3_f32 v117, v30, v19, v118
	v_min3_f32 v116, v38, v31, v116
	v_min3_f32 v115, v42, v39, v115
	;; [unrolled: 15-line block ×8, first 2 shown]
	v_add_f32_e32 v10, v29, v13
	v_add_f32_e32 v25, v25, v13
	;; [unrolled: 1-line block ×6, first 2 shown]
	ds_read_b128 v[3:6], v76
	ds_read_b128 v[61:64], v144
	v_add_f32_e32 v9, v9, v13
	ds_read_b128 v[13:16], v76 offset:512
	ds_read_b128 v[17:20], v76 offset:1024
	v_add_f32_e32 v28, v28, v12
	v_add_f32_e32 v24, v24, v12
	v_add_f32_e32 v8, v8, v12
	v_min3_f32 v137, v29, v21, v26
	v_min3_f32 v138, v31, v30, v27
	;; [unrolled: 1-line block ×5, first 2 shown]
	ds_read_b128 v[33:36], v76 offset:1536
	ds_read_b128 v[29:32], v76 offset:2048
	;; [unrolled: 1-line block ×12, first 2 shown]
	v_add_co_u32 v70, vcc_lo, v70, 32
	v_add_co_ci_u32_e64 v71, null, 0, v71, vcc_lo
	v_add_co_u32 v149, vcc_lo, v149, s6
	s_waitcnt lgkmcnt(14)
	v_add_f32_e32 v141, v4, v62
	v_add_f32_e32 v142, v3, v61
	s_waitcnt lgkmcnt(13)
	v_add_f32_e32 v143, v14, v62
	v_add_f32_e32 v155, v13, v61
	;; [unrolled: 3-line block ×3, first 2 shown]
	v_min3_f32 v11, v142, v141, v11
	s_waitcnt lgkmcnt(11)
	v_add_f32_e32 v141, v34, v62
	v_min3_f32 v80, v155, v143, v80
	v_add_f32_e32 v142, v33, v61
	v_min3_f32 v81, v157, v156, v81
	s_waitcnt lgkmcnt(10)
	v_add_f32_e32 v143, v30, v62
	v_add_f32_e32 v155, v29, v61
	s_waitcnt lgkmcnt(9)
	v_add_f32_e32 v156, v26, v62
	v_add_f32_e32 v157, v25, v61
	;; [unrolled: 3-line block ×4, first 2 shown]
	v_min3_f32 v82, v142, v141, v82
	v_min3_f32 v69, v155, v143, v69
	;; [unrolled: 1-line block ×5, first 2 shown]
	s_waitcnt lgkmcnt(6)
	v_add_f32_e32 v62, v4, v66
	v_add_f32_e32 v85, v3, v65
	;; [unrolled: 1-line block ×10, first 2 shown]
	v_min3_f32 v62, v85, v62, v86
	v_min3_f32 v85, v142, v141, v87
	;; [unrolled: 1-line block ×5, first 2 shown]
	v_add_f32_e32 v89, v26, v66
	v_add_f32_e32 v90, v25, v65
	;; [unrolled: 1-line block ×6, first 2 shown]
	s_waitcnt lgkmcnt(5)
	v_add_f32_e32 v143, v4, v58
	v_add_f32_e32 v155, v3, v57
	;; [unrolled: 1-line block ×4, first 2 shown]
	v_min3_f32 v89, v90, v89, v91
	v_min3_f32 v90, v142, v141, v92
	;; [unrolled: 1-line block ×5, first 2 shown]
	v_add_f32_e32 v92, v18, v58
	v_add_f32_e32 v93, v17, v57
	;; [unrolled: 1-line block ×10, first 2 shown]
	v_min3_f32 v92, v93, v92, v97
	v_min3_f32 v93, v96, v94, v98
	v_min3_f32 v94, v142, v141, v100
	v_min3_f32 v96, v155, v143, v101
	v_min3_f32 v97, v157, v156, v102
	v_add_f32_e32 v58, v8, v58
	v_add_f32_e32 v57, v7, v57
	s_waitcnt lgkmcnt(4)
	v_add_f32_e32 v98, v4, v54
	v_add_f32_e32 v100, v3, v53
	;; [unrolled: 1-line block ×8, first 2 shown]
	v_min3_f32 v57, v57, v58, v103
	v_min3_f32 v58, v100, v98, v104
	;; [unrolled: 1-line block ×5, first 2 shown]
	v_add_f32_e32 v102, v30, v54
	v_add_f32_e32 v103, v29, v53
	;; [unrolled: 1-line block ×8, first 2 shown]
	s_waitcnt lgkmcnt(3)
	v_add_f32_e32 v141, v4, v50
	v_add_f32_e32 v142, v3, v49
	v_min3_f32 v102, v103, v102, v115
	v_min3_f32 v103, v110, v104, v113
	;; [unrolled: 1-line block ×5, first 2 shown]
	v_add_f32_e32 v110, v14, v50
	v_add_f32_e32 v111, v13, v49
	;; [unrolled: 1-line block ×10, first 2 shown]
	v_min3_f32 v109, v111, v110, v109
	v_min3_f32 v110, v113, v112, v79
	;; [unrolled: 1-line block ×4, first 2 shown]
	v_add_f32_e32 v79, v22, v50
	v_add_f32_e32 v111, v21, v49
	;; [unrolled: 1-line block ×4, first 2 shown]
	s_waitcnt lgkmcnt(2)
	v_add_f32_e32 v112, v4, v46
	v_add_f32_e32 v113, v3, v45
	;; [unrolled: 1-line block ×6, first 2 shown]
	v_min3_f32 v105, v111, v79, v105
	v_min3_f32 v49, v49, v50, v118
	;; [unrolled: 1-line block ×5, first 2 shown]
	v_add_f32_e32 v79, v34, v46
	v_add_f32_e32 v111, v33, v45
	;; [unrolled: 1-line block ×10, first 2 shown]
	v_min3_f32 v99, v111, v79, v99
	v_min3_f32 v157, v113, v112, v122
	s_waitcnt lgkmcnt(1)
	v_add_f32_e32 v79, v3, v41
	v_add_f32_e32 v111, v14, v42
	v_min3_f32 v45, v45, v46, v125
	v_add_f32_e32 v46, v4, v42
	v_add_f32_e32 v112, v13, v41
	s_waitcnt lgkmcnt(0)
	v_add_f32_e32 v4, v4, v38
	v_add_f32_e32 v3, v3, v37
	;; [unrolled: 1-line block ×4, first 2 shown]
	v_min3_f32 v158, v115, v114, v123
	v_add_f32_e32 v113, v18, v42
	v_add_f32_e32 v114, v17, v41
	v_min3_f32 v160, v112, v111, v126
	v_add_f32_e32 v111, v22, v42
	v_add_f32_e32 v112, v21, v41
	v_min3_f32 v3, v3, v4, v133
	v_min3_f32 v4, v13, v14, v134
	v_add_f32_e32 v13, v18, v38
	v_add_f32_e32 v14, v17, v37
	;; [unrolled: 1-line block ×6, first 2 shown]
	v_min3_f32 v159, v117, v116, v124
	v_add_f32_e32 v115, v34, v42
	v_add_f32_e32 v116, v33, v41
	;; [unrolled: 1-line block ×4, first 2 shown]
	v_min3_f32 v46, v79, v46, v95
	v_add_f32_e32 v79, v26, v42
	v_add_f32_e32 v95, v25, v41
	;; [unrolled: 1-line block ×4, first 2 shown]
	v_min3_f32 v12, v18, v17, v12
	v_min3_f32 v18, v21, v22, v138
	v_add_f32_e32 v8, v8, v38
	v_add_f32_e32 v7, v7, v37
	v_add_f32_e32 v21, v6, v64
	v_add_f32_e32 v22, v5, v63
	v_add_f32_e32 v30, v30, v38
	v_add_f32_e32 v29, v29, v37
	v_add_f32_e32 v26, v26, v38
	v_add_f32_e32 v25, v25, v37
	v_min3_f32 v7, v7, v8, v140
	v_min3_f32 v143, v22, v21, v11
	v_add_f32_e32 v8, v32, v64
	v_add_f32_e32 v11, v31, v63
	v_min3_f32 v106, v142, v141, v106
	v_min3_f32 v13, v14, v13, v135
	;; [unrolled: 1-line block ×4, first 2 shown]
	v_add_f32_e32 v25, v16, v64
	v_add_f32_e32 v26, v15, v63
	;; [unrolled: 1-line block ×8, first 2 shown]
	v_min3_f32 v142, v11, v8, v69
	v_add_f32_e32 v8, v16, v68
	v_add_f32_e32 v11, v15, v67
	v_min3_f32 v164, v95, v79, v130
	v_min3_f32 v140, v26, v25, v80
	;; [unrolled: 1-line block ×4, first 2 shown]
	v_add_f32_e32 v25, v24, v64
	v_add_f32_e32 v26, v23, v63
	;; [unrolled: 1-line block ×6, first 2 shown]
	v_min3_f32 v137, v22, v21, v83
	v_add_f32_e32 v21, v20, v68
	v_add_f32_e32 v22, v19, v67
	v_min3_f32 v133, v11, v8, v85
	v_add_f32_e32 v8, v24, v68
	v_add_f32_e32 v11, v23, v67
	v_min3_f32 v138, v26, v25, v84
	v_min3_f32 v135, v30, v29, v61
	;; [unrolled: 1-line block ×3, first 2 shown]
	v_add_f32_e32 v25, v36, v68
	v_add_f32_e32 v26, v35, v67
	;; [unrolled: 1-line block ×6, first 2 shown]
	v_min3_f32 v134, v22, v21, v86
	v_add_f32_e32 v21, v10, v68
	v_add_f32_e32 v22, v9, v67
	v_min3_f32 v130, v11, v8, v90
	v_add_f32_e32 v8, v36, v60
	v_add_f32_e32 v11, v35, v59
	v_min3_f32 v161, v114, v113, v127
	v_min3_f32 v162, v116, v115, v128
	;; [unrolled: 1-line block ×7, first 2 shown]
	v_add_f32_e32 v25, v6, v60
	v_add_f32_e32 v26, v5, v59
	;; [unrolled: 1-line block ×6, first 2 shown]
	v_min3_f32 v127, v22, v21, v65
	v_add_f32_e32 v21, v32, v60
	v_add_f32_e32 v22, v31, v59
	v_min3_f32 v123, v11, v8, v93
	v_add_f32_e32 v8, v6, v56
	v_add_f32_e32 v11, v5, v55
	v_min3_f32 v163, v118, v117, v129
	v_min3_f32 v129, v26, v25, v66
	;; [unrolled: 1-line block ×4, first 2 shown]
	v_add_f32_e32 v25, v28, v60
	v_add_f32_e32 v26, v27, v59
	v_add_f32_e32 v29, v24, v60
	v_add_f32_e32 v30, v23, v59
	v_add_f32_e32 v33, v10, v60
	v_add_f32_e32 v34, v9, v59
	v_min3_f32 v124, v22, v21, v94
	v_add_f32_e32 v21, v16, v56
	v_add_f32_e32 v22, v15, v55
	v_min3_f32 v120, v11, v8, v58
	v_add_f32_e32 v8, v28, v56
	v_add_f32_e32 v11, v27, v55
	v_min3_f32 v121, v26, v25, v96
	v_min3_f32 v122, v30, v29, v97
	v_min3_f32 v119, v34, v33, v57
	v_add_f32_e32 v25, v20, v56
	v_add_f32_e32 v26, v19, v55
	v_add_f32_e32 v29, v36, v56
	v_add_f32_e32 v30, v35, v55
	v_add_f32_e32 v33, v32, v56
	v_add_f32_e32 v34, v31, v55
	v_min3_f32 v117, v22, v21, v98
	v_add_f32_e32 v21, v24, v56
	v_add_f32_e32 v22, v23, v55
	v_min3_f32 v113, v11, v8, v103
	v_add_f32_e32 v8, v20, v52
	v_add_f32_e32 v11, v19, v51
	v_min3_f32 v118, v26, v25, v100
	v_min3_f32 v116, v30, v29, v101
	v_min3_f32 v115, v34, v33, v102
	;; [unrolled: 15-line block ×5, first 2 shown]
	v_add_f32_e32 v25, v24, v48
	v_add_f32_e32 v26, v23, v47
	;; [unrolled: 1-line block ×6, first 2 shown]
	v_min3_f32 v97, v22, v21, v158
	v_add_f32_e32 v21, v20, v44
	v_add_f32_e32 v22, v19, v43
	v_min3_f32 v93, v11, v8, v160
	v_add_f32_e32 v8, v24, v44
	v_add_f32_e32 v11, v23, v43
	;; [unrolled: 1-line block ×8, first 2 shown]
	v_min3_f32 v98, v26, v25, v159
	v_min3_f32 v95, v30, v29, v45
	;; [unrolled: 1-line block ×3, first 2 shown]
	v_add_f32_e32 v25, v36, v44
	v_add_f32_e32 v26, v35, v43
	;; [unrolled: 1-line block ×6, first 2 shown]
	v_min3_f32 v94, v22, v21, v161
	v_add_f32_e32 v21, v10, v44
	v_add_f32_e32 v22, v9, v43
	v_min3_f32 v90, v11, v8, v165
	v_min3_f32 v88, v5, v6, v3
	;; [unrolled: 1-line block ×4, first 2 shown]
	v_add_f32_e32 v3, v36, v40
	v_add_f32_e32 v4, v35, v39
	;; [unrolled: 1-line block ×10, first 2 shown]
	v_min3_f32 v91, v26, v25, v162
	v_min3_f32 v92, v30, v29, v163
	;; [unrolled: 1-line block ×9, first 2 shown]
	v_add_co_ci_u32_e64 v150, null, s7, v150, vcc_lo
	s_add_i32 s17, s17, 8
	ds_write2st64_b32 v145, v2, v151 offset1:4
	ds_write2st64_b32 v145, v152, v154 offset0:8 offset1:12
	ds_write_b32 v146, v153
	s_cmp_ge_i32 s17, s14
	s_waitcnt lgkmcnt(0)
	s_barrier
	buffer_gl0_inv
	s_cbranch_scc1 .LBB5_47
.LBB5_27:                               ; =>This Inner Loop Header: Depth=1
	s_mov_b32 s18, -1
	s_mov_b32 vcc_lo, s1
                                        ; implicit-def: $vgpr2_vgpr3_vgpr4_vgpr5
	s_cbranch_vccnz .LBB5_38
; %bb.28:                               ;   in Loop: Header=BB5_27 Depth=1
	v_mov_b32_e32 v3, 0
	s_andn2_b32 vcc_lo, exec_lo, s18
	s_cbranch_vccz .LBB5_39
.LBB5_29:                               ;   in Loop: Header=BB5_27 Depth=1
	s_mov_b32 s18, -1
	s_mov_b32 vcc_lo, s1
                                        ; implicit-def: $vgpr4
	s_cbranch_vccnz .LBB5_40
.LBB5_30:                               ;   in Loop: Header=BB5_27 Depth=1
	v_mov_b32_e32 v5, 0
	v_mov_b32_e32 v151, 0
	s_andn2_b32 vcc_lo, exec_lo, s18
	s_cbranch_vccz .LBB5_41
.LBB5_31:                               ;   in Loop: Header=BB5_27 Depth=1
	s_and_b32 vcc_lo, exec_lo, s2
	s_cbranch_vccnz .LBB5_33
.LBB5_32:                               ;   in Loop: Header=BB5_27 Depth=1
	flat_load_dword v5, v[70:71]
	s_waitcnt vmcnt(0) lgkmcnt(0)
	v_mul_f32_e32 v5, s15, v5
.LBB5_33:                               ;   in Loop: Header=BB5_27 Depth=1
	ds_read_b128 v[38:41], v147
	ds_read_b128 v[34:37], v147 offset:512
	ds_read_b128 v[30:33], v147 offset:1024
	;; [unrolled: 1-line block ×7, first 2 shown]
	ds_read_b128 v[66:69], v148
	ds_read_b128 v[62:65], v148 offset:128
	ds_read_b128 v[58:61], v148 offset:256
	;; [unrolled: 1-line block ×7, first 2 shown]
	s_mov_b32 s18, -1
	s_mov_b32 vcc_lo, s1
	ds_write2st64_b32 v78, v2, v3 offset1:4
	ds_write2st64_b32 v78, v4, v151 offset0:8 offset1:12
	ds_write_b32 v139, v5
	s_waitcnt lgkmcnt(0)
	s_barrier
	buffer_gl0_inv
                                        ; implicit-def: $vgpr2_vgpr3_vgpr4_vgpr5
	s_cbranch_vccnz .LBB5_42
; %bb.34:                               ;   in Loop: Header=BB5_27 Depth=1
	v_mov_b32_e32 v151, 0
	s_andn2_b32 vcc_lo, exec_lo, s18
	s_cbranch_vccz .LBB5_43
.LBB5_35:                               ;   in Loop: Header=BB5_27 Depth=1
	s_mov_b32 s18, -1
	s_mov_b32 vcc_lo, s1
                                        ; implicit-def: $vgpr152
	s_cbranch_vccnz .LBB5_44
.LBB5_36:                               ;   in Loop: Header=BB5_27 Depth=1
	v_mov_b32_e32 v153, 0
	v_mov_b32_e32 v154, 0
	s_andn2_b32 vcc_lo, exec_lo, s18
	s_cbranch_vccz .LBB5_45
.LBB5_37:                               ;   in Loop: Header=BB5_27 Depth=1
	s_and_b32 vcc_lo, exec_lo, s2
	s_cbranch_vccz .LBB5_46
	s_branch .LBB5_26
.LBB5_38:                               ;   in Loop: Header=BB5_27 Depth=1
	v_mov_b32_e32 v2, s16
	v_mov_b32_e32 v3, 0
	s_cbranch_execnz .LBB5_29
.LBB5_39:                               ;   in Loop: Header=BB5_27 Depth=1
	v_add_co_u32 v2, vcc_lo, v149, v74
	v_add_co_ci_u32_e64 v3, null, v150, v75, vcc_lo
	s_clause 0x1
	flat_load_dword v4, v[2:3]
	flat_load_dword v3, v[2:3] offset:256
	s_waitcnt vmcnt(1) lgkmcnt(1)
	v_mul_f32_e32 v2, s15, v4
	s_waitcnt vmcnt(0) lgkmcnt(0)
	v_mul_f32_e32 v3, s15, v3
	s_mov_b32 s18, -1
	s_mov_b32 vcc_lo, s1
                                        ; implicit-def: $vgpr4
	s_cbranch_vccz .LBB5_30
.LBB5_40:                               ;   in Loop: Header=BB5_27 Depth=1
	v_mov_b32_e32 v4, s16
	v_mov_b32_e32 v5, 0
	;; [unrolled: 1-line block ×3, first 2 shown]
	s_cbranch_execnz .LBB5_31
.LBB5_41:                               ;   in Loop: Header=BB5_27 Depth=1
	v_add_co_u32 v6, vcc_lo, v149, v74
	v_add_co_ci_u32_e64 v7, null, v150, v75, vcc_lo
	s_clause 0x1
	flat_load_dword v4, v[6:7] offset:512
	flat_load_dword v6, v[6:7] offset:768
	s_waitcnt vmcnt(1) lgkmcnt(1)
	v_mul_f32_e32 v4, s15, v4
	s_waitcnt vmcnt(0) lgkmcnt(0)
	v_mul_f32_e32 v151, s15, v6
	s_and_b32 vcc_lo, exec_lo, s2
	s_cbranch_vccz .LBB5_32
	s_branch .LBB5_33
.LBB5_42:                               ;   in Loop: Header=BB5_27 Depth=1
	v_mov_b32_e32 v2, s16
	v_mov_b32_e32 v151, 0
	s_cbranch_execnz .LBB5_35
.LBB5_43:                               ;   in Loop: Header=BB5_27 Depth=1
	v_add_co_u32 v2, vcc_lo, v149, v72
	v_add_co_ci_u32_e64 v3, null, v150, v73, vcc_lo
	s_clause 0x1
	flat_load_dword v4, v[2:3]
	flat_load_dword v3, v[2:3] offset:256
	s_waitcnt vmcnt(1) lgkmcnt(1)
	v_mul_f32_e32 v2, s15, v4
	s_waitcnt vmcnt(0) lgkmcnt(0)
	v_mul_f32_e32 v151, s15, v3
	s_mov_b32 s18, -1
	s_mov_b32 vcc_lo, s1
                                        ; implicit-def: $vgpr152
	s_cbranch_vccz .LBB5_36
.LBB5_44:                               ;   in Loop: Header=BB5_27 Depth=1
	v_mov_b32_e32 v152, s16
	v_mov_b32_e32 v153, 0
	;; [unrolled: 1-line block ×3, first 2 shown]
	s_cbranch_execnz .LBB5_37
.LBB5_45:                               ;   in Loop: Header=BB5_27 Depth=1
	v_add_co_u32 v3, vcc_lo, v149, v72
	v_add_co_ci_u32_e64 v4, null, v150, v73, vcc_lo
	s_clause 0x1
	flat_load_dword v5, v[3:4] offset:512
	flat_load_dword v3, v[3:4] offset:768
	s_waitcnt vmcnt(1) lgkmcnt(1)
	v_mul_f32_e32 v152, s15, v5
	s_waitcnt vmcnt(0) lgkmcnt(0)
	v_mul_f32_e32 v154, s15, v3
	s_and_b32 vcc_lo, exec_lo, s2
	s_cbranch_vccnz .LBB5_26
.LBB5_46:                               ;   in Loop: Header=BB5_27 Depth=1
	flat_load_dword v3, v[70:71] offset:16
	s_waitcnt vmcnt(0) lgkmcnt(0)
	v_mul_f32_e32 v153, s15, v3
	s_branch .LBB5_26
.LBB5_47:
	ds_read_b128 v[34:37], v76 offset:4096
	ds_read_b128 v[62:65], v77 offset:9216
	s_clause 0x2
	s_load_dwordx2 s[6:7], s[4:5], 0x70
	s_load_dword s1, s[4:5], 0x50
	s_load_dword s2, s[4:5], 0x68
	ds_read_b128 v[30:33], v76 offset:4608
	ds_read_b128 v[26:29], v76 offset:5120
	ds_read_b128 v[22:25], v76 offset:5632
	ds_read_b128 v[18:21], v76 offset:6144
	ds_read_b128 v[14:17], v76 offset:6656
	ds_read_b128 v[10:13], v76 offset:7168
	ds_read_b128 v[2:5], v76 offset:7680
	ds_read_b128 v[58:61], v77 offset:9344
	ds_read_b128 v[54:57], v77 offset:9472
	ds_read_b128 v[50:53], v77 offset:9600
	ds_read_b128 v[46:49], v77 offset:9728
	ds_read_b128 v[42:45], v77 offset:9856
	v_add_nc_u32_e32 v139, s11, v1
	v_add_nc_u32_e32 v76, s10, v0
	s_waitcnt lgkmcnt(0)
	s_lshl_b64 s[4:5], s[6:7], 2
	v_add_f32_e32 v0, v35, v63
	v_add_f32_e32 v6, v34, v62
	v_mad_i64_i32 v[66:67], null, v139, s2, 0
	v_mad_i64_i32 v[68:69], null, v139, s1, 0
	v_min3_f32 v1, v6, v0, v143
	ds_read_b128 v[38:41], v77 offset:9984
	ds_read_b128 v[6:9], v77 offset:10112
	v_add_f32_e32 v70, v37, v65
	v_add_f32_e32 v71, v36, v64
	v_lshlrev_b64 v[66:67], 2, v[66:67]
	s_add_u32 s4, s8, s4
	v_lshlrev_b64 v[68:69], 2, v[68:69]
	v_ashrrev_i32_e32 v77, 31, v76
	v_add_nc_u32_e32 v0, 32, v76
	v_min3_f32 v70, v71, v70, v1
	s_addc_u32 s5, s9, s5
	v_add_co_u32 v143, vcc_lo, s4, v66
	v_add_co_ci_u32_e64 v144, null, s5, v67, vcc_lo
	v_add_co_u32 v145, vcc_lo, s12, v68
	v_lshlrev_b64 v[66:67], 2, v[76:77]
	v_ashrrev_i32_e32 v1, 31, v0
	v_add_co_ci_u32_e64 v146, null, s13, v69, vcc_lo
	v_max_f32_e32 v68, v70, v70
	s_mov_b32 s6, -1
	s_mov_b32 vcc_lo, s0
	s_cbranch_vccz .LBB5_49
; %bb.48:
	v_add_co_u32 v69, vcc_lo, v143, v66
	v_min_f32_e32 v71, 0, v68
	v_add_co_ci_u32_e64 v70, null, v144, v67, vcc_lo
	s_mov_b32 s6, 0
	flat_store_dword v[69:70], v71
.LBB5_49:
	v_lshlrev_b64 v[0:1], 2, v[0:1]
	v_mov_b32_e32 v69, 0
	s_andn2_b32 vcc_lo, exec_lo, s6
	s_cbranch_vccnz .LBB5_51
; %bb.50:
	v_add_co_u32 v69, vcc_lo, v145, v66
	v_add_co_ci_u32_e64 v70, null, v146, v67, vcc_lo
	flat_load_dword v69, v[69:70]
	s_waitcnt vmcnt(0) lgkmcnt(0)
	v_mul_f32_e32 v71, s3, v69
	v_add_co_u32 v69, vcc_lo, v143, v66
	v_add_co_ci_u32_e64 v70, null, v144, v67, vcc_lo
	v_min_f32_e32 v68, v71, v68
	v_add_co_u32 v71, vcc_lo, v145, v0
	v_add_co_ci_u32_e64 v72, null, v146, v1, vcc_lo
	flat_store_dword v[69:70], v68
	flat_load_dword v68, v[71:72]
	s_waitcnt vmcnt(0) lgkmcnt(0)
	v_mul_f32_e32 v69, s3, v68
.LBB5_51:
	v_add_f32_e32 v68, v31, v63
	v_add_f32_e32 v70, v30, v62
	;; [unrolled: 1-line block ×6, first 2 shown]
	v_min3_f32 v75, v70, v68, v140
	v_add_nc_u32_e32 v70, 64, v76
	v_min3_f32 v77, v72, v71, v141
	v_add_f32_e32 v78, v28, v64
	v_min_f32_e32 v71, v74, v73
	v_add_f32_e32 v74, v29, v65
	v_add_co_u32 v72, vcc_lo, v143, v0
	v_add_nc_u32_e32 v68, 0x60, v76
	v_min3_f32 v75, v69, v71, v75
	v_ashrrev_i32_e32 v71, 31, v70
	v_add_co_ci_u32_e64 v73, null, v144, v1, vcc_lo
	v_min3_f32 v74, v78, v74, v77
	v_ashrrev_i32_e32 v69, 31, v68
	v_lshlrev_b64 v[70:71], 2, v[70:71]
	flat_store_dword v[72:73], v75
	s_mov_b32 s6, -1
	v_max_f32_e32 v72, v74, v74
	s_mov_b32 vcc_lo, s0
	s_cbranch_vccz .LBB5_53
; %bb.52:
	v_add_co_u32 v73, vcc_lo, v143, v70
	v_min_f32_e32 v75, 0, v72
	v_add_co_ci_u32_e64 v74, null, v144, v71, vcc_lo
	s_mov_b32 s6, 0
	flat_store_dword v[73:74], v75
.LBB5_53:
	v_lshlrev_b64 v[68:69], 2, v[68:69]
	v_mov_b32_e32 v73, 0
	s_andn2_b32 vcc_lo, exec_lo, s6
	s_cbranch_vccnz .LBB5_55
; %bb.54:
	v_add_co_u32 v73, vcc_lo, v145, v70
	v_add_co_ci_u32_e64 v74, null, v146, v71, vcc_lo
	flat_load_dword v73, v[73:74]
	s_waitcnt vmcnt(0) lgkmcnt(0)
	v_mul_f32_e32 v75, s3, v73
	v_add_co_u32 v73, vcc_lo, v143, v70
	v_add_co_ci_u32_e64 v74, null, v144, v71, vcc_lo
	v_add_co_u32 v77, vcc_lo, v145, v68
	v_min_f32_e32 v72, v75, v72
	v_add_co_ci_u32_e64 v78, null, v146, v69, vcc_lo
	flat_store_dword v[73:74], v72
	flat_load_dword v72, v[77:78]
	s_waitcnt vmcnt(0) lgkmcnt(0)
	v_mul_f32_e32 v73, s3, v72
.LBB5_55:
	v_add_f32_e32 v72, v23, v63
	v_add_f32_e32 v74, v22, v62
	;; [unrolled: 1-line block ×6, first 2 shown]
	v_min3_f32 v79, v74, v72, v79
	v_add_nc_u32_e32 v74, 0x80, v76
	v_min3_f32 v141, v77, v75, v142
	v_add_f32_e32 v142, v20, v64
	v_min_f32_e32 v75, v140, v78
	v_add_f32_e32 v140, v21, v65
	v_add_co_u32 v77, vcc_lo, v143, v68
	v_add_nc_u32_e32 v72, 0xa0, v76
	v_min3_f32 v79, v73, v75, v79
	v_ashrrev_i32_e32 v75, 31, v74
	v_add_co_ci_u32_e64 v78, null, v144, v69, vcc_lo
	v_min3_f32 v140, v142, v140, v141
	v_ashrrev_i32_e32 v73, 31, v72
	v_lshlrev_b64 v[74:75], 2, v[74:75]
	flat_store_dword v[77:78], v79
	s_mov_b32 s6, -1
	v_max_f32_e32 v77, v140, v140
	s_mov_b32 vcc_lo, s0
	s_cbranch_vccz .LBB5_57
; %bb.56:
	v_add_co_u32 v78, vcc_lo, v143, v74
	v_min_f32_e32 v140, 0, v77
	v_add_co_ci_u32_e64 v79, null, v144, v75, vcc_lo
	s_mov_b32 s6, 0
	flat_store_dword v[78:79], v140
.LBB5_57:
	v_lshlrev_b64 v[72:73], 2, v[72:73]
	v_mov_b32_e32 v79, 0
	s_andn2_b32 vcc_lo, exec_lo, s6
	s_cbranch_vccnz .LBB5_59
; %bb.58:
	v_add_co_u32 v78, vcc_lo, v145, v74
	v_add_co_ci_u32_e64 v79, null, v146, v75, vcc_lo
	flat_load_dword v78, v[78:79]
	s_waitcnt vmcnt(0) lgkmcnt(0)
	v_mul_f32_e32 v140, s3, v78
	v_add_co_u32 v78, vcc_lo, v143, v74
	v_add_co_ci_u32_e64 v79, null, v144, v75, vcc_lo
	v_min_f32_e32 v77, v140, v77
	v_add_co_u32 v140, vcc_lo, v145, v72
	v_add_co_ci_u32_e64 v141, null, v146, v73, vcc_lo
	flat_store_dword v[78:79], v77
	flat_load_dword v77, v[140:141]
	s_waitcnt vmcnt(0) lgkmcnt(0)
	v_mul_f32_e32 v79, s3, v77
.LBB5_59:
	v_add_f32_e32 v77, v15, v63
	v_add_f32_e32 v78, v14, v62
	;; [unrolled: 1-line block ×6, first 2 shown]
	v_min3_f32 v77, v78, v77, v137
	v_add_nc_u32_e32 v137, 0xc0, v76
	v_min3_f32 v140, v141, v140, v138
	v_add_f32_e32 v141, v13, v65
	v_min_f32_e32 v138, v147, v142
	v_add_f32_e32 v142, v12, v64
	v_add_nc_u32_e32 v78, 0xe0, v76
	v_add_co_u32 v76, vcc_lo, v143, v72
	v_min3_f32 v147, v79, v138, v77
	v_add_co_ci_u32_e64 v77, null, v144, v73, vcc_lo
	v_ashrrev_i32_e32 v138, 31, v137
	v_min3_f32 v140, v142, v141, v140
	v_ashrrev_i32_e32 v79, 31, v78
	flat_store_dword v[76:77], v147
	s_mov_b32 s6, -1
	v_lshlrev_b64 v[76:77], 2, v[137:138]
	v_max_f32_e32 v137, v140, v140
	s_mov_b32 vcc_lo, s0
	s_cbranch_vccz .LBB5_61
; %bb.60:
	v_add_co_u32 v140, vcc_lo, v143, v76
	v_min_f32_e32 v138, 0, v137
	v_add_co_ci_u32_e64 v141, null, v144, v77, vcc_lo
	s_mov_b32 s6, 0
	flat_store_dword v[140:141], v138
.LBB5_61:
	v_lshlrev_b64 v[78:79], 2, v[78:79]
	v_mov_b32_e32 v138, 0
	s_andn2_b32 vcc_lo, exec_lo, s6
	s_cbranch_vccnz .LBB5_63
; %bb.62:
	v_add_co_u32 v140, vcc_lo, v145, v76
	v_add_co_ci_u32_e64 v141, null, v146, v77, vcc_lo
	flat_load_dword v138, v[140:141]
	v_add_co_u32 v140, vcc_lo, v143, v76
	v_add_co_ci_u32_e64 v141, null, v144, v77, vcc_lo
	s_waitcnt vmcnt(0) lgkmcnt(0)
	v_mul_f32_e32 v138, s3, v138
	v_min_f32_e32 v142, v138, v137
	v_add_co_u32 v137, vcc_lo, v145, v78
	v_add_co_ci_u32_e64 v138, null, v146, v79, vcc_lo
	flat_store_dword v[140:141], v142
	flat_load_dword v137, v[137:138]
	s_waitcnt vmcnt(0) lgkmcnt(0)
	v_mul_f32_e32 v138, s3, v137
.LBB5_63:
	v_add_f32_e32 v63, v3, v63
	v_add_f32_e32 v62, v2, v62
	;; [unrolled: 1-line block ×6, first 2 shown]
	v_min3_f32 v62, v62, v63, v135
	v_add_f32_e32 v141, v36, v60
	v_min_f32_e32 v63, v64, v65
	v_add_nc_u32_e32 v64, 8, v139
	v_min3_f32 v137, v140, v137, v136
	v_add_f32_e32 v140, v37, v61
	v_add_co_u32 v135, vcc_lo, v143, v78
	v_min3_f32 v138, v138, v63, v62
	v_mad_i64_i32 v[62:63], null, v64, s2, 0
	v_mad_i64_i32 v[64:65], null, v64, s1, 0
	v_add_co_ci_u32_e64 v136, null, v144, v79, vcc_lo
	v_min3_f32 v137, v141, v140, v137
	s_mov_b32 s6, -1
	v_lshlrev_b64 v[62:63], 2, v[62:63]
	flat_store_dword v[135:136], v138
	v_lshlrev_b64 v[64:65], 2, v[64:65]
	v_max_f32_e32 v135, v137, v137
	v_add_co_u32 v62, vcc_lo, s4, v62
	v_add_co_ci_u32_e64 v63, null, s5, v63, vcc_lo
	v_add_co_u32 v64, vcc_lo, s12, v64
	v_add_co_ci_u32_e64 v65, null, s13, v65, vcc_lo
	s_mov_b32 vcc_lo, s0
	s_cbranch_vccz .LBB5_65
; %bb.64:
	v_add_co_u32 v136, vcc_lo, v62, v66
	v_min_f32_e32 v138, 0, v135
	v_add_co_ci_u32_e64 v137, null, v63, v67, vcc_lo
	s_mov_b32 s6, 0
	flat_store_dword v[136:137], v138
.LBB5_65:
	v_mov_b32_e32 v136, 0
	s_andn2_b32 vcc_lo, exec_lo, s6
	s_cbranch_vccnz .LBB5_67
; %bb.66:
	v_add_co_u32 v136, vcc_lo, v64, v66
	v_add_co_ci_u32_e64 v137, null, v65, v67, vcc_lo
	flat_load_dword v136, v[136:137]
	s_waitcnt vmcnt(0) lgkmcnt(0)
	v_mul_f32_e32 v138, s3, v136
	v_add_co_u32 v136, vcc_lo, v62, v66
	v_add_co_ci_u32_e64 v137, null, v63, v67, vcc_lo
	v_add_co_u32 v140, vcc_lo, v64, v0
	v_min_f32_e32 v135, v138, v135
	v_add_co_ci_u32_e64 v141, null, v65, v1, vcc_lo
	flat_store_dword v[136:137], v135
	flat_load_dword v135, v[140:141]
	s_waitcnt vmcnt(0) lgkmcnt(0)
	v_mul_f32_e32 v136, s3, v135
.LBB5_67:
	v_add_f32_e32 v135, v31, v59
	v_add_f32_e32 v137, v30, v58
	v_add_f32_e32 v138, v33, v61
	v_add_f32_e32 v140, v32, v60
	v_add_f32_e32 v141, v27, v59
	v_add_f32_e32 v142, v26, v58
	v_min3_f32 v133, v137, v135, v133
	s_mov_b32 s6, -1
	v_min_f32_e32 v135, v140, v138
	v_add_f32_e32 v138, v29, v61
	v_min3_f32 v137, v142, v141, v134
	v_add_f32_e32 v140, v28, v60
	v_min3_f32 v135, v136, v135, v133
	v_add_co_u32 v133, vcc_lo, v62, v0
	v_add_co_ci_u32_e64 v134, null, v63, v1, vcc_lo
	v_min3_f32 v136, v140, v138, v137
	s_mov_b32 vcc_lo, s0
	flat_store_dword v[133:134], v135
	v_max_f32_e32 v133, v136, v136
	s_cbranch_vccz .LBB5_69
; %bb.68:
	v_add_co_u32 v134, vcc_lo, v62, v70
	v_min_f32_e32 v136, 0, v133
	v_add_co_ci_u32_e64 v135, null, v63, v71, vcc_lo
	s_mov_b32 s6, 0
	flat_store_dword v[134:135], v136
.LBB5_69:
	v_mov_b32_e32 v134, 0
	s_andn2_b32 vcc_lo, exec_lo, s6
	s_cbranch_vccnz .LBB5_71
; %bb.70:
	v_add_co_u32 v134, vcc_lo, v64, v70
	v_add_co_ci_u32_e64 v135, null, v65, v71, vcc_lo
	flat_load_dword v134, v[134:135]
	s_waitcnt vmcnt(0) lgkmcnt(0)
	v_mul_f32_e32 v136, s3, v134
	v_add_co_u32 v134, vcc_lo, v62, v70
	v_add_co_ci_u32_e64 v135, null, v63, v71, vcc_lo
	v_min_f32_e32 v133, v136, v133
	v_add_co_u32 v136, vcc_lo, v64, v68
	v_add_co_ci_u32_e64 v137, null, v65, v69, vcc_lo
	flat_store_dword v[134:135], v133
	flat_load_dword v133, v[136:137]
	s_waitcnt vmcnt(0) lgkmcnt(0)
	v_mul_f32_e32 v134, s3, v133
.LBB5_71:
	v_add_f32_e32 v133, v23, v59
	v_add_f32_e32 v135, v22, v58
	;; [unrolled: 1-line block ×6, first 2 shown]
	v_min3_f32 v131, v135, v133, v131
	s_mov_b32 s6, -1
	v_min_f32_e32 v133, v137, v136
	v_add_f32_e32 v136, v21, v61
	v_min3_f32 v135, v140, v138, v132
	v_add_f32_e32 v137, v20, v60
	v_min3_f32 v133, v134, v133, v131
	v_add_co_u32 v131, vcc_lo, v62, v68
	v_add_co_ci_u32_e64 v132, null, v63, v69, vcc_lo
	v_min3_f32 v134, v137, v136, v135
	s_mov_b32 vcc_lo, s0
	flat_store_dword v[131:132], v133
	v_max_f32_e32 v131, v134, v134
	s_cbranch_vccz .LBB5_73
; %bb.72:
	v_add_co_u32 v132, vcc_lo, v62, v74
	v_min_f32_e32 v134, 0, v131
	v_add_co_ci_u32_e64 v133, null, v63, v75, vcc_lo
	s_mov_b32 s6, 0
	flat_store_dword v[132:133], v134
.LBB5_73:
	v_mov_b32_e32 v132, 0
	s_andn2_b32 vcc_lo, exec_lo, s6
	s_cbranch_vccnz .LBB5_75
; %bb.74:
	v_add_co_u32 v132, vcc_lo, v64, v74
	v_add_co_ci_u32_e64 v133, null, v65, v75, vcc_lo
	flat_load_dword v132, v[132:133]
	s_waitcnt vmcnt(0) lgkmcnt(0)
	v_mul_f32_e32 v134, s3, v132
	v_add_co_u32 v132, vcc_lo, v62, v74
	v_add_co_ci_u32_e64 v133, null, v63, v75, vcc_lo
	v_min_f32_e32 v131, v134, v131
	v_add_co_u32 v134, vcc_lo, v64, v72
	v_add_co_ci_u32_e64 v135, null, v65, v73, vcc_lo
	flat_store_dword v[132:133], v131
	flat_load_dword v131, v[134:135]
	s_waitcnt vmcnt(0) lgkmcnt(0)
	v_mul_f32_e32 v132, s3, v131
.LBB5_75:
	v_add_f32_e32 v131, v15, v59
	v_add_f32_e32 v133, v14, v58
	;; [unrolled: 1-line block ×6, first 2 shown]
	v_min3_f32 v128, v133, v131, v128
	s_mov_b32 s6, -1
	v_min_f32_e32 v131, v135, v134
	v_add_f32_e32 v134, v13, v61
	v_min3_f32 v133, v137, v136, v130
	v_add_f32_e32 v135, v12, v60
	v_add_co_u32 v130, vcc_lo, v62, v72
	v_min3_f32 v128, v132, v131, v128
	v_add_co_ci_u32_e64 v131, null, v63, v73, vcc_lo
	v_min3_f32 v132, v135, v134, v133
	s_mov_b32 vcc_lo, s0
	flat_store_dword v[130:131], v128
	v_max_f32_e32 v128, v132, v132
	s_cbranch_vccz .LBB5_77
; %bb.76:
	v_add_co_u32 v130, vcc_lo, v62, v76
	v_min_f32_e32 v132, 0, v128
	v_add_co_ci_u32_e64 v131, null, v63, v77, vcc_lo
	s_mov_b32 s6, 0
	flat_store_dword v[130:131], v132
.LBB5_77:
	v_mov_b32_e32 v130, 0
	s_andn2_b32 vcc_lo, exec_lo, s6
	s_cbranch_vccnz .LBB5_79
; %bb.78:
	v_add_co_u32 v130, vcc_lo, v64, v76
	v_add_co_ci_u32_e64 v131, null, v65, v77, vcc_lo
	flat_load_dword v130, v[130:131]
	s_waitcnt vmcnt(0) lgkmcnt(0)
	v_mul_f32_e32 v132, s3, v130
	v_add_co_u32 v130, vcc_lo, v62, v76
	v_add_co_ci_u32_e64 v131, null, v63, v77, vcc_lo
	v_add_co_u32 v64, vcc_lo, v64, v78
	v_min_f32_e32 v128, v132, v128
	v_add_co_ci_u32_e64 v65, null, v65, v79, vcc_lo
	flat_store_dword v[130:131], v128
	flat_load_dword v64, v[64:65]
	s_waitcnt vmcnt(0) lgkmcnt(0)
	v_mul_f32_e32 v130, s3, v64
.LBB5_79:
	v_add_f32_e32 v59, v3, v59
	v_add_f32_e32 v58, v2, v58
	;; [unrolled: 1-line block ×6, first 2 shown]
	v_min3_f32 v58, v58, v59, v127
	v_add_f32_e32 v127, v36, v56
	v_min_f32_e32 v59, v60, v61
	v_add_nc_u32_e32 v60, 16, v139
	v_min3_f32 v64, v65, v64, v129
	v_add_f32_e32 v65, v37, v57
	v_add_co_u32 v62, vcc_lo, v62, v78
	v_min3_f32 v128, v130, v59, v58
	v_mad_i64_i32 v[58:59], null, v60, s2, 0
	v_mad_i64_i32 v[60:61], null, v60, s1, 0
	v_add_co_ci_u32_e64 v63, null, v63, v79, vcc_lo
	v_min3_f32 v64, v127, v65, v64
	s_mov_b32 s6, -1
	v_lshlrev_b64 v[58:59], 2, v[58:59]
	flat_store_dword v[62:63], v128
	v_lshlrev_b64 v[60:61], 2, v[60:61]
	v_max_f32_e32 v62, v64, v64
	v_add_co_u32 v58, vcc_lo, s4, v58
	v_add_co_ci_u32_e64 v59, null, s5, v59, vcc_lo
	v_add_co_u32 v60, vcc_lo, s12, v60
	v_add_co_ci_u32_e64 v61, null, s13, v61, vcc_lo
	s_mov_b32 vcc_lo, s0
	s_cbranch_vccz .LBB5_81
; %bb.80:
	v_add_co_u32 v63, vcc_lo, v58, v66
	v_min_f32_e32 v65, 0, v62
	v_add_co_ci_u32_e64 v64, null, v59, v67, vcc_lo
	s_mov_b32 s6, 0
	flat_store_dword v[63:64], v65
.LBB5_81:
	v_mov_b32_e32 v63, 0
	s_andn2_b32 vcc_lo, exec_lo, s6
	s_cbranch_vccnz .LBB5_83
; %bb.82:
	v_add_co_u32 v63, vcc_lo, v60, v66
	v_add_co_ci_u32_e64 v64, null, v61, v67, vcc_lo
	flat_load_dword v63, v[63:64]
	s_waitcnt vmcnt(0) lgkmcnt(0)
	v_mul_f32_e32 v65, s3, v63
	v_add_co_u32 v63, vcc_lo, v58, v66
	v_add_co_ci_u32_e64 v64, null, v59, v67, vcc_lo
	v_add_co_u32 v127, vcc_lo, v60, v0
	v_min_f32_e32 v62, v65, v62
	v_add_co_ci_u32_e64 v128, null, v61, v1, vcc_lo
	flat_store_dword v[63:64], v62
	flat_load_dword v62, v[127:128]
	s_waitcnt vmcnt(0) lgkmcnt(0)
	v_mul_f32_e32 v63, s3, v62
.LBB5_83:
	v_add_f32_e32 v62, v31, v55
	v_add_f32_e32 v64, v30, v54
	v_add_f32_e32 v65, v33, v57
	v_add_f32_e32 v127, v32, v56
	v_add_f32_e32 v128, v27, v55
	v_add_f32_e32 v129, v26, v54
	v_min3_f32 v62, v64, v62, v126
	v_add_f32_e32 v126, v28, v56
	v_min_f32_e32 v64, v127, v65
	s_mov_b32 s6, -1
	v_min3_f32 v65, v129, v128, v125
	v_add_f32_e32 v125, v29, v57
	v_min3_f32 v64, v63, v64, v62
	v_add_co_u32 v62, vcc_lo, v58, v0
	v_add_co_ci_u32_e64 v63, null, v59, v1, vcc_lo
	v_min3_f32 v65, v126, v125, v65
	s_mov_b32 vcc_lo, s0
	flat_store_dword v[62:63], v64
	v_max_f32_e32 v62, v65, v65
	s_cbranch_vccz .LBB5_85
; %bb.84:
	v_add_co_u32 v63, vcc_lo, v58, v70
	v_min_f32_e32 v65, 0, v62
	v_add_co_ci_u32_e64 v64, null, v59, v71, vcc_lo
	s_mov_b32 s6, 0
	flat_store_dword v[63:64], v65
.LBB5_85:
	v_mov_b32_e32 v63, 0
	s_andn2_b32 vcc_lo, exec_lo, s6
	s_cbranch_vccnz .LBB5_87
; %bb.86:
	v_add_co_u32 v63, vcc_lo, v60, v70
	v_add_co_ci_u32_e64 v64, null, v61, v71, vcc_lo
	flat_load_dword v63, v[63:64]
	s_waitcnt vmcnt(0) lgkmcnt(0)
	v_mul_f32_e32 v65, s3, v63
	v_add_co_u32 v63, vcc_lo, v58, v70
	v_add_co_ci_u32_e64 v64, null, v59, v71, vcc_lo
	v_add_co_u32 v125, vcc_lo, v60, v68
	v_min_f32_e32 v62, v65, v62
	v_add_co_ci_u32_e64 v126, null, v61, v69, vcc_lo
	flat_store_dword v[63:64], v62
	flat_load_dword v62, v[125:126]
	s_waitcnt vmcnt(0) lgkmcnt(0)
	v_mul_f32_e32 v63, s3, v62
.LBB5_87:
	v_add_f32_e32 v62, v23, v55
	v_add_f32_e32 v64, v22, v54
	v_add_f32_e32 v65, v25, v57
	v_add_f32_e32 v125, v24, v56
	v_add_f32_e32 v126, v19, v55
	v_add_f32_e32 v127, v18, v54
	v_min3_f32 v62, v64, v62, v123
	v_add_f32_e32 v123, v21, v57
	v_min_f32_e32 v64, v125, v65
	s_mov_b32 s6, -1
	v_min3_f32 v65, v127, v126, v124
	v_add_f32_e32 v124, v20, v56
	v_min3_f32 v64, v63, v64, v62
	v_add_co_u32 v62, vcc_lo, v58, v68
	v_add_co_ci_u32_e64 v63, null, v59, v69, vcc_lo
	v_min3_f32 v65, v124, v123, v65
	s_mov_b32 vcc_lo, s0
	flat_store_dword v[62:63], v64
	v_max_f32_e32 v62, v65, v65
	;; [unrolled: 46-line block ×3, first 2 shown]
	s_cbranch_vccz .LBB5_93
; %bb.92:
	v_add_co_u32 v63, vcc_lo, v58, v76
	v_min_f32_e32 v65, 0, v62
	v_add_co_ci_u32_e64 v64, null, v59, v77, vcc_lo
	s_mov_b32 s6, 0
	flat_store_dword v[63:64], v65
.LBB5_93:
	v_mov_b32_e32 v63, 0
	s_andn2_b32 vcc_lo, exec_lo, s6
	s_cbranch_vccnz .LBB5_95
; %bb.94:
	v_add_co_u32 v63, vcc_lo, v60, v76
	v_add_co_ci_u32_e64 v64, null, v61, v77, vcc_lo
	flat_load_dword v63, v[63:64]
	s_waitcnt vmcnt(0) lgkmcnt(0)
	v_mul_f32_e32 v65, s3, v63
	v_add_co_u32 v63, vcc_lo, v58, v76
	v_add_co_ci_u32_e64 v64, null, v59, v77, vcc_lo
	v_add_co_u32 v60, vcc_lo, v60, v78
	v_min_f32_e32 v62, v65, v62
	v_add_co_ci_u32_e64 v61, null, v61, v79, vcc_lo
	flat_store_dword v[63:64], v62
	flat_load_dword v60, v[60:61]
	s_waitcnt vmcnt(0) lgkmcnt(0)
	v_mul_f32_e32 v63, s3, v60
.LBB5_95:
	v_add_f32_e32 v55, v3, v55
	v_add_f32_e32 v54, v2, v54
	;; [unrolled: 1-line block ×6, first 2 shown]
	v_min3_f32 v54, v54, v55, v119
	v_add_f32_e32 v62, v36, v52
	v_min_f32_e32 v55, v56, v57
	v_add_nc_u32_e32 v56, 24, v139
	v_min3_f32 v60, v61, v60, v120
	v_add_f32_e32 v61, v37, v53
	v_add_co_u32 v58, vcc_lo, v58, v78
	v_min3_f32 v63, v63, v55, v54
	v_mad_i64_i32 v[54:55], null, v56, s2, 0
	v_mad_i64_i32 v[56:57], null, v56, s1, 0
	v_add_co_ci_u32_e64 v59, null, v59, v79, vcc_lo
	v_min3_f32 v60, v62, v61, v60
	s_mov_b32 s6, -1
	v_lshlrev_b64 v[54:55], 2, v[54:55]
	flat_store_dword v[58:59], v63
	v_lshlrev_b64 v[56:57], 2, v[56:57]
	v_max_f32_e32 v58, v60, v60
	v_add_co_u32 v54, vcc_lo, s4, v54
	v_add_co_ci_u32_e64 v55, null, s5, v55, vcc_lo
	v_add_co_u32 v56, vcc_lo, s12, v56
	v_add_co_ci_u32_e64 v57, null, s13, v57, vcc_lo
	s_mov_b32 vcc_lo, s0
	s_cbranch_vccz .LBB5_97
; %bb.96:
	v_add_co_u32 v59, vcc_lo, v54, v66
	v_min_f32_e32 v61, 0, v58
	v_add_co_ci_u32_e64 v60, null, v55, v67, vcc_lo
	s_mov_b32 s6, 0
	flat_store_dword v[59:60], v61
.LBB5_97:
	v_mov_b32_e32 v59, 0
	s_andn2_b32 vcc_lo, exec_lo, s6
	s_cbranch_vccnz .LBB5_99
; %bb.98:
	v_add_co_u32 v59, vcc_lo, v56, v66
	v_add_co_ci_u32_e64 v60, null, v57, v67, vcc_lo
	flat_load_dword v59, v[59:60]
	s_waitcnt vmcnt(0) lgkmcnt(0)
	v_mul_f32_e32 v61, s3, v59
	v_add_co_u32 v59, vcc_lo, v54, v66
	v_add_co_ci_u32_e64 v60, null, v55, v67, vcc_lo
	v_min_f32_e32 v58, v61, v58
	v_add_co_u32 v61, vcc_lo, v56, v0
	v_add_co_ci_u32_e64 v62, null, v57, v1, vcc_lo
	flat_store_dword v[59:60], v58
	flat_load_dword v58, v[61:62]
	s_waitcnt vmcnt(0) lgkmcnt(0)
	v_mul_f32_e32 v59, s3, v58
.LBB5_99:
	v_add_f32_e32 v58, v31, v51
	v_add_f32_e32 v60, v30, v50
	v_add_f32_e32 v61, v33, v53
	v_add_f32_e32 v62, v32, v52
	v_add_f32_e32 v63, v27, v51
	v_add_f32_e32 v64, v26, v50
	v_min3_f32 v58, v60, v58, v117
	s_mov_b32 s6, -1
	v_min_f32_e32 v60, v62, v61
	v_add_f32_e32 v62, v29, v53
	v_min3_f32 v61, v64, v63, v118
	v_add_f32_e32 v63, v28, v52
	v_min3_f32 v60, v59, v60, v58
	v_add_co_u32 v58, vcc_lo, v54, v0
	v_add_co_ci_u32_e64 v59, null, v55, v1, vcc_lo
	v_min3_f32 v61, v63, v62, v61
	s_mov_b32 vcc_lo, s0
	flat_store_dword v[58:59], v60
	v_max_f32_e32 v58, v61, v61
	s_cbranch_vccz .LBB5_101
; %bb.100:
	v_add_co_u32 v59, vcc_lo, v54, v70
	v_min_f32_e32 v61, 0, v58
	v_add_co_ci_u32_e64 v60, null, v55, v71, vcc_lo
	s_mov_b32 s6, 0
	flat_store_dword v[59:60], v61
.LBB5_101:
	v_mov_b32_e32 v59, 0
	s_andn2_b32 vcc_lo, exec_lo, s6
	s_cbranch_vccnz .LBB5_103
; %bb.102:
	v_add_co_u32 v59, vcc_lo, v56, v70
	v_add_co_ci_u32_e64 v60, null, v57, v71, vcc_lo
	flat_load_dword v59, v[59:60]
	s_waitcnt vmcnt(0) lgkmcnt(0)
	v_mul_f32_e32 v61, s3, v59
	v_add_co_u32 v59, vcc_lo, v54, v70
	v_add_co_ci_u32_e64 v60, null, v55, v71, vcc_lo
	v_min_f32_e32 v58, v61, v58
	v_add_co_u32 v61, vcc_lo, v56, v68
	v_add_co_ci_u32_e64 v62, null, v57, v69, vcc_lo
	flat_store_dword v[59:60], v58
	flat_load_dword v58, v[61:62]
	s_waitcnt vmcnt(0) lgkmcnt(0)
	v_mul_f32_e32 v59, s3, v58
.LBB5_103:
	v_add_f32_e32 v58, v23, v51
	v_add_f32_e32 v60, v22, v50
	v_add_f32_e32 v61, v25, v53
	v_add_f32_e32 v62, v24, v52
	v_add_f32_e32 v63, v19, v51
	v_add_f32_e32 v64, v18, v50
	v_min3_f32 v58, v60, v58, v116
	s_mov_b32 s6, -1
	v_min_f32_e32 v60, v62, v61
	v_add_f32_e32 v62, v21, v53
	v_min3_f32 v61, v64, v63, v115
	v_add_f32_e32 v63, v20, v52
	v_min3_f32 v60, v59, v60, v58
	v_add_co_u32 v58, vcc_lo, v54, v68
	v_add_co_ci_u32_e64 v59, null, v55, v69, vcc_lo
	v_min3_f32 v61, v63, v62, v61
	s_mov_b32 vcc_lo, s0
	flat_store_dword v[58:59], v60
	v_max_f32_e32 v58, v61, v61
	;; [unrolled: 46-line block ×3, first 2 shown]
	s_cbranch_vccz .LBB5_109
; %bb.108:
	v_add_co_u32 v59, vcc_lo, v54, v76
	v_min_f32_e32 v61, 0, v58
	v_add_co_ci_u32_e64 v60, null, v55, v77, vcc_lo
	s_mov_b32 s6, 0
	flat_store_dword v[59:60], v61
.LBB5_109:
	v_mov_b32_e32 v59, 0
	s_andn2_b32 vcc_lo, exec_lo, s6
	s_cbranch_vccnz .LBB5_111
; %bb.110:
	v_add_co_u32 v59, vcc_lo, v56, v76
	v_add_co_ci_u32_e64 v60, null, v57, v77, vcc_lo
	flat_load_dword v59, v[59:60]
	s_waitcnt vmcnt(0) lgkmcnt(0)
	v_mul_f32_e32 v61, s3, v59
	v_add_co_u32 v59, vcc_lo, v54, v76
	v_add_co_ci_u32_e64 v60, null, v55, v77, vcc_lo
	v_add_co_u32 v56, vcc_lo, v56, v78
	v_min_f32_e32 v58, v61, v58
	v_add_co_ci_u32_e64 v57, null, v57, v79, vcc_lo
	flat_store_dword v[59:60], v58
	flat_load_dword v56, v[56:57]
	s_waitcnt vmcnt(0) lgkmcnt(0)
	v_mul_f32_e32 v59, s3, v56
.LBB5_111:
	v_add_f32_e32 v51, v3, v51
	v_add_f32_e32 v50, v2, v50
	;; [unrolled: 1-line block ×6, first 2 shown]
	v_min3_f32 v50, v50, v51, v111
	v_add_f32_e32 v58, v36, v48
	v_min_f32_e32 v51, v52, v53
	v_add_nc_u32_e32 v52, 32, v139
	v_min3_f32 v56, v57, v56, v112
	v_add_f32_e32 v57, v37, v49
	v_add_co_u32 v54, vcc_lo, v54, v78
	v_min3_f32 v59, v59, v51, v50
	v_mad_i64_i32 v[50:51], null, v52, s2, 0
	v_mad_i64_i32 v[52:53], null, v52, s1, 0
	v_add_co_ci_u32_e64 v55, null, v55, v79, vcc_lo
	v_min3_f32 v56, v58, v57, v56
	s_mov_b32 s6, -1
	v_lshlrev_b64 v[50:51], 2, v[50:51]
	flat_store_dword v[54:55], v59
	v_lshlrev_b64 v[52:53], 2, v[52:53]
	v_max_f32_e32 v54, v56, v56
	v_add_co_u32 v50, vcc_lo, s4, v50
	v_add_co_ci_u32_e64 v51, null, s5, v51, vcc_lo
	v_add_co_u32 v52, vcc_lo, s12, v52
	v_add_co_ci_u32_e64 v53, null, s13, v53, vcc_lo
	s_mov_b32 vcc_lo, s0
	s_cbranch_vccz .LBB5_113
; %bb.112:
	v_add_co_u32 v55, vcc_lo, v50, v66
	v_min_f32_e32 v57, 0, v54
	v_add_co_ci_u32_e64 v56, null, v51, v67, vcc_lo
	s_mov_b32 s6, 0
	flat_store_dword v[55:56], v57
.LBB5_113:
	v_mov_b32_e32 v55, 0
	s_andn2_b32 vcc_lo, exec_lo, s6
	s_cbranch_vccnz .LBB5_115
; %bb.114:
	v_add_co_u32 v55, vcc_lo, v52, v66
	v_add_co_ci_u32_e64 v56, null, v53, v67, vcc_lo
	flat_load_dword v55, v[55:56]
	s_waitcnt vmcnt(0) lgkmcnt(0)
	v_mul_f32_e32 v57, s3, v55
	v_add_co_u32 v55, vcc_lo, v50, v66
	v_add_co_ci_u32_e64 v56, null, v51, v67, vcc_lo
	v_min_f32_e32 v54, v57, v54
	v_add_co_u32 v57, vcc_lo, v52, v0
	v_add_co_ci_u32_e64 v58, null, v53, v1, vcc_lo
	flat_store_dword v[55:56], v54
	flat_load_dword v54, v[57:58]
	s_waitcnt vmcnt(0) lgkmcnt(0)
	v_mul_f32_e32 v55, s3, v54
.LBB5_115:
	v_add_f32_e32 v54, v31, v47
	v_add_f32_e32 v56, v30, v46
	v_add_f32_e32 v57, v33, v49
	v_add_f32_e32 v58, v32, v48
	v_add_f32_e32 v59, v27, v47
	v_add_f32_e32 v60, v26, v46
	v_min3_f32 v54, v56, v54, v109
	s_mov_b32 s6, -1
	v_min_f32_e32 v56, v58, v57
	v_add_f32_e32 v58, v29, v49
	v_min3_f32 v57, v60, v59, v110
	v_add_f32_e32 v59, v28, v48
	v_min3_f32 v56, v55, v56, v54
	v_add_co_u32 v54, vcc_lo, v50, v0
	v_add_co_ci_u32_e64 v55, null, v51, v1, vcc_lo
	v_min3_f32 v57, v59, v58, v57
	s_mov_b32 vcc_lo, s0
	flat_store_dword v[54:55], v56
	v_max_f32_e32 v54, v57, v57
	s_cbranch_vccz .LBB5_117
; %bb.116:
	v_add_co_u32 v55, vcc_lo, v50, v70
	v_min_f32_e32 v57, 0, v54
	v_add_co_ci_u32_e64 v56, null, v51, v71, vcc_lo
	s_mov_b32 s6, 0
	flat_store_dword v[55:56], v57
.LBB5_117:
	v_mov_b32_e32 v55, 0
	s_andn2_b32 vcc_lo, exec_lo, s6
	s_cbranch_vccnz .LBB5_119
; %bb.118:
	v_add_co_u32 v55, vcc_lo, v52, v70
	v_add_co_ci_u32_e64 v56, null, v53, v71, vcc_lo
	flat_load_dword v55, v[55:56]
	s_waitcnt vmcnt(0) lgkmcnt(0)
	v_mul_f32_e32 v57, s3, v55
	v_add_co_u32 v55, vcc_lo, v50, v70
	v_add_co_ci_u32_e64 v56, null, v51, v71, vcc_lo
	v_min_f32_e32 v54, v57, v54
	v_add_co_u32 v57, vcc_lo, v52, v68
	v_add_co_ci_u32_e64 v58, null, v53, v69, vcc_lo
	flat_store_dword v[55:56], v54
	flat_load_dword v54, v[57:58]
	s_waitcnt vmcnt(0) lgkmcnt(0)
	v_mul_f32_e32 v55, s3, v54
.LBB5_119:
	v_add_f32_e32 v54, v23, v47
	v_add_f32_e32 v56, v22, v46
	v_add_f32_e32 v57, v25, v49
	v_add_f32_e32 v58, v24, v48
	v_add_f32_e32 v59, v19, v47
	v_add_f32_e32 v60, v18, v46
	v_min3_f32 v54, v56, v54, v107
	s_mov_b32 s6, -1
	v_min_f32_e32 v56, v58, v57
	v_add_f32_e32 v58, v21, v49
	v_min3_f32 v57, v60, v59, v108
	v_add_f32_e32 v59, v20, v48
	v_min3_f32 v56, v55, v56, v54
	v_add_co_u32 v54, vcc_lo, v50, v68
	v_add_co_ci_u32_e64 v55, null, v51, v69, vcc_lo
	v_min3_f32 v57, v59, v58, v57
	s_mov_b32 vcc_lo, s0
	flat_store_dword v[54:55], v56
	v_max_f32_e32 v54, v57, v57
	;; [unrolled: 46-line block ×3, first 2 shown]
	s_cbranch_vccz .LBB5_125
; %bb.124:
	v_add_co_u32 v55, vcc_lo, v50, v76
	v_min_f32_e32 v57, 0, v54
	v_add_co_ci_u32_e64 v56, null, v51, v77, vcc_lo
	s_mov_b32 s6, 0
	flat_store_dword v[55:56], v57
.LBB5_125:
	v_mov_b32_e32 v55, 0
	s_andn2_b32 vcc_lo, exec_lo, s6
	s_cbranch_vccnz .LBB5_127
; %bb.126:
	v_add_co_u32 v55, vcc_lo, v52, v76
	v_add_co_ci_u32_e64 v56, null, v53, v77, vcc_lo
	flat_load_dword v55, v[55:56]
	s_waitcnt vmcnt(0) lgkmcnt(0)
	v_mul_f32_e32 v57, s3, v55
	v_add_co_u32 v55, vcc_lo, v50, v76
	v_add_co_ci_u32_e64 v56, null, v51, v77, vcc_lo
	v_add_co_u32 v52, vcc_lo, v52, v78
	v_min_f32_e32 v54, v57, v54
	v_add_co_ci_u32_e64 v53, null, v53, v79, vcc_lo
	flat_store_dword v[55:56], v54
	flat_load_dword v52, v[52:53]
	s_waitcnt vmcnt(0) lgkmcnt(0)
	v_mul_f32_e32 v55, s3, v52
.LBB5_127:
	v_add_f32_e32 v47, v3, v47
	v_add_f32_e32 v46, v2, v46
	;; [unrolled: 1-line block ×6, first 2 shown]
	v_min3_f32 v46, v46, v47, v103
	v_add_f32_e32 v54, v36, v44
	v_min_f32_e32 v47, v48, v49
	v_add_nc_u32_e32 v48, 40, v139
	v_min3_f32 v52, v53, v52, v104
	v_add_f32_e32 v53, v37, v45
	v_add_co_u32 v50, vcc_lo, v50, v78
	v_min3_f32 v55, v55, v47, v46
	v_mad_i64_i32 v[46:47], null, v48, s2, 0
	v_mad_i64_i32 v[48:49], null, v48, s1, 0
	v_add_co_ci_u32_e64 v51, null, v51, v79, vcc_lo
	v_min3_f32 v52, v54, v53, v52
	s_mov_b32 s6, -1
	v_lshlrev_b64 v[46:47], 2, v[46:47]
	flat_store_dword v[50:51], v55
	v_lshlrev_b64 v[48:49], 2, v[48:49]
	v_max_f32_e32 v50, v52, v52
	v_add_co_u32 v46, vcc_lo, s4, v46
	v_add_co_ci_u32_e64 v47, null, s5, v47, vcc_lo
	v_add_co_u32 v48, vcc_lo, s12, v48
	v_add_co_ci_u32_e64 v49, null, s13, v49, vcc_lo
	s_mov_b32 vcc_lo, s0
	s_cbranch_vccz .LBB5_129
; %bb.128:
	v_add_co_u32 v51, vcc_lo, v46, v66
	v_min_f32_e32 v53, 0, v50
	v_add_co_ci_u32_e64 v52, null, v47, v67, vcc_lo
	s_mov_b32 s6, 0
	flat_store_dword v[51:52], v53
.LBB5_129:
	v_mov_b32_e32 v51, 0
	s_andn2_b32 vcc_lo, exec_lo, s6
	s_cbranch_vccnz .LBB5_131
; %bb.130:
	v_add_co_u32 v51, vcc_lo, v48, v66
	v_add_co_ci_u32_e64 v52, null, v49, v67, vcc_lo
	flat_load_dword v51, v[51:52]
	s_waitcnt vmcnt(0) lgkmcnt(0)
	v_mul_f32_e32 v53, s3, v51
	v_add_co_u32 v51, vcc_lo, v46, v66
	v_add_co_ci_u32_e64 v52, null, v47, v67, vcc_lo
	v_min_f32_e32 v50, v53, v50
	v_add_co_u32 v53, vcc_lo, v48, v0
	v_add_co_ci_u32_e64 v54, null, v49, v1, vcc_lo
	flat_store_dword v[51:52], v50
	flat_load_dword v50, v[53:54]
	s_waitcnt vmcnt(0) lgkmcnt(0)
	v_mul_f32_e32 v51, s3, v50
.LBB5_131:
	v_add_f32_e32 v50, v31, v43
	v_add_f32_e32 v52, v30, v42
	v_add_f32_e32 v53, v33, v45
	v_add_f32_e32 v54, v32, v44
	v_add_f32_e32 v55, v27, v43
	v_add_f32_e32 v56, v26, v42
	v_min3_f32 v50, v52, v50, v101
	s_mov_b32 s6, -1
	v_min_f32_e32 v52, v54, v53
	v_add_f32_e32 v54, v29, v45
	v_min3_f32 v53, v56, v55, v102
	v_add_f32_e32 v55, v28, v44
	v_min3_f32 v52, v51, v52, v50
	v_add_co_u32 v50, vcc_lo, v46, v0
	v_add_co_ci_u32_e64 v51, null, v47, v1, vcc_lo
	v_min3_f32 v53, v55, v54, v53
	s_mov_b32 vcc_lo, s0
	flat_store_dword v[50:51], v52
	v_max_f32_e32 v50, v53, v53
	s_cbranch_vccz .LBB5_133
; %bb.132:
	v_add_co_u32 v51, vcc_lo, v46, v70
	v_min_f32_e32 v53, 0, v50
	v_add_co_ci_u32_e64 v52, null, v47, v71, vcc_lo
	s_mov_b32 s6, 0
	flat_store_dword v[51:52], v53
.LBB5_133:
	v_mov_b32_e32 v51, 0
	s_andn2_b32 vcc_lo, exec_lo, s6
	s_cbranch_vccnz .LBB5_135
; %bb.134:
	v_add_co_u32 v51, vcc_lo, v48, v70
	v_add_co_ci_u32_e64 v52, null, v49, v71, vcc_lo
	flat_load_dword v51, v[51:52]
	s_waitcnt vmcnt(0) lgkmcnt(0)
	v_mul_f32_e32 v53, s3, v51
	v_add_co_u32 v51, vcc_lo, v46, v70
	v_add_co_ci_u32_e64 v52, null, v47, v71, vcc_lo
	v_min_f32_e32 v50, v53, v50
	v_add_co_u32 v53, vcc_lo, v48, v68
	v_add_co_ci_u32_e64 v54, null, v49, v69, vcc_lo
	flat_store_dword v[51:52], v50
	flat_load_dword v50, v[53:54]
	s_waitcnt vmcnt(0) lgkmcnt(0)
	v_mul_f32_e32 v51, s3, v50
.LBB5_135:
	v_add_f32_e32 v50, v23, v43
	v_add_f32_e32 v52, v22, v42
	v_add_f32_e32 v53, v25, v45
	v_add_f32_e32 v54, v24, v44
	v_add_f32_e32 v55, v19, v43
	v_add_f32_e32 v56, v18, v42
	v_min3_f32 v50, v52, v50, v99
	s_mov_b32 s6, -1
	v_min_f32_e32 v52, v54, v53
	v_add_f32_e32 v54, v21, v45
	v_min3_f32 v53, v56, v55, v100
	v_add_f32_e32 v55, v20, v44
	v_min3_f32 v52, v51, v52, v50
	v_add_co_u32 v50, vcc_lo, v46, v68
	v_add_co_ci_u32_e64 v51, null, v47, v69, vcc_lo
	v_min3_f32 v53, v55, v54, v53
	s_mov_b32 vcc_lo, s0
	flat_store_dword v[50:51], v52
	v_max_f32_e32 v50, v53, v53
	;; [unrolled: 46-line block ×3, first 2 shown]
	s_cbranch_vccz .LBB5_141
; %bb.140:
	v_add_co_u32 v51, vcc_lo, v46, v76
	v_min_f32_e32 v53, 0, v50
	v_add_co_ci_u32_e64 v52, null, v47, v77, vcc_lo
	s_mov_b32 s6, 0
	flat_store_dword v[51:52], v53
.LBB5_141:
	v_mov_b32_e32 v51, 0
	s_andn2_b32 vcc_lo, exec_lo, s6
	s_cbranch_vccnz .LBB5_143
; %bb.142:
	v_add_co_u32 v51, vcc_lo, v48, v76
	v_add_co_ci_u32_e64 v52, null, v49, v77, vcc_lo
	flat_load_dword v51, v[51:52]
	s_waitcnt vmcnt(0) lgkmcnt(0)
	v_mul_f32_e32 v53, s3, v51
	v_add_co_u32 v51, vcc_lo, v46, v76
	v_add_co_ci_u32_e64 v52, null, v47, v77, vcc_lo
	v_add_co_u32 v48, vcc_lo, v48, v78
	v_min_f32_e32 v50, v53, v50
	v_add_co_ci_u32_e64 v49, null, v49, v79, vcc_lo
	flat_store_dword v[51:52], v50
	flat_load_dword v48, v[48:49]
	s_waitcnt vmcnt(0) lgkmcnt(0)
	v_mul_f32_e32 v51, s3, v48
.LBB5_143:
	v_add_f32_e32 v43, v3, v43
	v_add_f32_e32 v42, v2, v42
	;; [unrolled: 1-line block ×4, first 2 shown]
	s_waitcnt lgkmcnt(24)
	v_add_f32_e32 v48, v35, v39
	v_add_f32_e32 v49, v34, v38
	v_min3_f32 v42, v42, v43, v95
	v_add_f32_e32 v50, v36, v40
	v_min_f32_e32 v43, v44, v45
	v_add_nc_u32_e32 v44, 48, v139
	v_min3_f32 v48, v49, v48, v96
	v_add_f32_e32 v49, v37, v41
	v_add_co_u32 v46, vcc_lo, v46, v78
	v_min3_f32 v51, v51, v43, v42
	v_mad_i64_i32 v[42:43], null, v44, s2, 0
	v_mad_i64_i32 v[44:45], null, v44, s1, 0
	v_add_co_ci_u32_e64 v47, null, v47, v79, vcc_lo
	v_min3_f32 v48, v50, v49, v48
	s_mov_b32 s6, -1
	v_lshlrev_b64 v[42:43], 2, v[42:43]
	flat_store_dword v[46:47], v51
	v_lshlrev_b64 v[44:45], 2, v[44:45]
	v_max_f32_e32 v46, v48, v48
	v_add_co_u32 v42, vcc_lo, s4, v42
	v_add_co_ci_u32_e64 v43, null, s5, v43, vcc_lo
	v_add_co_u32 v44, vcc_lo, s12, v44
	v_add_co_ci_u32_e64 v45, null, s13, v45, vcc_lo
	s_mov_b32 vcc_lo, s0
	s_cbranch_vccz .LBB5_145
; %bb.144:
	v_add_co_u32 v47, vcc_lo, v42, v66
	v_min_f32_e32 v49, 0, v46
	v_add_co_ci_u32_e64 v48, null, v43, v67, vcc_lo
	s_mov_b32 s6, 0
	flat_store_dword v[47:48], v49
.LBB5_145:
	v_mov_b32_e32 v47, 0
	s_andn2_b32 vcc_lo, exec_lo, s6
	s_cbranch_vccnz .LBB5_147
; %bb.146:
	v_add_co_u32 v47, vcc_lo, v44, v66
	v_add_co_ci_u32_e64 v48, null, v45, v67, vcc_lo
	flat_load_dword v47, v[47:48]
	s_waitcnt vmcnt(0) lgkmcnt(0)
	v_mul_f32_e32 v49, s3, v47
	v_add_co_u32 v47, vcc_lo, v42, v66
	v_add_co_ci_u32_e64 v48, null, v43, v67, vcc_lo
	v_min_f32_e32 v46, v49, v46
	v_add_co_u32 v49, vcc_lo, v44, v0
	v_add_co_ci_u32_e64 v50, null, v45, v1, vcc_lo
	flat_store_dword v[47:48], v46
	flat_load_dword v46, v[49:50]
	s_waitcnt vmcnt(0) lgkmcnt(0)
	v_mul_f32_e32 v47, s3, v46
.LBB5_147:
	v_add_f32_e32 v46, v31, v39
	v_add_f32_e32 v48, v30, v38
	v_add_f32_e32 v49, v33, v41
	v_add_f32_e32 v50, v32, v40
	v_add_f32_e32 v51, v27, v39
	v_add_f32_e32 v52, v26, v38
	v_min3_f32 v46, v48, v46, v93
	s_mov_b32 s6, -1
	v_min_f32_e32 v48, v50, v49
	v_add_f32_e32 v50, v29, v41
	v_min3_f32 v49, v52, v51, v94
	v_add_f32_e32 v51, v28, v40
	v_min3_f32 v48, v47, v48, v46
	v_add_co_u32 v46, vcc_lo, v42, v0
	v_add_co_ci_u32_e64 v47, null, v43, v1, vcc_lo
	v_min3_f32 v49, v51, v50, v49
	s_mov_b32 vcc_lo, s0
	flat_store_dword v[46:47], v48
	v_max_f32_e32 v46, v49, v49
	s_cbranch_vccz .LBB5_149
; %bb.148:
	v_add_co_u32 v47, vcc_lo, v42, v70
	v_min_f32_e32 v49, 0, v46
	v_add_co_ci_u32_e64 v48, null, v43, v71, vcc_lo
	s_mov_b32 s6, 0
	flat_store_dword v[47:48], v49
.LBB5_149:
	v_mov_b32_e32 v47, 0
	s_andn2_b32 vcc_lo, exec_lo, s6
	s_cbranch_vccnz .LBB5_151
; %bb.150:
	v_add_co_u32 v47, vcc_lo, v44, v70
	v_add_co_ci_u32_e64 v48, null, v45, v71, vcc_lo
	flat_load_dword v47, v[47:48]
	s_waitcnt vmcnt(0) lgkmcnt(0)
	v_mul_f32_e32 v49, s3, v47
	v_add_co_u32 v47, vcc_lo, v42, v70
	v_add_co_ci_u32_e64 v48, null, v43, v71, vcc_lo
	v_min_f32_e32 v46, v49, v46
	v_add_co_u32 v49, vcc_lo, v44, v68
	v_add_co_ci_u32_e64 v50, null, v45, v69, vcc_lo
	flat_store_dword v[47:48], v46
	flat_load_dword v46, v[49:50]
	s_waitcnt vmcnt(0) lgkmcnt(0)
	v_mul_f32_e32 v47, s3, v46
.LBB5_151:
	v_add_f32_e32 v46, v23, v39
	v_add_f32_e32 v48, v22, v38
	v_add_f32_e32 v49, v25, v41
	v_add_f32_e32 v50, v24, v40
	v_add_f32_e32 v51, v19, v39
	v_add_f32_e32 v52, v18, v38
	v_min3_f32 v46, v48, v46, v91
	s_mov_b32 s6, -1
	v_min_f32_e32 v48, v50, v49
	v_add_f32_e32 v50, v21, v41
	v_min3_f32 v49, v52, v51, v92
	v_add_f32_e32 v51, v20, v40
	v_min3_f32 v48, v47, v48, v46
	v_add_co_u32 v46, vcc_lo, v42, v68
	v_add_co_ci_u32_e64 v47, null, v43, v69, vcc_lo
	v_min3_f32 v49, v51, v50, v49
	s_mov_b32 vcc_lo, s0
	flat_store_dword v[46:47], v48
	v_max_f32_e32 v46, v49, v49
	;; [unrolled: 46-line block ×3, first 2 shown]
	s_cbranch_vccz .LBB5_157
; %bb.156:
	v_add_co_u32 v47, vcc_lo, v42, v76
	v_min_f32_e32 v49, 0, v46
	v_add_co_ci_u32_e64 v48, null, v43, v77, vcc_lo
	s_mov_b32 s6, 0
	flat_store_dword v[47:48], v49
.LBB5_157:
	v_mov_b32_e32 v47, 0
	s_andn2_b32 vcc_lo, exec_lo, s6
	s_cbranch_vccnz .LBB5_159
; %bb.158:
	v_add_co_u32 v47, vcc_lo, v44, v76
	v_add_co_ci_u32_e64 v48, null, v45, v77, vcc_lo
	flat_load_dword v47, v[47:48]
	s_waitcnt vmcnt(0) lgkmcnt(0)
	v_mul_f32_e32 v49, s3, v47
	v_add_co_u32 v47, vcc_lo, v42, v76
	v_add_co_ci_u32_e64 v48, null, v43, v77, vcc_lo
	v_add_co_u32 v44, vcc_lo, v44, v78
	v_min_f32_e32 v46, v49, v46
	v_add_co_ci_u32_e64 v45, null, v45, v79, vcc_lo
	flat_store_dword v[47:48], v46
	flat_load_dword v44, v[44:45]
	s_waitcnt vmcnt(0) lgkmcnt(0)
	v_mul_f32_e32 v47, s3, v44
.LBB5_159:
	v_add_f32_e32 v39, v3, v39
	v_add_f32_e32 v38, v2, v38
	;; [unrolled: 1-line block ×4, first 2 shown]
	s_waitcnt lgkmcnt(27)
	v_add_f32_e32 v35, v35, v7
	v_add_f32_e32 v34, v34, v6
	v_min3_f32 v38, v38, v39, v87
	v_add_f32_e32 v44, v37, v9
	v_min_f32_e32 v39, v40, v41
	v_add_nc_u32_e32 v41, 56, v139
	v_min3_f32 v40, v34, v35, v88
	v_add_f32_e32 v45, v36, v8
	v_min3_f32 v46, v47, v39, v38
	v_mad_i64_i32 v[34:35], null, v41, s2, 0
	v_mad_i64_i32 v[36:37], null, v41, s1, 0
	v_add_co_u32 v38, vcc_lo, v42, v78
	v_add_co_ci_u32_e64 v39, null, v43, v79, vcc_lo
	v_lshlrev_b64 v[34:35], 2, v[34:35]
	v_min3_f32 v40, v45, v44, v40
	v_lshlrev_b64 v[36:37], 2, v[36:37]
	flat_store_dword v[38:39], v46
	s_mov_b32 s1, -1
	v_add_co_u32 v34, vcc_lo, s4, v34
	v_add_co_ci_u32_e64 v35, null, s5, v35, vcc_lo
	v_add_co_u32 v36, vcc_lo, s12, v36
	v_add_co_ci_u32_e64 v37, null, s13, v37, vcc_lo
	v_max_f32_e32 v38, v40, v40
	s_mov_b32 vcc_lo, s0
	s_cbranch_vccz .LBB5_161
; %bb.160:
	v_add_co_u32 v39, vcc_lo, v34, v66
	v_min_f32_e32 v41, 0, v38
	v_add_co_ci_u32_e64 v40, null, v35, v67, vcc_lo
	s_mov_b32 s1, 0
	flat_store_dword v[39:40], v41
.LBB5_161:
	v_mov_b32_e32 v39, 0
	s_andn2_b32 vcc_lo, exec_lo, s1
	s_cbranch_vccnz .LBB5_163
; %bb.162:
	v_add_co_u32 v39, vcc_lo, v36, v66
	v_add_co_ci_u32_e64 v40, null, v37, v67, vcc_lo
	flat_load_dword v39, v[39:40]
	s_waitcnt vmcnt(0) lgkmcnt(0)
	v_mul_f32_e32 v41, s3, v39
	v_add_co_u32 v39, vcc_lo, v34, v66
	v_add_co_ci_u32_e64 v40, null, v35, v67, vcc_lo
	v_min_f32_e32 v38, v41, v38
	v_add_co_u32 v41, vcc_lo, v36, v0
	v_add_co_ci_u32_e64 v42, null, v37, v1, vcc_lo
	flat_store_dword v[39:40], v38
	flat_load_dword v38, v[41:42]
	s_waitcnt vmcnt(0) lgkmcnt(0)
	v_mul_f32_e32 v39, s3, v38
.LBB5_163:
	v_add_f32_e32 v31, v31, v7
	v_add_f32_e32 v30, v30, v6
	;; [unrolled: 1-line block ×6, first 2 shown]
	v_min3_f32 v30, v30, v31, v86
	v_add_f32_e32 v28, v28, v8
	v_min_f32_e32 v31, v32, v33
	v_add_co_u32 v0, vcc_lo, v34, v0
	v_min3_f32 v26, v26, v27, v85
	v_add_f32_e32 v27, v29, v9
	v_min3_f32 v29, v39, v31, v30
	v_add_co_ci_u32_e64 v1, null, v35, v1, vcc_lo
	s_mov_b32 s1, -1
	v_min3_f32 v26, v28, v27, v26
	s_mov_b32 vcc_lo, s0
	flat_store_dword v[0:1], v29
	v_max_f32_e32 v0, v26, v26
	s_cbranch_vccz .LBB5_165
; %bb.164:
	v_add_co_u32 v26, vcc_lo, v34, v70
	v_min_f32_e32 v1, 0, v0
	v_add_co_ci_u32_e64 v27, null, v35, v71, vcc_lo
	s_mov_b32 s1, 0
	flat_store_dword v[26:27], v1
.LBB5_165:
	v_mov_b32_e32 v1, 0
	s_andn2_b32 vcc_lo, exec_lo, s1
	s_cbranch_vccnz .LBB5_167
; %bb.166:
	v_add_co_u32 v26, vcc_lo, v36, v70
	v_add_co_ci_u32_e64 v27, null, v37, v71, vcc_lo
	flat_load_dword v1, v[26:27]
	v_add_co_u32 v26, vcc_lo, v34, v70
	v_add_co_ci_u32_e64 v27, null, v35, v71, vcc_lo
	s_waitcnt vmcnt(0) lgkmcnt(0)
	v_mul_f32_e32 v1, s3, v1
	v_min_f32_e32 v28, v1, v0
	v_add_co_u32 v0, vcc_lo, v36, v68
	v_add_co_ci_u32_e64 v1, null, v37, v69, vcc_lo
	flat_store_dword v[26:27], v28
	flat_load_dword v0, v[0:1]
	s_waitcnt vmcnt(0) lgkmcnt(0)
	v_mul_f32_e32 v1, s3, v0
.LBB5_167:
	v_add_f32_e32 v0, v23, v7
	v_add_f32_e32 v22, v22, v6
	;; [unrolled: 1-line block ×6, first 2 shown]
	v_min3_f32 v0, v22, v0, v82
	v_add_f32_e32 v20, v20, v8
	v_min_f32_e32 v22, v24, v23
	s_mov_b32 s1, -1
	v_min3_f32 v18, v18, v19, v83
	v_add_f32_e32 v19, v21, v9
	v_min3_f32 v21, v1, v22, v0
	v_add_co_u32 v0, vcc_lo, v34, v68
	v_add_co_ci_u32_e64 v1, null, v35, v69, vcc_lo
	v_min3_f32 v18, v20, v19, v18
	s_mov_b32 vcc_lo, s0
	flat_store_dword v[0:1], v21
	v_max_f32_e32 v0, v18, v18
	s_cbranch_vccz .LBB5_169
; %bb.168:
	v_add_co_u32 v18, vcc_lo, v34, v74
	v_min_f32_e32 v1, 0, v0
	v_add_co_ci_u32_e64 v19, null, v35, v75, vcc_lo
	s_mov_b32 s1, 0
	flat_store_dword v[18:19], v1
.LBB5_169:
	v_mov_b32_e32 v1, 0
	s_andn2_b32 vcc_lo, exec_lo, s1
	s_cbranch_vccnz .LBB5_171
; %bb.170:
	v_add_co_u32 v18, vcc_lo, v36, v74
	v_add_co_ci_u32_e64 v19, null, v37, v75, vcc_lo
	flat_load_dword v1, v[18:19]
	v_add_co_u32 v18, vcc_lo, v34, v74
	v_add_co_ci_u32_e64 v19, null, v35, v75, vcc_lo
	s_waitcnt vmcnt(0) lgkmcnt(0)
	v_mul_f32_e32 v1, s3, v1
	v_min_f32_e32 v20, v1, v0
	v_add_co_u32 v0, vcc_lo, v36, v72
	v_add_co_ci_u32_e64 v1, null, v37, v73, vcc_lo
	flat_store_dword v[18:19], v20
	flat_load_dword v0, v[0:1]
	s_waitcnt vmcnt(0) lgkmcnt(0)
	v_mul_f32_e32 v1, s3, v0
.LBB5_171:
	v_add_f32_e32 v0, v15, v7
	v_add_f32_e32 v14, v14, v6
	v_add_f32_e32 v15, v17, v9
	v_add_f32_e32 v16, v16, v8
	v_add_f32_e32 v11, v11, v7
	v_add_f32_e32 v10, v10, v6
	v_min3_f32 v0, v14, v0, v80
	v_add_f32_e32 v12, v12, v8
	v_min_f32_e32 v14, v16, v15
	s_mov_b32 s1, -1
	v_min3_f32 v10, v10, v11, v81
	v_add_f32_e32 v11, v13, v9
	v_min3_f32 v13, v1, v14, v0
	v_add_co_u32 v0, vcc_lo, v34, v72
	v_add_co_ci_u32_e64 v1, null, v35, v73, vcc_lo
	v_min3_f32 v10, v12, v11, v10
	s_mov_b32 vcc_lo, s0
	flat_store_dword v[0:1], v13
	v_max_f32_e32 v0, v10, v10
	s_cbranch_vccz .LBB5_173
; %bb.172:
	v_add_co_u32 v10, vcc_lo, v34, v76
	v_min_f32_e32 v1, 0, v0
	v_add_co_ci_u32_e64 v11, null, v35, v77, vcc_lo
	s_mov_b32 s1, 0
	flat_store_dword v[10:11], v1
.LBB5_173:
	v_mov_b32_e32 v1, 0
	s_andn2_b32 vcc_lo, exec_lo, s1
	s_cbranch_vccnz .LBB5_175
; %bb.174:
	v_add_co_u32 v10, vcc_lo, v36, v76
	v_add_co_ci_u32_e64 v11, null, v37, v77, vcc_lo
	flat_load_dword v1, v[10:11]
	v_add_co_u32 v10, vcc_lo, v34, v76
	v_add_co_ci_u32_e64 v11, null, v35, v77, vcc_lo
	s_waitcnt vmcnt(0) lgkmcnt(0)
	v_mul_f32_e32 v1, s3, v1
	v_min_f32_e32 v12, v1, v0
	v_add_co_u32 v0, vcc_lo, v36, v78
	v_add_co_ci_u32_e64 v1, null, v37, v79, vcc_lo
	flat_store_dword v[10:11], v12
	flat_load_dword v0, v[0:1]
	s_waitcnt vmcnt(0) lgkmcnt(0)
	v_mul_f32_e32 v1, s3, v0
.LBB5_175:
	v_add_f32_e32 v0, v5, v9
	v_add_f32_e32 v4, v4, v8
	;; [unrolled: 1-line block ×4, first 2 shown]
	v_min_f32_e32 v0, v4, v0
	v_min3_f32 v2, v2, v3, v84
	v_min3_f32 v2, v1, v0, v2
	v_add_co_u32 v0, vcc_lo, v34, v78
	v_add_co_ci_u32_e64 v1, null, v35, v79, vcc_lo
	flat_store_dword v[0:1], v2
	s_endpgm
	.section	.rodata,"a",@progbits
	.p2align	6, 0x0
	.amdhsa_kernel _ZN12_GLOBAL__N_120geam_min_plus_kernelIf15HIP_vector_typeIfLj2EEfLi32ELi8ELi256ELi64ELi4ELi64ELi4ELi4ELi64ELc78ELc78ELb0ELb0ELb1EfKPKfKPfEEviiiT16_PT17_ilSA_ilS8_SA_ilPT18_ili26rocblas_geam_ex_operation_
		.amdhsa_group_segment_fixed_size 10240
		.amdhsa_private_segment_fixed_size 0
		.amdhsa_kernarg_size 128
		.amdhsa_user_sgpr_count 6
		.amdhsa_user_sgpr_private_segment_buffer 1
		.amdhsa_user_sgpr_dispatch_ptr 0
		.amdhsa_user_sgpr_queue_ptr 0
		.amdhsa_user_sgpr_kernarg_segment_ptr 1
		.amdhsa_user_sgpr_dispatch_id 0
		.amdhsa_user_sgpr_flat_scratch_init 0
		.amdhsa_user_sgpr_private_segment_size 0
		.amdhsa_wavefront_size32 1
		.amdhsa_uses_dynamic_stack 0
		.amdhsa_system_sgpr_private_segment_wavefront_offset 0
		.amdhsa_system_sgpr_workgroup_id_x 1
		.amdhsa_system_sgpr_workgroup_id_y 0
		.amdhsa_system_sgpr_workgroup_id_z 1
		.amdhsa_system_sgpr_workgroup_info 0
		.amdhsa_system_vgpr_workitem_id 1
		.amdhsa_next_free_vgpr 166
		.amdhsa_next_free_sgpr 26
		.amdhsa_reserve_vcc 1
		.amdhsa_reserve_flat_scratch 1
		.amdhsa_float_round_mode_32 0
		.amdhsa_float_round_mode_16_64 0
		.amdhsa_float_denorm_mode_32 3
		.amdhsa_float_denorm_mode_16_64 3
		.amdhsa_dx10_clamp 1
		.amdhsa_ieee_mode 1
		.amdhsa_fp16_overflow 0
		.amdhsa_workgroup_processor_mode 1
		.amdhsa_memory_ordered 1
		.amdhsa_forward_progress 1
		.amdhsa_shared_vgpr_count 0
		.amdhsa_exception_fp_ieee_invalid_op 0
		.amdhsa_exception_fp_denorm_src 0
		.amdhsa_exception_fp_ieee_div_zero 0
		.amdhsa_exception_fp_ieee_overflow 0
		.amdhsa_exception_fp_ieee_underflow 0
		.amdhsa_exception_fp_ieee_inexact 0
		.amdhsa_exception_int_div_zero 0
	.end_amdhsa_kernel
	.section	.text._ZN12_GLOBAL__N_120geam_min_plus_kernelIf15HIP_vector_typeIfLj2EEfLi32ELi8ELi256ELi64ELi4ELi64ELi4ELi4ELi64ELc78ELc78ELb0ELb0ELb1EfKPKfKPfEEviiiT16_PT17_ilSA_ilS8_SA_ilPT18_ili26rocblas_geam_ex_operation_,"axG",@progbits,_ZN12_GLOBAL__N_120geam_min_plus_kernelIf15HIP_vector_typeIfLj2EEfLi32ELi8ELi256ELi64ELi4ELi64ELi4ELi4ELi64ELc78ELc78ELb0ELb0ELb1EfKPKfKPfEEviiiT16_PT17_ilSA_ilS8_SA_ilPT18_ili26rocblas_geam_ex_operation_,comdat
.Lfunc_end5:
	.size	_ZN12_GLOBAL__N_120geam_min_plus_kernelIf15HIP_vector_typeIfLj2EEfLi32ELi8ELi256ELi64ELi4ELi64ELi4ELi4ELi64ELc78ELc78ELb0ELb0ELb1EfKPKfKPfEEviiiT16_PT17_ilSA_ilS8_SA_ilPT18_ili26rocblas_geam_ex_operation_, .Lfunc_end5-_ZN12_GLOBAL__N_120geam_min_plus_kernelIf15HIP_vector_typeIfLj2EEfLi32ELi8ELi256ELi64ELi4ELi64ELi4ELi4ELi64ELc78ELc78ELb0ELb0ELb1EfKPKfKPfEEviiiT16_PT17_ilSA_ilS8_SA_ilPT18_ili26rocblas_geam_ex_operation_
                                        ; -- End function
	.set _ZN12_GLOBAL__N_120geam_min_plus_kernelIf15HIP_vector_typeIfLj2EEfLi32ELi8ELi256ELi64ELi4ELi64ELi4ELi4ELi64ELc78ELc78ELb0ELb0ELb1EfKPKfKPfEEviiiT16_PT17_ilSA_ilS8_SA_ilPT18_ili26rocblas_geam_ex_operation_.num_vgpr, 166
	.set _ZN12_GLOBAL__N_120geam_min_plus_kernelIf15HIP_vector_typeIfLj2EEfLi32ELi8ELi256ELi64ELi4ELi64ELi4ELi4ELi64ELc78ELc78ELb0ELb0ELb1EfKPKfKPfEEviiiT16_PT17_ilSA_ilS8_SA_ilPT18_ili26rocblas_geam_ex_operation_.num_agpr, 0
	.set _ZN12_GLOBAL__N_120geam_min_plus_kernelIf15HIP_vector_typeIfLj2EEfLi32ELi8ELi256ELi64ELi4ELi64ELi4ELi4ELi64ELc78ELc78ELb0ELb0ELb1EfKPKfKPfEEviiiT16_PT17_ilSA_ilS8_SA_ilPT18_ili26rocblas_geam_ex_operation_.numbered_sgpr, 26
	.set _ZN12_GLOBAL__N_120geam_min_plus_kernelIf15HIP_vector_typeIfLj2EEfLi32ELi8ELi256ELi64ELi4ELi64ELi4ELi4ELi64ELc78ELc78ELb0ELb0ELb1EfKPKfKPfEEviiiT16_PT17_ilSA_ilS8_SA_ilPT18_ili26rocblas_geam_ex_operation_.num_named_barrier, 0
	.set _ZN12_GLOBAL__N_120geam_min_plus_kernelIf15HIP_vector_typeIfLj2EEfLi32ELi8ELi256ELi64ELi4ELi64ELi4ELi4ELi64ELc78ELc78ELb0ELb0ELb1EfKPKfKPfEEviiiT16_PT17_ilSA_ilS8_SA_ilPT18_ili26rocblas_geam_ex_operation_.private_seg_size, 0
	.set _ZN12_GLOBAL__N_120geam_min_plus_kernelIf15HIP_vector_typeIfLj2EEfLi32ELi8ELi256ELi64ELi4ELi64ELi4ELi4ELi64ELc78ELc78ELb0ELb0ELb1EfKPKfKPfEEviiiT16_PT17_ilSA_ilS8_SA_ilPT18_ili26rocblas_geam_ex_operation_.uses_vcc, 1
	.set _ZN12_GLOBAL__N_120geam_min_plus_kernelIf15HIP_vector_typeIfLj2EEfLi32ELi8ELi256ELi64ELi4ELi64ELi4ELi4ELi64ELc78ELc78ELb0ELb0ELb1EfKPKfKPfEEviiiT16_PT17_ilSA_ilS8_SA_ilPT18_ili26rocblas_geam_ex_operation_.uses_flat_scratch, 1
	.set _ZN12_GLOBAL__N_120geam_min_plus_kernelIf15HIP_vector_typeIfLj2EEfLi32ELi8ELi256ELi64ELi4ELi64ELi4ELi4ELi64ELc78ELc78ELb0ELb0ELb1EfKPKfKPfEEviiiT16_PT17_ilSA_ilS8_SA_ilPT18_ili26rocblas_geam_ex_operation_.has_dyn_sized_stack, 0
	.set _ZN12_GLOBAL__N_120geam_min_plus_kernelIf15HIP_vector_typeIfLj2EEfLi32ELi8ELi256ELi64ELi4ELi64ELi4ELi4ELi64ELc78ELc78ELb0ELb0ELb1EfKPKfKPfEEviiiT16_PT17_ilSA_ilS8_SA_ilPT18_ili26rocblas_geam_ex_operation_.has_recursion, 0
	.set _ZN12_GLOBAL__N_120geam_min_plus_kernelIf15HIP_vector_typeIfLj2EEfLi32ELi8ELi256ELi64ELi4ELi64ELi4ELi4ELi64ELc78ELc78ELb0ELb0ELb1EfKPKfKPfEEviiiT16_PT17_ilSA_ilS8_SA_ilPT18_ili26rocblas_geam_ex_operation_.has_indirect_call, 0
	.section	.AMDGPU.csdata,"",@progbits
; Kernel info:
; codeLenInByte = 17568
; TotalNumSgprs: 28
; NumVgprs: 166
; ScratchSize: 0
; MemoryBound: 0
; FloatMode: 240
; IeeeMode: 1
; LDSByteSize: 10240 bytes/workgroup (compile time only)
; SGPRBlocks: 0
; VGPRBlocks: 20
; NumSGPRsForWavesPerEU: 28
; NumVGPRsForWavesPerEU: 166
; Occupancy: 5
; WaveLimiterHint : 1
; COMPUTE_PGM_RSRC2:SCRATCH_EN: 0
; COMPUTE_PGM_RSRC2:USER_SGPR: 6
; COMPUTE_PGM_RSRC2:TRAP_HANDLER: 0
; COMPUTE_PGM_RSRC2:TGID_X_EN: 1
; COMPUTE_PGM_RSRC2:TGID_Y_EN: 0
; COMPUTE_PGM_RSRC2:TGID_Z_EN: 1
; COMPUTE_PGM_RSRC2:TIDIG_COMP_CNT: 1
	.section	.text._ZN12_GLOBAL__N_120geam_min_plus_kernelIf15HIP_vector_typeIfLj2EEfLi32ELi8ELi256ELi64ELi4ELi64ELi4ELi4ELi64ELc78ELc78ELb0ELb1ELb1EPKfKS4_KPfEEviiiT16_PT17_ilSA_ilS8_SA_ilPT18_ili26rocblas_geam_ex_operation_,"axG",@progbits,_ZN12_GLOBAL__N_120geam_min_plus_kernelIf15HIP_vector_typeIfLj2EEfLi32ELi8ELi256ELi64ELi4ELi64ELi4ELi4ELi64ELc78ELc78ELb0ELb1ELb1EPKfKS4_KPfEEviiiT16_PT17_ilSA_ilS8_SA_ilPT18_ili26rocblas_geam_ex_operation_,comdat
	.globl	_ZN12_GLOBAL__N_120geam_min_plus_kernelIf15HIP_vector_typeIfLj2EEfLi32ELi8ELi256ELi64ELi4ELi64ELi4ELi4ELi64ELc78ELc78ELb0ELb1ELb1EPKfKS4_KPfEEviiiT16_PT17_ilSA_ilS8_SA_ilPT18_ili26rocblas_geam_ex_operation_ ; -- Begin function _ZN12_GLOBAL__N_120geam_min_plus_kernelIf15HIP_vector_typeIfLj2EEfLi32ELi8ELi256ELi64ELi4ELi64ELi4ELi4ELi64ELc78ELc78ELb0ELb1ELb1EPKfKS4_KPfEEviiiT16_PT17_ilSA_ilS8_SA_ilPT18_ili26rocblas_geam_ex_operation_
	.p2align	8
	.type	_ZN12_GLOBAL__N_120geam_min_plus_kernelIf15HIP_vector_typeIfLj2EEfLi32ELi8ELi256ELi64ELi4ELi64ELi4ELi4ELi64ELc78ELc78ELb0ELb1ELb1EPKfKS4_KPfEEviiiT16_PT17_ilSA_ilS8_SA_ilPT18_ili26rocblas_geam_ex_operation_,@function
_ZN12_GLOBAL__N_120geam_min_plus_kernelIf15HIP_vector_typeIfLj2EEfLi32ELi8ELi256ELi64ELi4ELi64ELi4ELi4ELi64ELc78ELc78ELb0ELb1ELb1EPKfKS4_KPfEEviiiT16_PT17_ilSA_ilS8_SA_ilPT18_ili26rocblas_geam_ex_operation_: ; @_ZN12_GLOBAL__N_120geam_min_plus_kernelIf15HIP_vector_typeIfLj2EEfLi32ELi8ELi256ELi64ELi4ELi64ELi4ELi4ELi64ELc78ELc78ELb0ELb1ELb1EPKfKS4_KPfEEviiiT16_PT17_ilSA_ilS8_SA_ilPT18_ili26rocblas_geam_ex_operation_
; %bb.0:
	s_clause 0x1
	s_load_dwordx4 s[12:15], s[4:5], 0x10
	s_load_dwordx4 s[0:3], s[4:5], 0x28
	s_mov_b32 s18, s7
	s_mov_b32 s19, 0
	s_mov_b64 s[20:21], 0
	s_lshl_b64 s[16:17], s[18:19], 2
	s_waitcnt lgkmcnt(0)
	s_add_u32 s8, s12, s16
	s_addc_u32 s9, s13, s17
	s_load_dword s24, s[8:9], 0x0
	s_clause 0x1
	s_load_dwordx4 s[8:11], s[4:5], 0x40
	s_load_dwordx2 s[12:13], s[4:5], 0x50
	s_waitcnt lgkmcnt(0)
	v_cmp_eq_f32_e64 s22, s24, 0
	v_cmp_neq_f32_e64 s7, s24, 0
	s_add_u32 s10, s10, s16
	s_addc_u32 s11, s11, s17
	s_mov_b64 s[16:17], 0
	s_and_b32 vcc_lo, exec_lo, s22
	s_cbranch_vccnz .LBB6_2
; %bb.1:
	s_lshl_b64 s[16:17], s[18:19], 3
	s_add_u32 s14, s14, s16
	s_addc_u32 s15, s15, s17
	s_lshl_b64 s[0:1], s[0:1], 2
	s_load_dwordx2 s[14:15], s[14:15], 0x0
	s_waitcnt lgkmcnt(0)
	s_add_u32 s16, s14, s0
	s_addc_u32 s17, s15, s1
.LBB6_2:
	s_load_dword s22, s[10:11], 0x0
	s_andn2_b32 vcc_lo, exec_lo, s7
	s_cbranch_vccnz .LBB6_4
; %bb.3:
	s_lshl_b64 s[0:1], s[18:19], 3
	s_add_u32 s0, s2, s0
	s_addc_u32 s1, s3, s1
	s_lshl_b64 s[2:3], s[8:9], 2
	s_load_dwordx2 s[0:1], s[0:1], 0x0
	s_waitcnt lgkmcnt(0)
	s_add_u32 s20, s0, s2
	s_addc_u32 s21, s1, s3
.LBB6_4:
	s_load_dwordx4 s[0:3], s[4:5], 0x60
	s_waitcnt lgkmcnt(0)
	v_cmp_eq_f32_e64 s7, s22, 0
	v_cmp_neq_f32_e64 s23, s22, 0
	s_and_b32 vcc_lo, exec_lo, s7
	s_cbranch_vccnz .LBB6_6
; %bb.5:
	s_lshl_b64 s[8:9], s[18:19], 3
	s_add_u32 s8, s12, s8
	s_addc_u32 s9, s13, s9
	s_lshl_b64 s[0:1], s[0:1], 2
	s_load_dwordx2 s[8:9], s[8:9], 0x0
	s_waitcnt lgkmcnt(0)
	s_add_u32 s10, s8, s0
	s_addc_u32 s11, s9, s1
	s_branch .LBB6_7
.LBB6_6:
	s_mov_b64 s[10:11], 0
.LBB6_7:
	s_clause 0x1
	s_load_dwordx4 s[12:15], s[4:5], 0x0
	s_load_dword s26, s[4:5], 0x20
	s_lshl_b64 s[0:1], s[18:19], 3
	v_lshl_add_u32 v6, v1, 5, v0
	s_add_u32 s8, s2, s0
	s_addc_u32 s9, s3, s1
	v_cmp_eq_f32_e64 s28, s24, 0
	v_lshrrev_b32_e32 v70, 6, v6
	s_waitcnt lgkmcnt(0)
	s_add_i32 s0, s12, -1
	s_ashr_i32 s1, s0, 31
	s_lshr_b32 s1, s1, 24
	s_add_i32 s0, s0, s1
	s_ashr_i32 s0, s0, 8
	s_add_i32 s1, s0, 1
	s_not_b32 s0, s0
	v_cvt_f32_u32_e32 v2, s1
	v_rcp_iflag_f32_e32 v2, v2
	v_mul_f32_e32 v2, 0x4f7ffffe, v2
	v_cvt_u32_f32_e32 v2, v2
	v_readfirstlane_b32 s2, v2
	v_and_b32_e32 v2, 63, v6
	s_mul_i32 s0, s0, s2
	s_mul_hi_u32 s0, s2, s0
	s_add_i32 s2, s2, s0
	s_mul_hi_u32 s0, s6, s2
	s_mul_i32 s2, s0, s1
	s_add_i32 s3, s0, 1
	s_sub_i32 s2, s6, s2
	s_sub_i32 s7, s2, s1
	s_cmp_ge_u32 s2, s1
	s_cselect_b32 s0, s3, s0
	s_cselect_b32 s2, s7, s2
	s_add_i32 s3, s0, 1
	s_cmp_ge_u32 s2, s1
	s_cselect_b32 s7, s3, s0
	s_add_i32 s27, s14, -1
	s_mul_i32 s0, s7, s1
	v_min_i32_e32 v3, s27, v70
	s_sub_i32 s0, s6, s0
	v_cmp_le_i32_e64 s3, s14, v70
	s_lshl_b32 s15, s0, 8
	v_mad_i64_i32 v[3:4], null, s26, v3, 0
	v_or_b32_e32 v66, s15, v2
	v_cmp_le_i32_e32 vcc_lo, s12, v66
	v_lshlrev_b64 v[4:5], 2, v[3:4]
	v_ashrrev_i32_e32 v67, 31, v66
	s_or_b32 s1, vcc_lo, s3
	v_add_co_u32 v8, s0, s16, v4
	v_cndmask_b32_e64 v3, 0, 0x7f7fffff, s1
	v_add_co_ci_u32_e64 v9, null, s17, v5, s0
	s_nor_b32 s0, s28, s1
	s_and_saveexec_b32 s1, s0
	s_cbranch_execz .LBB6_9
; %bb.8:
	v_lshlrev_b64 v[3:4], 2, v[66:67]
	v_add_co_u32 v3, s0, v8, v3
	v_add_co_ci_u32_e64 v4, null, v9, v4, s0
	flat_load_dword v3, v[3:4]
	s_waitcnt vmcnt(0) lgkmcnt(0)
	v_mul_f32_e32 v3, s24, v3
.LBB6_9:
	s_or_b32 exec_lo, exec_lo, s1
	v_or_b32_e32 v4, 64, v66
	v_cmp_le_i32_e64 s0, s12, v4
	s_or_b32 s1, s0, s3
	v_cndmask_b32_e64 v4, 0, 0x7f7fffff, s1
	s_nor_b32 s1, s28, s1
	s_and_saveexec_b32 s2, s1
	s_cbranch_execz .LBB6_11
; %bb.10:
	v_lshlrev_b64 v[4:5], 2, v[66:67]
	v_add_co_u32 v4, s1, v8, v4
	v_add_co_ci_u32_e64 v5, null, v9, v5, s1
	flat_load_dword v4, v[4:5] offset:256
	s_waitcnt vmcnt(0) lgkmcnt(0)
	v_mul_f32_e32 v4, s24, v4
.LBB6_11:
	s_or_b32 exec_lo, exec_lo, s2
	v_or_b32_e32 v5, 0x80, v66
	v_cmp_le_i32_e64 s1, s12, v5
	s_or_b32 s2, s1, s3
	v_cndmask_b32_e64 v5, 0, 0x7f7fffff, s2
	s_nor_b32 s2, s28, s2
	s_and_saveexec_b32 s6, s2
	s_cbranch_execz .LBB6_13
; %bb.12:
	v_lshlrev_b64 v[10:11], 2, v[66:67]
	v_add_co_u32 v10, s2, v8, v10
	v_add_co_ci_u32_e64 v11, null, v9, v11, s2
	flat_load_dword v5, v[10:11] offset:512
	s_waitcnt vmcnt(0) lgkmcnt(0)
	v_mul_f32_e32 v5, s24, v5
.LBB6_13:
	;; [unrolled: 16-line block ×3, first 2 shown]
	s_or_b32 exec_lo, exec_lo, s6
	v_lshrrev_b32_e32 v6, 2, v6
	s_load_dword s29, s[4:5], 0x38
	s_lshl_b32 s25, s7, 6
	v_and_b32_e32 v72, 3, v0
	v_add_nc_u32_e32 v68, s25, v6
	v_cmp_le_i32_e64 s6, s14, v72
	v_cmp_le_i32_e64 s3, s13, v68
	s_or_b32 s6, s6, s3
	v_cndmask_b32_e64 v8, 0, 0x7f7fffff, s6
	s_nor_b32 s6, s28, s6
	s_and_saveexec_b32 s7, s6
	s_cbranch_execz .LBB6_17
; %bb.16:
	s_waitcnt lgkmcnt(0)
	v_mad_i64_i32 v[8:9], null, v68, s29, 0
	v_min_u32_e32 v10, s27, v72
	v_lshlrev_b32_e32 v10, 2, v10
	v_lshlrev_b64 v[8:9], 2, v[8:9]
	v_add_co_u32 v8, s6, s20, v8
	v_add_co_ci_u32_e64 v9, null, s21, v9, s6
	v_add_co_u32 v8, s6, v8, v10
	v_add_co_ci_u32_e64 v9, null, 0, v9, s6
	flat_load_dword v8, v[8:9]
	s_waitcnt vmcnt(0) lgkmcnt(0)
	v_mul_f32_e32 v8, s24, v8
.LBB6_17:
	s_or_b32 exec_lo, exec_lo, s7
	v_add_nc_u32_e32 v11, 4, v70
	v_min_i32_e32 v9, s27, v11
	v_cmp_le_i32_e64 s6, s14, v11
	v_mad_i64_i32 v[9:10], null, s26, v9, 0
	v_lshlrev_b64 v[9:10], 2, v[9:10]
	v_add_co_u32 v9, s7, s16, v9
	v_add_co_ci_u32_e64 v10, null, s17, v10, s7
	s_or_b32 s7, vcc_lo, s6
	v_cndmask_b32_e64 v69, 0, 0x7f7fffff, s7
	s_nor_b32 s7, s28, s7
	s_and_saveexec_b32 s18, s7
	s_cbranch_execz .LBB6_19
; %bb.18:
	v_lshlrev_b64 v[11:12], 2, v[66:67]
	v_add_co_u32 v11, s7, v9, v11
	v_add_co_ci_u32_e64 v12, null, v10, v12, s7
	flat_load_dword v11, v[11:12]
	s_waitcnt vmcnt(0) lgkmcnt(0)
	v_mul_f32_e32 v69, s24, v11
.LBB6_19:
	s_or_b32 exec_lo, exec_lo, s18
	s_or_b32 s7, s0, s6
	v_cndmask_b32_e64 v121, 0, 0x7f7fffff, s7
	s_nor_b32 s7, s28, s7
	s_and_saveexec_b32 s18, s7
	s_cbranch_execz .LBB6_21
; %bb.20:
	v_lshlrev_b64 v[11:12], 2, v[66:67]
	v_add_co_u32 v11, s7, v9, v11
	v_add_co_ci_u32_e64 v12, null, v10, v12, s7
	flat_load_dword v11, v[11:12] offset:256
	s_waitcnt vmcnt(0) lgkmcnt(0)
	v_mul_f32_e32 v121, s24, v11
.LBB6_21:
	s_or_b32 exec_lo, exec_lo, s18
	s_or_b32 s7, s1, s6
	v_cndmask_b32_e64 v132, 0, 0x7f7fffff, s7
	s_nor_b32 s7, s28, s7
	s_and_saveexec_b32 s18, s7
	s_cbranch_execz .LBB6_23
; %bb.22:
	v_lshlrev_b64 v[11:12], 2, v[66:67]
	v_add_co_u32 v11, s7, v9, v11
	v_add_co_ci_u32_e64 v12, null, v10, v12, s7
	flat_load_dword v11, v[11:12] offset:512
	s_waitcnt vmcnt(0) lgkmcnt(0)
	v_mul_f32_e32 v132, s24, v11
.LBB6_23:
	;; [unrolled: 14-line block ×3, first 2 shown]
	s_or_b32 exec_lo, exec_lo, s7
	v_or_b32_e32 v9, 4, v72
	v_cmp_le_i32_e64 s6, s14, v9
	s_or_b32 s6, s6, s3
	v_cndmask_b32_e64 v143, 0, 0x7f7fffff, s6
	s_nor_b32 s6, s28, s6
	s_and_saveexec_b32 s7, s6
	s_cbranch_execz .LBB6_27
; %bb.26:
	s_waitcnt lgkmcnt(0)
	v_mad_i64_i32 v[10:11], null, v68, s29, 0
	v_min_u32_e32 v12, s27, v9
	v_lshlrev_b64 v[9:10], 2, v[10:11]
	v_lshlrev_b32_e32 v11, 2, v12
	v_add_co_u32 v9, s6, s20, v9
	v_add_co_ci_u32_e64 v10, null, s21, v10, s6
	v_add_co_u32 v9, s6, v9, v11
	v_add_co_ci_u32_e64 v10, null, 0, v10, s6
	flat_load_dword v9, v[9:10]
	s_waitcnt vmcnt(0) lgkmcnt(0)
	v_mul_f32_e32 v143, s24, v9
.LBB6_27:
	s_or_b32 exec_lo, exec_lo, s7
	v_lshlrev_b32_e32 v2, 4, v2
	v_lshlrev_b32_e32 v142, 2, v72
	;; [unrolled: 1-line block ×3, first 2 shown]
	s_load_dwordx2 s[18:19], s[8:9], 0x0
	v_lshlrev_b32_e32 v71, 4, v1
	v_lshl_add_u32 v74, v70, 2, v2
	v_lshl_or_b32 v144, v6, 4, v142
	s_cmp_lt_i32 s14, 9
	ds_write2st64_b32 v74, v3, v4 offset1:4
	ds_write2st64_b32 v74, v5, v7 offset0:8 offset1:12
	ds_write_b32 v144, v8 offset:8192
	s_waitcnt lgkmcnt(0)
	s_barrier
	buffer_gl0_inv
	ds_read_b128 v[34:37], v73
	ds_read_b128 v[30:33], v73 offset:512
	ds_read_b128 v[26:29], v73 offset:1024
	;; [unrolled: 1-line block ×15, first 2 shown]
	ds_write2st64_b32 v74, v69, v121 offset0:16 offset1:20
	ds_write2st64_b32 v74, v132, v141 offset0:24 offset1:28
	ds_write_b32 v144, v143 offset:9216
	s_waitcnt lgkmcnt(0)
	s_barrier
	buffer_gl0_inv
	v_add_f32_e32 v75, v35, v63
	v_add_f32_e32 v76, v34, v62
	v_add_f32_e32 v77, v30, v62
	v_add_f32_e32 v78, v26, v62
	v_add_f32_e32 v79, v18, v62
	v_add_f32_e32 v80, v14, v62
	v_min3_f32 v75, v76, v75, 0x7f7fffff
	v_add_f32_e32 v76, v31, v63
	v_add_f32_e32 v81, v10, v62
	v_min3_f32 v76, v77, v76, 0x7f7fffff
	v_add_f32_e32 v77, v27, v63
	v_min3_f32 v77, v78, v77, 0x7f7fffff
	;; [unrolled: 2-line block ×5, first 2 shown]
	v_add_f32_e32 v79, v7, v63
	v_add_f32_e32 v81, v6, v62
	;; [unrolled: 1-line block ×4, first 2 shown]
	v_min3_f32 v118, v81, v79, 0x7f7fffff
	v_add_f32_e32 v79, v6, v38
	v_min3_f32 v119, v62, v63, 0x7f7fffff
	v_add_f32_e32 v62, v35, v59
	v_add_f32_e32 v63, v34, v58
	v_min3_f32 v116, v63, v62, 0x7f7fffff
	v_add_f32_e32 v62, v31, v59
	;; [unrolled: 3-line block ×7, first 2 shown]
	v_add_f32_e32 v63, v6, v58
	v_add_f32_e32 v59, v3, v59
	v_add_f32_e32 v58, v2, v58
	v_min3_f32 v110, v63, v62, 0x7f7fffff
	v_min3_f32 v109, v58, v59, 0x7f7fffff
	v_add_f32_e32 v58, v35, v55
	v_add_f32_e32 v59, v34, v54
	v_min3_f32 v108, v59, v58, 0x7f7fffff
	v_add_f32_e32 v58, v31, v55
	v_add_f32_e32 v59, v30, v54
	v_min3_f32 v107, v59, v58, 0x7f7fffff
	v_add_f32_e32 v58, v27, v55
	v_add_f32_e32 v59, v26, v54
	v_min3_f32 v106, v59, v58, 0x7f7fffff
	v_add_f32_e32 v58, v19, v55
	v_add_f32_e32 v59, v18, v54
	v_min3_f32 v105, v59, v58, 0x7f7fffff
	v_add_f32_e32 v58, v15, v55
	v_add_f32_e32 v59, v14, v54
	v_min3_f32 v104, v59, v58, 0x7f7fffff
	v_add_f32_e32 v58, v11, v55
	v_add_f32_e32 v59, v10, v54
	v_min3_f32 v103, v59, v58, 0x7f7fffff
	v_add_f32_e32 v58, v7, v55
	v_add_f32_e32 v59, v6, v54
	v_add_f32_e32 v55, v3, v55
	v_add_f32_e32 v54, v2, v54
	v_min3_f32 v102, v59, v58, 0x7f7fffff
	v_min3_f32 v101, v54, v55, 0x7f7fffff
	v_add_f32_e32 v54, v35, v51
	v_add_f32_e32 v55, v34, v50
	v_min3_f32 v100, v55, v54, 0x7f7fffff
	v_add_f32_e32 v54, v31, v51
	v_add_f32_e32 v55, v30, v50
	v_min3_f32 v99, v55, v54, 0x7f7fffff
	v_add_f32_e32 v54, v27, v51
	v_add_f32_e32 v55, v26, v50
	v_min3_f32 v98, v55, v54, 0x7f7fffff
	v_add_f32_e32 v54, v19, v51
	v_add_f32_e32 v55, v18, v50
	v_min3_f32 v97, v55, v54, 0x7f7fffff
	v_add_f32_e32 v54, v15, v51
	v_add_f32_e32 v55, v14, v50
	v_min3_f32 v96, v55, v54, 0x7f7fffff
	v_add_f32_e32 v54, v11, v51
	v_add_f32_e32 v55, v10, v50
	v_min3_f32 v95, v55, v54, 0x7f7fffff
	v_add_f32_e32 v54, v7, v51
	v_add_f32_e32 v55, v6, v50
	v_add_f32_e32 v51, v3, v51
	v_add_f32_e32 v50, v2, v50
	v_min3_f32 v94, v55, v54, 0x7f7fffff
	v_min3_f32 v93, v50, v51, 0x7f7fffff
	v_add_f32_e32 v50, v35, v47
	v_add_f32_e32 v51, v34, v46
	v_min3_f32 v92, v51, v50, 0x7f7fffff
	v_add_f32_e32 v50, v31, v47
	v_add_f32_e32 v51, v30, v46
	v_min3_f32 v91, v51, v50, 0x7f7fffff
	v_add_f32_e32 v50, v27, v47
	v_add_f32_e32 v51, v26, v46
	v_min3_f32 v90, v51, v50, 0x7f7fffff
	v_add_f32_e32 v50, v19, v47
	v_add_f32_e32 v51, v18, v46
	v_min3_f32 v89, v51, v50, 0x7f7fffff
	v_add_f32_e32 v50, v15, v47
	v_add_f32_e32 v51, v14, v46
	v_min3_f32 v88, v51, v50, 0x7f7fffff
	v_add_f32_e32 v50, v11, v47
	v_add_f32_e32 v51, v10, v46
	v_min3_f32 v87, v51, v50, 0x7f7fffff
	v_add_f32_e32 v50, v7, v47
	v_add_f32_e32 v51, v6, v46
	v_add_f32_e32 v47, v3, v47
	v_add_f32_e32 v46, v2, v46
	v_min3_f32 v86, v51, v50, 0x7f7fffff
	v_min3_f32 v85, v46, v47, 0x7f7fffff
	v_add_f32_e32 v46, v35, v43
	v_add_f32_e32 v47, v34, v42
	v_min3_f32 v84, v47, v46, 0x7f7fffff
	v_add_f32_e32 v46, v31, v43
	v_add_f32_e32 v47, v30, v42
	v_min3_f32 v83, v47, v46, 0x7f7fffff
	v_add_f32_e32 v46, v27, v43
	v_add_f32_e32 v47, v26, v42
	v_min3_f32 v82, v47, v46, 0x7f7fffff
	v_add_f32_e32 v46, v19, v43
	v_add_f32_e32 v47, v18, v42
	v_min3_f32 v63, v47, v46, 0x7f7fffff
	v_add_f32_e32 v46, v15, v43
	v_add_f32_e32 v47, v14, v42
	v_min3_f32 v62, v47, v46, 0x7f7fffff
	v_add_f32_e32 v46, v11, v43
	v_add_f32_e32 v47, v10, v42
	v_min3_f32 v59, v47, v46, 0x7f7fffff
	v_add_f32_e32 v46, v7, v43
	v_add_f32_e32 v47, v6, v42
	v_add_f32_e32 v43, v3, v43
	;; [unrolled: 1-line block ×4, first 2 shown]
	v_min3_f32 v58, v47, v46, 0x7f7fffff
	v_min3_f32 v55, v42, v43, 0x7f7fffff
	v_add_f32_e32 v42, v35, v39
	v_add_f32_e32 v43, v34, v38
	v_add_f32_e32 v35, v35, v23
	v_add_f32_e32 v34, v34, v22
	v_min3_f32 v54, v43, v42, 0x7f7fffff
	v_add_f32_e32 v42, v31, v39
	v_add_f32_e32 v43, v30, v38
	v_min3_f32 v34, v34, v35, 0x7f7fffff
	v_add_f32_e32 v31, v31, v23
	v_add_f32_e32 v30, v30, v22
	;; [unrolled: 3-line block ×9, first 2 shown]
	v_add_f32_e32 v38, v2, v38
	v_add_f32_e32 v2, v2, v22
	v_min3_f32 v14, v14, v15, 0x7f7fffff
	v_add_f32_e32 v11, v11, v23
	v_min3_f32 v43, v43, v42, 0x7f7fffff
	v_add_f32_e32 v42, v7, v39
	v_add_f32_e32 v39, v3, v39
	;; [unrolled: 1-line block ×5, first 2 shown]
	v_min3_f32 v42, v79, v42, 0x7f7fffff
	v_min3_f32 v38, v38, v39, 0x7f7fffff
	;; [unrolled: 1-line block ×4, first 2 shown]
	v_add_f32_e32 v3, v37, v65
	v_add_f32_e32 v7, v36, v64
	v_min3_f32 v10, v10, v11, 0x7f7fffff
	v_min3_f32 v81, v7, v3, v75
	v_add_f32_e32 v3, v33, v65
	v_add_f32_e32 v7, v32, v64
	v_min3_f32 v79, v7, v3, v76
	v_add_f32_e32 v3, v29, v65
	v_add_f32_e32 v7, v28, v64
	;; [unrolled: 3-line block ×55, first 2 shown]
	v_add_f32_e32 v4, v4, v24
	v_min3_f32 v89, v7, v3, v38
	v_add_f32_e32 v3, v37, v25
	v_add_f32_e32 v7, v36, v24
	v_min3_f32 v88, v7, v3, v34
	v_add_f32_e32 v3, v33, v25
	;; [unrolled: 3-line block ×8, first 2 shown]
	v_min3_f32 v92, v4, v3, v2
	s_cbranch_scc1 .LBB6_50
; %bb.28:
	v_mad_i64_i32 v[2:3], null, s29, v68, 0
	v_lshlrev_b64 v[66:67], 2, v[66:67]
	v_add_nc_u32_e32 v121, 0x2000, v144
	v_or_b32_e32 v132, 0x2000, v71
	v_or_b32_e32 v141, 0x1000, v74
	v_add_nc_u32_e32 v143, 0x2400, v144
	v_lshl_or_b32 v144, v0, 4, 0x1000
	v_lshlrev_b64 v[2:3], 2, v[2:3]
	s_add_i32 s8, s14, -8
	s_mov_b32 s9, 0
	v_add_co_u32 v2, s6, v2, v142
	v_add_co_ci_u32_e64 v3, null, 0, v3, s6
	v_lshl_add_u32 v142, v1, 4, 0x2400
	v_add_co_u32 v2, s6, s20, v2
	v_add_co_ci_u32_e64 v3, null, s21, v3, s6
	v_add_co_u32 v68, s6, v2, 48
	v_add_co_ci_u32_e64 v69, null, 0, v3, s6
	s_branch .LBB6_30
.LBB6_29:                               ;   in Loop: Header=BB6_30 Depth=1
	s_or_b32 exec_lo, exec_lo, s6
	v_add_f32_e32 v150, v23, v63
	v_add_f32_e32 v151, v22, v62
	;; [unrolled: 1-line block ×6, first 2 shown]
	v_min3_f32 v81, v151, v150, v81
	v_add_f32_e32 v150, v7, v63
	v_min3_f32 v79, v153, v152, v79
	v_add_f32_e32 v151, v6, v62
	;; [unrolled: 2-line block ×3, first 2 shown]
	v_add_f32_e32 v153, v34, v62
	v_add_f32_e32 v154, v31, v63
	;; [unrolled: 1-line block ×7, first 2 shown]
	v_min3_f32 v75, v151, v150, v75
	v_min3_f32 v76, v153, v152, v76
	v_add_f32_e32 v150, v15, v59
	v_add_f32_e32 v151, v14, v58
	v_min3_f32 v62, v62, v63, v140
	v_add_f32_e32 v63, v23, v59
	v_add_f32_e32 v140, v22, v58
	;; [unrolled: 1-line block ×4, first 2 shown]
	v_min3_f32 v78, v155, v154, v78
	v_min3_f32 v80, v157, v156, v80
	v_add_f32_e32 v154, v7, v59
	v_add_f32_e32 v155, v6, v58
	;; [unrolled: 1-line block ×4, first 2 shown]
	v_min3_f32 v63, v140, v63, v139
	v_min3_f32 v138, v151, v150, v138
	;; [unrolled: 1-line block ×3, first 2 shown]
	v_add_f32_e32 v139, v31, v59
	v_add_f32_e32 v140, v30, v58
	;; [unrolled: 1-line block ×8, first 2 shown]
	v_min3_f32 v136, v155, v154, v136
	v_add_f32_e32 v154, v15, v55
	v_add_f32_e32 v155, v14, v54
	v_min3_f32 v134, v140, v139, v134
	v_min3_f32 v133, v151, v150, v133
	;; [unrolled: 1-line block ×4, first 2 shown]
	v_add_f32_e32 v130, v11, v55
	v_add_f32_e32 v131, v10, v54
	;; [unrolled: 1-line block ×6, first 2 shown]
	v_min3_f32 v129, v155, v154, v129
	v_add_f32_e32 v152, v31, v55
	v_add_f32_e32 v153, v30, v54
	v_add_f32_e32 v154, v27, v55
	v_add_f32_e32 v155, v26, v54
	v_min3_f32 v128, v131, v130, v128
	v_min3_f32 v127, v140, v139, v127
	v_min3_f32 v126, v151, v150, v126
	v_add_f32_e32 v55, v3, v55
	v_add_f32_e32 v54, v2, v54
	;; [unrolled: 1-line block ×8, first 2 shown]
	v_min3_f32 v125, v153, v152, v125
	v_add_f32_e32 v152, v7, v51
	v_add_f32_e32 v153, v6, v50
	v_min3_f32 v54, v54, v55, v122
	v_min3_f32 v55, v131, v130, v123
	;; [unrolled: 1-line block ×4, first 2 shown]
	v_add_f32_e32 v122, v35, v51
	v_add_f32_e32 v123, v34, v50
	;; [unrolled: 1-line block ×10, first 2 shown]
	v_min3_f32 v117, v123, v122, v117
	v_min3_f32 v116, v131, v130, v116
	;; [unrolled: 1-line block ×3, first 2 shown]
	v_add_f32_e32 v114, v14, v46
	v_min3_f32 v51, v151, v150, v113
	v_add_f32_e32 v113, v15, v47
	v_add_f32_e32 v122, v11, v47
	;; [unrolled: 1-line block ×5, first 2 shown]
	v_min3_f32 v115, v140, v139, v115
	v_add_f32_e32 v139, v35, v47
	v_add_f32_e32 v140, v34, v46
	;; [unrolled: 1-line block ×4, first 2 shown]
	v_min3_f32 v112, v114, v113, v112
	v_min3_f32 v111, v123, v122, v111
	;; [unrolled: 1-line block ×3, first 2 shown]
	v_add_f32_e32 v113, v27, v47
	v_add_f32_e32 v114, v26, v46
	v_add_f32_e32 v47, v3, v47
	v_add_f32_e32 v46, v2, v46
	v_add_f32_e32 v122, v23, v43
	v_add_f32_e32 v123, v22, v42
	v_add_f32_e32 v130, v15, v43
	v_add_f32_e32 v131, v14, v42
	v_min3_f32 v109, v140, v139, v109
	v_add_f32_e32 v139, v11, v43
	v_add_f32_e32 v140, v10, v42
	v_min3_f32 v107, v114, v113, v107
	v_min3_f32 v46, v46, v47, v106
	v_min3_f32 v47, v123, v122, v105
	v_min3_f32 v104, v131, v130, v104
	v_add_f32_e32 v105, v7, v43
	v_add_f32_e32 v106, v6, v42
	;; [unrolled: 1-line block ×10, first 2 shown]
	v_min3_f32 v102, v106, v105, v102
	v_add_f32_e32 v105, v15, v39
	v_add_f32_e32 v106, v14, v38
	;; [unrolled: 1-line block ×3, first 2 shown]
	v_min3_f32 v42, v42, v43, v98
	v_add_f32_e32 v43, v23, v39
	v_add_f32_e32 v98, v22, v38
	;; [unrolled: 1-line block ×5, first 2 shown]
	v_min3_f32 v101, v114, v113, v101
	v_min3_f32 v100, v123, v122, v100
	v_add_f32_e32 v113, v11, v39
	v_add_f32_e32 v114, v10, v38
	;; [unrolled: 1-line block ×4, first 2 shown]
	v_min3_f32 v22, v22, v23, v88
	v_min3_f32 v14, v14, v15, v87
	v_add_f32_e32 v11, v11, v19
	v_add_f32_e32 v10, v10, v18
	;; [unrolled: 1-line block ×6, first 2 shown]
	v_min3_f32 v99, v131, v130, v99
	v_add_f32_e32 v130, v35, v39
	v_add_f32_e32 v131, v34, v38
	v_min3_f32 v43, v98, v43, v97
	v_min3_f32 v96, v106, v105, v96
	v_add_f32_e32 v97, v31, v39
	v_add_f32_e32 v98, v30, v38
	;; [unrolled: 1-line block ×10, first 2 shown]
	v_min3_f32 v10, v10, v11, v86
	v_min3_f32 v34, v6, v7, v85
	;; [unrolled: 1-line block ×3, first 2 shown]
	v_add_f32_e32 v3, v3, v19
	v_add_f32_e32 v2, v2, v18
	;; [unrolled: 1-line block ×6, first 2 shown]
	v_min3_f32 v30, v30, v31, v83
	v_min3_f32 v26, v26, v27, v82
	v_add_f32_e32 v18, v13, v65
	v_add_f32_e32 v19, v12, v64
	;; [unrolled: 1-line block ×4, first 2 shown]
	v_min3_f32 v35, v2, v3, v92
	v_min3_f32 v81, v7, v6, v81
	;; [unrolled: 1-line block ×3, first 2 shown]
	v_add_f32_e32 v2, v37, v65
	v_add_f32_e32 v3, v36, v64
	;; [unrolled: 1-line block ×6, first 2 shown]
	v_min3_f32 v77, v19, v18, v77
	v_min3_f32 v75, v31, v27, v75
	v_add_f32_e32 v18, v5, v65
	v_add_f32_e32 v19, v4, v64
	;; [unrolled: 1-line block ×4, first 2 shown]
	v_min3_f32 v76, v3, v2, v76
	v_min3_f32 v78, v7, v6, v78
	;; [unrolled: 1-line block ×3, first 2 shown]
	v_add_f32_e32 v2, v17, v61
	v_add_f32_e32 v3, v16, v60
	;; [unrolled: 1-line block ×6, first 2 shown]
	v_min3_f32 v135, v157, v156, v135
	v_min3_f32 v82, v19, v18, v62
	;; [unrolled: 1-line block ×3, first 2 shown]
	v_add_f32_e32 v18, v37, v61
	v_add_f32_e32 v19, v36, v60
	;; [unrolled: 1-line block ×4, first 2 shown]
	v_min3_f32 v84, v3, v2, v138
	v_min3_f32 v85, v7, v6, v137
	v_min3_f32 v86, v15, v11, v136
	v_add_f32_e32 v2, v29, v61
	v_add_f32_e32 v3, v28, v60
	;; [unrolled: 1-line block ×6, first 2 shown]
	v_min3_f32 v91, v98, v97, v91
	v_min3_f32 v38, v38, v39, v89
	;; [unrolled: 1-line block ×4, first 2 shown]
	v_add_f32_e32 v18, v17, v57
	v_add_f32_e32 v19, v16, v56
	;; [unrolled: 1-line block ×4, first 2 shown]
	v_min3_f32 v89, v3, v2, v133
	v_min3_f32 v92, v7, v6, v58
	;; [unrolled: 1-line block ×3, first 2 shown]
	v_add_f32_e32 v2, v9, v57
	v_add_f32_e32 v3, v8, v56
	v_add_f32_e32 v6, v37, v57
	v_add_f32_e32 v7, v36, v56
	v_add_f32_e32 v11, v33, v57
	v_add_f32_e32 v15, v32, v56
	v_min3_f32 v124, v155, v154, v124
	v_min3_f32 v95, v114, v113, v95
	;; [unrolled: 1-line block ×5, first 2 shown]
	v_add_f32_e32 v18, v29, v57
	v_add_f32_e32 v19, v28, v56
	;; [unrolled: 1-line block ×4, first 2 shown]
	v_min3_f32 v106, v3, v2, v127
	v_min3_f32 v113, v7, v6, v126
	;; [unrolled: 1-line block ×3, first 2 shown]
	v_add_f32_e32 v2, v25, v53
	v_add_f32_e32 v3, v24, v52
	;; [unrolled: 1-line block ×6, first 2 shown]
	v_min3_f32 v118, v153, v152, v118
	v_min3_f32 v94, v123, v122, v94
	;; [unrolled: 1-line block ×4, first 2 shown]
	v_add_f32_e32 v18, v9, v53
	v_add_f32_e32 v19, v8, v52
	;; [unrolled: 1-line block ×4, first 2 shown]
	v_min3_f32 v124, v3, v2, v55
	v_min3_f32 v120, v7, v6, v120
	;; [unrolled: 1-line block ×3, first 2 shown]
	v_add_f32_e32 v2, v33, v53
	v_add_f32_e32 v3, v32, v52
	;; [unrolled: 1-line block ×6, first 2 shown]
	v_min3_f32 v118, v19, v18, v118
	v_min3_f32 v117, v31, v27, v117
	v_add_f32_e32 v18, v25, v49
	v_add_f32_e32 v19, v24, v48
	v_add_f32_e32 v27, v17, v49
	v_add_f32_e32 v31, v16, v48
	v_min3_f32 v116, v3, v2, v116
	v_min3_f32 v115, v7, v6, v115
	v_min3_f32 v125, v15, v11, v50
	v_add_f32_e32 v2, v13, v49
	v_add_f32_e32 v3, v12, v48
	v_add_f32_e32 v6, v9, v49
	v_add_f32_e32 v7, v8, v48
	v_add_f32_e32 v11, v37, v49
	v_add_f32_e32 v15, v36, v48
	v_min3_f32 v108, v151, v150, v108
	v_min3_f32 v126, v19, v18, v51
	v_min3_f32 v112, v31, v27, v112
	v_add_f32_e32 v18, v33, v49
	v_add_f32_e32 v19, v32, v48
	v_add_f32_e32 v27, v29, v49
	v_add_f32_e32 v31, v28, v48
	v_min3_f32 v111, v3, v2, v111
	v_min3_f32 v110, v7, v6, v110
	v_min3_f32 v109, v15, v11, v109
	v_add_f32_e32 v2, v5, v49
	v_add_f32_e32 v3, v4, v48
	v_add_f32_e32 v6, v25, v45
	v_add_f32_e32 v7, v24, v44
	v_add_f32_e32 v11, v17, v45
	v_add_f32_e32 v15, v16, v44
	v_min3_f32 v103, v140, v139, v103
	;; [unrolled: 16-line block ×3, first 2 shown]
	v_min3_f32 v102, v31, v27, v102
	v_add_f32_e32 v18, v5, v45
	v_add_f32_e32 v19, v4, v44
	;; [unrolled: 1-line block ×4, first 2 shown]
	v_min3_f32 v101, v3, v2, v101
	v_min3_f32 v100, v7, v6, v100
	;; [unrolled: 1-line block ×3, first 2 shown]
	v_add_f32_e32 v2, v17, v41
	v_add_f32_e32 v3, v16, v40
	;; [unrolled: 1-line block ×6, first 2 shown]
	v_min3_f32 v93, v131, v130, v93
	v_min3_f32 v129, v19, v18, v42
	;; [unrolled: 1-line block ×3, first 2 shown]
	v_add_f32_e32 v18, v37, v41
	v_add_f32_e32 v19, v36, v40
	;; [unrolled: 1-line block ×4, first 2 shown]
	v_min3_f32 v96, v3, v2, v96
	v_min3_f32 v95, v7, v6, v95
	;; [unrolled: 1-line block ×3, first 2 shown]
	v_add_f32_e32 v2, v29, v41
	v_add_f32_e32 v3, v28, v40
	;; [unrolled: 1-line block ×10, first 2 shown]
	v_min3_f32 v93, v19, v18, v93
	v_min3_f32 v91, v31, v27, v91
	;; [unrolled: 1-line block ×7, first 2 shown]
	v_add_f32_e32 v18, v9, v21
	v_add_f32_e32 v19, v8, v20
	;; [unrolled: 1-line block ×8, first 2 shown]
	ds_read_b128 v[6:9], v73
	ds_read_b128 v[10:13], v132
	v_add_f32_e32 v21, v5, v21
	ds_read_b128 v[14:17], v73 offset:512
	v_add_f32_e32 v20, v4, v20
	ds_read_b128 v[2:5], v73 offset:1024
	v_min3_f32 v136, v19, v18, v34
	v_min3_f32 v137, v24, v22, v23
	;; [unrolled: 1-line block ×5, first 2 shown]
	ds_read_b128 v[18:21], v73 offset:1536
	ds_read_b128 v[22:25], v73 offset:2048
	;; [unrolled: 1-line block ×12, first 2 shown]
	v_add_co_u32 v68, s6, v68, 32
	v_add_co_ci_u32_e64 v69, null, 0, v69, s6
	s_add_i32 s9, s9, 8
	ds_write2st64_b32 v141, v145, v146 offset1:4
	ds_write2st64_b32 v141, v147, v148 offset0:8 offset1:12
	ds_write_b32 v143, v149
	s_cmp_ge_i32 s9, s8
	s_waitcnt lgkmcnt(0)
	v_add_f32_e32 v150, v7, v11
	v_add_f32_e32 v151, v6, v10
	;; [unrolled: 1-line block ×6, first 2 shown]
	v_min3_f32 v81, v151, v150, v81
	v_add_f32_e32 v150, v19, v11
	v_min3_f32 v79, v153, v152, v79
	v_add_f32_e32 v151, v18, v10
	;; [unrolled: 2-line block ×3, first 2 shown]
	v_add_f32_e32 v153, v22, v10
	v_add_f32_e32 v154, v27, v11
	v_add_f32_e32 v155, v26, v10
	v_add_f32_e32 v156, v31, v11
	v_add_f32_e32 v157, v30, v10
	v_add_f32_e32 v11, v35, v11
	v_add_f32_e32 v10, v34, v10
	v_min3_f32 v75, v151, v150, v75
	v_min3_f32 v76, v153, v152, v76
	v_min3_f32 v78, v155, v154, v78
	v_min3_f32 v80, v157, v156, v80
	v_min3_f32 v10, v10, v11, v82
	v_add_f32_e32 v11, v7, v39
	v_add_f32_e32 v82, v6, v38
	v_add_f32_e32 v150, v15, v39
	v_add_f32_e32 v151, v14, v38
	v_add_f32_e32 v152, v3, v39
	v_add_f32_e32 v153, v2, v38
	v_add_f32_e32 v154, v19, v39
	v_add_f32_e32 v155, v18, v38
	v_add_f32_e32 v156, v23, v39
	v_add_f32_e32 v157, v22, v38
	v_min3_f32 v11, v82, v11, v83
	v_min3_f32 v82, v151, v150, v84
	v_min3_f32 v83, v153, v152, v85
	v_min3_f32 v84, v155, v154, v86
	v_min3_f32 v85, v157, v156, v87
	v_add_f32_e32 v86, v27, v39
	v_add_f32_e32 v87, v26, v38
	v_add_f32_e32 v150, v31, v39
	;; [unrolled: 15-line block ×6, first 2 shown]
	v_add_f32_e32 v122, v2, v50
	v_add_f32_e32 v123, v19, v51
	;; [unrolled: 1-line block ×7, first 2 shown]
	v_min3_f32 v112, v119, v118, v112
	v_min3_f32 v111, v122, v120, v111
	;; [unrolled: 1-line block ×4, first 2 shown]
	v_add_f32_e32 v118, v31, v51
	v_add_f32_e32 v119, v30, v50
	;; [unrolled: 1-line block ×10, first 2 shown]
	v_min3_f32 v107, v119, v118, v107
	v_min3_f32 v50, v50, v51, v127
	;; [unrolled: 1-line block ×5, first 2 shown]
	v_add_f32_e32 v118, v19, v55
	v_add_f32_e32 v119, v18, v54
	;; [unrolled: 1-line block ×10, first 2 shown]
	v_min3_f32 v102, v119, v118, v102
	v_min3_f32 v101, v122, v120, v101
	;; [unrolled: 1-line block ×3, first 2 shown]
	v_add_f32_e32 v118, v6, v58
	v_min3_f32 v54, v54, v55, v129
	v_add_f32_e32 v55, v7, v59
	v_add_f32_e32 v119, v15, v59
	;; [unrolled: 1-line block ×9, first 2 shown]
	v_min3_f32 v99, v126, v125, v99
	v_add_f32_e32 v124, v19, v59
	v_add_f32_e32 v125, v18, v58
	;; [unrolled: 1-line block ×4, first 2 shown]
	v_min3_f32 v55, v118, v55, v130
	v_min3_f32 v96, v120, v119, v96
	;; [unrolled: 1-line block ×3, first 2 shown]
	v_add_f32_e32 v118, v27, v59
	v_add_f32_e32 v119, v26, v58
	;; [unrolled: 1-line block ×6, first 2 shown]
	v_min3_f32 v6, v6, v7, v133
	v_min3_f32 v7, v14, v15, v134
	v_add_f32_e32 v3, v3, v63
	v_add_f32_e32 v2, v2, v62
	;; [unrolled: 1-line block ×10, first 2 shown]
	v_min3_f32 v58, v58, v59, v131
	v_min3_f32 v2, v2, v3, v135
	;; [unrolled: 1-line block ×6, first 2 shown]
	v_add_f32_e32 v19, v35, v63
	v_add_f32_e32 v22, v34, v62
	;; [unrolled: 1-line block ×10, first 2 shown]
	v_min3_f32 v19, v22, v19, v140
	v_min3_f32 v81, v26, v23, v81
	;; [unrolled: 1-line block ×5, first 2 shown]
	v_add_f32_e32 v22, v25, v13
	v_add_f32_e32 v23, v24, v12
	;; [unrolled: 1-line block ×10, first 2 shown]
	v_min3_f32 v76, v23, v22, v76
	v_min3_f32 v78, v27, v26, v78
	;; [unrolled: 1-line block ×3, first 2 shown]
	v_add_f32_e32 v10, v17, v41
	v_min3_f32 v139, v35, v34, v11
	v_add_f32_e32 v11, v16, v40
	v_add_f32_e32 v12, v5, v41
	;; [unrolled: 1-line block ×3, first 2 shown]
	v_min3_f32 v80, v31, v30, v80
	v_add_f32_e32 v22, v21, v41
	v_min3_f32 v138, v11, v10, v82
	v_add_f32_e32 v10, v33, v41
	;; [unrolled: 2-line block ×3, first 2 shown]
	v_add_f32_e32 v12, v37, v41
	v_add_f32_e32 v13, v36, v40
	;; [unrolled: 1-line block ×7, first 2 shown]
	v_min3_f32 v133, v11, v10, v87
	v_min3_f32 v131, v13, v12, v38
	v_add_f32_e32 v10, v21, v45
	v_add_f32_e32 v11, v20, v44
	v_add_f32_e32 v12, v25, v45
	v_add_f32_e32 v13, v24, v44
	v_min3_f32 v93, v127, v126, v93
	v_min3_f32 v136, v23, v22, v84
	v_min3_f32 v135, v27, v26, v85
	v_min3_f32 v134, v31, v30, v86
	v_add_f32_e32 v22, v9, v45
	v_add_f32_e32 v23, v8, v44
	v_add_f32_e32 v26, v17, v45
	v_add_f32_e32 v27, v16, v44
	v_add_f32_e32 v30, v5, v45
	v_add_f32_e32 v31, v4, v44
	v_min3_f32 v127, v11, v10, v92
	v_min3_f32 v126, v13, v12, v97
	v_add_f32_e32 v10, v9, v49
	v_add_f32_e32 v11, v8, v48
	v_add_f32_e32 v12, v17, v49
	v_add_f32_e32 v13, v16, v48
	v_min3_f32 v90, v122, v120, v90
	v_min3_f32 v130, v23, v22, v39
	v_min3_f32 v129, v27, v26, v88
	v_min3_f32 v128, v31, v30, v89
	v_add_f32_e32 v22, v29, v45
	v_add_f32_e32 v23, v28, v44
	v_add_f32_e32 v26, v33, v45
	v_add_f32_e32 v27, v32, v44
	v_add_f32_e32 v30, v37, v45
	v_add_f32_e32 v31, v36, v44
	;; [unrolled: 16-line block ×5, first 2 shown]
	v_min3_f32 v106, v11, v10, v50
	v_min3_f32 v105, v13, v12, v51
	v_add_f32_e32 v10, v25, v57
	v_add_f32_e32 v11, v24, v56
	;; [unrolled: 1-line block ×4, first 2 shown]
	v_min3_f32 v109, v23, v22, v109
	v_min3_f32 v108, v27, v26, v108
	;; [unrolled: 1-line block ×3, first 2 shown]
	v_add_f32_e32 v22, v17, v57
	v_add_f32_e32 v23, v16, v56
	;; [unrolled: 1-line block ×6, first 2 shown]
	v_min3_f32 v101, v11, v10, v101
	v_min3_f32 v100, v13, v12, v100
	v_add_f32_e32 v10, v17, v61
	v_add_f32_e32 v11, v16, v60
	;; [unrolled: 1-line block ×4, first 2 shown]
	v_min3_f32 v104, v23, v22, v104
	v_min3_f32 v103, v27, v26, v103
	;; [unrolled: 1-line block ×3, first 2 shown]
	v_add_f32_e32 v22, v33, v57
	v_add_f32_e32 v23, v32, v56
	;; [unrolled: 1-line block ×6, first 2 shown]
	v_min3_f32 v96, v11, v10, v96
	v_min3_f32 v95, v13, v12, v95
	v_add_f32_e32 v10, v33, v61
	v_add_f32_e32 v11, v32, v60
	;; [unrolled: 1-line block ×10, first 2 shown]
	v_min3_f32 v99, v23, v22, v99
	v_min3_f32 v98, v27, v26, v54
	;; [unrolled: 1-line block ×3, first 2 shown]
	v_add_f32_e32 v22, v21, v61
	v_add_f32_e32 v23, v20, v60
	;; [unrolled: 1-line block ×6, first 2 shown]
	v_min3_f32 v90, v11, v10, v90
	v_min3_f32 v89, v13, v12, v58
	;; [unrolled: 1-line block ×5, first 2 shown]
	v_add_f32_e32 v2, v21, v65
	v_add_f32_e32 v4, v20, v64
	;; [unrolled: 1-line block ×10, first 2 shown]
	v_min3_f32 v94, v23, v22, v94
	v_min3_f32 v93, v27, v26, v93
	;; [unrolled: 1-line block ×8, first 2 shown]
	s_barrier
	buffer_gl0_inv
	s_cbranch_scc1 .LBB6_50
.LBB6_30:                               ; =>This Inner Loop Header: Depth=1
	v_add_nc_u32_e32 v2, s9, v70
	v_add_nc_u32_e32 v5, 8, v2
	v_min_i32_e32 v3, s27, v5
	v_cmp_le_i32_e64 s6, s14, v5
	v_mad_i64_i32 v[3:4], null, v3, s26, 0
	v_lshlrev_b64 v[3:4], 2, v[3:4]
	v_add_co_u32 v3, s7, s16, v3
	v_add_co_ci_u32_e64 v4, null, s17, v4, s7
	s_or_b32 s7, vcc_lo, s6
	v_cndmask_b32_e64 v145, 0, 0x7f7fffff, s7
	s_nor_b32 s7, s28, s7
	s_and_saveexec_b32 s20, s7
	s_cbranch_execz .LBB6_32
; %bb.31:                               ;   in Loop: Header=BB6_30 Depth=1
	v_add_co_u32 v5, s7, v3, v66
	v_add_co_ci_u32_e64 v6, null, v4, v67, s7
	flat_load_dword v5, v[5:6]
	s_waitcnt vmcnt(0) lgkmcnt(0)
	v_mul_f32_e32 v145, s24, v5
.LBB6_32:                               ;   in Loop: Header=BB6_30 Depth=1
	s_or_b32 exec_lo, exec_lo, s20
	s_or_b32 s7, s0, s6
	v_cndmask_b32_e64 v146, 0, 0x7f7fffff, s7
	s_nor_b32 s7, s28, s7
	s_and_saveexec_b32 s20, s7
	s_cbranch_execz .LBB6_34
; %bb.33:                               ;   in Loop: Header=BB6_30 Depth=1
	v_add_co_u32 v5, s7, v3, v66
	v_add_co_ci_u32_e64 v6, null, v4, v67, s7
	flat_load_dword v5, v[5:6] offset:256
	s_waitcnt vmcnt(0) lgkmcnt(0)
	v_mul_f32_e32 v146, s24, v5
.LBB6_34:                               ;   in Loop: Header=BB6_30 Depth=1
	s_or_b32 exec_lo, exec_lo, s20
	s_or_b32 s7, s1, s6
	v_cndmask_b32_e64 v147, 0, 0x7f7fffff, s7
	s_nor_b32 s7, s28, s7
	s_and_saveexec_b32 s20, s7
	s_cbranch_execz .LBB6_36
; %bb.35:                               ;   in Loop: Header=BB6_30 Depth=1
	v_add_co_u32 v5, s7, v3, v66
	v_add_co_ci_u32_e64 v6, null, v4, v67, s7
	flat_load_dword v5, v[5:6] offset:512
	s_waitcnt vmcnt(0) lgkmcnt(0)
	v_mul_f32_e32 v147, s24, v5
.LBB6_36:                               ;   in Loop: Header=BB6_30 Depth=1
	;; [unrolled: 13-line block ×3, first 2 shown]
	s_or_b32 exec_lo, exec_lo, s7
	v_add_nc_u32_e32 v149, s9, v72
	v_add_nc_u32_e32 v3, 8, v149
	v_cmp_le_i32_e64 s6, s14, v3
	s_or_b32 s6, s6, s3
	v_cndmask_b32_e64 v150, 0, 0x7f7fffff, s6
	s_nor_b32 s6, s28, s6
	s_and_saveexec_b32 s7, s6
	s_cbranch_execz .LBB6_40
; %bb.39:                               ;   in Loop: Header=BB6_30 Depth=1
	v_add_co_u32 v3, s6, -16, v68
	v_add_co_ci_u32_e64 v4, null, -1, v69, s6
	flat_load_dword v3, v[3:4]
	s_waitcnt vmcnt(0) lgkmcnt(0)
	v_mul_f32_e32 v150, s24, v3
.LBB6_40:                               ;   in Loop: Header=BB6_30 Depth=1
	s_or_b32 exec_lo, exec_lo, s7
	v_add_nc_u32_e32 v153, 12, v2
	ds_read_b128 v[22:25], v144
	ds_read_b128 v[14:17], v144 offset:512
	ds_read_b128 v[10:13], v144 offset:1024
	;; [unrolled: 1-line block ×7, first 2 shown]
	ds_read_b128 v[62:65], v142
	ds_read_b128 v[58:61], v142 offset:128
	ds_read_b128 v[54:57], v142 offset:256
	;; [unrolled: 1-line block ×3, first 2 shown]
	v_min_i32_e32 v18, s27, v153
	v_cmp_le_i32_e64 s6, s14, v153
	v_mad_i64_i32 v[151:152], null, v18, s26, 0
	ds_read_b128 v[46:49], v142 offset:512
	ds_read_b128 v[42:45], v142 offset:640
	;; [unrolled: 1-line block ×4, first 2 shown]
	ds_write2st64_b32 v74, v145, v146 offset1:4
	ds_write2st64_b32 v74, v147, v148 offset0:8 offset1:12
	ds_write_b32 v121, v150
	s_or_b32 s20, vcc_lo, s6
	s_waitcnt lgkmcnt(0)
	v_cndmask_b32_e64 v145, 0, 0x7f7fffff, s20
	v_lshlrev_b64 v[151:152], 2, v[151:152]
	s_barrier
	buffer_gl0_inv
	v_add_co_u32 v150, s7, s16, v151
	v_add_co_ci_u32_e64 v151, null, s17, v152, s7
	s_nor_b32 s7, s28, s20
	s_and_saveexec_b32 s20, s7
	s_cbranch_execz .LBB6_42
; %bb.41:                               ;   in Loop: Header=BB6_30 Depth=1
	v_add_co_u32 v145, s7, v150, v66
	v_add_co_ci_u32_e64 v146, null, v151, v67, s7
	flat_load_dword v145, v[145:146]
	s_waitcnt vmcnt(0) lgkmcnt(0)
	v_mul_f32_e32 v145, s24, v145
.LBB6_42:                               ;   in Loop: Header=BB6_30 Depth=1
	s_or_b32 exec_lo, exec_lo, s20
	s_or_b32 s7, s0, s6
	v_cndmask_b32_e64 v146, 0, 0x7f7fffff, s7
	s_nor_b32 s7, s28, s7
	s_and_saveexec_b32 s20, s7
	s_cbranch_execz .LBB6_44
; %bb.43:                               ;   in Loop: Header=BB6_30 Depth=1
	v_add_co_u32 v146, s7, v150, v66
	v_add_co_ci_u32_e64 v147, null, v151, v67, s7
	flat_load_dword v146, v[146:147] offset:256
	s_waitcnt vmcnt(0) lgkmcnt(0)
	v_mul_f32_e32 v146, s24, v146
.LBB6_44:                               ;   in Loop: Header=BB6_30 Depth=1
	s_or_b32 exec_lo, exec_lo, s20
	s_or_b32 s7, s1, s6
	v_cndmask_b32_e64 v147, 0, 0x7f7fffff, s7
	s_nor_b32 s7, s28, s7
	s_and_saveexec_b32 s20, s7
	s_cbranch_execz .LBB6_46
; %bb.45:                               ;   in Loop: Header=BB6_30 Depth=1
	v_add_co_u32 v147, s7, v150, v66
	v_add_co_ci_u32_e64 v148, null, v151, v67, s7
	flat_load_dword v147, v[147:148] offset:512
	s_waitcnt vmcnt(0) lgkmcnt(0)
	v_mul_f32_e32 v147, s24, v147
.LBB6_46:                               ;   in Loop: Header=BB6_30 Depth=1
	;; [unrolled: 13-line block ×3, first 2 shown]
	s_or_b32 exec_lo, exec_lo, s7
	v_add_nc_u32_e32 v149, 12, v149
	v_cmp_le_i32_e64 s6, s14, v149
	s_or_b32 s6, s6, s3
	v_cndmask_b32_e64 v149, 0, 0x7f7fffff, s6
	s_nor_b32 s7, s28, s6
	s_and_saveexec_b32 s6, s7
	s_cbranch_execz .LBB6_29
; %bb.49:                               ;   in Loop: Header=BB6_30 Depth=1
	flat_load_dword v149, v[68:69]
	s_waitcnt vmcnt(0) lgkmcnt(0)
	v_mul_f32_e32 v149, s24, v149
	s_branch .LBB6_29
.LBB6_50:
	s_clause 0x2
	s_load_dword s14, s[4:5], 0x58
	s_load_dword s9, s[4:5], 0x70
	s_load_dwordx2 s[0:1], s[4:5], 0x78
	v_add_nc_u32_e32 v132, s25, v1
	ds_read_b128 v[34:37], v73 offset:4096
	ds_read_b128 v[30:33], v73 offset:4608
	;; [unrolled: 1-line block ×16, first 2 shown]
	v_add_nc_u32_e32 v0, s15, v0
	v_cmp_gt_i32_e64 s8, s13, v132
	v_cndmask_b32_e64 v121, 0, 1, s23
	v_ashrrev_i32_e32 v1, 31, v0
	s_waitcnt lgkmcnt(0)
	v_mad_i64_i32 v[66:67], null, v132, s14, 0
	v_mad_i64_i32 v[68:69], null, v132, s9, 0
	s_lshl_b64 s[0:1], s[0:1], 2
	s_add_u32 s15, s18, s0
	s_addc_u32 s16, s19, s1
	v_lshlrev_b64 v[66:67], 2, v[66:67]
	v_cmp_gt_i32_e64 s0, s12, v0
	v_lshlrev_b64 v[68:69], 2, v[68:69]
	s_and_b32 s2, s0, s8
	v_add_co_u32 v143, vcc_lo, s10, v66
	v_add_co_ci_u32_e64 v144, null, s11, v67, vcc_lo
	v_add_co_u32 v141, vcc_lo, s15, v68
	v_add_co_ci_u32_e64 v142, null, s16, v69, vcc_lo
	s_and_saveexec_b32 s1, s2
	s_cbranch_execz .LBB6_55
; %bb.51:
	v_lshlrev_b64 v[66:67], 2, v[0:1]
	s_andn2_b32 vcc_lo, exec_lo, s23
	s_cbranch_vccnz .LBB6_53
; %bb.52:
	v_add_co_u32 v68, vcc_lo, v143, v66
	v_add_co_ci_u32_e64 v69, null, v144, v67, vcc_lo
	flat_load_dword v68, v[68:69]
	s_waitcnt vmcnt(0) lgkmcnt(0)
	v_mul_f32_e32 v68, s22, v68
	s_branch .LBB6_54
.LBB6_53:
	v_mov_b32_e32 v68, 0
.LBB6_54:
	v_add_f32_e32 v69, v35, v63
	v_add_f32_e32 v70, v34, v62
	;; [unrolled: 1-line block ×4, first 2 shown]
	v_add_co_u32 v66, vcc_lo, v141, v66
	v_min3_f32 v69, v70, v69, v81
	v_add_co_ci_u32_e64 v67, null, v142, v67, vcc_lo
	v_min_f32_e32 v70, v72, v71
	v_min3_f32 v68, v68, v70, v69
	flat_store_dword v[66:67], v68
.LBB6_55:
	s_or_b32 exec_lo, exec_lo, s1
	v_add_nc_u32_e32 v66, 32, v0
	v_cmp_gt_i32_e64 s1, s12, v66
	v_ashrrev_i32_e32 v67, 31, v66
	s_and_b32 s3, s1, s8
	s_and_saveexec_b32 s2, s3
	s_cbranch_execz .LBB6_60
; %bb.56:
	v_cmp_ne_u32_e32 vcc_lo, 1, v121
	v_lshlrev_b64 v[68:69], 2, v[66:67]
	s_cbranch_vccnz .LBB6_58
; %bb.57:
	v_add_co_u32 v70, vcc_lo, v143, v68
	v_add_co_ci_u32_e64 v71, null, v144, v69, vcc_lo
	flat_load_dword v70, v[70:71]
	s_waitcnt vmcnt(0) lgkmcnt(0)
	v_mul_f32_e32 v70, s22, v70
	s_branch .LBB6_59
.LBB6_58:
	v_mov_b32_e32 v70, 0
.LBB6_59:
	v_add_f32_e32 v71, v31, v63
	v_add_f32_e32 v72, v30, v62
	v_add_f32_e32 v73, v33, v65
	v_add_f32_e32 v74, v32, v64
	v_add_co_u32 v68, vcc_lo, v141, v68
	v_min3_f32 v71, v72, v71, v79
	v_add_co_ci_u32_e64 v69, null, v142, v69, vcc_lo
	v_min_f32_e32 v72, v74, v73
	v_min3_f32 v70, v70, v72, v71
	flat_store_dword v[68:69], v70
.LBB6_60:
	s_or_b32 exec_lo, exec_lo, s2
	v_add_nc_u32_e32 v68, 64, v0
	v_cmp_gt_i32_e64 s2, s12, v68
	v_ashrrev_i32_e32 v69, 31, v68
	s_and_b32 s4, s2, s8
	s_and_saveexec_b32 s3, s4
	s_cbranch_execz .LBB6_65
; %bb.61:
	v_cmp_ne_u32_e32 vcc_lo, 1, v121
	v_lshlrev_b64 v[70:71], 2, v[68:69]
	s_cbranch_vccnz .LBB6_63
; %bb.62:
	v_add_co_u32 v72, vcc_lo, v143, v70
	v_add_co_ci_u32_e64 v73, null, v144, v71, vcc_lo
	flat_load_dword v72, v[72:73]
	s_waitcnt vmcnt(0) lgkmcnt(0)
	v_mul_f32_e32 v72, s22, v72
	s_branch .LBB6_64
.LBB6_63:
	v_mov_b32_e32 v72, 0
.LBB6_64:
	v_add_f32_e32 v73, v27, v63
	v_add_f32_e32 v74, v26, v62
	v_add_f32_e32 v79, v29, v65
	v_add_f32_e32 v81, v28, v64
	v_add_co_u32 v70, vcc_lo, v141, v70
	v_min3_f32 v73, v74, v73, v77
	v_add_co_ci_u32_e64 v71, null, v142, v71, vcc_lo
	v_min_f32_e32 v74, v81, v79
	v_min3_f32 v72, v72, v74, v73
	flat_store_dword v[70:71], v72
.LBB6_65:
	;; [unrolled: 32-line block ×6, first 2 shown]
	s_or_b32 exec_lo, exec_lo, s7
	v_add_nc_u32_e32 v78, 0xe0, v0
	v_cmp_gt_i32_e64 s7, s12, v78
	v_ashrrev_i32_e32 v79, 31, v78
	s_and_b32 s12, s7, s8
	s_and_saveexec_b32 s8, s12
	s_cbranch_execz .LBB6_90
; %bb.86:
	v_cmp_ne_u32_e32 vcc_lo, 1, v121
	v_lshlrev_b64 v[80:81], 2, v[78:79]
	s_cbranch_vccnz .LBB6_88
; %bb.87:
	v_add_co_u32 v143, vcc_lo, v143, v80
	v_add_co_ci_u32_e64 v144, null, v144, v81, vcc_lo
	flat_load_dword v143, v[143:144]
	s_waitcnt vmcnt(0) lgkmcnt(0)
	v_mul_f32_e32 v143, s22, v143
	s_branch .LBB6_89
.LBB6_88:
	v_mov_b32_e32 v143, 0
.LBB6_89:
	v_add_f32_e32 v63, v3, v63
	v_add_f32_e32 v62, v2, v62
	;; [unrolled: 1-line block ×4, first 2 shown]
	v_min3_f32 v62, v62, v63, v140
	v_min_f32_e32 v63, v64, v65
	v_min3_f32 v64, v143, v63, v62
	v_add_co_u32 v62, vcc_lo, v141, v80
	v_add_co_ci_u32_e64 v63, null, v142, v81, vcc_lo
	flat_store_dword v[62:63], v64
.LBB6_90:
	s_or_b32 exec_lo, exec_lo, s8
	v_add_nc_u32_e32 v80, 8, v132
	v_mad_i64_i32 v[62:63], null, v80, s14, 0
	v_mad_i64_i32 v[64:65], null, v80, s9, 0
	v_cmp_gt_i32_e64 s8, s13, v80
	v_lshlrev_b64 v[62:63], 2, v[62:63]
	s_and_b32 s17, s0, s8
	v_lshlrev_b64 v[64:65], 2, v[64:65]
	v_add_co_u32 v80, vcc_lo, s10, v62
	v_add_co_ci_u32_e64 v81, null, s11, v63, vcc_lo
	v_add_co_u32 v64, vcc_lo, s15, v64
	v_add_co_ci_u32_e64 v65, null, s16, v65, vcc_lo
	s_and_saveexec_b32 s12, s17
	s_cbranch_execnz .LBB6_98
; %bb.91:
	s_or_b32 exec_lo, exec_lo, s12
	s_and_b32 s17, s1, s8
	s_and_saveexec_b32 s12, s17
	s_cbranch_execnz .LBB6_102
.LBB6_92:
	s_or_b32 exec_lo, exec_lo, s12
	s_and_b32 s17, s2, s8
	s_and_saveexec_b32 s12, s17
	s_cbranch_execnz .LBB6_106
.LBB6_93:
	s_or_b32 exec_lo, exec_lo, s12
	s_and_b32 s17, s3, s8
	s_and_saveexec_b32 s12, s17
	s_cbranch_execnz .LBB6_110
.LBB6_94:
	s_or_b32 exec_lo, exec_lo, s12
	s_and_b32 s17, s4, s8
	s_and_saveexec_b32 s12, s17
	s_cbranch_execnz .LBB6_114
.LBB6_95:
	s_or_b32 exec_lo, exec_lo, s12
	s_and_b32 s17, s5, s8
	s_and_saveexec_b32 s12, s17
	s_cbranch_execnz .LBB6_118
.LBB6_96:
	s_or_b32 exec_lo, exec_lo, s12
	s_and_b32 s17, s6, s8
	s_and_saveexec_b32 s12, s17
	s_cbranch_execnz .LBB6_122
.LBB6_97:
	s_or_b32 exec_lo, exec_lo, s12
	s_and_b32 s12, s7, s8
	s_and_saveexec_b32 s8, s12
	s_cbranch_execnz .LBB6_126
	s_branch .LBB6_130
.LBB6_98:
	v_cmp_ne_u32_e32 vcc_lo, 1, v121
	v_lshlrev_b64 v[62:63], 2, v[0:1]
	s_cbranch_vccnz .LBB6_100
; %bb.99:
	v_add_co_u32 v140, vcc_lo, v80, v62
	v_add_co_ci_u32_e64 v141, null, v81, v63, vcc_lo
	flat_load_dword v140, v[140:141]
	s_waitcnt vmcnt(0) lgkmcnt(0)
	v_mul_f32_e32 v140, s22, v140
	s_branch .LBB6_101
.LBB6_100:
	v_mov_b32_e32 v140, 0
.LBB6_101:
	v_add_f32_e32 v141, v35, v59
	v_add_f32_e32 v142, v34, v58
	;; [unrolled: 1-line block ×4, first 2 shown]
	v_add_co_u32 v62, vcc_lo, v64, v62
	v_min3_f32 v139, v142, v141, v139
	v_add_co_ci_u32_e64 v63, null, v65, v63, vcc_lo
	v_min_f32_e32 v141, v144, v143
	v_min3_f32 v139, v140, v141, v139
	flat_store_dword v[62:63], v139
	s_or_b32 exec_lo, exec_lo, s12
	s_and_b32 s17, s1, s8
	s_and_saveexec_b32 s12, s17
	s_cbranch_execz .LBB6_92
.LBB6_102:
	v_cmp_ne_u32_e32 vcc_lo, 1, v121
	v_lshlrev_b64 v[62:63], 2, v[66:67]
	s_cbranch_vccnz .LBB6_104
; %bb.103:
	v_add_co_u32 v139, vcc_lo, v80, v62
	v_add_co_ci_u32_e64 v140, null, v81, v63, vcc_lo
	flat_load_dword v139, v[139:140]
	s_waitcnt vmcnt(0) lgkmcnt(0)
	v_mul_f32_e32 v139, s22, v139
	s_branch .LBB6_105
.LBB6_104:
	v_mov_b32_e32 v139, 0
.LBB6_105:
	v_add_f32_e32 v140, v31, v59
	v_add_f32_e32 v141, v30, v58
	;; [unrolled: 1-line block ×4, first 2 shown]
	v_add_co_u32 v62, vcc_lo, v64, v62
	v_min3_f32 v138, v141, v140, v138
	v_add_co_ci_u32_e64 v63, null, v65, v63, vcc_lo
	v_min_f32_e32 v140, v143, v142
	v_min3_f32 v138, v139, v140, v138
	flat_store_dword v[62:63], v138
	s_or_b32 exec_lo, exec_lo, s12
	s_and_b32 s17, s2, s8
	s_and_saveexec_b32 s12, s17
	s_cbranch_execz .LBB6_93
.LBB6_106:
	v_cmp_ne_u32_e32 vcc_lo, 1, v121
	v_lshlrev_b64 v[62:63], 2, v[68:69]
	s_cbranch_vccnz .LBB6_108
; %bb.107:
	v_add_co_u32 v138, vcc_lo, v80, v62
	v_add_co_ci_u32_e64 v139, null, v81, v63, vcc_lo
	flat_load_dword v138, v[138:139]
	s_waitcnt vmcnt(0) lgkmcnt(0)
	v_mul_f32_e32 v138, s22, v138
	s_branch .LBB6_109
.LBB6_108:
	v_mov_b32_e32 v138, 0
.LBB6_109:
	v_add_f32_e32 v139, v27, v59
	v_add_f32_e32 v140, v26, v58
	;; [unrolled: 1-line block ×4, first 2 shown]
	v_add_co_u32 v62, vcc_lo, v64, v62
	v_min3_f32 v137, v140, v139, v137
	v_add_co_ci_u32_e64 v63, null, v65, v63, vcc_lo
	v_min_f32_e32 v139, v142, v141
	v_min3_f32 v137, v138, v139, v137
	flat_store_dword v[62:63], v137
	s_or_b32 exec_lo, exec_lo, s12
	s_and_b32 s17, s3, s8
	s_and_saveexec_b32 s12, s17
	s_cbranch_execz .LBB6_94
.LBB6_110:
	v_cmp_ne_u32_e32 vcc_lo, 1, v121
	v_lshlrev_b64 v[62:63], 2, v[70:71]
	s_cbranch_vccnz .LBB6_112
; %bb.111:
	v_add_co_u32 v137, vcc_lo, v80, v62
	v_add_co_ci_u32_e64 v138, null, v81, v63, vcc_lo
	flat_load_dword v137, v[137:138]
	s_waitcnt vmcnt(0) lgkmcnt(0)
	v_mul_f32_e32 v137, s22, v137
	s_branch .LBB6_113
.LBB6_112:
	v_mov_b32_e32 v137, 0
.LBB6_113:
	v_add_f32_e32 v138, v23, v59
	v_add_f32_e32 v139, v22, v58
	;; [unrolled: 1-line block ×4, first 2 shown]
	v_add_co_u32 v62, vcc_lo, v64, v62
	v_min3_f32 v136, v139, v138, v136
	v_add_co_ci_u32_e64 v63, null, v65, v63, vcc_lo
	v_min_f32_e32 v138, v141, v140
	v_min3_f32 v136, v137, v138, v136
	flat_store_dword v[62:63], v136
	s_or_b32 exec_lo, exec_lo, s12
	s_and_b32 s17, s4, s8
	s_and_saveexec_b32 s12, s17
	s_cbranch_execz .LBB6_95
.LBB6_114:
	v_cmp_ne_u32_e32 vcc_lo, 1, v121
	v_lshlrev_b64 v[62:63], 2, v[72:73]
	s_cbranch_vccnz .LBB6_116
; %bb.115:
	v_add_co_u32 v136, vcc_lo, v80, v62
	v_add_co_ci_u32_e64 v137, null, v81, v63, vcc_lo
	flat_load_dword v136, v[136:137]
	s_waitcnt vmcnt(0) lgkmcnt(0)
	v_mul_f32_e32 v136, s22, v136
	s_branch .LBB6_117
.LBB6_116:
	v_mov_b32_e32 v136, 0
.LBB6_117:
	v_add_f32_e32 v137, v19, v59
	v_add_f32_e32 v138, v18, v58
	;; [unrolled: 1-line block ×4, first 2 shown]
	v_add_co_u32 v62, vcc_lo, v64, v62
	v_min3_f32 v135, v138, v137, v135
	v_add_co_ci_u32_e64 v63, null, v65, v63, vcc_lo
	v_min_f32_e32 v137, v140, v139
	v_min3_f32 v135, v136, v137, v135
	flat_store_dword v[62:63], v135
	s_or_b32 exec_lo, exec_lo, s12
	s_and_b32 s17, s5, s8
	s_and_saveexec_b32 s12, s17
	s_cbranch_execz .LBB6_96
.LBB6_118:
	v_cmp_ne_u32_e32 vcc_lo, 1, v121
	v_lshlrev_b64 v[62:63], 2, v[74:75]
	s_cbranch_vccnz .LBB6_120
; %bb.119:
	v_add_co_u32 v135, vcc_lo, v80, v62
	v_add_co_ci_u32_e64 v136, null, v81, v63, vcc_lo
	flat_load_dword v135, v[135:136]
	s_waitcnt vmcnt(0) lgkmcnt(0)
	v_mul_f32_e32 v135, s22, v135
	s_branch .LBB6_121
.LBB6_120:
	v_mov_b32_e32 v135, 0
.LBB6_121:
	v_add_f32_e32 v136, v15, v59
	v_add_f32_e32 v137, v14, v58
	v_add_f32_e32 v138, v17, v61
	v_add_f32_e32 v139, v16, v60
	v_add_co_u32 v62, vcc_lo, v64, v62
	v_min3_f32 v134, v137, v136, v134
	v_add_co_ci_u32_e64 v63, null, v65, v63, vcc_lo
	v_min_f32_e32 v136, v139, v138
	v_min3_f32 v134, v135, v136, v134
	flat_store_dword v[62:63], v134
	s_or_b32 exec_lo, exec_lo, s12
	s_and_b32 s17, s6, s8
	s_and_saveexec_b32 s12, s17
	s_cbranch_execz .LBB6_97
.LBB6_122:
	v_cmp_ne_u32_e32 vcc_lo, 1, v121
	v_lshlrev_b64 v[62:63], 2, v[76:77]
	s_cbranch_vccnz .LBB6_124
; %bb.123:
	v_add_co_u32 v134, vcc_lo, v80, v62
	v_add_co_ci_u32_e64 v135, null, v81, v63, vcc_lo
	flat_load_dword v134, v[134:135]
	s_waitcnt vmcnt(0) lgkmcnt(0)
	v_mul_f32_e32 v134, s22, v134
	s_branch .LBB6_125
.LBB6_124:
	v_mov_b32_e32 v134, 0
.LBB6_125:
	v_add_f32_e32 v135, v11, v59
	v_add_f32_e32 v136, v10, v58
	v_add_f32_e32 v137, v13, v61
	v_add_f32_e32 v138, v12, v60
	v_add_co_u32 v62, vcc_lo, v64, v62
	v_min3_f32 v133, v136, v135, v133
	v_add_co_ci_u32_e64 v63, null, v65, v63, vcc_lo
	v_min_f32_e32 v135, v138, v137
	v_min3_f32 v133, v134, v135, v133
	flat_store_dword v[62:63], v133
	s_or_b32 exec_lo, exec_lo, s12
	s_and_b32 s12, s7, s8
	s_and_saveexec_b32 s8, s12
	s_cbranch_execz .LBB6_130
.LBB6_126:
	v_cmp_ne_u32_e32 vcc_lo, 1, v121
	v_lshlrev_b64 v[62:63], 2, v[78:79]
	s_cbranch_vccnz .LBB6_128
; %bb.127:
	v_add_co_u32 v80, vcc_lo, v80, v62
	v_add_co_ci_u32_e64 v81, null, v81, v63, vcc_lo
	flat_load_dword v80, v[80:81]
	s_waitcnt vmcnt(0) lgkmcnt(0)
	v_mul_f32_e32 v80, s22, v80
	s_branch .LBB6_129
.LBB6_128:
	v_mov_b32_e32 v80, 0
.LBB6_129:
	v_add_f32_e32 v59, v3, v59
	v_add_f32_e32 v58, v2, v58
	;; [unrolled: 1-line block ×4, first 2 shown]
	v_min3_f32 v58, v58, v59, v131
	v_min_f32_e32 v59, v60, v61
	v_min3_f32 v60, v80, v59, v58
	v_add_co_u32 v58, vcc_lo, v64, v62
	v_add_co_ci_u32_e64 v59, null, v65, v63, vcc_lo
	flat_store_dword v[58:59], v60
.LBB6_130:
	s_or_b32 exec_lo, exec_lo, s8
	v_add_nc_u32_e32 v62, 16, v132
	v_mad_i64_i32 v[58:59], null, v62, s14, 0
	v_mad_i64_i32 v[60:61], null, v62, s9, 0
	v_cmp_gt_i32_e64 s8, s13, v62
	v_lshlrev_b64 v[58:59], 2, v[58:59]
	s_and_b32 s17, s0, s8
	v_lshlrev_b64 v[60:61], 2, v[60:61]
	v_add_co_u32 v62, vcc_lo, s10, v58
	v_add_co_ci_u32_e64 v63, null, s11, v59, vcc_lo
	v_add_co_u32 v60, vcc_lo, s15, v60
	v_add_co_ci_u32_e64 v61, null, s16, v61, vcc_lo
	s_and_saveexec_b32 s12, s17
	s_cbranch_execnz .LBB6_138
; %bb.131:
	s_or_b32 exec_lo, exec_lo, s12
	s_and_b32 s17, s1, s8
	s_and_saveexec_b32 s12, s17
	s_cbranch_execnz .LBB6_142
.LBB6_132:
	s_or_b32 exec_lo, exec_lo, s12
	s_and_b32 s17, s2, s8
	s_and_saveexec_b32 s12, s17
	s_cbranch_execnz .LBB6_146
.LBB6_133:
	s_or_b32 exec_lo, exec_lo, s12
	s_and_b32 s17, s3, s8
	s_and_saveexec_b32 s12, s17
	s_cbranch_execnz .LBB6_150
.LBB6_134:
	s_or_b32 exec_lo, exec_lo, s12
	s_and_b32 s17, s4, s8
	s_and_saveexec_b32 s12, s17
	s_cbranch_execnz .LBB6_154
.LBB6_135:
	s_or_b32 exec_lo, exec_lo, s12
	s_and_b32 s17, s5, s8
	s_and_saveexec_b32 s12, s17
	s_cbranch_execnz .LBB6_158
.LBB6_136:
	s_or_b32 exec_lo, exec_lo, s12
	s_and_b32 s17, s6, s8
	s_and_saveexec_b32 s12, s17
	s_cbranch_execnz .LBB6_162
.LBB6_137:
	s_or_b32 exec_lo, exec_lo, s12
	s_and_b32 s12, s7, s8
	s_and_saveexec_b32 s8, s12
	s_cbranch_execnz .LBB6_166
	s_branch .LBB6_170
.LBB6_138:
	v_cmp_ne_u32_e32 vcc_lo, 1, v121
	v_lshlrev_b64 v[58:59], 2, v[0:1]
	s_cbranch_vccnz .LBB6_140
; %bb.139:
	v_add_co_u32 v64, vcc_lo, v62, v58
	v_add_co_ci_u32_e64 v65, null, v63, v59, vcc_lo
	flat_load_dword v64, v[64:65]
	s_waitcnt vmcnt(0) lgkmcnt(0)
	v_mul_f32_e32 v64, s22, v64
	s_branch .LBB6_141
.LBB6_140:
	v_mov_b32_e32 v64, 0
.LBB6_141:
	v_add_f32_e32 v65, v35, v55
	v_add_f32_e32 v80, v34, v54
	;; [unrolled: 1-line block ×4, first 2 shown]
	v_add_co_u32 v58, vcc_lo, v60, v58
	v_min3_f32 v65, v80, v65, v130
	v_add_co_ci_u32_e64 v59, null, v61, v59, vcc_lo
	v_min_f32_e32 v80, v131, v81
	v_min3_f32 v64, v64, v80, v65
	flat_store_dword v[58:59], v64
	s_or_b32 exec_lo, exec_lo, s12
	s_and_b32 s17, s1, s8
	s_and_saveexec_b32 s12, s17
	s_cbranch_execz .LBB6_132
.LBB6_142:
	v_cmp_ne_u32_e32 vcc_lo, 1, v121
	v_lshlrev_b64 v[58:59], 2, v[66:67]
	s_cbranch_vccnz .LBB6_144
; %bb.143:
	v_add_co_u32 v64, vcc_lo, v62, v58
	v_add_co_ci_u32_e64 v65, null, v63, v59, vcc_lo
	flat_load_dword v64, v[64:65]
	s_waitcnt vmcnt(0) lgkmcnt(0)
	v_mul_f32_e32 v64, s22, v64
	s_branch .LBB6_145
.LBB6_144:
	v_mov_b32_e32 v64, 0
.LBB6_145:
	v_add_f32_e32 v65, v31, v55
	v_add_f32_e32 v80, v30, v54
	;; [unrolled: 1-line block ×4, first 2 shown]
	v_add_co_u32 v58, vcc_lo, v60, v58
	v_min3_f32 v65, v80, v65, v129
	v_add_co_ci_u32_e64 v59, null, v61, v59, vcc_lo
	v_min_f32_e32 v80, v130, v81
	v_min3_f32 v64, v64, v80, v65
	flat_store_dword v[58:59], v64
	s_or_b32 exec_lo, exec_lo, s12
	s_and_b32 s17, s2, s8
	s_and_saveexec_b32 s12, s17
	s_cbranch_execz .LBB6_133
.LBB6_146:
	v_cmp_ne_u32_e32 vcc_lo, 1, v121
	v_lshlrev_b64 v[58:59], 2, v[68:69]
	s_cbranch_vccnz .LBB6_148
; %bb.147:
	v_add_co_u32 v64, vcc_lo, v62, v58
	v_add_co_ci_u32_e64 v65, null, v63, v59, vcc_lo
	flat_load_dword v64, v[64:65]
	s_waitcnt vmcnt(0) lgkmcnt(0)
	v_mul_f32_e32 v64, s22, v64
	s_branch .LBB6_149
.LBB6_148:
	v_mov_b32_e32 v64, 0
.LBB6_149:
	v_add_f32_e32 v65, v27, v55
	v_add_f32_e32 v80, v26, v54
	v_add_f32_e32 v81, v29, v57
	v_add_f32_e32 v129, v28, v56
	v_add_co_u32 v58, vcc_lo, v60, v58
	v_min3_f32 v65, v80, v65, v128
	v_add_co_ci_u32_e64 v59, null, v61, v59, vcc_lo
	v_min_f32_e32 v80, v129, v81
	v_min3_f32 v64, v64, v80, v65
	flat_store_dword v[58:59], v64
	s_or_b32 exec_lo, exec_lo, s12
	s_and_b32 s17, s3, s8
	s_and_saveexec_b32 s12, s17
	s_cbranch_execz .LBB6_134
.LBB6_150:
	v_cmp_ne_u32_e32 vcc_lo, 1, v121
	v_lshlrev_b64 v[58:59], 2, v[70:71]
	s_cbranch_vccnz .LBB6_152
; %bb.151:
	v_add_co_u32 v64, vcc_lo, v62, v58
	v_add_co_ci_u32_e64 v65, null, v63, v59, vcc_lo
	flat_load_dword v64, v[64:65]
	s_waitcnt vmcnt(0) lgkmcnt(0)
	v_mul_f32_e32 v64, s22, v64
	s_branch .LBB6_153
.LBB6_152:
	v_mov_b32_e32 v64, 0
.LBB6_153:
	v_add_f32_e32 v65, v23, v55
	v_add_f32_e32 v80, v22, v54
	;; [unrolled: 1-line block ×4, first 2 shown]
	v_add_co_u32 v58, vcc_lo, v60, v58
	v_min3_f32 v65, v80, v65, v127
	v_add_co_ci_u32_e64 v59, null, v61, v59, vcc_lo
	v_min_f32_e32 v80, v128, v81
	v_min3_f32 v64, v64, v80, v65
	flat_store_dword v[58:59], v64
	s_or_b32 exec_lo, exec_lo, s12
	s_and_b32 s17, s4, s8
	s_and_saveexec_b32 s12, s17
	s_cbranch_execz .LBB6_135
.LBB6_154:
	v_cmp_ne_u32_e32 vcc_lo, 1, v121
	v_lshlrev_b64 v[58:59], 2, v[72:73]
	s_cbranch_vccnz .LBB6_156
; %bb.155:
	v_add_co_u32 v64, vcc_lo, v62, v58
	v_add_co_ci_u32_e64 v65, null, v63, v59, vcc_lo
	flat_load_dword v64, v[64:65]
	s_waitcnt vmcnt(0) lgkmcnt(0)
	v_mul_f32_e32 v64, s22, v64
	s_branch .LBB6_157
.LBB6_156:
	v_mov_b32_e32 v64, 0
.LBB6_157:
	v_add_f32_e32 v65, v19, v55
	v_add_f32_e32 v80, v18, v54
	;; [unrolled: 1-line block ×4, first 2 shown]
	v_add_co_u32 v58, vcc_lo, v60, v58
	v_min3_f32 v65, v80, v65, v126
	v_add_co_ci_u32_e64 v59, null, v61, v59, vcc_lo
	v_min_f32_e32 v80, v127, v81
	v_min3_f32 v64, v64, v80, v65
	flat_store_dword v[58:59], v64
	s_or_b32 exec_lo, exec_lo, s12
	s_and_b32 s17, s5, s8
	s_and_saveexec_b32 s12, s17
	s_cbranch_execz .LBB6_136
.LBB6_158:
	v_cmp_ne_u32_e32 vcc_lo, 1, v121
	v_lshlrev_b64 v[58:59], 2, v[74:75]
	s_cbranch_vccnz .LBB6_160
; %bb.159:
	v_add_co_u32 v64, vcc_lo, v62, v58
	v_add_co_ci_u32_e64 v65, null, v63, v59, vcc_lo
	flat_load_dword v64, v[64:65]
	s_waitcnt vmcnt(0) lgkmcnt(0)
	v_mul_f32_e32 v64, s22, v64
	s_branch .LBB6_161
.LBB6_160:
	v_mov_b32_e32 v64, 0
.LBB6_161:
	v_add_f32_e32 v65, v15, v55
	v_add_f32_e32 v80, v14, v54
	;; [unrolled: 1-line block ×4, first 2 shown]
	v_add_co_u32 v58, vcc_lo, v60, v58
	v_min3_f32 v65, v80, v65, v125
	v_add_co_ci_u32_e64 v59, null, v61, v59, vcc_lo
	v_min_f32_e32 v80, v126, v81
	v_min3_f32 v64, v64, v80, v65
	flat_store_dword v[58:59], v64
	s_or_b32 exec_lo, exec_lo, s12
	s_and_b32 s17, s6, s8
	s_and_saveexec_b32 s12, s17
	s_cbranch_execz .LBB6_137
.LBB6_162:
	v_cmp_ne_u32_e32 vcc_lo, 1, v121
	v_lshlrev_b64 v[58:59], 2, v[76:77]
	s_cbranch_vccnz .LBB6_164
; %bb.163:
	v_add_co_u32 v64, vcc_lo, v62, v58
	v_add_co_ci_u32_e64 v65, null, v63, v59, vcc_lo
	flat_load_dword v64, v[64:65]
	s_waitcnt vmcnt(0) lgkmcnt(0)
	v_mul_f32_e32 v64, s22, v64
	s_branch .LBB6_165
.LBB6_164:
	v_mov_b32_e32 v64, 0
.LBB6_165:
	v_add_f32_e32 v65, v11, v55
	v_add_f32_e32 v80, v10, v54
	;; [unrolled: 1-line block ×4, first 2 shown]
	v_add_co_u32 v58, vcc_lo, v60, v58
	v_min3_f32 v65, v80, v65, v124
	v_add_co_ci_u32_e64 v59, null, v61, v59, vcc_lo
	v_min_f32_e32 v80, v125, v81
	v_min3_f32 v64, v64, v80, v65
	flat_store_dword v[58:59], v64
	s_or_b32 exec_lo, exec_lo, s12
	s_and_b32 s12, s7, s8
	s_and_saveexec_b32 s8, s12
	s_cbranch_execz .LBB6_170
.LBB6_166:
	v_cmp_ne_u32_e32 vcc_lo, 1, v121
	v_lshlrev_b64 v[58:59], 2, v[78:79]
	s_cbranch_vccnz .LBB6_168
; %bb.167:
	v_add_co_u32 v62, vcc_lo, v62, v58
	v_add_co_ci_u32_e64 v63, null, v63, v59, vcc_lo
	flat_load_dword v62, v[62:63]
	s_waitcnt vmcnt(0) lgkmcnt(0)
	v_mul_f32_e32 v62, s22, v62
	s_branch .LBB6_169
.LBB6_168:
	v_mov_b32_e32 v62, 0
.LBB6_169:
	v_add_f32_e32 v55, v3, v55
	v_add_f32_e32 v54, v2, v54
	;; [unrolled: 1-line block ×4, first 2 shown]
	v_min3_f32 v54, v54, v55, v122
	v_min_f32_e32 v55, v56, v57
	v_min3_f32 v56, v62, v55, v54
	v_add_co_u32 v54, vcc_lo, v60, v58
	v_add_co_ci_u32_e64 v55, null, v61, v59, vcc_lo
	flat_store_dword v[54:55], v56
.LBB6_170:
	s_or_b32 exec_lo, exec_lo, s8
	v_add_nc_u32_e32 v58, 24, v132
	v_mad_i64_i32 v[54:55], null, v58, s14, 0
	v_mad_i64_i32 v[56:57], null, v58, s9, 0
	v_cmp_gt_i32_e64 s8, s13, v58
	v_lshlrev_b64 v[54:55], 2, v[54:55]
	s_and_b32 s17, s0, s8
	v_lshlrev_b64 v[56:57], 2, v[56:57]
	v_add_co_u32 v58, vcc_lo, s10, v54
	v_add_co_ci_u32_e64 v59, null, s11, v55, vcc_lo
	v_add_co_u32 v56, vcc_lo, s15, v56
	v_add_co_ci_u32_e64 v57, null, s16, v57, vcc_lo
	s_and_saveexec_b32 s12, s17
	s_cbranch_execnz .LBB6_178
; %bb.171:
	s_or_b32 exec_lo, exec_lo, s12
	s_and_b32 s17, s1, s8
	s_and_saveexec_b32 s12, s17
	s_cbranch_execnz .LBB6_182
.LBB6_172:
	s_or_b32 exec_lo, exec_lo, s12
	s_and_b32 s17, s2, s8
	s_and_saveexec_b32 s12, s17
	s_cbranch_execnz .LBB6_186
.LBB6_173:
	s_or_b32 exec_lo, exec_lo, s12
	s_and_b32 s17, s3, s8
	s_and_saveexec_b32 s12, s17
	s_cbranch_execnz .LBB6_190
.LBB6_174:
	s_or_b32 exec_lo, exec_lo, s12
	s_and_b32 s17, s4, s8
	s_and_saveexec_b32 s12, s17
	s_cbranch_execnz .LBB6_194
.LBB6_175:
	s_or_b32 exec_lo, exec_lo, s12
	s_and_b32 s17, s5, s8
	s_and_saveexec_b32 s12, s17
	s_cbranch_execnz .LBB6_198
.LBB6_176:
	s_or_b32 exec_lo, exec_lo, s12
	s_and_b32 s17, s6, s8
	s_and_saveexec_b32 s12, s17
	s_cbranch_execnz .LBB6_202
.LBB6_177:
	s_or_b32 exec_lo, exec_lo, s12
	s_and_b32 s12, s7, s8
	s_and_saveexec_b32 s8, s12
	s_cbranch_execnz .LBB6_206
	s_branch .LBB6_210
.LBB6_178:
	v_cmp_ne_u32_e32 vcc_lo, 1, v121
	v_lshlrev_b64 v[54:55], 2, v[0:1]
	s_cbranch_vccnz .LBB6_180
; %bb.179:
	v_add_co_u32 v60, vcc_lo, v58, v54
	v_add_co_ci_u32_e64 v61, null, v59, v55, vcc_lo
	flat_load_dword v60, v[60:61]
	s_waitcnt vmcnt(0) lgkmcnt(0)
	v_mul_f32_e32 v60, s22, v60
	s_branch .LBB6_181
.LBB6_180:
	v_mov_b32_e32 v60, 0
.LBB6_181:
	v_add_f32_e32 v61, v35, v51
	v_add_f32_e32 v62, v34, v50
	;; [unrolled: 1-line block ×4, first 2 shown]
	v_add_co_u32 v54, vcc_lo, v56, v54
	v_min3_f32 v61, v62, v61, v123
	v_add_co_ci_u32_e64 v55, null, v57, v55, vcc_lo
	v_min_f32_e32 v62, v64, v63
	v_min3_f32 v60, v60, v62, v61
	flat_store_dword v[54:55], v60
	s_or_b32 exec_lo, exec_lo, s12
	s_and_b32 s17, s1, s8
	s_and_saveexec_b32 s12, s17
	s_cbranch_execz .LBB6_172
.LBB6_182:
	v_cmp_ne_u32_e32 vcc_lo, 1, v121
	v_lshlrev_b64 v[54:55], 2, v[66:67]
	s_cbranch_vccnz .LBB6_184
; %bb.183:
	v_add_co_u32 v60, vcc_lo, v58, v54
	v_add_co_ci_u32_e64 v61, null, v59, v55, vcc_lo
	flat_load_dword v60, v[60:61]
	s_waitcnt vmcnt(0) lgkmcnt(0)
	v_mul_f32_e32 v60, s22, v60
	s_branch .LBB6_185
.LBB6_184:
	v_mov_b32_e32 v60, 0
.LBB6_185:
	v_add_f32_e32 v61, v31, v51
	v_add_f32_e32 v62, v30, v50
	;; [unrolled: 1-line block ×4, first 2 shown]
	v_add_co_u32 v54, vcc_lo, v56, v54
	v_min3_f32 v61, v62, v61, v120
	v_add_co_ci_u32_e64 v55, null, v57, v55, vcc_lo
	v_min_f32_e32 v62, v64, v63
	v_min3_f32 v60, v60, v62, v61
	flat_store_dword v[54:55], v60
	s_or_b32 exec_lo, exec_lo, s12
	s_and_b32 s17, s2, s8
	s_and_saveexec_b32 s12, s17
	s_cbranch_execz .LBB6_173
.LBB6_186:
	v_cmp_ne_u32_e32 vcc_lo, 1, v121
	v_lshlrev_b64 v[54:55], 2, v[68:69]
	s_cbranch_vccnz .LBB6_188
; %bb.187:
	v_add_co_u32 v60, vcc_lo, v58, v54
	v_add_co_ci_u32_e64 v61, null, v59, v55, vcc_lo
	flat_load_dword v60, v[60:61]
	s_waitcnt vmcnt(0) lgkmcnt(0)
	v_mul_f32_e32 v60, s22, v60
	s_branch .LBB6_189
.LBB6_188:
	v_mov_b32_e32 v60, 0
.LBB6_189:
	v_add_f32_e32 v61, v27, v51
	v_add_f32_e32 v62, v26, v50
	;; [unrolled: 1-line block ×4, first 2 shown]
	v_add_co_u32 v54, vcc_lo, v56, v54
	v_min3_f32 v61, v62, v61, v119
	v_add_co_ci_u32_e64 v55, null, v57, v55, vcc_lo
	v_min_f32_e32 v62, v64, v63
	v_min3_f32 v60, v60, v62, v61
	flat_store_dword v[54:55], v60
	s_or_b32 exec_lo, exec_lo, s12
	s_and_b32 s17, s3, s8
	s_and_saveexec_b32 s12, s17
	s_cbranch_execz .LBB6_174
.LBB6_190:
	v_cmp_ne_u32_e32 vcc_lo, 1, v121
	v_lshlrev_b64 v[54:55], 2, v[70:71]
	s_cbranch_vccnz .LBB6_192
; %bb.191:
	v_add_co_u32 v60, vcc_lo, v58, v54
	v_add_co_ci_u32_e64 v61, null, v59, v55, vcc_lo
	flat_load_dword v60, v[60:61]
	s_waitcnt vmcnt(0) lgkmcnt(0)
	v_mul_f32_e32 v60, s22, v60
	s_branch .LBB6_193
.LBB6_192:
	v_mov_b32_e32 v60, 0
.LBB6_193:
	v_add_f32_e32 v61, v23, v51
	v_add_f32_e32 v62, v22, v50
	;; [unrolled: 1-line block ×4, first 2 shown]
	v_add_co_u32 v54, vcc_lo, v56, v54
	v_min3_f32 v61, v62, v61, v118
	v_add_co_ci_u32_e64 v55, null, v57, v55, vcc_lo
	v_min_f32_e32 v62, v64, v63
	v_min3_f32 v60, v60, v62, v61
	flat_store_dword v[54:55], v60
	s_or_b32 exec_lo, exec_lo, s12
	s_and_b32 s17, s4, s8
	s_and_saveexec_b32 s12, s17
	s_cbranch_execz .LBB6_175
.LBB6_194:
	v_cmp_ne_u32_e32 vcc_lo, 1, v121
	v_lshlrev_b64 v[54:55], 2, v[72:73]
	s_cbranch_vccnz .LBB6_196
; %bb.195:
	v_add_co_u32 v60, vcc_lo, v58, v54
	v_add_co_ci_u32_e64 v61, null, v59, v55, vcc_lo
	flat_load_dword v60, v[60:61]
	s_waitcnt vmcnt(0) lgkmcnt(0)
	v_mul_f32_e32 v60, s22, v60
	s_branch .LBB6_197
.LBB6_196:
	v_mov_b32_e32 v60, 0
.LBB6_197:
	v_add_f32_e32 v61, v19, v51
	v_add_f32_e32 v62, v18, v50
	;; [unrolled: 1-line block ×4, first 2 shown]
	v_add_co_u32 v54, vcc_lo, v56, v54
	v_min3_f32 v61, v62, v61, v117
	v_add_co_ci_u32_e64 v55, null, v57, v55, vcc_lo
	v_min_f32_e32 v62, v64, v63
	v_min3_f32 v60, v60, v62, v61
	flat_store_dword v[54:55], v60
	s_or_b32 exec_lo, exec_lo, s12
	s_and_b32 s17, s5, s8
	s_and_saveexec_b32 s12, s17
	s_cbranch_execz .LBB6_176
.LBB6_198:
	v_cmp_ne_u32_e32 vcc_lo, 1, v121
	v_lshlrev_b64 v[54:55], 2, v[74:75]
	s_cbranch_vccnz .LBB6_200
; %bb.199:
	v_add_co_u32 v60, vcc_lo, v58, v54
	v_add_co_ci_u32_e64 v61, null, v59, v55, vcc_lo
	flat_load_dword v60, v[60:61]
	s_waitcnt vmcnt(0) lgkmcnt(0)
	v_mul_f32_e32 v60, s22, v60
	s_branch .LBB6_201
.LBB6_200:
	v_mov_b32_e32 v60, 0
.LBB6_201:
	v_add_f32_e32 v61, v15, v51
	v_add_f32_e32 v62, v14, v50
	;; [unrolled: 1-line block ×4, first 2 shown]
	v_add_co_u32 v54, vcc_lo, v56, v54
	v_min3_f32 v61, v62, v61, v116
	v_add_co_ci_u32_e64 v55, null, v57, v55, vcc_lo
	v_min_f32_e32 v62, v64, v63
	v_min3_f32 v60, v60, v62, v61
	flat_store_dword v[54:55], v60
	s_or_b32 exec_lo, exec_lo, s12
	s_and_b32 s17, s6, s8
	s_and_saveexec_b32 s12, s17
	s_cbranch_execz .LBB6_177
.LBB6_202:
	v_cmp_ne_u32_e32 vcc_lo, 1, v121
	v_lshlrev_b64 v[54:55], 2, v[76:77]
	s_cbranch_vccnz .LBB6_204
; %bb.203:
	v_add_co_u32 v60, vcc_lo, v58, v54
	v_add_co_ci_u32_e64 v61, null, v59, v55, vcc_lo
	flat_load_dword v60, v[60:61]
	s_waitcnt vmcnt(0) lgkmcnt(0)
	v_mul_f32_e32 v60, s22, v60
	s_branch .LBB6_205
.LBB6_204:
	v_mov_b32_e32 v60, 0
.LBB6_205:
	v_add_f32_e32 v61, v11, v51
	v_add_f32_e32 v62, v10, v50
	;; [unrolled: 1-line block ×4, first 2 shown]
	v_add_co_u32 v54, vcc_lo, v56, v54
	v_min3_f32 v61, v62, v61, v115
	v_add_co_ci_u32_e64 v55, null, v57, v55, vcc_lo
	v_min_f32_e32 v62, v64, v63
	v_min3_f32 v60, v60, v62, v61
	flat_store_dword v[54:55], v60
	s_or_b32 exec_lo, exec_lo, s12
	s_and_b32 s12, s7, s8
	s_and_saveexec_b32 s8, s12
	s_cbranch_execz .LBB6_210
.LBB6_206:
	v_cmp_ne_u32_e32 vcc_lo, 1, v121
	v_lshlrev_b64 v[54:55], 2, v[78:79]
	s_cbranch_vccnz .LBB6_208
; %bb.207:
	v_add_co_u32 v58, vcc_lo, v58, v54
	v_add_co_ci_u32_e64 v59, null, v59, v55, vcc_lo
	flat_load_dword v58, v[58:59]
	s_waitcnt vmcnt(0) lgkmcnt(0)
	v_mul_f32_e32 v58, s22, v58
	s_branch .LBB6_209
.LBB6_208:
	v_mov_b32_e32 v58, 0
.LBB6_209:
	v_add_f32_e32 v51, v3, v51
	v_add_f32_e32 v50, v2, v50
	;; [unrolled: 1-line block ×4, first 2 shown]
	v_min3_f32 v50, v50, v51, v114
	v_min_f32_e32 v51, v52, v53
	v_min3_f32 v52, v58, v51, v50
	v_add_co_u32 v50, vcc_lo, v56, v54
	v_add_co_ci_u32_e64 v51, null, v57, v55, vcc_lo
	flat_store_dword v[50:51], v52
.LBB6_210:
	s_or_b32 exec_lo, exec_lo, s8
	v_add_nc_u32_e32 v54, 32, v132
	v_mad_i64_i32 v[50:51], null, v54, s14, 0
	v_mad_i64_i32 v[52:53], null, v54, s9, 0
	v_cmp_gt_i32_e64 s8, s13, v54
	v_lshlrev_b64 v[50:51], 2, v[50:51]
	s_and_b32 s17, s0, s8
	v_lshlrev_b64 v[52:53], 2, v[52:53]
	v_add_co_u32 v54, vcc_lo, s10, v50
	v_add_co_ci_u32_e64 v55, null, s11, v51, vcc_lo
	v_add_co_u32 v52, vcc_lo, s15, v52
	v_add_co_ci_u32_e64 v53, null, s16, v53, vcc_lo
	s_and_saveexec_b32 s12, s17
	s_cbranch_execnz .LBB6_218
; %bb.211:
	s_or_b32 exec_lo, exec_lo, s12
	s_and_b32 s17, s1, s8
	s_and_saveexec_b32 s12, s17
	s_cbranch_execnz .LBB6_222
.LBB6_212:
	s_or_b32 exec_lo, exec_lo, s12
	s_and_b32 s17, s2, s8
	s_and_saveexec_b32 s12, s17
	s_cbranch_execnz .LBB6_226
.LBB6_213:
	s_or_b32 exec_lo, exec_lo, s12
	s_and_b32 s17, s3, s8
	s_and_saveexec_b32 s12, s17
	s_cbranch_execnz .LBB6_230
.LBB6_214:
	s_or_b32 exec_lo, exec_lo, s12
	s_and_b32 s17, s4, s8
	s_and_saveexec_b32 s12, s17
	s_cbranch_execnz .LBB6_234
.LBB6_215:
	s_or_b32 exec_lo, exec_lo, s12
	s_and_b32 s17, s5, s8
	s_and_saveexec_b32 s12, s17
	s_cbranch_execnz .LBB6_238
.LBB6_216:
	s_or_b32 exec_lo, exec_lo, s12
	s_and_b32 s17, s6, s8
	s_and_saveexec_b32 s12, s17
	s_cbranch_execnz .LBB6_242
.LBB6_217:
	s_or_b32 exec_lo, exec_lo, s12
	s_and_b32 s12, s7, s8
	s_and_saveexec_b32 s8, s12
	s_cbranch_execnz .LBB6_246
	s_branch .LBB6_250
.LBB6_218:
	v_cmp_ne_u32_e32 vcc_lo, 1, v121
	v_lshlrev_b64 v[50:51], 2, v[0:1]
	s_cbranch_vccnz .LBB6_220
; %bb.219:
	v_add_co_u32 v56, vcc_lo, v54, v50
	v_add_co_ci_u32_e64 v57, null, v55, v51, vcc_lo
	flat_load_dword v56, v[56:57]
	s_waitcnt vmcnt(0) lgkmcnt(0)
	v_mul_f32_e32 v56, s22, v56
	s_branch .LBB6_221
.LBB6_220:
	v_mov_b32_e32 v56, 0
.LBB6_221:
	v_add_f32_e32 v57, v35, v47
	v_add_f32_e32 v58, v34, v46
	;; [unrolled: 1-line block ×4, first 2 shown]
	v_add_co_u32 v50, vcc_lo, v52, v50
	v_min3_f32 v57, v58, v57, v113
	v_add_co_ci_u32_e64 v51, null, v53, v51, vcc_lo
	v_min_f32_e32 v58, v60, v59
	v_min3_f32 v56, v56, v58, v57
	flat_store_dword v[50:51], v56
	s_or_b32 exec_lo, exec_lo, s12
	s_and_b32 s17, s1, s8
	s_and_saveexec_b32 s12, s17
	s_cbranch_execz .LBB6_212
.LBB6_222:
	v_cmp_ne_u32_e32 vcc_lo, 1, v121
	v_lshlrev_b64 v[50:51], 2, v[66:67]
	s_cbranch_vccnz .LBB6_224
; %bb.223:
	v_add_co_u32 v56, vcc_lo, v54, v50
	v_add_co_ci_u32_e64 v57, null, v55, v51, vcc_lo
	flat_load_dword v56, v[56:57]
	s_waitcnt vmcnt(0) lgkmcnt(0)
	v_mul_f32_e32 v56, s22, v56
	s_branch .LBB6_225
.LBB6_224:
	v_mov_b32_e32 v56, 0
.LBB6_225:
	v_add_f32_e32 v57, v31, v47
	v_add_f32_e32 v58, v30, v46
	;; [unrolled: 1-line block ×4, first 2 shown]
	v_add_co_u32 v50, vcc_lo, v52, v50
	v_min3_f32 v57, v58, v57, v112
	v_add_co_ci_u32_e64 v51, null, v53, v51, vcc_lo
	v_min_f32_e32 v58, v60, v59
	v_min3_f32 v56, v56, v58, v57
	flat_store_dword v[50:51], v56
	s_or_b32 exec_lo, exec_lo, s12
	s_and_b32 s17, s2, s8
	s_and_saveexec_b32 s12, s17
	s_cbranch_execz .LBB6_213
.LBB6_226:
	v_cmp_ne_u32_e32 vcc_lo, 1, v121
	v_lshlrev_b64 v[50:51], 2, v[68:69]
	s_cbranch_vccnz .LBB6_228
; %bb.227:
	v_add_co_u32 v56, vcc_lo, v54, v50
	v_add_co_ci_u32_e64 v57, null, v55, v51, vcc_lo
	flat_load_dword v56, v[56:57]
	s_waitcnt vmcnt(0) lgkmcnt(0)
	v_mul_f32_e32 v56, s22, v56
	s_branch .LBB6_229
.LBB6_228:
	v_mov_b32_e32 v56, 0
.LBB6_229:
	v_add_f32_e32 v57, v27, v47
	v_add_f32_e32 v58, v26, v46
	;; [unrolled: 1-line block ×4, first 2 shown]
	v_add_co_u32 v50, vcc_lo, v52, v50
	v_min3_f32 v57, v58, v57, v111
	v_add_co_ci_u32_e64 v51, null, v53, v51, vcc_lo
	v_min_f32_e32 v58, v60, v59
	v_min3_f32 v56, v56, v58, v57
	flat_store_dword v[50:51], v56
	s_or_b32 exec_lo, exec_lo, s12
	s_and_b32 s17, s3, s8
	s_and_saveexec_b32 s12, s17
	s_cbranch_execz .LBB6_214
.LBB6_230:
	v_cmp_ne_u32_e32 vcc_lo, 1, v121
	v_lshlrev_b64 v[50:51], 2, v[70:71]
	s_cbranch_vccnz .LBB6_232
; %bb.231:
	v_add_co_u32 v56, vcc_lo, v54, v50
	v_add_co_ci_u32_e64 v57, null, v55, v51, vcc_lo
	flat_load_dword v56, v[56:57]
	s_waitcnt vmcnt(0) lgkmcnt(0)
	v_mul_f32_e32 v56, s22, v56
	s_branch .LBB6_233
.LBB6_232:
	v_mov_b32_e32 v56, 0
.LBB6_233:
	v_add_f32_e32 v57, v23, v47
	v_add_f32_e32 v58, v22, v46
	;; [unrolled: 1-line block ×4, first 2 shown]
	v_add_co_u32 v50, vcc_lo, v52, v50
	v_min3_f32 v57, v58, v57, v110
	v_add_co_ci_u32_e64 v51, null, v53, v51, vcc_lo
	v_min_f32_e32 v58, v60, v59
	v_min3_f32 v56, v56, v58, v57
	flat_store_dword v[50:51], v56
	s_or_b32 exec_lo, exec_lo, s12
	s_and_b32 s17, s4, s8
	s_and_saveexec_b32 s12, s17
	s_cbranch_execz .LBB6_215
.LBB6_234:
	v_cmp_ne_u32_e32 vcc_lo, 1, v121
	v_lshlrev_b64 v[50:51], 2, v[72:73]
	s_cbranch_vccnz .LBB6_236
; %bb.235:
	v_add_co_u32 v56, vcc_lo, v54, v50
	v_add_co_ci_u32_e64 v57, null, v55, v51, vcc_lo
	flat_load_dword v56, v[56:57]
	s_waitcnt vmcnt(0) lgkmcnt(0)
	v_mul_f32_e32 v56, s22, v56
	s_branch .LBB6_237
.LBB6_236:
	v_mov_b32_e32 v56, 0
.LBB6_237:
	v_add_f32_e32 v57, v19, v47
	v_add_f32_e32 v58, v18, v46
	v_add_f32_e32 v59, v21, v49
	v_add_f32_e32 v60, v20, v48
	v_add_co_u32 v50, vcc_lo, v52, v50
	v_min3_f32 v57, v58, v57, v109
	v_add_co_ci_u32_e64 v51, null, v53, v51, vcc_lo
	v_min_f32_e32 v58, v60, v59
	v_min3_f32 v56, v56, v58, v57
	flat_store_dword v[50:51], v56
	s_or_b32 exec_lo, exec_lo, s12
	s_and_b32 s17, s5, s8
	s_and_saveexec_b32 s12, s17
	s_cbranch_execz .LBB6_216
.LBB6_238:
	v_cmp_ne_u32_e32 vcc_lo, 1, v121
	v_lshlrev_b64 v[50:51], 2, v[74:75]
	s_cbranch_vccnz .LBB6_240
; %bb.239:
	v_add_co_u32 v56, vcc_lo, v54, v50
	v_add_co_ci_u32_e64 v57, null, v55, v51, vcc_lo
	flat_load_dword v56, v[56:57]
	s_waitcnt vmcnt(0) lgkmcnt(0)
	v_mul_f32_e32 v56, s22, v56
	s_branch .LBB6_241
.LBB6_240:
	v_mov_b32_e32 v56, 0
.LBB6_241:
	v_add_f32_e32 v57, v15, v47
	v_add_f32_e32 v58, v14, v46
	;; [unrolled: 1-line block ×4, first 2 shown]
	v_add_co_u32 v50, vcc_lo, v52, v50
	v_min3_f32 v57, v58, v57, v108
	v_add_co_ci_u32_e64 v51, null, v53, v51, vcc_lo
	v_min_f32_e32 v58, v60, v59
	v_min3_f32 v56, v56, v58, v57
	flat_store_dword v[50:51], v56
	s_or_b32 exec_lo, exec_lo, s12
	s_and_b32 s17, s6, s8
	s_and_saveexec_b32 s12, s17
	s_cbranch_execz .LBB6_217
.LBB6_242:
	v_cmp_ne_u32_e32 vcc_lo, 1, v121
	v_lshlrev_b64 v[50:51], 2, v[76:77]
	s_cbranch_vccnz .LBB6_244
; %bb.243:
	v_add_co_u32 v56, vcc_lo, v54, v50
	v_add_co_ci_u32_e64 v57, null, v55, v51, vcc_lo
	flat_load_dword v56, v[56:57]
	s_waitcnt vmcnt(0) lgkmcnt(0)
	v_mul_f32_e32 v56, s22, v56
	s_branch .LBB6_245
.LBB6_244:
	v_mov_b32_e32 v56, 0
.LBB6_245:
	v_add_f32_e32 v57, v11, v47
	v_add_f32_e32 v58, v10, v46
	;; [unrolled: 1-line block ×4, first 2 shown]
	v_add_co_u32 v50, vcc_lo, v52, v50
	v_min3_f32 v57, v58, v57, v107
	v_add_co_ci_u32_e64 v51, null, v53, v51, vcc_lo
	v_min_f32_e32 v58, v60, v59
	v_min3_f32 v56, v56, v58, v57
	flat_store_dword v[50:51], v56
	s_or_b32 exec_lo, exec_lo, s12
	s_and_b32 s12, s7, s8
	s_and_saveexec_b32 s8, s12
	s_cbranch_execz .LBB6_250
.LBB6_246:
	v_cmp_ne_u32_e32 vcc_lo, 1, v121
	v_lshlrev_b64 v[50:51], 2, v[78:79]
	s_cbranch_vccnz .LBB6_248
; %bb.247:
	v_add_co_u32 v54, vcc_lo, v54, v50
	v_add_co_ci_u32_e64 v55, null, v55, v51, vcc_lo
	flat_load_dword v54, v[54:55]
	s_waitcnt vmcnt(0) lgkmcnt(0)
	v_mul_f32_e32 v54, s22, v54
	s_branch .LBB6_249
.LBB6_248:
	v_mov_b32_e32 v54, 0
.LBB6_249:
	v_add_f32_e32 v47, v3, v47
	v_add_f32_e32 v46, v2, v46
	;; [unrolled: 1-line block ×4, first 2 shown]
	v_min3_f32 v46, v46, v47, v106
	v_min_f32_e32 v47, v48, v49
	v_min3_f32 v48, v54, v47, v46
	v_add_co_u32 v46, vcc_lo, v52, v50
	v_add_co_ci_u32_e64 v47, null, v53, v51, vcc_lo
	flat_store_dword v[46:47], v48
.LBB6_250:
	s_or_b32 exec_lo, exec_lo, s8
	v_add_nc_u32_e32 v50, 40, v132
	v_mad_i64_i32 v[46:47], null, v50, s14, 0
	v_mad_i64_i32 v[48:49], null, v50, s9, 0
	v_cmp_gt_i32_e64 s8, s13, v50
	v_lshlrev_b64 v[46:47], 2, v[46:47]
	s_and_b32 s17, s0, s8
	v_lshlrev_b64 v[48:49], 2, v[48:49]
	v_add_co_u32 v50, vcc_lo, s10, v46
	v_add_co_ci_u32_e64 v51, null, s11, v47, vcc_lo
	v_add_co_u32 v48, vcc_lo, s15, v48
	v_add_co_ci_u32_e64 v49, null, s16, v49, vcc_lo
	s_and_saveexec_b32 s12, s17
	s_cbranch_execnz .LBB6_258
; %bb.251:
	s_or_b32 exec_lo, exec_lo, s12
	s_and_b32 s17, s1, s8
	s_and_saveexec_b32 s12, s17
	s_cbranch_execnz .LBB6_262
.LBB6_252:
	s_or_b32 exec_lo, exec_lo, s12
	s_and_b32 s17, s2, s8
	s_and_saveexec_b32 s12, s17
	s_cbranch_execnz .LBB6_266
.LBB6_253:
	s_or_b32 exec_lo, exec_lo, s12
	s_and_b32 s17, s3, s8
	s_and_saveexec_b32 s12, s17
	s_cbranch_execnz .LBB6_270
.LBB6_254:
	s_or_b32 exec_lo, exec_lo, s12
	s_and_b32 s17, s4, s8
	s_and_saveexec_b32 s12, s17
	s_cbranch_execnz .LBB6_274
.LBB6_255:
	s_or_b32 exec_lo, exec_lo, s12
	s_and_b32 s17, s5, s8
	s_and_saveexec_b32 s12, s17
	s_cbranch_execnz .LBB6_278
.LBB6_256:
	s_or_b32 exec_lo, exec_lo, s12
	s_and_b32 s17, s6, s8
	s_and_saveexec_b32 s12, s17
	s_cbranch_execnz .LBB6_282
.LBB6_257:
	s_or_b32 exec_lo, exec_lo, s12
	s_and_b32 s12, s7, s8
	s_and_saveexec_b32 s8, s12
	s_cbranch_execnz .LBB6_286
	s_branch .LBB6_290
.LBB6_258:
	v_cmp_ne_u32_e32 vcc_lo, 1, v121
	v_lshlrev_b64 v[46:47], 2, v[0:1]
	s_cbranch_vccnz .LBB6_260
; %bb.259:
	v_add_co_u32 v52, vcc_lo, v50, v46
	v_add_co_ci_u32_e64 v53, null, v51, v47, vcc_lo
	flat_load_dword v52, v[52:53]
	s_waitcnt vmcnt(0) lgkmcnt(0)
	v_mul_f32_e32 v52, s22, v52
	s_branch .LBB6_261
.LBB6_260:
	v_mov_b32_e32 v52, 0
.LBB6_261:
	v_add_f32_e32 v53, v35, v43
	v_add_f32_e32 v54, v34, v42
	;; [unrolled: 1-line block ×4, first 2 shown]
	v_add_co_u32 v46, vcc_lo, v48, v46
	v_min3_f32 v53, v54, v53, v105
	v_add_co_ci_u32_e64 v47, null, v49, v47, vcc_lo
	v_min_f32_e32 v54, v56, v55
	v_min3_f32 v52, v52, v54, v53
	flat_store_dword v[46:47], v52
	s_or_b32 exec_lo, exec_lo, s12
	s_and_b32 s17, s1, s8
	s_and_saveexec_b32 s12, s17
	s_cbranch_execz .LBB6_252
.LBB6_262:
	v_cmp_ne_u32_e32 vcc_lo, 1, v121
	v_lshlrev_b64 v[46:47], 2, v[66:67]
	s_cbranch_vccnz .LBB6_264
; %bb.263:
	v_add_co_u32 v52, vcc_lo, v50, v46
	v_add_co_ci_u32_e64 v53, null, v51, v47, vcc_lo
	flat_load_dword v52, v[52:53]
	s_waitcnt vmcnt(0) lgkmcnt(0)
	v_mul_f32_e32 v52, s22, v52
	s_branch .LBB6_265
.LBB6_264:
	v_mov_b32_e32 v52, 0
.LBB6_265:
	v_add_f32_e32 v53, v31, v43
	v_add_f32_e32 v54, v30, v42
	;; [unrolled: 1-line block ×4, first 2 shown]
	v_add_co_u32 v46, vcc_lo, v48, v46
	v_min3_f32 v53, v54, v53, v104
	v_add_co_ci_u32_e64 v47, null, v49, v47, vcc_lo
	v_min_f32_e32 v54, v56, v55
	v_min3_f32 v52, v52, v54, v53
	flat_store_dword v[46:47], v52
	s_or_b32 exec_lo, exec_lo, s12
	s_and_b32 s17, s2, s8
	s_and_saveexec_b32 s12, s17
	s_cbranch_execz .LBB6_253
.LBB6_266:
	v_cmp_ne_u32_e32 vcc_lo, 1, v121
	v_lshlrev_b64 v[46:47], 2, v[68:69]
	s_cbranch_vccnz .LBB6_268
; %bb.267:
	v_add_co_u32 v52, vcc_lo, v50, v46
	v_add_co_ci_u32_e64 v53, null, v51, v47, vcc_lo
	flat_load_dword v52, v[52:53]
	s_waitcnt vmcnt(0) lgkmcnt(0)
	v_mul_f32_e32 v52, s22, v52
	s_branch .LBB6_269
.LBB6_268:
	v_mov_b32_e32 v52, 0
.LBB6_269:
	v_add_f32_e32 v53, v27, v43
	v_add_f32_e32 v54, v26, v42
	;; [unrolled: 1-line block ×4, first 2 shown]
	v_add_co_u32 v46, vcc_lo, v48, v46
	v_min3_f32 v53, v54, v53, v103
	v_add_co_ci_u32_e64 v47, null, v49, v47, vcc_lo
	v_min_f32_e32 v54, v56, v55
	v_min3_f32 v52, v52, v54, v53
	flat_store_dword v[46:47], v52
	s_or_b32 exec_lo, exec_lo, s12
	s_and_b32 s17, s3, s8
	s_and_saveexec_b32 s12, s17
	s_cbranch_execz .LBB6_254
.LBB6_270:
	v_cmp_ne_u32_e32 vcc_lo, 1, v121
	v_lshlrev_b64 v[46:47], 2, v[70:71]
	s_cbranch_vccnz .LBB6_272
; %bb.271:
	v_add_co_u32 v52, vcc_lo, v50, v46
	v_add_co_ci_u32_e64 v53, null, v51, v47, vcc_lo
	flat_load_dword v52, v[52:53]
	s_waitcnt vmcnt(0) lgkmcnt(0)
	v_mul_f32_e32 v52, s22, v52
	s_branch .LBB6_273
.LBB6_272:
	v_mov_b32_e32 v52, 0
.LBB6_273:
	v_add_f32_e32 v53, v23, v43
	v_add_f32_e32 v54, v22, v42
	;; [unrolled: 1-line block ×4, first 2 shown]
	v_add_co_u32 v46, vcc_lo, v48, v46
	v_min3_f32 v53, v54, v53, v102
	v_add_co_ci_u32_e64 v47, null, v49, v47, vcc_lo
	v_min_f32_e32 v54, v56, v55
	v_min3_f32 v52, v52, v54, v53
	flat_store_dword v[46:47], v52
	s_or_b32 exec_lo, exec_lo, s12
	s_and_b32 s17, s4, s8
	s_and_saveexec_b32 s12, s17
	s_cbranch_execz .LBB6_255
.LBB6_274:
	v_cmp_ne_u32_e32 vcc_lo, 1, v121
	v_lshlrev_b64 v[46:47], 2, v[72:73]
	s_cbranch_vccnz .LBB6_276
; %bb.275:
	v_add_co_u32 v52, vcc_lo, v50, v46
	v_add_co_ci_u32_e64 v53, null, v51, v47, vcc_lo
	flat_load_dword v52, v[52:53]
	s_waitcnt vmcnt(0) lgkmcnt(0)
	v_mul_f32_e32 v52, s22, v52
	s_branch .LBB6_277
.LBB6_276:
	v_mov_b32_e32 v52, 0
.LBB6_277:
	v_add_f32_e32 v53, v19, v43
	v_add_f32_e32 v54, v18, v42
	;; [unrolled: 1-line block ×4, first 2 shown]
	v_add_co_u32 v46, vcc_lo, v48, v46
	v_min3_f32 v53, v54, v53, v101
	v_add_co_ci_u32_e64 v47, null, v49, v47, vcc_lo
	v_min_f32_e32 v54, v56, v55
	v_min3_f32 v52, v52, v54, v53
	flat_store_dword v[46:47], v52
	s_or_b32 exec_lo, exec_lo, s12
	s_and_b32 s17, s5, s8
	s_and_saveexec_b32 s12, s17
	s_cbranch_execz .LBB6_256
.LBB6_278:
	v_cmp_ne_u32_e32 vcc_lo, 1, v121
	v_lshlrev_b64 v[46:47], 2, v[74:75]
	s_cbranch_vccnz .LBB6_280
; %bb.279:
	v_add_co_u32 v52, vcc_lo, v50, v46
	v_add_co_ci_u32_e64 v53, null, v51, v47, vcc_lo
	flat_load_dword v52, v[52:53]
	s_waitcnt vmcnt(0) lgkmcnt(0)
	v_mul_f32_e32 v52, s22, v52
	s_branch .LBB6_281
.LBB6_280:
	v_mov_b32_e32 v52, 0
.LBB6_281:
	v_add_f32_e32 v53, v15, v43
	v_add_f32_e32 v54, v14, v42
	;; [unrolled: 1-line block ×4, first 2 shown]
	v_add_co_u32 v46, vcc_lo, v48, v46
	v_min3_f32 v53, v54, v53, v100
	v_add_co_ci_u32_e64 v47, null, v49, v47, vcc_lo
	v_min_f32_e32 v54, v56, v55
	v_min3_f32 v52, v52, v54, v53
	flat_store_dword v[46:47], v52
	s_or_b32 exec_lo, exec_lo, s12
	s_and_b32 s17, s6, s8
	s_and_saveexec_b32 s12, s17
	s_cbranch_execz .LBB6_257
.LBB6_282:
	v_cmp_ne_u32_e32 vcc_lo, 1, v121
	v_lshlrev_b64 v[46:47], 2, v[76:77]
	s_cbranch_vccnz .LBB6_284
; %bb.283:
	v_add_co_u32 v52, vcc_lo, v50, v46
	v_add_co_ci_u32_e64 v53, null, v51, v47, vcc_lo
	flat_load_dword v52, v[52:53]
	s_waitcnt vmcnt(0) lgkmcnt(0)
	v_mul_f32_e32 v52, s22, v52
	s_branch .LBB6_285
.LBB6_284:
	v_mov_b32_e32 v52, 0
.LBB6_285:
	v_add_f32_e32 v53, v11, v43
	v_add_f32_e32 v54, v10, v42
	;; [unrolled: 1-line block ×4, first 2 shown]
	v_add_co_u32 v46, vcc_lo, v48, v46
	v_min3_f32 v53, v54, v53, v99
	v_add_co_ci_u32_e64 v47, null, v49, v47, vcc_lo
	v_min_f32_e32 v54, v56, v55
	v_min3_f32 v52, v52, v54, v53
	flat_store_dword v[46:47], v52
	s_or_b32 exec_lo, exec_lo, s12
	s_and_b32 s12, s7, s8
	s_and_saveexec_b32 s8, s12
	s_cbranch_execz .LBB6_290
.LBB6_286:
	v_cmp_ne_u32_e32 vcc_lo, 1, v121
	v_lshlrev_b64 v[46:47], 2, v[78:79]
	s_cbranch_vccnz .LBB6_288
; %bb.287:
	v_add_co_u32 v50, vcc_lo, v50, v46
	v_add_co_ci_u32_e64 v51, null, v51, v47, vcc_lo
	flat_load_dword v50, v[50:51]
	s_waitcnt vmcnt(0) lgkmcnt(0)
	v_mul_f32_e32 v50, s22, v50
	s_branch .LBB6_289
.LBB6_288:
	v_mov_b32_e32 v50, 0
.LBB6_289:
	v_add_f32_e32 v43, v3, v43
	v_add_f32_e32 v42, v2, v42
	;; [unrolled: 1-line block ×4, first 2 shown]
	v_min3_f32 v42, v42, v43, v98
	v_min_f32_e32 v43, v44, v45
	v_min3_f32 v44, v50, v43, v42
	v_add_co_u32 v42, vcc_lo, v48, v46
	v_add_co_ci_u32_e64 v43, null, v49, v47, vcc_lo
	flat_store_dword v[42:43], v44
.LBB6_290:
	s_or_b32 exec_lo, exec_lo, s8
	v_add_nc_u32_e32 v46, 48, v132
	v_mad_i64_i32 v[42:43], null, v46, s14, 0
	v_mad_i64_i32 v[44:45], null, v46, s9, 0
	v_cmp_gt_i32_e64 s8, s13, v46
	v_lshlrev_b64 v[42:43], 2, v[42:43]
	s_and_b32 s17, s0, s8
	v_lshlrev_b64 v[44:45], 2, v[44:45]
	v_add_co_u32 v46, vcc_lo, s10, v42
	v_add_co_ci_u32_e64 v47, null, s11, v43, vcc_lo
	v_add_co_u32 v44, vcc_lo, s15, v44
	v_add_co_ci_u32_e64 v45, null, s16, v45, vcc_lo
	s_and_saveexec_b32 s12, s17
	s_cbranch_execnz .LBB6_298
; %bb.291:
	s_or_b32 exec_lo, exec_lo, s12
	s_and_b32 s17, s1, s8
	s_and_saveexec_b32 s12, s17
	s_cbranch_execnz .LBB6_302
.LBB6_292:
	s_or_b32 exec_lo, exec_lo, s12
	s_and_b32 s17, s2, s8
	s_and_saveexec_b32 s12, s17
	s_cbranch_execnz .LBB6_306
.LBB6_293:
	s_or_b32 exec_lo, exec_lo, s12
	s_and_b32 s17, s3, s8
	s_and_saveexec_b32 s12, s17
	s_cbranch_execnz .LBB6_310
.LBB6_294:
	s_or_b32 exec_lo, exec_lo, s12
	s_and_b32 s17, s4, s8
	s_and_saveexec_b32 s12, s17
	s_cbranch_execnz .LBB6_314
.LBB6_295:
	s_or_b32 exec_lo, exec_lo, s12
	s_and_b32 s17, s5, s8
	s_and_saveexec_b32 s12, s17
	s_cbranch_execnz .LBB6_318
.LBB6_296:
	s_or_b32 exec_lo, exec_lo, s12
	s_and_b32 s17, s6, s8
	s_and_saveexec_b32 s12, s17
	s_cbranch_execnz .LBB6_322
.LBB6_297:
	s_or_b32 exec_lo, exec_lo, s12
	s_and_b32 s12, s7, s8
	s_and_saveexec_b32 s8, s12
	s_cbranch_execnz .LBB6_326
	s_branch .LBB6_330
.LBB6_298:
	v_cmp_ne_u32_e32 vcc_lo, 1, v121
	v_lshlrev_b64 v[42:43], 2, v[0:1]
	s_cbranch_vccnz .LBB6_300
; %bb.299:
	v_add_co_u32 v48, vcc_lo, v46, v42
	v_add_co_ci_u32_e64 v49, null, v47, v43, vcc_lo
	flat_load_dword v48, v[48:49]
	s_waitcnt vmcnt(0) lgkmcnt(0)
	v_mul_f32_e32 v48, s22, v48
	s_branch .LBB6_301
.LBB6_300:
	v_mov_b32_e32 v48, 0
.LBB6_301:
	v_add_f32_e32 v49, v35, v39
	v_add_f32_e32 v50, v34, v38
	;; [unrolled: 1-line block ×4, first 2 shown]
	v_add_co_u32 v42, vcc_lo, v44, v42
	v_min3_f32 v49, v50, v49, v97
	v_add_co_ci_u32_e64 v43, null, v45, v43, vcc_lo
	v_min_f32_e32 v50, v52, v51
	v_min3_f32 v48, v48, v50, v49
	flat_store_dword v[42:43], v48
	s_or_b32 exec_lo, exec_lo, s12
	s_and_b32 s17, s1, s8
	s_and_saveexec_b32 s12, s17
	s_cbranch_execz .LBB6_292
.LBB6_302:
	v_cmp_ne_u32_e32 vcc_lo, 1, v121
	v_lshlrev_b64 v[42:43], 2, v[66:67]
	s_cbranch_vccnz .LBB6_304
; %bb.303:
	v_add_co_u32 v48, vcc_lo, v46, v42
	v_add_co_ci_u32_e64 v49, null, v47, v43, vcc_lo
	flat_load_dword v48, v[48:49]
	s_waitcnt vmcnt(0) lgkmcnt(0)
	v_mul_f32_e32 v48, s22, v48
	s_branch .LBB6_305
.LBB6_304:
	v_mov_b32_e32 v48, 0
.LBB6_305:
	v_add_f32_e32 v49, v31, v39
	v_add_f32_e32 v50, v30, v38
	;; [unrolled: 1-line block ×4, first 2 shown]
	v_add_co_u32 v42, vcc_lo, v44, v42
	v_min3_f32 v49, v50, v49, v96
	v_add_co_ci_u32_e64 v43, null, v45, v43, vcc_lo
	v_min_f32_e32 v50, v52, v51
	v_min3_f32 v48, v48, v50, v49
	flat_store_dword v[42:43], v48
	s_or_b32 exec_lo, exec_lo, s12
	s_and_b32 s17, s2, s8
	s_and_saveexec_b32 s12, s17
	s_cbranch_execz .LBB6_293
.LBB6_306:
	v_cmp_ne_u32_e32 vcc_lo, 1, v121
	v_lshlrev_b64 v[42:43], 2, v[68:69]
	s_cbranch_vccnz .LBB6_308
; %bb.307:
	v_add_co_u32 v48, vcc_lo, v46, v42
	v_add_co_ci_u32_e64 v49, null, v47, v43, vcc_lo
	flat_load_dword v48, v[48:49]
	s_waitcnt vmcnt(0) lgkmcnt(0)
	v_mul_f32_e32 v48, s22, v48
	s_branch .LBB6_309
.LBB6_308:
	v_mov_b32_e32 v48, 0
.LBB6_309:
	v_add_f32_e32 v49, v27, v39
	v_add_f32_e32 v50, v26, v38
	;; [unrolled: 1-line block ×4, first 2 shown]
	v_add_co_u32 v42, vcc_lo, v44, v42
	v_min3_f32 v49, v50, v49, v95
	v_add_co_ci_u32_e64 v43, null, v45, v43, vcc_lo
	v_min_f32_e32 v50, v52, v51
	v_min3_f32 v48, v48, v50, v49
	flat_store_dword v[42:43], v48
	s_or_b32 exec_lo, exec_lo, s12
	s_and_b32 s17, s3, s8
	s_and_saveexec_b32 s12, s17
	s_cbranch_execz .LBB6_294
.LBB6_310:
	v_cmp_ne_u32_e32 vcc_lo, 1, v121
	v_lshlrev_b64 v[42:43], 2, v[70:71]
	s_cbranch_vccnz .LBB6_312
; %bb.311:
	v_add_co_u32 v48, vcc_lo, v46, v42
	v_add_co_ci_u32_e64 v49, null, v47, v43, vcc_lo
	flat_load_dword v48, v[48:49]
	s_waitcnt vmcnt(0) lgkmcnt(0)
	v_mul_f32_e32 v48, s22, v48
	s_branch .LBB6_313
.LBB6_312:
	v_mov_b32_e32 v48, 0
.LBB6_313:
	v_add_f32_e32 v49, v23, v39
	v_add_f32_e32 v50, v22, v38
	v_add_f32_e32 v51, v25, v41
	v_add_f32_e32 v52, v24, v40
	v_add_co_u32 v42, vcc_lo, v44, v42
	v_min3_f32 v49, v50, v49, v94
	v_add_co_ci_u32_e64 v43, null, v45, v43, vcc_lo
	v_min_f32_e32 v50, v52, v51
	v_min3_f32 v48, v48, v50, v49
	flat_store_dword v[42:43], v48
	s_or_b32 exec_lo, exec_lo, s12
	s_and_b32 s17, s4, s8
	s_and_saveexec_b32 s12, s17
	s_cbranch_execz .LBB6_295
.LBB6_314:
	v_cmp_ne_u32_e32 vcc_lo, 1, v121
	v_lshlrev_b64 v[42:43], 2, v[72:73]
	s_cbranch_vccnz .LBB6_316
; %bb.315:
	v_add_co_u32 v48, vcc_lo, v46, v42
	v_add_co_ci_u32_e64 v49, null, v47, v43, vcc_lo
	flat_load_dword v48, v[48:49]
	s_waitcnt vmcnt(0) lgkmcnt(0)
	v_mul_f32_e32 v48, s22, v48
	s_branch .LBB6_317
.LBB6_316:
	v_mov_b32_e32 v48, 0
.LBB6_317:
	v_add_f32_e32 v49, v19, v39
	v_add_f32_e32 v50, v18, v38
	;; [unrolled: 1-line block ×4, first 2 shown]
	v_add_co_u32 v42, vcc_lo, v44, v42
	v_min3_f32 v49, v50, v49, v93
	v_add_co_ci_u32_e64 v43, null, v45, v43, vcc_lo
	v_min_f32_e32 v50, v52, v51
	v_min3_f32 v48, v48, v50, v49
	flat_store_dword v[42:43], v48
	s_or_b32 exec_lo, exec_lo, s12
	s_and_b32 s17, s5, s8
	s_and_saveexec_b32 s12, s17
	s_cbranch_execz .LBB6_296
.LBB6_318:
	v_cmp_ne_u32_e32 vcc_lo, 1, v121
	v_lshlrev_b64 v[42:43], 2, v[74:75]
	s_cbranch_vccnz .LBB6_320
; %bb.319:
	v_add_co_u32 v48, vcc_lo, v46, v42
	v_add_co_ci_u32_e64 v49, null, v47, v43, vcc_lo
	flat_load_dword v48, v[48:49]
	s_waitcnt vmcnt(0) lgkmcnt(0)
	v_mul_f32_e32 v48, s22, v48
	s_branch .LBB6_321
.LBB6_320:
	v_mov_b32_e32 v48, 0
.LBB6_321:
	v_add_f32_e32 v49, v15, v39
	v_add_f32_e32 v50, v14, v38
	;; [unrolled: 1-line block ×4, first 2 shown]
	v_add_co_u32 v42, vcc_lo, v44, v42
	v_min3_f32 v49, v50, v49, v91
	v_add_co_ci_u32_e64 v43, null, v45, v43, vcc_lo
	v_min_f32_e32 v50, v52, v51
	v_min3_f32 v48, v48, v50, v49
	flat_store_dword v[42:43], v48
	s_or_b32 exec_lo, exec_lo, s12
	s_and_b32 s17, s6, s8
	s_and_saveexec_b32 s12, s17
	s_cbranch_execz .LBB6_297
.LBB6_322:
	v_cmp_ne_u32_e32 vcc_lo, 1, v121
	v_lshlrev_b64 v[42:43], 2, v[76:77]
	s_cbranch_vccnz .LBB6_324
; %bb.323:
	v_add_co_u32 v48, vcc_lo, v46, v42
	v_add_co_ci_u32_e64 v49, null, v47, v43, vcc_lo
	flat_load_dword v48, v[48:49]
	s_waitcnt vmcnt(0) lgkmcnt(0)
	v_mul_f32_e32 v48, s22, v48
	s_branch .LBB6_325
.LBB6_324:
	v_mov_b32_e32 v48, 0
.LBB6_325:
	v_add_f32_e32 v49, v11, v39
	v_add_f32_e32 v50, v10, v38
	;; [unrolled: 1-line block ×4, first 2 shown]
	v_add_co_u32 v42, vcc_lo, v44, v42
	v_min3_f32 v49, v50, v49, v90
	v_add_co_ci_u32_e64 v43, null, v45, v43, vcc_lo
	v_min_f32_e32 v50, v52, v51
	v_min3_f32 v48, v48, v50, v49
	flat_store_dword v[42:43], v48
	s_or_b32 exec_lo, exec_lo, s12
	s_and_b32 s12, s7, s8
	s_and_saveexec_b32 s8, s12
	s_cbranch_execz .LBB6_330
.LBB6_326:
	v_cmp_ne_u32_e32 vcc_lo, 1, v121
	v_lshlrev_b64 v[42:43], 2, v[78:79]
	s_cbranch_vccnz .LBB6_328
; %bb.327:
	v_add_co_u32 v46, vcc_lo, v46, v42
	v_add_co_ci_u32_e64 v47, null, v47, v43, vcc_lo
	flat_load_dword v46, v[46:47]
	s_waitcnt vmcnt(0) lgkmcnt(0)
	v_mul_f32_e32 v46, s22, v46
	s_branch .LBB6_329
.LBB6_328:
	v_mov_b32_e32 v46, 0
.LBB6_329:
	v_add_f32_e32 v39, v3, v39
	v_add_f32_e32 v38, v2, v38
	;; [unrolled: 1-line block ×4, first 2 shown]
	v_min3_f32 v38, v38, v39, v89
	v_min_f32_e32 v39, v40, v41
	v_min3_f32 v40, v46, v39, v38
	v_add_co_u32 v38, vcc_lo, v44, v42
	v_add_co_ci_u32_e64 v39, null, v45, v43, vcc_lo
	flat_store_dword v[38:39], v40
.LBB6_330:
	s_or_b32 exec_lo, exec_lo, s8
	v_add_nc_u32_e32 v42, 56, v132
	v_mad_i64_i32 v[38:39], null, v42, s14, 0
	v_mad_i64_i32 v[40:41], null, v42, s9, 0
	v_cmp_gt_i32_e64 s8, s13, v42
	v_lshlrev_b64 v[38:39], 2, v[38:39]
	s_and_b32 s9, s0, s8
	v_lshlrev_b64 v[42:43], 2, v[40:41]
	v_add_co_u32 v40, vcc_lo, s10, v38
	v_add_co_ci_u32_e64 v41, null, s11, v39, vcc_lo
	v_add_co_u32 v38, vcc_lo, s15, v42
	v_add_co_ci_u32_e64 v39, null, s16, v43, vcc_lo
	s_and_saveexec_b32 s0, s9
	s_cbranch_execnz .LBB6_339
; %bb.331:
	s_or_b32 exec_lo, exec_lo, s0
	s_and_b32 s1, s1, s8
	s_and_saveexec_b32 s0, s1
	s_cbranch_execnz .LBB6_343
.LBB6_332:
	s_or_b32 exec_lo, exec_lo, s0
	s_and_b32 s1, s2, s8
	s_and_saveexec_b32 s0, s1
	s_cbranch_execnz .LBB6_347
.LBB6_333:
	s_or_b32 exec_lo, exec_lo, s0
	s_and_b32 s1, s3, s8
	s_and_saveexec_b32 s0, s1
	s_cbranch_execnz .LBB6_351
.LBB6_334:
	s_or_b32 exec_lo, exec_lo, s0
	s_and_b32 s1, s4, s8
	s_and_saveexec_b32 s0, s1
	s_cbranch_execnz .LBB6_355
.LBB6_335:
	s_or_b32 exec_lo, exec_lo, s0
	s_and_b32 s1, s5, s8
	s_and_saveexec_b32 s0, s1
	s_cbranch_execnz .LBB6_359
.LBB6_336:
	s_or_b32 exec_lo, exec_lo, s0
	s_and_b32 s1, s6, s8
	s_and_saveexec_b32 s0, s1
	s_cbranch_execnz .LBB6_363
.LBB6_337:
	s_or_b32 exec_lo, exec_lo, s0
	s_and_b32 s0, s7, s8
	s_and_saveexec_b32 s1, s0
	s_cbranch_execnz .LBB6_367
.LBB6_338:
	s_endpgm
.LBB6_339:
	v_cmp_ne_u32_e32 vcc_lo, 1, v121
	v_lshlrev_b64 v[0:1], 2, v[0:1]
	s_cbranch_vccnz .LBB6_341
; %bb.340:
	v_add_co_u32 v42, vcc_lo, v40, v0
	v_add_co_ci_u32_e64 v43, null, v41, v1, vcc_lo
	flat_load_dword v42, v[42:43]
	s_waitcnt vmcnt(0) lgkmcnt(0)
	v_mul_f32_e32 v42, s22, v42
	s_branch .LBB6_342
.LBB6_341:
	v_mov_b32_e32 v42, 0
.LBB6_342:
	v_add_f32_e32 v35, v35, v7
	v_add_f32_e32 v34, v34, v6
	;; [unrolled: 1-line block ×4, first 2 shown]
	v_add_co_u32 v0, vcc_lo, v38, v0
	v_min3_f32 v34, v34, v35, v88
	v_add_co_ci_u32_e64 v1, null, v39, v1, vcc_lo
	v_min_f32_e32 v35, v36, v37
	v_min3_f32 v34, v42, v35, v34
	flat_store_dword v[0:1], v34
	s_or_b32 exec_lo, exec_lo, s0
	s_and_b32 s1, s1, s8
	s_and_saveexec_b32 s0, s1
	s_cbranch_execz .LBB6_332
.LBB6_343:
	v_cmp_ne_u32_e32 vcc_lo, 1, v121
	v_lshlrev_b64 v[0:1], 2, v[66:67]
	s_cbranch_vccnz .LBB6_345
; %bb.344:
	v_add_co_u32 v34, vcc_lo, v40, v0
	v_add_co_ci_u32_e64 v35, null, v41, v1, vcc_lo
	flat_load_dword v34, v[34:35]
	s_waitcnt vmcnt(0) lgkmcnt(0)
	v_mul_f32_e32 v34, s22, v34
	s_branch .LBB6_346
.LBB6_345:
	v_mov_b32_e32 v34, 0
.LBB6_346:
	v_add_f32_e32 v31, v31, v7
	v_add_f32_e32 v30, v30, v6
	;; [unrolled: 1-line block ×4, first 2 shown]
	v_add_co_u32 v0, vcc_lo, v38, v0
	v_min3_f32 v30, v30, v31, v87
	v_add_co_ci_u32_e64 v1, null, v39, v1, vcc_lo
	v_min_f32_e32 v31, v32, v33
	v_min3_f32 v30, v34, v31, v30
	flat_store_dword v[0:1], v30
	s_or_b32 exec_lo, exec_lo, s0
	s_and_b32 s1, s2, s8
	s_and_saveexec_b32 s0, s1
	s_cbranch_execz .LBB6_333
.LBB6_347:
	v_cmp_ne_u32_e32 vcc_lo, 1, v121
	v_lshlrev_b64 v[0:1], 2, v[68:69]
	s_cbranch_vccnz .LBB6_349
; %bb.348:
	v_add_co_u32 v30, vcc_lo, v40, v0
	v_add_co_ci_u32_e64 v31, null, v41, v1, vcc_lo
	flat_load_dword v30, v[30:31]
	s_waitcnt vmcnt(0) lgkmcnt(0)
	v_mul_f32_e32 v30, s22, v30
	s_branch .LBB6_350
.LBB6_349:
	v_mov_b32_e32 v30, 0
.LBB6_350:
	v_add_f32_e32 v27, v27, v7
	v_add_f32_e32 v26, v26, v6
	;; [unrolled: 1-line block ×4, first 2 shown]
	v_add_co_u32 v0, vcc_lo, v38, v0
	v_min3_f32 v26, v26, v27, v86
	v_add_co_ci_u32_e64 v1, null, v39, v1, vcc_lo
	v_min_f32_e32 v27, v28, v29
	v_min3_f32 v26, v30, v27, v26
	flat_store_dword v[0:1], v26
	s_or_b32 exec_lo, exec_lo, s0
	s_and_b32 s1, s3, s8
	s_and_saveexec_b32 s0, s1
	s_cbranch_execz .LBB6_334
.LBB6_351:
	v_cmp_ne_u32_e32 vcc_lo, 1, v121
	v_lshlrev_b64 v[0:1], 2, v[70:71]
	s_cbranch_vccnz .LBB6_353
; %bb.352:
	v_add_co_u32 v26, vcc_lo, v40, v0
	v_add_co_ci_u32_e64 v27, null, v41, v1, vcc_lo
	flat_load_dword v26, v[26:27]
	s_waitcnt vmcnt(0) lgkmcnt(0)
	v_mul_f32_e32 v26, s22, v26
	s_branch .LBB6_354
.LBB6_353:
	v_mov_b32_e32 v26, 0
.LBB6_354:
	v_add_f32_e32 v23, v23, v7
	v_add_f32_e32 v22, v22, v6
	;; [unrolled: 1-line block ×4, first 2 shown]
	v_add_co_u32 v0, vcc_lo, v38, v0
	v_min3_f32 v22, v22, v23, v85
	v_add_co_ci_u32_e64 v1, null, v39, v1, vcc_lo
	v_min_f32_e32 v23, v24, v25
	v_min3_f32 v22, v26, v23, v22
	flat_store_dword v[0:1], v22
	s_or_b32 exec_lo, exec_lo, s0
	s_and_b32 s1, s4, s8
	s_and_saveexec_b32 s0, s1
	s_cbranch_execz .LBB6_335
.LBB6_355:
	v_cmp_ne_u32_e32 vcc_lo, 1, v121
	v_lshlrev_b64 v[0:1], 2, v[72:73]
	s_cbranch_vccnz .LBB6_357
; %bb.356:
	v_add_co_u32 v22, vcc_lo, v40, v0
	v_add_co_ci_u32_e64 v23, null, v41, v1, vcc_lo
	flat_load_dword v22, v[22:23]
	s_waitcnt vmcnt(0) lgkmcnt(0)
	v_mul_f32_e32 v22, s22, v22
	s_branch .LBB6_358
.LBB6_357:
	v_mov_b32_e32 v22, 0
.LBB6_358:
	v_add_f32_e32 v19, v19, v7
	v_add_f32_e32 v18, v18, v6
	;; [unrolled: 1-line block ×4, first 2 shown]
	v_add_co_u32 v0, vcc_lo, v38, v0
	v_min3_f32 v18, v18, v19, v84
	v_add_co_ci_u32_e64 v1, null, v39, v1, vcc_lo
	v_min_f32_e32 v19, v20, v21
	v_min3_f32 v18, v22, v19, v18
	flat_store_dword v[0:1], v18
	s_or_b32 exec_lo, exec_lo, s0
	s_and_b32 s1, s5, s8
	s_and_saveexec_b32 s0, s1
	s_cbranch_execz .LBB6_336
.LBB6_359:
	v_cmp_ne_u32_e32 vcc_lo, 1, v121
	v_lshlrev_b64 v[0:1], 2, v[74:75]
	s_cbranch_vccnz .LBB6_361
; %bb.360:
	v_add_co_u32 v18, vcc_lo, v40, v0
	v_add_co_ci_u32_e64 v19, null, v41, v1, vcc_lo
	flat_load_dword v18, v[18:19]
	s_waitcnt vmcnt(0) lgkmcnt(0)
	v_mul_f32_e32 v18, s22, v18
	s_branch .LBB6_362
.LBB6_361:
	v_mov_b32_e32 v18, 0
.LBB6_362:
	v_add_f32_e32 v15, v15, v7
	v_add_f32_e32 v14, v14, v6
	;; [unrolled: 1-line block ×4, first 2 shown]
	v_add_co_u32 v0, vcc_lo, v38, v0
	v_min3_f32 v14, v14, v15, v83
	v_add_co_ci_u32_e64 v1, null, v39, v1, vcc_lo
	v_min_f32_e32 v15, v16, v17
	v_min3_f32 v14, v18, v15, v14
	flat_store_dword v[0:1], v14
	s_or_b32 exec_lo, exec_lo, s0
	s_and_b32 s1, s6, s8
	s_and_saveexec_b32 s0, s1
	s_cbranch_execz .LBB6_337
.LBB6_363:
	v_cmp_ne_u32_e32 vcc_lo, 1, v121
	v_lshlrev_b64 v[0:1], 2, v[76:77]
	s_cbranch_vccnz .LBB6_365
; %bb.364:
	v_add_co_u32 v14, vcc_lo, v40, v0
	v_add_co_ci_u32_e64 v15, null, v41, v1, vcc_lo
	flat_load_dword v14, v[14:15]
	s_waitcnt vmcnt(0) lgkmcnt(0)
	v_mul_f32_e32 v14, s22, v14
	s_branch .LBB6_366
.LBB6_365:
	v_mov_b32_e32 v14, 0
.LBB6_366:
	v_add_f32_e32 v11, v11, v7
	v_add_f32_e32 v10, v10, v6
	;; [unrolled: 1-line block ×4, first 2 shown]
	v_add_co_u32 v0, vcc_lo, v38, v0
	v_min3_f32 v10, v10, v11, v82
	v_add_co_ci_u32_e64 v1, null, v39, v1, vcc_lo
	v_min_f32_e32 v11, v12, v13
	v_min3_f32 v10, v14, v11, v10
	flat_store_dword v[0:1], v10
	s_or_b32 exec_lo, exec_lo, s0
	s_and_b32 s0, s7, s8
	s_and_saveexec_b32 s1, s0
	s_cbranch_execz .LBB6_338
.LBB6_367:
	v_cmp_ne_u32_e32 vcc_lo, 1, v121
	v_lshlrev_b64 v[0:1], 2, v[78:79]
	s_cbranch_vccnz .LBB6_369
; %bb.368:
	v_add_co_u32 v10, vcc_lo, v40, v0
	v_add_co_ci_u32_e64 v11, null, v41, v1, vcc_lo
	flat_load_dword v10, v[10:11]
	s_waitcnt vmcnt(0) lgkmcnt(0)
	v_mul_f32_e32 v10, s22, v10
	s_branch .LBB6_370
.LBB6_369:
	v_mov_b32_e32 v10, 0
.LBB6_370:
	v_add_f32_e32 v3, v3, v7
	v_add_f32_e32 v2, v2, v6
	;; [unrolled: 1-line block ×4, first 2 shown]
	v_add_co_u32 v0, vcc_lo, v38, v0
	v_min3_f32 v2, v2, v3, v92
	v_add_co_ci_u32_e64 v1, null, v39, v1, vcc_lo
	v_min_f32_e32 v3, v4, v5
	v_min3_f32 v2, v10, v3, v2
	flat_store_dword v[0:1], v2
	s_endpgm
	.section	.rodata,"a",@progbits
	.p2align	6, 0x0
	.amdhsa_kernel _ZN12_GLOBAL__N_120geam_min_plus_kernelIf15HIP_vector_typeIfLj2EEfLi32ELi8ELi256ELi64ELi4ELi64ELi4ELi4ELi64ELc78ELc78ELb0ELb1ELb1EPKfKS4_KPfEEviiiT16_PT17_ilSA_ilS8_SA_ilPT18_ili26rocblas_geam_ex_operation_
		.amdhsa_group_segment_fixed_size 10240
		.amdhsa_private_segment_fixed_size 0
		.amdhsa_kernarg_size 136
		.amdhsa_user_sgpr_count 6
		.amdhsa_user_sgpr_private_segment_buffer 1
		.amdhsa_user_sgpr_dispatch_ptr 0
		.amdhsa_user_sgpr_queue_ptr 0
		.amdhsa_user_sgpr_kernarg_segment_ptr 1
		.amdhsa_user_sgpr_dispatch_id 0
		.amdhsa_user_sgpr_flat_scratch_init 0
		.amdhsa_user_sgpr_private_segment_size 0
		.amdhsa_wavefront_size32 1
		.amdhsa_uses_dynamic_stack 0
		.amdhsa_system_sgpr_private_segment_wavefront_offset 0
		.amdhsa_system_sgpr_workgroup_id_x 1
		.amdhsa_system_sgpr_workgroup_id_y 0
		.amdhsa_system_sgpr_workgroup_id_z 1
		.amdhsa_system_sgpr_workgroup_info 0
		.amdhsa_system_vgpr_workitem_id 1
		.amdhsa_next_free_vgpr 158
		.amdhsa_next_free_sgpr 30
		.amdhsa_reserve_vcc 1
		.amdhsa_reserve_flat_scratch 0
		.amdhsa_float_round_mode_32 0
		.amdhsa_float_round_mode_16_64 0
		.amdhsa_float_denorm_mode_32 3
		.amdhsa_float_denorm_mode_16_64 3
		.amdhsa_dx10_clamp 1
		.amdhsa_ieee_mode 1
		.amdhsa_fp16_overflow 0
		.amdhsa_workgroup_processor_mode 1
		.amdhsa_memory_ordered 1
		.amdhsa_forward_progress 1
		.amdhsa_shared_vgpr_count 0
		.amdhsa_exception_fp_ieee_invalid_op 0
		.amdhsa_exception_fp_denorm_src 0
		.amdhsa_exception_fp_ieee_div_zero 0
		.amdhsa_exception_fp_ieee_overflow 0
		.amdhsa_exception_fp_ieee_underflow 0
		.amdhsa_exception_fp_ieee_inexact 0
		.amdhsa_exception_int_div_zero 0
	.end_amdhsa_kernel
	.section	.text._ZN12_GLOBAL__N_120geam_min_plus_kernelIf15HIP_vector_typeIfLj2EEfLi32ELi8ELi256ELi64ELi4ELi64ELi4ELi4ELi64ELc78ELc78ELb0ELb1ELb1EPKfKS4_KPfEEviiiT16_PT17_ilSA_ilS8_SA_ilPT18_ili26rocblas_geam_ex_operation_,"axG",@progbits,_ZN12_GLOBAL__N_120geam_min_plus_kernelIf15HIP_vector_typeIfLj2EEfLi32ELi8ELi256ELi64ELi4ELi64ELi4ELi4ELi64ELc78ELc78ELb0ELb1ELb1EPKfKS4_KPfEEviiiT16_PT17_ilSA_ilS8_SA_ilPT18_ili26rocblas_geam_ex_operation_,comdat
.Lfunc_end6:
	.size	_ZN12_GLOBAL__N_120geam_min_plus_kernelIf15HIP_vector_typeIfLj2EEfLi32ELi8ELi256ELi64ELi4ELi64ELi4ELi4ELi64ELc78ELc78ELb0ELb1ELb1EPKfKS4_KPfEEviiiT16_PT17_ilSA_ilS8_SA_ilPT18_ili26rocblas_geam_ex_operation_, .Lfunc_end6-_ZN12_GLOBAL__N_120geam_min_plus_kernelIf15HIP_vector_typeIfLj2EEfLi32ELi8ELi256ELi64ELi4ELi64ELi4ELi4ELi64ELc78ELc78ELb0ELb1ELb1EPKfKS4_KPfEEviiiT16_PT17_ilSA_ilS8_SA_ilPT18_ili26rocblas_geam_ex_operation_
                                        ; -- End function
	.set _ZN12_GLOBAL__N_120geam_min_plus_kernelIf15HIP_vector_typeIfLj2EEfLi32ELi8ELi256ELi64ELi4ELi64ELi4ELi4ELi64ELc78ELc78ELb0ELb1ELb1EPKfKS4_KPfEEviiiT16_PT17_ilSA_ilS8_SA_ilPT18_ili26rocblas_geam_ex_operation_.num_vgpr, 158
	.set _ZN12_GLOBAL__N_120geam_min_plus_kernelIf15HIP_vector_typeIfLj2EEfLi32ELi8ELi256ELi64ELi4ELi64ELi4ELi4ELi64ELc78ELc78ELb0ELb1ELb1EPKfKS4_KPfEEviiiT16_PT17_ilSA_ilS8_SA_ilPT18_ili26rocblas_geam_ex_operation_.num_agpr, 0
	.set _ZN12_GLOBAL__N_120geam_min_plus_kernelIf15HIP_vector_typeIfLj2EEfLi32ELi8ELi256ELi64ELi4ELi64ELi4ELi4ELi64ELc78ELc78ELb0ELb1ELb1EPKfKS4_KPfEEviiiT16_PT17_ilSA_ilS8_SA_ilPT18_ili26rocblas_geam_ex_operation_.numbered_sgpr, 30
	.set _ZN12_GLOBAL__N_120geam_min_plus_kernelIf15HIP_vector_typeIfLj2EEfLi32ELi8ELi256ELi64ELi4ELi64ELi4ELi4ELi64ELc78ELc78ELb0ELb1ELb1EPKfKS4_KPfEEviiiT16_PT17_ilSA_ilS8_SA_ilPT18_ili26rocblas_geam_ex_operation_.num_named_barrier, 0
	.set _ZN12_GLOBAL__N_120geam_min_plus_kernelIf15HIP_vector_typeIfLj2EEfLi32ELi8ELi256ELi64ELi4ELi64ELi4ELi4ELi64ELc78ELc78ELb0ELb1ELb1EPKfKS4_KPfEEviiiT16_PT17_ilSA_ilS8_SA_ilPT18_ili26rocblas_geam_ex_operation_.private_seg_size, 0
	.set _ZN12_GLOBAL__N_120geam_min_plus_kernelIf15HIP_vector_typeIfLj2EEfLi32ELi8ELi256ELi64ELi4ELi64ELi4ELi4ELi64ELc78ELc78ELb0ELb1ELb1EPKfKS4_KPfEEviiiT16_PT17_ilSA_ilS8_SA_ilPT18_ili26rocblas_geam_ex_operation_.uses_vcc, 1
	.set _ZN12_GLOBAL__N_120geam_min_plus_kernelIf15HIP_vector_typeIfLj2EEfLi32ELi8ELi256ELi64ELi4ELi64ELi4ELi4ELi64ELc78ELc78ELb0ELb1ELb1EPKfKS4_KPfEEviiiT16_PT17_ilSA_ilS8_SA_ilPT18_ili26rocblas_geam_ex_operation_.uses_flat_scratch, 0
	.set _ZN12_GLOBAL__N_120geam_min_plus_kernelIf15HIP_vector_typeIfLj2EEfLi32ELi8ELi256ELi64ELi4ELi64ELi4ELi4ELi64ELc78ELc78ELb0ELb1ELb1EPKfKS4_KPfEEviiiT16_PT17_ilSA_ilS8_SA_ilPT18_ili26rocblas_geam_ex_operation_.has_dyn_sized_stack, 0
	.set _ZN12_GLOBAL__N_120geam_min_plus_kernelIf15HIP_vector_typeIfLj2EEfLi32ELi8ELi256ELi64ELi4ELi64ELi4ELi4ELi64ELc78ELc78ELb0ELb1ELb1EPKfKS4_KPfEEviiiT16_PT17_ilSA_ilS8_SA_ilPT18_ili26rocblas_geam_ex_operation_.has_recursion, 0
	.set _ZN12_GLOBAL__N_120geam_min_plus_kernelIf15HIP_vector_typeIfLj2EEfLi32ELi8ELi256ELi64ELi4ELi64ELi4ELi4ELi64ELc78ELc78ELb0ELb1ELb1EPKfKS4_KPfEEviiiT16_PT17_ilSA_ilS8_SA_ilPT18_ili26rocblas_geam_ex_operation_.has_indirect_call, 0
	.section	.AMDGPU.csdata,"",@progbits
; Kernel info:
; codeLenInByte = 19572
; TotalNumSgprs: 32
; NumVgprs: 158
; ScratchSize: 0
; MemoryBound: 0
; FloatMode: 240
; IeeeMode: 1
; LDSByteSize: 10240 bytes/workgroup (compile time only)
; SGPRBlocks: 0
; VGPRBlocks: 19
; NumSGPRsForWavesPerEU: 32
; NumVGPRsForWavesPerEU: 158
; Occupancy: 6
; WaveLimiterHint : 1
; COMPUTE_PGM_RSRC2:SCRATCH_EN: 0
; COMPUTE_PGM_RSRC2:USER_SGPR: 6
; COMPUTE_PGM_RSRC2:TRAP_HANDLER: 0
; COMPUTE_PGM_RSRC2:TGID_X_EN: 1
; COMPUTE_PGM_RSRC2:TGID_Y_EN: 0
; COMPUTE_PGM_RSRC2:TGID_Z_EN: 1
; COMPUTE_PGM_RSRC2:TIDIG_COMP_CNT: 1
	.section	.text._ZN12_GLOBAL__N_120geam_min_plus_kernelIf15HIP_vector_typeIfLj2EEfLi32ELi8ELi256ELi64ELi4ELi64ELi4ELi4ELi64ELc78ELc78ELb1ELb1ELb1EfKPKfKPfEEviiiT16_PT17_ilSA_ilS8_SA_ilPT18_ili26rocblas_geam_ex_operation_,"axG",@progbits,_ZN12_GLOBAL__N_120geam_min_plus_kernelIf15HIP_vector_typeIfLj2EEfLi32ELi8ELi256ELi64ELi4ELi64ELi4ELi4ELi64ELc78ELc78ELb1ELb1ELb1EfKPKfKPfEEviiiT16_PT17_ilSA_ilS8_SA_ilPT18_ili26rocblas_geam_ex_operation_,comdat
	.globl	_ZN12_GLOBAL__N_120geam_min_plus_kernelIf15HIP_vector_typeIfLj2EEfLi32ELi8ELi256ELi64ELi4ELi64ELi4ELi4ELi64ELc78ELc78ELb1ELb1ELb1EfKPKfKPfEEviiiT16_PT17_ilSA_ilS8_SA_ilPT18_ili26rocblas_geam_ex_operation_ ; -- Begin function _ZN12_GLOBAL__N_120geam_min_plus_kernelIf15HIP_vector_typeIfLj2EEfLi32ELi8ELi256ELi64ELi4ELi64ELi4ELi4ELi64ELc78ELc78ELb1ELb1ELb1EfKPKfKPfEEviiiT16_PT17_ilSA_ilS8_SA_ilPT18_ili26rocblas_geam_ex_operation_
	.p2align	8
	.type	_ZN12_GLOBAL__N_120geam_min_plus_kernelIf15HIP_vector_typeIfLj2EEfLi32ELi8ELi256ELi64ELi4ELi64ELi4ELi4ELi64ELc78ELc78ELb1ELb1ELb1EfKPKfKPfEEviiiT16_PT17_ilSA_ilS8_SA_ilPT18_ili26rocblas_geam_ex_operation_,@function
_ZN12_GLOBAL__N_120geam_min_plus_kernelIf15HIP_vector_typeIfLj2EEfLi32ELi8ELi256ELi64ELi4ELi64ELi4ELi4ELi64ELc78ELc78ELb1ELb1ELb1EfKPKfKPfEEviiiT16_PT17_ilSA_ilS8_SA_ilPT18_ili26rocblas_geam_ex_operation_: ; @_ZN12_GLOBAL__N_120geam_min_plus_kernelIf15HIP_vector_typeIfLj2EEfLi32ELi8ELi256ELi64ELi4ELi64ELi4ELi4ELi64ELc78ELc78ELb1ELb1ELb1EfKPKfKPfEEviiiT16_PT17_ilSA_ilS8_SA_ilPT18_ili26rocblas_geam_ex_operation_
; %bb.0:
	s_clause 0x1
	s_load_dwordx4 s[12:15], s[4:5], 0x0
	s_load_dwordx4 s[0:3], s[4:5], 0x20
	s_mov_b32 s16, s7
	s_mov_b32 s17, 0
	s_waitcnt lgkmcnt(0)
	v_cmp_eq_f32_e64 s7, s15, 0
	s_and_b32 vcc_lo, exec_lo, s7
	s_cbranch_vccnz .LBB7_3
; %bb.1:
	s_load_dwordx2 s[8:9], s[4:5], 0x10
	s_lshl_b64 s[10:11], s[16:17], 3
	s_waitcnt lgkmcnt(0)
	s_add_u32 s8, s8, s10
	s_addc_u32 s9, s9, s11
	s_lshl_b64 s[0:1], s[0:1], 2
	s_load_dwordx2 s[8:9], s[8:9], 0x0
	s_waitcnt lgkmcnt(0)
	s_add_u32 s8, s8, s0
	s_addc_u32 s9, s9, s1
	s_andn2_b32 vcc_lo, exec_lo, s7
	s_cbranch_vccnz .LBB7_4
.LBB7_2:
	s_mov_b32 s21, 0
	s_mov_b32 s20, s16
	;; [unrolled: 1-line block ×3, first 2 shown]
	s_mov_b64 s[10:11], 0
	s_andn2_b32 vcc_lo, exec_lo, s0
	s_mov_b64 s[18:19], 0
	s_cbranch_vccz .LBB7_5
	s_branch .LBB7_6
.LBB7_3:
	s_mov_b64 s[8:9], 0
	s_andn2_b32 vcc_lo, exec_lo, s7
	s_cbranch_vccz .LBB7_2
.LBB7_4:
	s_mov_b64 s[20:21], s[16:17]
	s_mov_b64 s[10:11], 0
	;; [unrolled: 1-line block ×3, first 2 shown]
.LBB7_5:
	s_lshl_b64 s[0:1], s[16:17], 3
	s_load_dwordx2 s[16:17], s[4:5], 0x38
	s_add_u32 s0, s2, s0
	s_addc_u32 s1, s3, s1
	s_load_dwordx2 s[0:1], s[0:1], 0x0
	s_waitcnt lgkmcnt(0)
	s_lshl_b64 s[2:3], s[16:17], 2
	s_add_u32 s18, s0, s2
	s_addc_u32 s19, s1, s3
.LBB7_6:
	s_clause 0x1
	s_load_dword s15, s[4:5], 0x40
	s_load_dwordx4 s[0:3], s[4:5], 0x58
	s_waitcnt lgkmcnt(0)
	v_cmp_eq_f32_e64 s7, s15, 0
	v_cmp_neq_f32_e64 s22, s15, 0
	s_and_b32 vcc_lo, exec_lo, s7
	s_cbranch_vccnz .LBB7_8
; %bb.7:
	s_load_dwordx2 s[10:11], s[4:5], 0x48
	s_lshl_b64 s[16:17], s[20:21], 3
	s_waitcnt lgkmcnt(0)
	s_add_u32 s10, s10, s16
	s_addc_u32 s11, s11, s17
	s_lshl_b64 s[0:1], s[0:1], 2
	s_load_dwordx2 s[10:11], s[10:11], 0x0
	s_waitcnt lgkmcnt(0)
	s_add_u32 s10, s10, s0
	s_addc_u32 s11, s11, s1
.LBB7_8:
	s_lshl_b64 s[0:1], s[20:21], 3
	s_load_dword s20, s[4:5], 0x18
	s_add_u32 s16, s2, s0
	s_addc_u32 s17, s3, s1
	s_add_i32 s0, s12, -1
	v_lshl_add_u32 v7, v1, 5, v0
	s_ashr_i32 s1, s0, 31
	s_lshr_b32 s1, s1, 24
	s_add_i32 s0, s0, s1
	v_lshrrev_b32_e32 v72, 6, v7
	s_ashr_i32 s0, s0, 8
	s_add_i32 s1, s0, 1
	s_not_b32 s0, s0
	v_cvt_f32_u32_e32 v2, s1
	v_rcp_iflag_f32_e32 v2, v2
	s_waitcnt lgkmcnt(0)
	v_mad_i64_i32 v[3:4], null, s20, v72, 0
	v_lshlrev_b64 v[3:4], 2, v[3:4]
	v_mul_f32_e32 v2, 0x4f7ffffe, v2
	v_add_co_u32 v8, vcc_lo, s8, v3
	v_cvt_u32_f32_e32 v2, v2
	v_add_co_ci_u32_e64 v9, null, s9, v4, vcc_lo
	v_mov_b32_e32 v3, 0x7f7fffff
	v_mov_b32_e32 v4, 0x7f7fffff
	v_readfirstlane_b32 s2, v2
	v_and_b32_e32 v2, 63, v7
	s_mul_i32 s0, s0, s2
	s_mul_hi_u32 s0, s2, s0
	s_add_i32 s2, s2, s0
	s_mul_hi_u32 s0, s6, s2
	s_mul_i32 s2, s0, s1
	s_add_i32 s3, s0, 1
	s_sub_i32 s2, s6, s2
	s_sub_i32 s7, s2, s1
	s_cmp_ge_u32 s2, s1
	s_cselect_b32 s0, s3, s0
	s_cselect_b32 s2, s7, s2
	s_add_i32 s3, s0, 1
	s_cmp_ge_u32 s2, s1
	s_cselect_b32 s7, s3, s0
	v_cmp_le_i32_e64 s3, s14, v72
	s_mul_i32 s0, s7, s1
	s_sub_i32 s0, s6, s0
	s_lshl_b32 s23, s0, 8
	v_or_b32_e32 v66, s23, v2
	v_cmp_le_i32_e32 vcc_lo, s12, v66
	v_ashrrev_i32_e32 v67, 31, v66
	s_nor_b32 s0, vcc_lo, s3
	s_and_saveexec_b32 s1, s0
	s_cbranch_execz .LBB7_10
; %bb.9:
	v_lshlrev_b64 v[4:5], 2, v[66:67]
	v_add_co_u32 v4, s0, v8, v4
	v_add_co_ci_u32_e64 v5, null, v9, v5, s0
	flat_load_dword v4, v[4:5]
.LBB7_10:
	s_or_b32 exec_lo, exec_lo, s1
	v_or_b32_e32 v5, 64, v66
	v_cmp_le_i32_e64 s0, s12, v5
	s_nor_b32 s1, s0, s3
	s_and_saveexec_b32 s2, s1
	s_cbranch_execz .LBB7_12
; %bb.11:
	v_lshlrev_b64 v[5:6], 2, v[66:67]
	v_add_co_u32 v5, s1, v8, v5
	v_add_co_ci_u32_e64 v6, null, v9, v6, s1
	flat_load_dword v3, v[5:6] offset:256
.LBB7_12:
	s_or_b32 exec_lo, exec_lo, s2
	v_or_b32_e32 v5, 0x80, v66
	v_mov_b32_e32 v6, 0x7f7fffff
	s_ashr_i32 s21, s20, 31
	v_cmp_le_i32_e64 s1, s12, v5
	v_mov_b32_e32 v5, 0x7f7fffff
	s_nor_b32 s2, s1, s3
	s_and_saveexec_b32 s6, s2
	s_cbranch_execz .LBB7_14
; %bb.13:
	v_lshlrev_b64 v[10:11], 2, v[66:67]
	v_add_co_u32 v10, s2, v8, v10
	v_add_co_ci_u32_e64 v11, null, v9, v11, s2
	flat_load_dword v6, v[10:11] offset:512
.LBB7_14:
	s_or_b32 exec_lo, exec_lo, s6
	v_or_b32_e32 v10, 0xc0, v66
	v_cmp_le_i32_e64 s2, s12, v10
	s_nor_b32 s3, s2, s3
	s_and_saveexec_b32 s6, s3
	s_cbranch_execz .LBB7_16
; %bb.15:
	v_lshlrev_b64 v[10:11], 2, v[66:67]
	v_add_co_u32 v8, s3, v8, v10
	v_add_co_ci_u32_e64 v9, null, v9, v11, s3
	flat_load_dword v5, v[8:9] offset:768
.LBB7_16:
	s_or_b32 exec_lo, exec_lo, s6
	s_load_dword s25, s[4:5], 0x30
	v_lshrrev_b32_e32 v7, 2, v7
	s_lshl_b32 s24, s7, 6
	v_and_b32_e32 v75, 3, v0
	v_mov_b32_e32 v70, 0x7f7fffff
	v_mov_b32_e32 v8, 0x7f7fffff
	v_add_nc_u32_e32 v69, s24, v7
	v_cmp_gt_i32_e64 s6, s14, v75
	v_lshlrev_b32_e32 v68, 2, v75
	v_cmp_gt_i32_e64 s7, s13, v69
	v_cmp_le_i32_e64 s3, s13, v69
	s_and_b32 s6, s6, s7
	s_and_saveexec_b32 s7, s6
	s_cbranch_execz .LBB7_18
; %bb.17:
	s_waitcnt lgkmcnt(0)
	v_mad_i64_i32 v[8:9], null, v69, s25, 0
	v_lshlrev_b64 v[8:9], 2, v[8:9]
	v_add_co_u32 v8, s6, s18, v8
	v_add_co_ci_u32_e64 v9, null, s19, v9, s6
	v_add_co_u32 v8, s6, v8, v68
	v_add_co_ci_u32_e64 v9, null, 0, v9, s6
	flat_load_dword v8, v[8:9]
.LBB7_18:
	s_or_b32 exec_lo, exec_lo, s7
	v_add_nc_u32_e32 v11, 4, v72
	v_mad_i64_i32 v[9:10], null, s20, v11, 0
	v_cmp_le_i32_e64 s6, s14, v11
	v_lshlrev_b64 v[9:10], 2, v[9:10]
	v_add_co_u32 v9, s7, s8, v9
	v_add_co_ci_u32_e64 v10, null, s9, v10, s7
	s_nor_b32 s7, vcc_lo, s6
	s_and_saveexec_b32 s26, s7
	s_cbranch_execz .LBB7_20
; %bb.19:
	v_lshlrev_b64 v[11:12], 2, v[66:67]
	v_add_co_u32 v11, s7, v9, v11
	v_add_co_ci_u32_e64 v12, null, v10, v12, s7
	flat_load_dword v70, v[11:12]
.LBB7_20:
	s_or_b32 exec_lo, exec_lo, s26
	v_mov_b32_e32 v71, 0x7f7fffff
	v_mov_b32_e32 v121, 0x7f7fffff
	s_nor_b32 s7, s0, s6
	s_and_saveexec_b32 s26, s7
	s_cbranch_execz .LBB7_22
; %bb.21:
	v_lshlrev_b64 v[11:12], 2, v[66:67]
	v_add_co_u32 v11, s7, v9, v11
	v_add_co_ci_u32_e64 v12, null, v10, v12, s7
	flat_load_dword v121, v[11:12] offset:256
.LBB7_22:
	s_or_b32 exec_lo, exec_lo, s26
	s_nor_b32 s7, s1, s6
	s_and_saveexec_b32 s26, s7
	s_cbranch_execz .LBB7_24
; %bb.23:
	v_lshlrev_b64 v[11:12], 2, v[66:67]
	v_add_co_u32 v11, s7, v9, v11
	v_add_co_ci_u32_e64 v12, null, v10, v12, s7
	flat_load_dword v71, v[11:12] offset:512
.LBB7_24:
	s_or_b32 exec_lo, exec_lo, s26
	v_mov_b32_e32 v143, 0x7f7fffff
	v_mov_b32_e32 v130, 0x7f7fffff
	s_nor_b32 s6, s2, s6
	s_and_saveexec_b32 s7, s6
	s_cbranch_execz .LBB7_26
; %bb.25:
	v_lshlrev_b64 v[11:12], 2, v[66:67]
	v_add_co_u32 v9, s6, v9, v11
	v_add_co_ci_u32_e64 v10, null, v10, v12, s6
	flat_load_dword v130, v[9:10] offset:768
.LBB7_26:
	s_or_b32 exec_lo, exec_lo, s7
	v_or_b32_e32 v9, 4, v75
	s_xor_b32 s7, s3, -1
	v_cmp_gt_i32_e64 s6, s14, v9
	s_and_b32 s3, s6, s7
	s_and_saveexec_b32 s6, s3
	s_cbranch_execz .LBB7_28
; %bb.27:
	s_waitcnt lgkmcnt(0)
	v_mad_i64_i32 v[9:10], null, v69, s25, 0
	v_lshlrev_b64 v[9:10], 2, v[9:10]
	v_add_co_u32 v9, s3, s18, v9
	v_add_co_ci_u32_e64 v10, null, s19, v10, s3
	v_add_co_u32 v9, s3, v9, v68
	v_add_co_ci_u32_e64 v10, null, 0, v10, s3
	flat_load_dword v143, v[9:10] offset:16
.LBB7_28:
	s_or_b32 exec_lo, exec_lo, s6
	v_lshlrev_b32_e32 v2, 4, v2
	v_lshl_or_b32 v144, v7, 4, v68
	v_lshlrev_b32_e32 v74, 4, v0
	s_load_dwordx2 s[16:17], s[16:17], 0x0
	v_lshlrev_b32_e32 v73, 4, v1
	v_lshl_add_u32 v76, v72, 2, v2
	s_cmp_lt_i32 s14, 9
	s_waitcnt vmcnt(0) lgkmcnt(0)
	ds_write2st64_b32 v76, v4, v3 offset1:4
	ds_write2st64_b32 v76, v6, v5 offset0:8 offset1:12
	ds_write_b32 v144, v8 offset:8192
	s_waitcnt lgkmcnt(0)
	s_barrier
	buffer_gl0_inv
	ds_read_b128 v[34:37], v74
	ds_read_b128 v[30:33], v74 offset:512
	ds_read_b128 v[26:29], v74 offset:1024
	;; [unrolled: 1-line block ×15, first 2 shown]
	ds_write2st64_b32 v76, v70, v121 offset0:16 offset1:20
	ds_write2st64_b32 v76, v71, v130 offset0:24 offset1:28
	ds_write_b32 v144, v143 offset:9216
	s_waitcnt lgkmcnt(0)
	s_barrier
	buffer_gl0_inv
	v_add_f32_e32 v77, v35, v63
	v_add_f32_e32 v78, v34, v62
	;; [unrolled: 1-line block ×6, first 2 shown]
	v_min3_f32 v77, v78, v77, 0x7f7fffff
	v_add_f32_e32 v78, v31, v63
	v_min3_f32 v78, v79, v78, 0x7f7fffff
	v_add_f32_e32 v79, v27, v63
	;; [unrolled: 2-line block ×5, first 2 shown]
	v_add_f32_e32 v82, v10, v62
	v_min3_f32 v118, v82, v81, 0x7f7fffff
	v_add_f32_e32 v81, v7, v63
	v_add_f32_e32 v82, v6, v62
	;; [unrolled: 1-line block ×4, first 2 shown]
	v_min3_f32 v119, v82, v81, 0x7f7fffff
	v_add_f32_e32 v81, v6, v38
	v_min3_f32 v120, v62, v63, 0x7f7fffff
	v_add_f32_e32 v62, v35, v59
	v_add_f32_e32 v63, v34, v58
	v_min3_f32 v116, v63, v62, 0x7f7fffff
	v_add_f32_e32 v62, v31, v59
	;; [unrolled: 3-line block ×7, first 2 shown]
	v_add_f32_e32 v63, v6, v58
	v_add_f32_e32 v59, v3, v59
	v_add_f32_e32 v58, v2, v58
	v_min3_f32 v110, v63, v62, 0x7f7fffff
	v_min3_f32 v109, v58, v59, 0x7f7fffff
	v_add_f32_e32 v58, v35, v55
	v_add_f32_e32 v59, v34, v54
	v_min3_f32 v108, v59, v58, 0x7f7fffff
	v_add_f32_e32 v58, v31, v55
	v_add_f32_e32 v59, v30, v54
	v_min3_f32 v107, v59, v58, 0x7f7fffff
	v_add_f32_e32 v58, v27, v55
	v_add_f32_e32 v59, v26, v54
	v_min3_f32 v106, v59, v58, 0x7f7fffff
	v_add_f32_e32 v58, v19, v55
	v_add_f32_e32 v59, v18, v54
	v_min3_f32 v105, v59, v58, 0x7f7fffff
	v_add_f32_e32 v58, v15, v55
	v_add_f32_e32 v59, v14, v54
	v_min3_f32 v104, v59, v58, 0x7f7fffff
	v_add_f32_e32 v58, v11, v55
	v_add_f32_e32 v59, v10, v54
	v_min3_f32 v103, v59, v58, 0x7f7fffff
	v_add_f32_e32 v58, v7, v55
	v_add_f32_e32 v59, v6, v54
	v_add_f32_e32 v55, v3, v55
	v_add_f32_e32 v54, v2, v54
	v_min3_f32 v102, v59, v58, 0x7f7fffff
	v_min3_f32 v101, v54, v55, 0x7f7fffff
	v_add_f32_e32 v54, v35, v51
	v_add_f32_e32 v55, v34, v50
	v_min3_f32 v100, v55, v54, 0x7f7fffff
	v_add_f32_e32 v54, v31, v51
	v_add_f32_e32 v55, v30, v50
	v_min3_f32 v99, v55, v54, 0x7f7fffff
	v_add_f32_e32 v54, v27, v51
	v_add_f32_e32 v55, v26, v50
	v_min3_f32 v98, v55, v54, 0x7f7fffff
	v_add_f32_e32 v54, v19, v51
	v_add_f32_e32 v55, v18, v50
	v_min3_f32 v97, v55, v54, 0x7f7fffff
	v_add_f32_e32 v54, v15, v51
	v_add_f32_e32 v55, v14, v50
	v_min3_f32 v96, v55, v54, 0x7f7fffff
	v_add_f32_e32 v54, v11, v51
	v_add_f32_e32 v55, v10, v50
	v_min3_f32 v95, v55, v54, 0x7f7fffff
	v_add_f32_e32 v54, v7, v51
	;; [unrolled: 24-line block ×4, first 2 shown]
	v_add_f32_e32 v47, v6, v42
	v_add_f32_e32 v43, v3, v43
	;; [unrolled: 1-line block ×4, first 2 shown]
	v_min3_f32 v58, v47, v46, 0x7f7fffff
	v_min3_f32 v55, v42, v43, 0x7f7fffff
	v_add_f32_e32 v42, v35, v39
	v_add_f32_e32 v43, v34, v38
	v_add_f32_e32 v35, v35, v23
	v_add_f32_e32 v34, v34, v22
	v_min3_f32 v54, v43, v42, 0x7f7fffff
	v_add_f32_e32 v42, v31, v39
	v_add_f32_e32 v43, v30, v38
	v_min3_f32 v34, v34, v35, 0x7f7fffff
	v_add_f32_e32 v31, v31, v23
	v_add_f32_e32 v30, v30, v22
	;; [unrolled: 3-line block ×9, first 2 shown]
	v_add_f32_e32 v38, v2, v38
	v_add_f32_e32 v2, v2, v22
	v_min3_f32 v14, v14, v15, 0x7f7fffff
	v_add_f32_e32 v11, v11, v23
	v_min3_f32 v43, v43, v42, 0x7f7fffff
	v_add_f32_e32 v42, v7, v39
	v_add_f32_e32 v39, v3, v39
	;; [unrolled: 1-line block ×5, first 2 shown]
	v_min3_f32 v42, v81, v42, 0x7f7fffff
	v_min3_f32 v38, v38, v39, 0x7f7fffff
	;; [unrolled: 1-line block ×4, first 2 shown]
	v_add_f32_e32 v3, v37, v65
	v_add_f32_e32 v7, v36, v64
	v_min3_f32 v10, v10, v11, 0x7f7fffff
	v_min3_f32 v142, v7, v3, v77
	v_add_f32_e32 v3, v33, v65
	v_add_f32_e32 v7, v32, v64
	v_min3_f32 v141, v7, v3, v78
	v_add_f32_e32 v3, v29, v65
	v_add_f32_e32 v7, v28, v64
	;; [unrolled: 3-line block ×55, first 2 shown]
	v_add_f32_e32 v4, v4, v24
	v_min3_f32 v89, v7, v3, v38
	v_add_f32_e32 v3, v37, v25
	v_add_f32_e32 v7, v36, v24
	v_min3_f32 v88, v7, v3, v34
	v_add_f32_e32 v3, v33, v25
	;; [unrolled: 3-line block ×8, first 2 shown]
	v_min3_f32 v91, v4, v3, v2
	s_cbranch_scc1 .LBB7_51
; %bb.29:
	v_mad_i64_i32 v[2:3], null, s25, v69, 0
	v_add_nc_u32_e32 v4, 8, v72
	v_add_nc_u32_e32 v5, 12, v72
	;; [unrolled: 1-line block ×3, first 2 shown]
	v_or_b32_e32 v130, 0x2000, v73
	v_or_b32_e32 v143, 0x1000, v76
	v_add_nc_u32_e32 v144, 0x2400, v144
	v_lshlrev_b64 v[2:3], 2, v[2:3]
	v_lshl_or_b32 v145, v0, 4, 0x1000
	v_lshl_add_u32 v146, v1, 4, 0x2400
	v_add_co_u32 v6, s3, v2, v68
	v_add_co_ci_u32_e64 v7, null, 0, v3, s3
	v_mad_i64_i32 v[2:3], null, v4, s20, 0
	v_add_co_u32 v8, s3, s18, v6
	v_mad_i64_i32 v[4:5], null, v5, s20, 0
	v_add_co_ci_u32_e64 v9, null, s19, v7, s3
	v_lshlrev_b64 v[6:7], 2, v[66:67]
	v_add_co_u32 v66, s3, v8, 48
	v_add_co_ci_u32_e64 v67, null, 0, v9, s3
	v_lshlrev_b64 v[68:69], 2, v[2:3]
	v_add_co_u32 v147, s3, s8, v6
	v_lshlrev_b64 v[70:71], 2, v[4:5]
	v_add_co_ci_u32_e64 v148, null, s9, v7, s3
	s_add_i32 s18, s14, -8
	s_lshl_b64 s[8:9], s[20:21], 5
	s_mov_b32 s19, 0
	s_branch .LBB7_31
.LBB7_30:                               ;   in Loop: Header=BB7_31 Depth=1
	s_or_b32 exec_lo, exec_lo, s3
	v_add_f32_e32 v154, v35, v63
	v_add_f32_e32 v155, v34, v62
	;; [unrolled: 1-line block ×6, first 2 shown]
	v_min3_f32 v142, v155, v154, v142
	v_add_f32_e32 v154, v23, v63
	v_min3_f32 v141, v157, v156, v141
	v_add_f32_e32 v155, v22, v62
	;; [unrolled: 2-line block ×3, first 2 shown]
	v_add_f32_e32 v157, v18, v62
	v_add_f32_e32 v158, v15, v63
	v_add_f32_e32 v159, v14, v62
	v_add_f32_e32 v160, v7, v63
	v_add_f32_e32 v161, v6, v62
	v_add_f32_e32 v63, v3, v63
	v_add_f32_e32 v62, v2, v62
	v_min3_f32 v79, v155, v154, v79
	v_min3_f32 v77, v157, v156, v77
	v_add_f32_e32 v154, v31, v59
	v_add_f32_e32 v155, v30, v58
	v_min3_f32 v62, v62, v63, v140
	v_add_f32_e32 v63, v35, v59
	v_add_f32_e32 v140, v34, v58
	;; [unrolled: 1-line block ×4, first 2 shown]
	v_min3_f32 v78, v159, v158, v78
	v_min3_f32 v80, v161, v160, v80
	v_add_f32_e32 v158, v23, v59
	v_add_f32_e32 v159, v22, v58
	;; [unrolled: 1-line block ×4, first 2 shown]
	v_min3_f32 v63, v140, v63, v139
	v_min3_f32 v138, v155, v154, v138
	;; [unrolled: 1-line block ×3, first 2 shown]
	v_add_f32_e32 v139, v15, v59
	v_add_f32_e32 v140, v14, v58
	;; [unrolled: 1-line block ×8, first 2 shown]
	v_min3_f32 v136, v159, v158, v136
	v_add_f32_e32 v158, v31, v55
	v_add_f32_e32 v159, v30, v54
	v_min3_f32 v134, v140, v139, v134
	v_min3_f32 v133, v155, v154, v133
	;; [unrolled: 1-line block ×4, first 2 shown]
	v_add_f32_e32 v131, v27, v55
	v_add_f32_e32 v132, v26, v54
	;; [unrolled: 1-line block ×6, first 2 shown]
	v_min3_f32 v129, v159, v158, v129
	v_add_f32_e32 v156, v15, v55
	v_add_f32_e32 v157, v14, v54
	;; [unrolled: 1-line block ×4, first 2 shown]
	v_min3_f32 v128, v132, v131, v128
	v_min3_f32 v127, v140, v139, v127
	;; [unrolled: 1-line block ×3, first 2 shown]
	v_add_f32_e32 v55, v3, v55
	v_add_f32_e32 v54, v2, v54
	;; [unrolled: 1-line block ×8, first 2 shown]
	v_min3_f32 v125, v157, v156, v125
	v_add_f32_e32 v156, v23, v51
	v_add_f32_e32 v157, v22, v50
	v_min3_f32 v54, v54, v55, v122
	v_min3_f32 v55, v132, v131, v123
	;; [unrolled: 1-line block ×4, first 2 shown]
	v_add_f32_e32 v122, v19, v51
	v_add_f32_e32 v123, v18, v50
	;; [unrolled: 1-line block ×10, first 2 shown]
	v_min3_f32 v117, v123, v122, v117
	v_min3_f32 v116, v132, v131, v116
	;; [unrolled: 1-line block ×3, first 2 shown]
	v_add_f32_e32 v114, v30, v46
	v_min3_f32 v51, v155, v154, v113
	v_add_f32_e32 v113, v31, v47
	v_add_f32_e32 v122, v27, v47
	;; [unrolled: 1-line block ×5, first 2 shown]
	v_min3_f32 v115, v140, v139, v115
	v_add_f32_e32 v139, v19, v47
	v_add_f32_e32 v140, v18, v46
	;; [unrolled: 1-line block ×4, first 2 shown]
	v_min3_f32 v112, v114, v113, v112
	v_min3_f32 v111, v123, v122, v111
	;; [unrolled: 1-line block ×3, first 2 shown]
	v_add_f32_e32 v113, v7, v47
	v_add_f32_e32 v114, v6, v46
	;; [unrolled: 1-line block ×8, first 2 shown]
	v_min3_f32 v109, v140, v139, v109
	v_add_f32_e32 v139, v27, v43
	v_add_f32_e32 v140, v26, v42
	v_min3_f32 v107, v114, v113, v107
	v_min3_f32 v46, v46, v47, v106
	;; [unrolled: 1-line block ×4, first 2 shown]
	v_add_f32_e32 v105, v23, v43
	v_add_f32_e32 v106, v22, v42
	;; [unrolled: 1-line block ×10, first 2 shown]
	v_min3_f32 v102, v106, v105, v102
	v_add_f32_e32 v105, v31, v39
	v_add_f32_e32 v106, v30, v38
	v_min3_f32 v101, v114, v113, v101
	v_min3_f32 v42, v42, v43, v98
	v_add_f32_e32 v43, v35, v39
	v_add_f32_e32 v98, v34, v38
	v_min3_f32 v100, v123, v122, v100
	v_min3_f32 v99, v132, v131, v99
	v_add_f32_e32 v113, v27, v39
	v_add_f32_e32 v114, v26, v38
	;; [unrolled: 1-line block ×6, first 2 shown]
	v_min3_f32 v43, v98, v43, v97
	v_min3_f32 v96, v106, v105, v96
	v_add_f32_e32 v97, v15, v39
	v_add_f32_e32 v98, v14, v38
	v_add_f32_e32 v105, v7, v39
	v_add_f32_e32 v106, v6, v38
	v_add_f32_e32 v39, v3, v39
	v_add_f32_e32 v38, v2, v38
	v_add_f32_e32 v35, v35, v11
	v_add_f32_e32 v34, v34, v10
	v_add_f32_e32 v31, v31, v11
	v_add_f32_e32 v30, v30, v10
	v_add_f32_e32 v19, v19, v11
	v_add_f32_e32 v18, v18, v10
	v_add_f32_e32 v15, v15, v11
	v_add_f32_e32 v14, v14, v10
	v_add_f32_e32 v7, v7, v11
	v_add_f32_e32 v6, v6, v10
	v_min3_f32 v38, v38, v39, v89
	v_min3_f32 v34, v34, v35, v88
	;; [unrolled: 1-line block ×3, first 2 shown]
	v_add_f32_e32 v27, v27, v11
	v_add_f32_e32 v26, v26, v10
	;; [unrolled: 1-line block ×4, first 2 shown]
	v_min3_f32 v31, v18, v19, v84
	v_min3_f32 v35, v14, v15, v83
	;; [unrolled: 1-line block ×3, first 2 shown]
	v_add_f32_e32 v3, v3, v11
	v_add_f32_e32 v2, v2, v10
	;; [unrolled: 1-line block ×10, first 2 shown]
	v_min3_f32 v26, v26, v27, v86
	v_min3_f32 v27, v22, v23, v85
	;; [unrolled: 1-line block ×7, first 2 shown]
	v_add_f32_e32 v3, v21, v65
	v_add_f32_e32 v6, v20, v64
	;; [unrolled: 1-line block ×10, first 2 shown]
	v_min3_f32 v135, v161, v160, v135
	v_min3_f32 v64, v6, v3, v77
	;; [unrolled: 1-line block ×6, first 2 shown]
	v_add_f32_e32 v3, v33, v61
	v_add_f32_e32 v6, v32, v60
	;; [unrolled: 1-line block ×10, first 2 shown]
	v_min3_f32 v78, v6, v3, v138
	v_min3_f32 v80, v10, v7, v137
	;; [unrolled: 1-line block ×5, first 2 shown]
	v_add_f32_e32 v3, v9, v61
	v_add_f32_e32 v6, v8, v60
	v_add_f32_e32 v7, v5, v61
	v_add_f32_e32 v10, v4, v60
	v_add_f32_e32 v11, v37, v57
	v_add_f32_e32 v14, v36, v56
	v_add_f32_e32 v15, v33, v57
	v_add_f32_e32 v18, v32, v56
	v_add_f32_e32 v19, v29, v57
	v_add_f32_e32 v22, v28, v56
	v_min3_f32 v124, v159, v158, v124
	v_min3_f32 v92, v98, v97, v92
	;; [unrolled: 1-line block ×7, first 2 shown]
	v_add_f32_e32 v3, v25, v57
	v_add_f32_e32 v6, v24, v56
	;; [unrolled: 1-line block ×10, first 2 shown]
	v_min3_f32 v118, v157, v156, v118
	v_min3_f32 v95, v114, v113, v95
	;; [unrolled: 1-line block ×8, first 2 shown]
	v_add_f32_e32 v3, v37, v53
	v_add_f32_e32 v6, v36, v52
	v_add_f32_e32 v7, v33, v53
	v_add_f32_e32 v10, v32, v52
	v_add_f32_e32 v11, v29, v53
	v_add_f32_e32 v14, v28, v52
	v_add_f32_e32 v15, v25, v53
	v_add_f32_e32 v18, v24, v52
	v_add_f32_e32 v19, v21, v53
	v_add_f32_e32 v22, v20, v52
	v_min3_f32 v94, v123, v122, v94
	v_min3_f32 v122, v6, v3, v55
	v_min3_f32 v120, v10, v7, v120
	v_min3_f32 v119, v14, v11, v119
	v_min3_f32 v118, v18, v15, v118
	v_min3_f32 v117, v22, v19, v117
	v_add_f32_e32 v3, v17, v53
	v_add_f32_e32 v6, v16, v52
	v_add_f32_e32 v7, v9, v53
	v_add_f32_e32 v10, v8, v52
	v_add_f32_e32 v11, v5, v53
	v_add_f32_e32 v14, v4, v52
	v_add_f32_e32 v15, v37, v49
	v_add_f32_e32 v18, v36, v48
	v_add_f32_e32 v19, v33, v49
	v_add_f32_e32 v22, v32, v48
	v_min3_f32 v108, v155, v154, v108
	v_min3_f32 v116, v6, v3, v116
	v_min3_f32 v115, v10, v7, v115
	v_min3_f32 v123, v14, v11, v50
	v_min3_f32 v124, v18, v15, v51
	v_min3_f32 v112, v22, v19, v112
	v_add_f32_e32 v3, v29, v49
	v_add_f32_e32 v6, v28, v48
	v_add_f32_e32 v7, v25, v49
	v_add_f32_e32 v10, v24, v48
	v_add_f32_e32 v11, v21, v49
	v_add_f32_e32 v14, v20, v48
	v_add_f32_e32 v15, v17, v49
	v_add_f32_e32 v18, v16, v48
	v_add_f32_e32 v19, v9, v49
	v_add_f32_e32 v22, v8, v48
	v_min3_f32 v103, v140, v139, v103
	v_min3_f32 v111, v6, v3, v111
	v_min3_f32 v110, v10, v7, v110
	v_min3_f32 v109, v14, v11, v109
	v_min3_f32 v108, v18, v15, v108
	v_min3_f32 v107, v22, v19, v107
	v_add_f32_e32 v3, v5, v49
	v_add_f32_e32 v6, v4, v48
	v_add_f32_e32 v7, v37, v45
	v_add_f32_e32 v10, v36, v44
	v_add_f32_e32 v11, v33, v45
	v_add_f32_e32 v14, v32, v44
	v_add_f32_e32 v15, v29, v45
	v_add_f32_e32 v18, v28, v44
	v_add_f32_e32 v19, v25, v45
	v_add_f32_e32 v22, v24, v44
	v_min3_f32 v125, v6, v3, v46
	v_min3_f32 v126, v10, v7, v47
	;; [unrolled: 1-line block ×5, first 2 shown]
	v_add_f32_e32 v3, v21, v45
	v_add_f32_e32 v6, v20, v44
	v_add_f32_e32 v7, v17, v45
	v_add_f32_e32 v10, v16, v44
	v_add_f32_e32 v11, v9, v45
	v_add_f32_e32 v14, v8, v44
	v_add_f32_e32 v15, v5, v45
	v_add_f32_e32 v18, v4, v44
	v_add_f32_e32 v19, v37, v41
	v_add_f32_e32 v22, v36, v40
	v_min3_f32 v93, v132, v131, v93
	v_min3_f32 v101, v6, v3, v101
	;; [unrolled: 1-line block ×6, first 2 shown]
	v_add_f32_e32 v3, v33, v41
	v_add_f32_e32 v6, v32, v40
	;; [unrolled: 1-line block ×10, first 2 shown]
	v_min3_f32 v96, v6, v3, v96
	v_min3_f32 v95, v10, v7, v95
	v_min3_f32 v94, v14, v11, v94
	v_min3_f32 v93, v18, v15, v93
	v_min3_f32 v92, v22, v19, v92
	v_add_f32_e32 v3, v9, v41
	v_add_f32_e32 v6, v8, v40
	;; [unrolled: 1-line block ×10, first 2 shown]
	v_min3_f32 v90, v6, v3, v90
	v_min3_f32 v129, v10, v7, v38
	;; [unrolled: 1-line block ×5, first 2 shown]
	v_add_f32_e32 v3, v25, v13
	v_add_f32_e32 v10, v24, v12
	v_add_f32_e32 v11, v21, v13
	v_add_f32_e32 v26, v20, v12
	v_add_f32_e32 v28, v17, v13
	v_add_f32_e32 v29, v16, v12
	ds_read_b128 v[14:17], v74
	ds_read_b128 v[18:21], v130
	v_add_f32_e32 v30, v9, v13
	ds_read_b128 v[22:25], v74 offset:512
	v_add_f32_e32 v32, v8, v12
	ds_read_b128 v[6:9], v74 offset:1024
	v_add_f32_e32 v5, v5, v13
	v_add_f32_e32 v4, v4, v12
	v_min3_f32 v134, v10, v3, v27
	v_min3_f32 v135, v26, v11, v31
	;; [unrolled: 1-line block ×5, first 2 shown]
	ds_read_b128 v[2:5], v74 offset:1536
	ds_read_b128 v[10:13], v74 offset:2048
	;; [unrolled: 1-line block ×11, first 2 shown]
	v_add_co_u32 v66, s3, v66, 32
	v_add_co_ci_u32_e64 v67, null, 0, v67, s3
	v_add_co_u32 v147, s3, v147, s8
	s_waitcnt lgkmcnt(13)
	v_add_f32_e32 v139, v15, v19
	v_add_f32_e32 v140, v14, v18
	s_waitcnt lgkmcnt(12)
	v_add_f32_e32 v141, v23, v19
	v_add_f32_e32 v142, v22, v18
	;; [unrolled: 3-line block ×3, first 2 shown]
	v_min3_f32 v82, v140, v139, v82
	s_waitcnt lgkmcnt(10)
	v_add_f32_e32 v139, v3, v19
	v_min3_f32 v83, v142, v141, v83
	v_add_f32_e32 v140, v2, v18
	v_min3_f32 v81, v155, v154, v81
	s_waitcnt lgkmcnt(9)
	v_add_f32_e32 v141, v11, v19
	v_add_f32_e32 v142, v10, v18
	s_waitcnt lgkmcnt(8)
	v_add_f32_e32 v154, v27, v19
	v_add_f32_e32 v155, v26, v18
	;; [unrolled: 3-line block ×4, first 2 shown]
	v_min3_f32 v79, v140, v139, v79
	v_min3_f32 v139, v142, v141, v64
	;; [unrolled: 1-line block ×5, first 2 shown]
	s_waitcnt lgkmcnt(5)
	v_add_f32_e32 v19, v15, v39
	v_add_f32_e32 v62, v14, v38
	;; [unrolled: 1-line block ×6, first 2 shown]
	v_min3_f32 v19, v62, v19, v63
	v_add_f32_e32 v62, v27, v39
	v_add_f32_e32 v63, v26, v38
	;; [unrolled: 1-line block ×6, first 2 shown]
	v_min3_f32 v158, v65, v64, v78
	v_min3_f32 v159, v141, v77, v80
	v_add_f32_e32 v64, v31, v39
	v_add_f32_e32 v65, v30, v38
	;; [unrolled: 1-line block ×4, first 2 shown]
	s_waitcnt lgkmcnt(4)
	v_add_f32_e32 v77, v15, v43
	v_add_f32_e32 v78, v14, v42
	;; [unrolled: 1-line block ×4, first 2 shown]
	v_min3_f32 v86, v63, v62, v86
	v_add_f32_e32 v62, v7, v43
	v_add_f32_e32 v63, v6, v42
	v_min3_f32 v87, v65, v64, v87
	v_min3_f32 v38, v38, v39, v88
	v_min3_f32 v39, v78, v77, v89
	v_min3_f32 v88, v141, v80, v91
	v_add_f32_e32 v64, v3, v43
	v_add_f32_e32 v65, v2, v42
	;; [unrolled: 1-line block ×8, first 2 shown]
	v_min3_f32 v97, v63, v62, v97
	v_add_f32_e32 v43, v35, v43
	v_add_f32_e32 v42, v34, v42
	s_waitcnt lgkmcnt(3)
	v_add_f32_e32 v62, v15, v47
	v_add_f32_e32 v63, v14, v46
	v_min3_f32 v98, v65, v64, v98
	v_add_f32_e32 v64, v23, v47
	v_add_f32_e32 v65, v22, v46
	v_min3_f32 v42, v42, v43, v114
	v_min3_f32 v43, v63, v62, v122
	v_add_f32_e32 v62, v11, v47
	v_add_f32_e32 v63, v10, v46
	v_min3_f32 v105, v78, v77, v105
	v_min3_f32 v89, v89, v80, v106
	;; [unrolled: 1-line block ×3, first 2 shown]
	v_add_f32_e32 v77, v7, v47
	v_add_f32_e32 v78, v6, v46
	;; [unrolled: 1-line block ×4, first 2 shown]
	v_min3_f32 v113, v65, v64, v120
	v_add_f32_e32 v64, v27, v47
	v_add_f32_e32 v65, v26, v46
	v_min3_f32 v117, v63, v62, v117
	s_waitcnt lgkmcnt(2)
	v_add_f32_e32 v62, v23, v51
	v_add_f32_e32 v63, v22, v50
	v_min3_f32 v114, v78, v77, v119
	v_min3_f32 v106, v106, v80, v118
	v_add_f32_e32 v77, v31, v47
	v_add_f32_e32 v78, v30, v46
	;; [unrolled: 1-line block ×6, first 2 shown]
	v_min3_f32 v116, v65, v64, v116
	v_add_f32_e32 v64, v7, v51
	v_add_f32_e32 v65, v6, v50
	v_min3_f32 v112, v63, v62, v112
	v_add_f32_e32 v62, v31, v51
	v_add_f32_e32 v63, v30, v50
	v_min3_f32 v115, v78, v77, v115
	v_min3_f32 v46, v46, v47, v123
	;; [unrolled: 1-line block ×3, first 2 shown]
	v_add_f32_e32 v77, v3, v51
	v_add_f32_e32 v78, v2, v50
	;; [unrolled: 1-line block ×6, first 2 shown]
	v_min3_f32 v111, v65, v64, v111
	v_add_f32_e32 v51, v35, v51
	v_add_f32_e32 v50, v34, v50
	s_waitcnt lgkmcnt(1)
	v_add_f32_e32 v64, v15, v55
	v_add_f32_e32 v65, v14, v54
	v_min3_f32 v107, v63, v62, v107
	v_add_f32_e32 v62, v3, v55
	v_add_f32_e32 v63, v2, v54
	v_min3_f32 v50, v50, v51, v125
	v_min3_f32 v51, v65, v64, v126
	;; [unrolled: 1-line block ×5, first 2 shown]
	ds_read_b128 v[62:65], v130 offset:896
	v_add_f32_e32 v77, v23, v55
	v_add_f32_e32 v78, v22, v54
	;; [unrolled: 1-line block ×4, first 2 shown]
	v_min3_f32 v108, v120, v119, v108
	v_add_f32_e32 v119, v31, v55
	v_min3_f32 v104, v78, v77, v104
	v_add_f32_e32 v77, v11, v55
	;; [unrolled: 2-line block ×3, first 2 shown]
	v_add_f32_e32 v80, v27, v55
	v_add_f32_e32 v118, v26, v54
	;; [unrolled: 1-line block ×5, first 2 shown]
	v_min3_f32 v101, v78, v77, v101
	v_min3_f32 v100, v118, v80, v100
	s_waitcnt lgkmcnt(1)
	v_add_f32_e32 v77, v14, v58
	v_add_f32_e32 v78, v23, v59
	v_min3_f32 v54, v54, v55, v127
	v_add_f32_e32 v55, v15, v59
	v_add_f32_e32 v80, v22, v58
	s_waitcnt lgkmcnt(0)
	v_add_f32_e32 v15, v15, v63
	v_add_f32_e32 v14, v14, v62
	;; [unrolled: 1-line block ×4, first 2 shown]
	v_min3_f32 v99, v120, v119, v99
	v_add_f32_e32 v118, v7, v59
	v_add_f32_e32 v119, v6, v58
	;; [unrolled: 1-line block ×6, first 2 shown]
	v_min3_f32 v55, v77, v55, v128
	v_min3_f32 v96, v80, v78, v96
	v_add_f32_e32 v77, v27, v59
	v_add_f32_e32 v78, v26, v58
	v_min3_f32 v14, v14, v15, v131
	v_min3_f32 v15, v22, v23, v132
	v_add_f32_e32 v7, v7, v63
	v_add_f32_e32 v6, v6, v62
	;; [unrolled: 1-line block ×10, first 2 shown]
	v_min3_f32 v95, v119, v118, v95
	v_add_f32_e32 v80, v31, v59
	v_add_f32_e32 v118, v30, v58
	;; [unrolled: 1-line block ×4, first 2 shown]
	v_min3_f32 v6, v6, v7, v133
	v_min3_f32 v2, v2, v3, v134
	;; [unrolled: 1-line block ×5, first 2 shown]
	v_add_f32_e32 v11, v35, v63
	v_add_f32_e32 v22, v34, v62
	;; [unrolled: 1-line block ×4, first 2 shown]
	v_min3_f32 v84, v155, v142, v84
	v_min3_f32 v58, v58, v59, v129
	v_add_f32_e32 v27, v25, v21
	v_add_f32_e32 v30, v24, v20
	;; [unrolled: 1-line block ×6, first 2 shown]
	v_min3_f32 v11, v22, v11, v138
	v_min3_f32 v142, v26, v23, v82
	v_add_f32_e32 v22, v13, v21
	v_add_f32_e32 v23, v12, v20
	v_min3_f32 v92, v78, v77, v92
	v_min3_f32 v141, v30, v27, v83
	;; [unrolled: 1-line block ×4, first 2 shown]
	v_add_f32_e32 v26, v29, v21
	v_add_f32_e32 v27, v28, v20
	v_add_f32_e32 v30, v33, v21
	v_add_f32_e32 v31, v32, v20
	v_add_f32_e32 v21, v37, v21
	v_add_f32_e32 v20, v36, v20
	v_add_f32_e32 v34, v17, v41
	v_add_f32_e32 v35, v16, v40
	v_min3_f32 v77, v23, v22, v139
	v_add_f32_e32 v22, v5, v41
	v_add_f32_e32 v23, v4, v40
	v_min3_f32 v78, v27, v26, v140
	v_min3_f32 v140, v20, v21, v18
	;; [unrolled: 1-line block ×3, first 2 shown]
	v_add_f32_e32 v18, v25, v41
	v_add_f32_e32 v19, v24, v40
	;; [unrolled: 1-line block ×4, first 2 shown]
	v_min3_f32 v136, v23, v22, v84
	v_add_f32_e32 v22, v17, v45
	v_add_f32_e32 v23, v16, v44
	v_min3_f32 v85, v157, v156, v85
	v_min3_f32 v90, v118, v80, v90
	;; [unrolled: 1-line block ×3, first 2 shown]
	v_add_f32_e32 v26, v13, v41
	v_add_f32_e32 v27, v12, v40
	v_add_f32_e32 v30, v29, v41
	v_add_f32_e32 v31, v28, v40
	v_min3_f32 v138, v19, v18, v158
	v_min3_f32 v137, v21, v20, v159
	v_add_f32_e32 v18, v33, v41
	v_add_f32_e32 v19, v32, v40
	v_add_f32_e32 v20, v37, v41
	v_add_f32_e32 v21, v36, v40
	v_min3_f32 v131, v23, v22, v39
	v_add_f32_e32 v22, v29, v45
	v_add_f32_e32 v23, v28, v44
	v_min3_f32 v135, v27, v26, v85
	v_min3_f32 v134, v31, v30, v86
	v_add_f32_e32 v26, v25, v45
	v_add_f32_e32 v27, v24, v44
	v_add_f32_e32 v30, v9, v45
	v_add_f32_e32 v31, v8, v44
	v_min3_f32 v133, v19, v18, v87
	v_min3_f32 v132, v21, v20, v38
	v_add_f32_e32 v18, v5, v45
	v_add_f32_e32 v19, v4, v44
	v_add_f32_e32 v20, v13, v45
	v_add_f32_e32 v21, v12, v44
	v_min3_f32 v125, v23, v22, v89
	v_add_f32_e32 v22, v9, v49
	v_add_f32_e32 v23, v8, v48
	v_min3_f32 v129, v27, v26, v88
	v_min3_f32 v128, v31, v30, v97
	;; [unrolled: 15-line block ×3, first 2 shown]
	v_min3_f32 v124, v27, v26, v91
	v_min3_f32 v122, v31, v30, v42
	v_add_f32_e32 v26, v5, v49
	v_add_f32_e32 v27, v4, v48
	v_add_f32_e32 v30, v13, v49
	v_add_f32_e32 v31, v12, v48
	v_min3_f32 v123, v19, v18, v43
	v_min3_f32 v120, v21, v20, v113
	v_add_f32_e32 v18, v29, v49
	v_add_f32_e32 v19, v28, v48
	v_add_f32_e32 v20, v33, v49
	v_add_f32_e32 v21, v32, v48
	v_min3_f32 v114, v23, v22, v46
	v_add_f32_e32 v22, v13, v53
	v_add_f32_e32 v23, v12, v52
	v_min3_f32 v118, v27, v26, v106
	v_min3_f32 v117, v31, v30, v117
	v_add_f32_e32 v26, v17, v53
	v_add_f32_e32 v27, v16, v52
	v_add_f32_e32 v30, v25, v53
	v_add_f32_e32 v31, v24, v52
	v_min3_f32 v116, v19, v18, v116
	v_min3_f32 v115, v21, v20, v115
	v_add_f32_e32 v18, v9, v53
	v_add_f32_e32 v19, v8, v52
	v_add_f32_e32 v20, v5, v53
	v_add_f32_e32 v21, v4, v52
	v_min3_f32 v109, v23, v22, v109
	v_add_f32_e32 v22, v25, v57
	v_add_f32_e32 v23, v24, v56
	;; [unrolled: 15-line block ×5, first 2 shown]
	v_add_f32_e32 v22, v25, v65
	v_add_f32_e32 v23, v24, v64
	v_add_f32_e32 v9, v9, v65
	v_add_f32_e32 v8, v8, v64
	v_min3_f32 v98, v27, v26, v54
	v_min3_f32 v97, v31, v30, v55
	v_add_f32_e32 v26, v13, v61
	v_add_f32_e32 v27, v12, v60
	v_add_f32_e32 v30, v29, v61
	v_add_f32_e32 v31, v28, v60
	v_min3_f32 v96, v19, v18, v96
	v_min3_f32 v95, v21, v20, v95
	;; [unrolled: 6-line block ×3, first 2 shown]
	v_min3_f32 v86, v8, v9, v6
	v_add_f32_e32 v5, v5, v65
	v_add_f32_e32 v4, v4, v64
	v_add_f32_e32 v6, v13, v65
	v_add_f32_e32 v8, v12, v64
	v_add_f32_e32 v9, v29, v65
	v_add_f32_e32 v12, v28, v64
	v_add_f32_e32 v13, v33, v65
	v_add_f32_e32 v14, v32, v64
	v_add_f32_e32 v15, v37, v65
	v_add_f32_e32 v16, v36, v64
	v_min3_f32 v93, v27, v26, v93
	v_min3_f32 v92, v31, v30, v92
	;; [unrolled: 1-line block ×9, first 2 shown]
	v_add_co_ci_u32_e64 v148, null, s9, v148, s3
	s_add_i32 s19, s19, 8
	s_waitcnt vmcnt(0)
	ds_write2st64_b32 v143, v149, v151 offset1:4
	ds_write2st64_b32 v143, v150, v153 offset0:8 offset1:12
	ds_write_b32 v144, v152
	s_cmp_ge_i32 s19, s18
	s_waitcnt lgkmcnt(0)
	s_barrier
	buffer_gl0_inv
	s_cbranch_scc1 .LBB7_51
.LBB7_31:                               ; =>This Inner Loop Header: Depth=1
	v_add_nc_u32_e32 v150, s19, v72
	v_mov_b32_e32 v151, 0x7f7fffff
	v_mov_b32_e32 v152, 0x7f7fffff
	v_add_nc_u32_e32 v2, 8, v150
	v_cmp_le_i32_e64 s3, s14, v2
	s_nor_b32 s6, vcc_lo, s3
	s_and_saveexec_b32 s20, s6
	s_cbranch_execz .LBB7_33
; %bb.32:                               ;   in Loop: Header=BB7_31 Depth=1
	v_add_co_u32 v2, s6, v147, v68
	v_add_co_ci_u32_e64 v3, null, v148, v69, s6
	flat_load_dword v152, v[2:3]
.LBB7_33:                               ;   in Loop: Header=BB7_31 Depth=1
	s_or_b32 exec_lo, exec_lo, s20
	s_nor_b32 s6, s0, s3
	s_and_saveexec_b32 s20, s6
	s_cbranch_execz .LBB7_35
; %bb.34:                               ;   in Loop: Header=BB7_31 Depth=1
	v_add_co_u32 v2, s6, v147, v68
	v_add_co_ci_u32_e64 v3, null, v148, v69, s6
	flat_load_dword v151, v[2:3] offset:256
.LBB7_35:                               ;   in Loop: Header=BB7_31 Depth=1
	s_or_b32 exec_lo, exec_lo, s20
	v_mov_b32_e32 v153, 0x7f7fffff
	v_mov_b32_e32 v155, 0x7f7fffff
	s_nor_b32 s6, s1, s3
	s_and_saveexec_b32 s20, s6
	s_cbranch_execz .LBB7_37
; %bb.36:                               ;   in Loop: Header=BB7_31 Depth=1
	v_add_co_u32 v2, s6, v147, v68
	v_add_co_ci_u32_e64 v3, null, v148, v69, s6
	flat_load_dword v155, v[2:3] offset:512
.LBB7_37:                               ;   in Loop: Header=BB7_31 Depth=1
	s_or_b32 exec_lo, exec_lo, s20
	s_nor_b32 s3, s2, s3
	s_and_saveexec_b32 s6, s3
	s_cbranch_execz .LBB7_39
; %bb.38:                               ;   in Loop: Header=BB7_31 Depth=1
	v_add_co_u32 v2, s3, v147, v68
	v_add_co_ci_u32_e64 v3, null, v148, v69, s3
	flat_load_dword v153, v[2:3] offset:768
.LBB7_39:                               ;   in Loop: Header=BB7_31 Depth=1
	s_or_b32 exec_lo, exec_lo, s6
	v_add_nc_u32_e32 v154, s19, v75
	v_mov_b32_e32 v149, 0x7f7fffff
	v_mov_b32_e32 v156, 0x7f7fffff
	v_add_nc_u32_e32 v2, 8, v154
	v_cmp_gt_i32_e64 s3, s14, v2
	s_and_b32 s3, s3, s7
	s_and_saveexec_b32 s6, s3
	s_cbranch_execz .LBB7_41
; %bb.40:                               ;   in Loop: Header=BB7_31 Depth=1
	v_add_co_u32 v2, s3, -16, v66
	v_add_co_ci_u32_e64 v3, null, -1, v67, s3
	flat_load_dword v156, v[2:3]
.LBB7_41:                               ;   in Loop: Header=BB7_31 Depth=1
	s_or_b32 exec_lo, exec_lo, s6
	ds_read_b128 v[34:37], v145
	ds_read_b128 v[30:33], v145 offset:512
	ds_read_b128 v[26:29], v145 offset:1024
	;; [unrolled: 1-line block ×7, first 2 shown]
	ds_read_b128 v[62:65], v146
	ds_read_b128 v[58:61], v146 offset:128
	ds_read_b128 v[54:57], v146 offset:256
	;; [unrolled: 1-line block ×7, first 2 shown]
	v_add_nc_u32_e32 v150, 12, v150
	s_waitcnt vmcnt(0) lgkmcnt(16)
	ds_write2st64_b32 v76, v152, v151 offset1:4
	ds_write2st64_b32 v76, v155, v153 offset0:8 offset1:12
	ds_write_b32 v121, v156
	s_waitcnt lgkmcnt(0)
	s_barrier
	v_cmp_le_i32_e64 s3, s14, v150
	buffer_gl0_inv
	s_nor_b32 s6, vcc_lo, s3
	s_and_saveexec_b32 s20, s6
	s_cbranch_execz .LBB7_43
; %bb.42:                               ;   in Loop: Header=BB7_31 Depth=1
	v_add_co_u32 v149, s6, v147, v70
	v_add_co_ci_u32_e64 v150, null, v148, v71, s6
	flat_load_dword v149, v[149:150]
.LBB7_43:                               ;   in Loop: Header=BB7_31 Depth=1
	s_or_b32 exec_lo, exec_lo, s20
	v_mov_b32_e32 v150, 0x7f7fffff
	v_mov_b32_e32 v151, 0x7f7fffff
	s_nor_b32 s6, s0, s3
	s_and_saveexec_b32 s20, s6
	s_cbranch_execz .LBB7_45
; %bb.44:                               ;   in Loop: Header=BB7_31 Depth=1
	v_add_co_u32 v151, s6, v147, v70
	v_add_co_ci_u32_e64 v152, null, v148, v71, s6
	flat_load_dword v151, v[151:152] offset:256
.LBB7_45:                               ;   in Loop: Header=BB7_31 Depth=1
	s_or_b32 exec_lo, exec_lo, s20
	s_nor_b32 s6, s1, s3
	s_and_saveexec_b32 s20, s6
	s_cbranch_execz .LBB7_47
; %bb.46:                               ;   in Loop: Header=BB7_31 Depth=1
	v_add_co_u32 v152, s6, v147, v70
	v_add_co_ci_u32_e64 v153, null, v148, v71, s6
	flat_load_dword v150, v[152:153] offset:512
.LBB7_47:                               ;   in Loop: Header=BB7_31 Depth=1
	s_or_b32 exec_lo, exec_lo, s20
	v_mov_b32_e32 v152, 0x7f7fffff
	v_mov_b32_e32 v153, 0x7f7fffff
	s_nor_b32 s3, s2, s3
	s_and_saveexec_b32 s6, s3
	s_cbranch_execz .LBB7_49
; %bb.48:                               ;   in Loop: Header=BB7_31 Depth=1
	v_add_co_u32 v155, s3, v147, v70
	v_add_co_ci_u32_e64 v156, null, v148, v71, s3
	flat_load_dword v153, v[155:156] offset:768
.LBB7_49:                               ;   in Loop: Header=BB7_31 Depth=1
	s_or_b32 exec_lo, exec_lo, s6
	v_add_nc_u32_e32 v154, 12, v154
	v_cmp_gt_i32_e64 s3, s14, v154
	s_and_b32 s6, s3, s7
	s_and_saveexec_b32 s3, s6
	s_cbranch_execz .LBB7_30
; %bb.50:                               ;   in Loop: Header=BB7_31 Depth=1
	flat_load_dword v152, v[66:67]
	s_branch .LBB7_30
.LBB7_51:
	s_clause 0x2
	s_load_dword s14, s[4:5], 0x50
	s_load_dword s9, s[4:5], 0x68
	s_load_dwordx2 s[0:1], s[4:5], 0x70
	v_add_nc_u32_e32 v130, s24, v1
	ds_read_b128 v[34:37], v74 offset:4096
	ds_read_b128 v[30:33], v74 offset:4608
	;; [unrolled: 1-line block ×16, first 2 shown]
	v_add_nc_u32_e32 v0, s23, v0
	v_cmp_gt_i32_e64 s8, s13, v130
	v_cndmask_b32_e64 v121, 0, 1, s22
	v_ashrrev_i32_e32 v1, 31, v0
	s_waitcnt lgkmcnt(0)
	v_mad_i64_i32 v[66:67], null, v130, s14, 0
	v_mad_i64_i32 v[68:69], null, v130, s9, 0
	s_lshl_b64 s[0:1], s[0:1], 2
	s_add_u32 s16, s16, s0
	s_addc_u32 s17, s17, s1
	v_lshlrev_b64 v[66:67], 2, v[66:67]
	v_cmp_gt_i32_e64 s0, s12, v0
	v_lshlrev_b64 v[68:69], 2, v[68:69]
	s_and_b32 s2, s0, s8
	v_add_co_u32 v145, vcc_lo, s10, v66
	v_add_co_ci_u32_e64 v146, null, s11, v67, vcc_lo
	v_add_co_u32 v143, vcc_lo, s16, v68
	v_add_co_ci_u32_e64 v144, null, s17, v69, vcc_lo
	s_and_saveexec_b32 s1, s2
	s_cbranch_execz .LBB7_56
; %bb.52:
	v_lshlrev_b64 v[66:67], 2, v[0:1]
	s_andn2_b32 vcc_lo, exec_lo, s22
	s_cbranch_vccnz .LBB7_54
; %bb.53:
	v_add_co_u32 v68, vcc_lo, v145, v66
	v_add_co_ci_u32_e64 v69, null, v146, v67, vcc_lo
	flat_load_dword v68, v[68:69]
	s_waitcnt vmcnt(0) lgkmcnt(0)
	v_mul_f32_e32 v68, s15, v68
	s_branch .LBB7_55
.LBB7_54:
	v_mov_b32_e32 v68, 0
.LBB7_55:
	v_add_f32_e32 v69, v35, v63
	v_add_f32_e32 v70, v34, v62
	;; [unrolled: 1-line block ×4, first 2 shown]
	v_add_co_u32 v66, vcc_lo, v143, v66
	v_min3_f32 v69, v70, v69, v142
	v_add_co_ci_u32_e64 v67, null, v144, v67, vcc_lo
	v_min_f32_e32 v70, v72, v71
	v_min3_f32 v68, v68, v70, v69
	flat_store_dword v[66:67], v68
.LBB7_56:
	s_or_b32 exec_lo, exec_lo, s1
	v_add_nc_u32_e32 v66, 32, v0
	v_cmp_gt_i32_e64 s1, s12, v66
	v_ashrrev_i32_e32 v67, 31, v66
	s_and_b32 s3, s1, s8
	s_and_saveexec_b32 s2, s3
	s_cbranch_execz .LBB7_61
; %bb.57:
	v_cmp_ne_u32_e32 vcc_lo, 1, v121
	v_lshlrev_b64 v[68:69], 2, v[66:67]
	s_cbranch_vccnz .LBB7_59
; %bb.58:
	v_add_co_u32 v70, vcc_lo, v145, v68
	v_add_co_ci_u32_e64 v71, null, v146, v69, vcc_lo
	flat_load_dword v70, v[70:71]
	s_waitcnt vmcnt(0) lgkmcnt(0)
	v_mul_f32_e32 v70, s15, v70
	s_branch .LBB7_60
.LBB7_59:
	v_mov_b32_e32 v70, 0
.LBB7_60:
	v_add_f32_e32 v71, v31, v63
	v_add_f32_e32 v72, v30, v62
	v_add_f32_e32 v73, v33, v65
	v_add_f32_e32 v74, v32, v64
	v_add_co_u32 v68, vcc_lo, v143, v68
	v_min3_f32 v71, v72, v71, v141
	v_add_co_ci_u32_e64 v69, null, v144, v69, vcc_lo
	v_min_f32_e32 v72, v74, v73
	v_min3_f32 v70, v70, v72, v71
	flat_store_dword v[68:69], v70
.LBB7_61:
	s_or_b32 exec_lo, exec_lo, s2
	v_add_nc_u32_e32 v68, 64, v0
	v_cmp_gt_i32_e64 s2, s12, v68
	v_ashrrev_i32_e32 v69, 31, v68
	s_and_b32 s4, s2, s8
	s_and_saveexec_b32 s3, s4
	s_cbranch_execz .LBB7_66
; %bb.62:
	v_cmp_ne_u32_e32 vcc_lo, 1, v121
	v_lshlrev_b64 v[70:71], 2, v[68:69]
	s_cbranch_vccnz .LBB7_64
; %bb.63:
	v_add_co_u32 v72, vcc_lo, v145, v70
	v_add_co_ci_u32_e64 v73, null, v146, v71, vcc_lo
	flat_load_dword v72, v[72:73]
	s_waitcnt vmcnt(0) lgkmcnt(0)
	v_mul_f32_e32 v72, s15, v72
	s_branch .LBB7_65
.LBB7_64:
	v_mov_b32_e32 v72, 0
.LBB7_65:
	v_add_f32_e32 v73, v27, v63
	v_add_f32_e32 v74, v26, v62
	v_add_f32_e32 v75, v29, v65
	v_add_f32_e32 v76, v28, v64
	v_add_co_u32 v70, vcc_lo, v143, v70
	v_min3_f32 v73, v74, v73, v81
	v_add_co_ci_u32_e64 v71, null, v144, v71, vcc_lo
	v_min_f32_e32 v74, v76, v75
	v_min3_f32 v72, v72, v74, v73
	flat_store_dword v[70:71], v72
.LBB7_66:
	s_or_b32 exec_lo, exec_lo, s3
	v_add_nc_u32_e32 v70, 0x60, v0
	v_cmp_gt_i32_e64 s3, s12, v70
	v_ashrrev_i32_e32 v71, 31, v70
	s_and_b32 s5, s3, s8
	s_and_saveexec_b32 s4, s5
	s_cbranch_execz .LBB7_71
; %bb.67:
	v_cmp_ne_u32_e32 vcc_lo, 1, v121
	v_lshlrev_b64 v[72:73], 2, v[70:71]
	s_cbranch_vccnz .LBB7_69
; %bb.68:
	v_add_co_u32 v74, vcc_lo, v145, v72
	v_add_co_ci_u32_e64 v75, null, v146, v73, vcc_lo
	flat_load_dword v74, v[74:75]
	s_waitcnt vmcnt(0) lgkmcnt(0)
	v_mul_f32_e32 v74, s15, v74
	s_branch .LBB7_70
.LBB7_69:
	v_mov_b32_e32 v74, 0
.LBB7_70:
	v_add_f32_e32 v75, v23, v63
	v_add_f32_e32 v76, v22, v62
	v_add_f32_e32 v81, v25, v65
	v_add_f32_e32 v141, v24, v64
	v_add_co_u32 v72, vcc_lo, v143, v72
	v_min3_f32 v75, v76, v75, v79
	v_add_co_ci_u32_e64 v73, null, v144, v73, vcc_lo
	v_min_f32_e32 v76, v141, v81
	v_min3_f32 v74, v74, v76, v75
	flat_store_dword v[72:73], v74
.LBB7_71:
	s_or_b32 exec_lo, exec_lo, s4
	v_add_nc_u32_e32 v72, 0x80, v0
	v_cmp_gt_i32_e64 s4, s12, v72
	v_ashrrev_i32_e32 v73, 31, v72
	s_and_b32 s6, s4, s8
	s_and_saveexec_b32 s5, s6
	s_cbranch_execz .LBB7_76
; %bb.72:
	v_cmp_ne_u32_e32 vcc_lo, 1, v121
	v_lshlrev_b64 v[74:75], 2, v[72:73]
	s_cbranch_vccnz .LBB7_74
; %bb.73:
	v_add_co_u32 v141, vcc_lo, v145, v74
	v_add_co_ci_u32_e64 v142, null, v146, v75, vcc_lo
	flat_load_dword v76, v[141:142]
	s_waitcnt vmcnt(0) lgkmcnt(0)
	v_mul_f32_e32 v76, s15, v76
	s_branch .LBB7_75
.LBB7_74:
	v_mov_b32_e32 v76, 0
.LBB7_75:
	v_add_f32_e32 v79, v19, v63
	v_add_f32_e32 v81, v18, v62
	v_add_f32_e32 v141, v21, v65
	v_add_f32_e32 v142, v20, v64
	v_add_co_u32 v74, vcc_lo, v143, v74
	v_min3_f32 v77, v81, v79, v77
	v_add_co_ci_u32_e64 v75, null, v144, v75, vcc_lo
	v_min_f32_e32 v79, v142, v141
	v_min3_f32 v76, v76, v79, v77
	flat_store_dword v[74:75], v76
.LBB7_76:
	s_or_b32 exec_lo, exec_lo, s5
	v_add_nc_u32_e32 v74, 0xa0, v0
	v_cmp_gt_i32_e64 s5, s12, v74
	v_ashrrev_i32_e32 v75, 31, v74
	s_and_b32 s7, s5, s8
	s_and_saveexec_b32 s6, s7
	s_cbranch_execz .LBB7_81
; %bb.77:
	v_cmp_ne_u32_e32 vcc_lo, 1, v121
	v_lshlrev_b64 v[76:77], 2, v[74:75]
	s_cbranch_vccnz .LBB7_79
; %bb.78:
	v_add_co_u32 v141, vcc_lo, v145, v76
	v_add_co_ci_u32_e64 v142, null, v146, v77, vcc_lo
	flat_load_dword v79, v[141:142]
	s_waitcnt vmcnt(0) lgkmcnt(0)
	v_mul_f32_e32 v79, s15, v79
	s_branch .LBB7_80
.LBB7_79:
	v_mov_b32_e32 v79, 0
.LBB7_80:
	v_add_f32_e32 v81, v15, v63
	v_add_f32_e32 v141, v14, v62
	v_add_f32_e32 v142, v17, v65
	v_add_f32_e32 v147, v16, v64
	v_add_co_u32 v76, vcc_lo, v143, v76
	v_min3_f32 v78, v141, v81, v78
	v_add_co_ci_u32_e64 v77, null, v144, v77, vcc_lo
	v_min_f32_e32 v81, v147, v142
	v_min3_f32 v78, v79, v81, v78
	flat_store_dword v[76:77], v78
.LBB7_81:
	s_or_b32 exec_lo, exec_lo, s6
	v_add_nc_u32_e32 v76, 0xc0, v0
	v_cmp_gt_i32_e64 s6, s12, v76
	v_ashrrev_i32_e32 v77, 31, v76
	s_and_b32 s18, s6, s8
	s_and_saveexec_b32 s7, s18
	s_cbranch_execz .LBB7_86
; %bb.82:
	v_cmp_ne_u32_e32 vcc_lo, 1, v121
	v_lshlrev_b64 v[78:79], 2, v[76:77]
	s_cbranch_vccnz .LBB7_84
; %bb.83:
	v_add_co_u32 v141, vcc_lo, v145, v78
	v_add_co_ci_u32_e64 v142, null, v146, v79, vcc_lo
	flat_load_dword v81, v[141:142]
	s_waitcnt vmcnt(0) lgkmcnt(0)
	v_mul_f32_e32 v81, s15, v81
	s_branch .LBB7_85
.LBB7_84:
	v_mov_b32_e32 v81, 0
.LBB7_85:
	v_add_f32_e32 v141, v11, v63
	v_add_f32_e32 v142, v10, v62
	v_add_f32_e32 v147, v13, v65
	v_add_f32_e32 v148, v12, v64
	v_add_co_u32 v78, vcc_lo, v143, v78
	v_min3_f32 v80, v142, v141, v80
	v_add_co_ci_u32_e64 v79, null, v144, v79, vcc_lo
	v_min_f32_e32 v141, v148, v147
	v_min3_f32 v80, v81, v141, v80
	flat_store_dword v[78:79], v80
.LBB7_86:
	s_or_b32 exec_lo, exec_lo, s7
	v_add_nc_u32_e32 v78, 0xe0, v0
	v_cmp_gt_i32_e64 s7, s12, v78
	v_ashrrev_i32_e32 v79, 31, v78
	s_and_b32 s12, s7, s8
	s_and_saveexec_b32 s8, s12
	s_cbranch_execz .LBB7_91
; %bb.87:
	v_cmp_ne_u32_e32 vcc_lo, 1, v121
	v_lshlrev_b64 v[80:81], 2, v[78:79]
	s_cbranch_vccnz .LBB7_89
; %bb.88:
	v_add_co_u32 v141, vcc_lo, v145, v80
	v_add_co_ci_u32_e64 v142, null, v146, v81, vcc_lo
	flat_load_dword v141, v[141:142]
	s_waitcnt vmcnt(0) lgkmcnt(0)
	v_mul_f32_e32 v141, s15, v141
	s_branch .LBB7_90
.LBB7_89:
	v_mov_b32_e32 v141, 0
.LBB7_90:
	v_add_f32_e32 v63, v3, v63
	v_add_f32_e32 v62, v2, v62
	;; [unrolled: 1-line block ×4, first 2 shown]
	v_min3_f32 v62, v62, v63, v140
	v_min_f32_e32 v63, v64, v65
	v_min3_f32 v64, v141, v63, v62
	v_add_co_u32 v62, vcc_lo, v143, v80
	v_add_co_ci_u32_e64 v63, null, v144, v81, vcc_lo
	flat_store_dword v[62:63], v64
.LBB7_91:
	s_or_b32 exec_lo, exec_lo, s8
	v_add_nc_u32_e32 v80, 8, v130
	v_mad_i64_i32 v[62:63], null, v80, s14, 0
	v_mad_i64_i32 v[64:65], null, v80, s9, 0
	v_cmp_gt_i32_e64 s8, s13, v80
	v_lshlrev_b64 v[62:63], 2, v[62:63]
	s_and_b32 s18, s0, s8
	v_lshlrev_b64 v[64:65], 2, v[64:65]
	v_add_co_u32 v80, vcc_lo, s10, v62
	v_add_co_ci_u32_e64 v81, null, s11, v63, vcc_lo
	v_add_co_u32 v64, vcc_lo, s16, v64
	v_add_co_ci_u32_e64 v65, null, s17, v65, vcc_lo
	s_and_saveexec_b32 s12, s18
	s_cbranch_execnz .LBB7_99
; %bb.92:
	s_or_b32 exec_lo, exec_lo, s12
	s_and_b32 s18, s1, s8
	s_and_saveexec_b32 s12, s18
	s_cbranch_execnz .LBB7_103
.LBB7_93:
	s_or_b32 exec_lo, exec_lo, s12
	s_and_b32 s18, s2, s8
	s_and_saveexec_b32 s12, s18
	s_cbranch_execnz .LBB7_107
.LBB7_94:
	s_or_b32 exec_lo, exec_lo, s12
	s_and_b32 s18, s3, s8
	s_and_saveexec_b32 s12, s18
	s_cbranch_execnz .LBB7_111
.LBB7_95:
	s_or_b32 exec_lo, exec_lo, s12
	s_and_b32 s18, s4, s8
	s_and_saveexec_b32 s12, s18
	s_cbranch_execnz .LBB7_115
.LBB7_96:
	s_or_b32 exec_lo, exec_lo, s12
	s_and_b32 s18, s5, s8
	s_and_saveexec_b32 s12, s18
	s_cbranch_execnz .LBB7_119
.LBB7_97:
	s_or_b32 exec_lo, exec_lo, s12
	s_and_b32 s18, s6, s8
	s_and_saveexec_b32 s12, s18
	s_cbranch_execnz .LBB7_123
.LBB7_98:
	s_or_b32 exec_lo, exec_lo, s12
	s_and_b32 s12, s7, s8
	s_and_saveexec_b32 s8, s12
	s_cbranch_execnz .LBB7_127
	s_branch .LBB7_131
.LBB7_99:
	v_cmp_ne_u32_e32 vcc_lo, 1, v121
	v_lshlrev_b64 v[62:63], 2, v[0:1]
	s_cbranch_vccnz .LBB7_101
; %bb.100:
	v_add_co_u32 v140, vcc_lo, v80, v62
	v_add_co_ci_u32_e64 v141, null, v81, v63, vcc_lo
	flat_load_dword v140, v[140:141]
	s_waitcnt vmcnt(0) lgkmcnt(0)
	v_mul_f32_e32 v140, s15, v140
	s_branch .LBB7_102
.LBB7_101:
	v_mov_b32_e32 v140, 0
.LBB7_102:
	v_add_f32_e32 v141, v35, v59
	v_add_f32_e32 v142, v34, v58
	;; [unrolled: 1-line block ×4, first 2 shown]
	v_add_co_u32 v62, vcc_lo, v64, v62
	v_min3_f32 v139, v142, v141, v139
	v_add_co_ci_u32_e64 v63, null, v65, v63, vcc_lo
	v_min_f32_e32 v141, v144, v143
	v_min3_f32 v139, v140, v141, v139
	flat_store_dword v[62:63], v139
	s_or_b32 exec_lo, exec_lo, s12
	s_and_b32 s18, s1, s8
	s_and_saveexec_b32 s12, s18
	s_cbranch_execz .LBB7_93
.LBB7_103:
	v_cmp_ne_u32_e32 vcc_lo, 1, v121
	v_lshlrev_b64 v[62:63], 2, v[66:67]
	s_cbranch_vccnz .LBB7_105
; %bb.104:
	v_add_co_u32 v139, vcc_lo, v80, v62
	v_add_co_ci_u32_e64 v140, null, v81, v63, vcc_lo
	flat_load_dword v139, v[139:140]
	s_waitcnt vmcnt(0) lgkmcnt(0)
	v_mul_f32_e32 v139, s15, v139
	s_branch .LBB7_106
.LBB7_105:
	v_mov_b32_e32 v139, 0
.LBB7_106:
	v_add_f32_e32 v140, v31, v59
	v_add_f32_e32 v141, v30, v58
	;; [unrolled: 1-line block ×4, first 2 shown]
	v_add_co_u32 v62, vcc_lo, v64, v62
	v_min3_f32 v138, v141, v140, v138
	v_add_co_ci_u32_e64 v63, null, v65, v63, vcc_lo
	v_min_f32_e32 v140, v143, v142
	v_min3_f32 v138, v139, v140, v138
	flat_store_dword v[62:63], v138
	s_or_b32 exec_lo, exec_lo, s12
	s_and_b32 s18, s2, s8
	s_and_saveexec_b32 s12, s18
	s_cbranch_execz .LBB7_94
.LBB7_107:
	v_cmp_ne_u32_e32 vcc_lo, 1, v121
	v_lshlrev_b64 v[62:63], 2, v[68:69]
	s_cbranch_vccnz .LBB7_109
; %bb.108:
	v_add_co_u32 v138, vcc_lo, v80, v62
	v_add_co_ci_u32_e64 v139, null, v81, v63, vcc_lo
	flat_load_dword v138, v[138:139]
	s_waitcnt vmcnt(0) lgkmcnt(0)
	v_mul_f32_e32 v138, s15, v138
	s_branch .LBB7_110
.LBB7_109:
	v_mov_b32_e32 v138, 0
.LBB7_110:
	v_add_f32_e32 v139, v27, v59
	v_add_f32_e32 v140, v26, v58
	;; [unrolled: 1-line block ×4, first 2 shown]
	v_add_co_u32 v62, vcc_lo, v64, v62
	v_min3_f32 v137, v140, v139, v137
	v_add_co_ci_u32_e64 v63, null, v65, v63, vcc_lo
	v_min_f32_e32 v139, v142, v141
	v_min3_f32 v137, v138, v139, v137
	flat_store_dword v[62:63], v137
	s_or_b32 exec_lo, exec_lo, s12
	s_and_b32 s18, s3, s8
	s_and_saveexec_b32 s12, s18
	s_cbranch_execz .LBB7_95
.LBB7_111:
	v_cmp_ne_u32_e32 vcc_lo, 1, v121
	v_lshlrev_b64 v[62:63], 2, v[70:71]
	s_cbranch_vccnz .LBB7_113
; %bb.112:
	v_add_co_u32 v137, vcc_lo, v80, v62
	v_add_co_ci_u32_e64 v138, null, v81, v63, vcc_lo
	flat_load_dword v137, v[137:138]
	s_waitcnt vmcnt(0) lgkmcnt(0)
	v_mul_f32_e32 v137, s15, v137
	s_branch .LBB7_114
.LBB7_113:
	v_mov_b32_e32 v137, 0
.LBB7_114:
	v_add_f32_e32 v138, v23, v59
	v_add_f32_e32 v139, v22, v58
	;; [unrolled: 1-line block ×4, first 2 shown]
	v_add_co_u32 v62, vcc_lo, v64, v62
	v_min3_f32 v136, v139, v138, v136
	v_add_co_ci_u32_e64 v63, null, v65, v63, vcc_lo
	v_min_f32_e32 v138, v141, v140
	v_min3_f32 v136, v137, v138, v136
	flat_store_dword v[62:63], v136
	s_or_b32 exec_lo, exec_lo, s12
	s_and_b32 s18, s4, s8
	s_and_saveexec_b32 s12, s18
	s_cbranch_execz .LBB7_96
.LBB7_115:
	v_cmp_ne_u32_e32 vcc_lo, 1, v121
	v_lshlrev_b64 v[62:63], 2, v[72:73]
	s_cbranch_vccnz .LBB7_117
; %bb.116:
	v_add_co_u32 v136, vcc_lo, v80, v62
	v_add_co_ci_u32_e64 v137, null, v81, v63, vcc_lo
	flat_load_dword v136, v[136:137]
	s_waitcnt vmcnt(0) lgkmcnt(0)
	v_mul_f32_e32 v136, s15, v136
	s_branch .LBB7_118
.LBB7_117:
	v_mov_b32_e32 v136, 0
.LBB7_118:
	v_add_f32_e32 v137, v19, v59
	v_add_f32_e32 v138, v18, v58
	;; [unrolled: 1-line block ×4, first 2 shown]
	v_add_co_u32 v62, vcc_lo, v64, v62
	v_min3_f32 v135, v138, v137, v135
	v_add_co_ci_u32_e64 v63, null, v65, v63, vcc_lo
	v_min_f32_e32 v137, v140, v139
	v_min3_f32 v135, v136, v137, v135
	flat_store_dword v[62:63], v135
	s_or_b32 exec_lo, exec_lo, s12
	s_and_b32 s18, s5, s8
	s_and_saveexec_b32 s12, s18
	s_cbranch_execz .LBB7_97
.LBB7_119:
	v_cmp_ne_u32_e32 vcc_lo, 1, v121
	v_lshlrev_b64 v[62:63], 2, v[74:75]
	s_cbranch_vccnz .LBB7_121
; %bb.120:
	v_add_co_u32 v135, vcc_lo, v80, v62
	v_add_co_ci_u32_e64 v136, null, v81, v63, vcc_lo
	flat_load_dword v135, v[135:136]
	s_waitcnt vmcnt(0) lgkmcnt(0)
	v_mul_f32_e32 v135, s15, v135
	s_branch .LBB7_122
.LBB7_121:
	v_mov_b32_e32 v135, 0
.LBB7_122:
	v_add_f32_e32 v136, v15, v59
	v_add_f32_e32 v137, v14, v58
	;; [unrolled: 1-line block ×4, first 2 shown]
	v_add_co_u32 v62, vcc_lo, v64, v62
	v_min3_f32 v134, v137, v136, v134
	v_add_co_ci_u32_e64 v63, null, v65, v63, vcc_lo
	v_min_f32_e32 v136, v139, v138
	v_min3_f32 v134, v135, v136, v134
	flat_store_dword v[62:63], v134
	s_or_b32 exec_lo, exec_lo, s12
	s_and_b32 s18, s6, s8
	s_and_saveexec_b32 s12, s18
	s_cbranch_execz .LBB7_98
.LBB7_123:
	v_cmp_ne_u32_e32 vcc_lo, 1, v121
	v_lshlrev_b64 v[62:63], 2, v[76:77]
	s_cbranch_vccnz .LBB7_125
; %bb.124:
	v_add_co_u32 v134, vcc_lo, v80, v62
	v_add_co_ci_u32_e64 v135, null, v81, v63, vcc_lo
	flat_load_dword v134, v[134:135]
	s_waitcnt vmcnt(0) lgkmcnt(0)
	v_mul_f32_e32 v134, s15, v134
	s_branch .LBB7_126
.LBB7_125:
	v_mov_b32_e32 v134, 0
.LBB7_126:
	v_add_f32_e32 v135, v11, v59
	v_add_f32_e32 v136, v10, v58
	;; [unrolled: 1-line block ×4, first 2 shown]
	v_add_co_u32 v62, vcc_lo, v64, v62
	v_min3_f32 v133, v136, v135, v133
	v_add_co_ci_u32_e64 v63, null, v65, v63, vcc_lo
	v_min_f32_e32 v135, v138, v137
	v_min3_f32 v133, v134, v135, v133
	flat_store_dword v[62:63], v133
	s_or_b32 exec_lo, exec_lo, s12
	s_and_b32 s12, s7, s8
	s_and_saveexec_b32 s8, s12
	s_cbranch_execz .LBB7_131
.LBB7_127:
	v_cmp_ne_u32_e32 vcc_lo, 1, v121
	v_lshlrev_b64 v[62:63], 2, v[78:79]
	s_cbranch_vccnz .LBB7_129
; %bb.128:
	v_add_co_u32 v80, vcc_lo, v80, v62
	v_add_co_ci_u32_e64 v81, null, v81, v63, vcc_lo
	flat_load_dword v80, v[80:81]
	s_waitcnt vmcnt(0) lgkmcnt(0)
	v_mul_f32_e32 v80, s15, v80
	s_branch .LBB7_130
.LBB7_129:
	v_mov_b32_e32 v80, 0
.LBB7_130:
	v_add_f32_e32 v59, v3, v59
	v_add_f32_e32 v58, v2, v58
	;; [unrolled: 1-line block ×4, first 2 shown]
	v_min3_f32 v58, v58, v59, v132
	v_min_f32_e32 v59, v60, v61
	v_min3_f32 v60, v80, v59, v58
	v_add_co_u32 v58, vcc_lo, v64, v62
	v_add_co_ci_u32_e64 v59, null, v65, v63, vcc_lo
	flat_store_dword v[58:59], v60
.LBB7_131:
	s_or_b32 exec_lo, exec_lo, s8
	v_add_nc_u32_e32 v62, 16, v130
	v_mad_i64_i32 v[58:59], null, v62, s14, 0
	v_mad_i64_i32 v[60:61], null, v62, s9, 0
	v_cmp_gt_i32_e64 s8, s13, v62
	v_lshlrev_b64 v[58:59], 2, v[58:59]
	s_and_b32 s18, s0, s8
	v_lshlrev_b64 v[60:61], 2, v[60:61]
	v_add_co_u32 v62, vcc_lo, s10, v58
	v_add_co_ci_u32_e64 v63, null, s11, v59, vcc_lo
	v_add_co_u32 v60, vcc_lo, s16, v60
	v_add_co_ci_u32_e64 v61, null, s17, v61, vcc_lo
	s_and_saveexec_b32 s12, s18
	s_cbranch_execnz .LBB7_139
; %bb.132:
	s_or_b32 exec_lo, exec_lo, s12
	s_and_b32 s18, s1, s8
	s_and_saveexec_b32 s12, s18
	s_cbranch_execnz .LBB7_143
.LBB7_133:
	s_or_b32 exec_lo, exec_lo, s12
	s_and_b32 s18, s2, s8
	s_and_saveexec_b32 s12, s18
	s_cbranch_execnz .LBB7_147
.LBB7_134:
	s_or_b32 exec_lo, exec_lo, s12
	s_and_b32 s18, s3, s8
	s_and_saveexec_b32 s12, s18
	s_cbranch_execnz .LBB7_151
.LBB7_135:
	s_or_b32 exec_lo, exec_lo, s12
	s_and_b32 s18, s4, s8
	s_and_saveexec_b32 s12, s18
	s_cbranch_execnz .LBB7_155
.LBB7_136:
	s_or_b32 exec_lo, exec_lo, s12
	s_and_b32 s18, s5, s8
	s_and_saveexec_b32 s12, s18
	s_cbranch_execnz .LBB7_159
.LBB7_137:
	s_or_b32 exec_lo, exec_lo, s12
	s_and_b32 s18, s6, s8
	s_and_saveexec_b32 s12, s18
	s_cbranch_execnz .LBB7_163
.LBB7_138:
	s_or_b32 exec_lo, exec_lo, s12
	s_and_b32 s12, s7, s8
	s_and_saveexec_b32 s8, s12
	s_cbranch_execnz .LBB7_167
	s_branch .LBB7_171
.LBB7_139:
	v_cmp_ne_u32_e32 vcc_lo, 1, v121
	v_lshlrev_b64 v[58:59], 2, v[0:1]
	s_cbranch_vccnz .LBB7_141
; %bb.140:
	v_add_co_u32 v64, vcc_lo, v62, v58
	v_add_co_ci_u32_e64 v65, null, v63, v59, vcc_lo
	flat_load_dword v64, v[64:65]
	s_waitcnt vmcnt(0) lgkmcnt(0)
	v_mul_f32_e32 v64, s15, v64
	s_branch .LBB7_142
.LBB7_141:
	v_mov_b32_e32 v64, 0
.LBB7_142:
	v_add_f32_e32 v65, v35, v55
	v_add_f32_e32 v80, v34, v54
	;; [unrolled: 1-line block ×4, first 2 shown]
	v_add_co_u32 v58, vcc_lo, v60, v58
	v_min3_f32 v65, v80, v65, v131
	v_add_co_ci_u32_e64 v59, null, v61, v59, vcc_lo
	v_min_f32_e32 v80, v132, v81
	v_min3_f32 v64, v64, v80, v65
	flat_store_dword v[58:59], v64
	s_or_b32 exec_lo, exec_lo, s12
	s_and_b32 s18, s1, s8
	s_and_saveexec_b32 s12, s18
	s_cbranch_execz .LBB7_133
.LBB7_143:
	v_cmp_ne_u32_e32 vcc_lo, 1, v121
	v_lshlrev_b64 v[58:59], 2, v[66:67]
	s_cbranch_vccnz .LBB7_145
; %bb.144:
	v_add_co_u32 v64, vcc_lo, v62, v58
	v_add_co_ci_u32_e64 v65, null, v63, v59, vcc_lo
	flat_load_dword v64, v[64:65]
	s_waitcnt vmcnt(0) lgkmcnt(0)
	v_mul_f32_e32 v64, s15, v64
	s_branch .LBB7_146
.LBB7_145:
	v_mov_b32_e32 v64, 0
.LBB7_146:
	v_add_f32_e32 v65, v31, v55
	v_add_f32_e32 v80, v30, v54
	;; [unrolled: 1-line block ×4, first 2 shown]
	v_add_co_u32 v58, vcc_lo, v60, v58
	v_min3_f32 v65, v80, v65, v129
	v_add_co_ci_u32_e64 v59, null, v61, v59, vcc_lo
	v_min_f32_e32 v80, v131, v81
	v_min3_f32 v64, v64, v80, v65
	flat_store_dword v[58:59], v64
	s_or_b32 exec_lo, exec_lo, s12
	s_and_b32 s18, s2, s8
	s_and_saveexec_b32 s12, s18
	s_cbranch_execz .LBB7_134
.LBB7_147:
	v_cmp_ne_u32_e32 vcc_lo, 1, v121
	v_lshlrev_b64 v[58:59], 2, v[68:69]
	s_cbranch_vccnz .LBB7_149
; %bb.148:
	v_add_co_u32 v64, vcc_lo, v62, v58
	v_add_co_ci_u32_e64 v65, null, v63, v59, vcc_lo
	flat_load_dword v64, v[64:65]
	s_waitcnt vmcnt(0) lgkmcnt(0)
	v_mul_f32_e32 v64, s15, v64
	s_branch .LBB7_150
.LBB7_149:
	v_mov_b32_e32 v64, 0
.LBB7_150:
	v_add_f32_e32 v65, v27, v55
	v_add_f32_e32 v80, v26, v54
	;; [unrolled: 1-line block ×4, first 2 shown]
	v_add_co_u32 v58, vcc_lo, v60, v58
	v_min3_f32 v65, v80, v65, v128
	v_add_co_ci_u32_e64 v59, null, v61, v59, vcc_lo
	v_min_f32_e32 v80, v129, v81
	v_min3_f32 v64, v64, v80, v65
	flat_store_dword v[58:59], v64
	s_or_b32 exec_lo, exec_lo, s12
	s_and_b32 s18, s3, s8
	s_and_saveexec_b32 s12, s18
	s_cbranch_execz .LBB7_135
.LBB7_151:
	v_cmp_ne_u32_e32 vcc_lo, 1, v121
	v_lshlrev_b64 v[58:59], 2, v[70:71]
	s_cbranch_vccnz .LBB7_153
; %bb.152:
	v_add_co_u32 v64, vcc_lo, v62, v58
	v_add_co_ci_u32_e64 v65, null, v63, v59, vcc_lo
	flat_load_dword v64, v[64:65]
	s_waitcnt vmcnt(0) lgkmcnt(0)
	v_mul_f32_e32 v64, s15, v64
	s_branch .LBB7_154
.LBB7_153:
	v_mov_b32_e32 v64, 0
.LBB7_154:
	v_add_f32_e32 v65, v23, v55
	v_add_f32_e32 v80, v22, v54
	;; [unrolled: 1-line block ×4, first 2 shown]
	v_add_co_u32 v58, vcc_lo, v60, v58
	v_min3_f32 v65, v80, v65, v127
	v_add_co_ci_u32_e64 v59, null, v61, v59, vcc_lo
	v_min_f32_e32 v80, v128, v81
	v_min3_f32 v64, v64, v80, v65
	flat_store_dword v[58:59], v64
	s_or_b32 exec_lo, exec_lo, s12
	s_and_b32 s18, s4, s8
	s_and_saveexec_b32 s12, s18
	s_cbranch_execz .LBB7_136
.LBB7_155:
	v_cmp_ne_u32_e32 vcc_lo, 1, v121
	v_lshlrev_b64 v[58:59], 2, v[72:73]
	s_cbranch_vccnz .LBB7_157
; %bb.156:
	v_add_co_u32 v64, vcc_lo, v62, v58
	v_add_co_ci_u32_e64 v65, null, v63, v59, vcc_lo
	flat_load_dword v64, v[64:65]
	s_waitcnt vmcnt(0) lgkmcnt(0)
	v_mul_f32_e32 v64, s15, v64
	s_branch .LBB7_158
.LBB7_157:
	v_mov_b32_e32 v64, 0
.LBB7_158:
	v_add_f32_e32 v65, v19, v55
	v_add_f32_e32 v80, v18, v54
	;; [unrolled: 1-line block ×4, first 2 shown]
	v_add_co_u32 v58, vcc_lo, v60, v58
	v_min3_f32 v65, v80, v65, v126
	v_add_co_ci_u32_e64 v59, null, v61, v59, vcc_lo
	v_min_f32_e32 v80, v127, v81
	v_min3_f32 v64, v64, v80, v65
	flat_store_dword v[58:59], v64
	s_or_b32 exec_lo, exec_lo, s12
	s_and_b32 s18, s5, s8
	s_and_saveexec_b32 s12, s18
	s_cbranch_execz .LBB7_137
.LBB7_159:
	v_cmp_ne_u32_e32 vcc_lo, 1, v121
	v_lshlrev_b64 v[58:59], 2, v[74:75]
	s_cbranch_vccnz .LBB7_161
; %bb.160:
	v_add_co_u32 v64, vcc_lo, v62, v58
	v_add_co_ci_u32_e64 v65, null, v63, v59, vcc_lo
	flat_load_dword v64, v[64:65]
	s_waitcnt vmcnt(0) lgkmcnt(0)
	v_mul_f32_e32 v64, s15, v64
	s_branch .LBB7_162
.LBB7_161:
	v_mov_b32_e32 v64, 0
.LBB7_162:
	v_add_f32_e32 v65, v15, v55
	v_add_f32_e32 v80, v14, v54
	;; [unrolled: 1-line block ×4, first 2 shown]
	v_add_co_u32 v58, vcc_lo, v60, v58
	v_min3_f32 v65, v80, v65, v125
	v_add_co_ci_u32_e64 v59, null, v61, v59, vcc_lo
	v_min_f32_e32 v80, v126, v81
	v_min3_f32 v64, v64, v80, v65
	flat_store_dword v[58:59], v64
	s_or_b32 exec_lo, exec_lo, s12
	s_and_b32 s18, s6, s8
	s_and_saveexec_b32 s12, s18
	s_cbranch_execz .LBB7_138
.LBB7_163:
	v_cmp_ne_u32_e32 vcc_lo, 1, v121
	v_lshlrev_b64 v[58:59], 2, v[76:77]
	s_cbranch_vccnz .LBB7_165
; %bb.164:
	v_add_co_u32 v64, vcc_lo, v62, v58
	v_add_co_ci_u32_e64 v65, null, v63, v59, vcc_lo
	flat_load_dword v64, v[64:65]
	s_waitcnt vmcnt(0) lgkmcnt(0)
	v_mul_f32_e32 v64, s15, v64
	s_branch .LBB7_166
.LBB7_165:
	v_mov_b32_e32 v64, 0
.LBB7_166:
	v_add_f32_e32 v65, v11, v55
	v_add_f32_e32 v80, v10, v54
	;; [unrolled: 1-line block ×4, first 2 shown]
	v_add_co_u32 v58, vcc_lo, v60, v58
	v_min3_f32 v65, v80, v65, v124
	v_add_co_ci_u32_e64 v59, null, v61, v59, vcc_lo
	v_min_f32_e32 v80, v125, v81
	v_min3_f32 v64, v64, v80, v65
	flat_store_dword v[58:59], v64
	s_or_b32 exec_lo, exec_lo, s12
	s_and_b32 s12, s7, s8
	s_and_saveexec_b32 s8, s12
	s_cbranch_execz .LBB7_171
.LBB7_167:
	v_cmp_ne_u32_e32 vcc_lo, 1, v121
	v_lshlrev_b64 v[58:59], 2, v[78:79]
	s_cbranch_vccnz .LBB7_169
; %bb.168:
	v_add_co_u32 v62, vcc_lo, v62, v58
	v_add_co_ci_u32_e64 v63, null, v63, v59, vcc_lo
	flat_load_dword v62, v[62:63]
	s_waitcnt vmcnt(0) lgkmcnt(0)
	v_mul_f32_e32 v62, s15, v62
	s_branch .LBB7_170
.LBB7_169:
	v_mov_b32_e32 v62, 0
.LBB7_170:
	v_add_f32_e32 v55, v3, v55
	v_add_f32_e32 v54, v2, v54
	;; [unrolled: 1-line block ×4, first 2 shown]
	v_min3_f32 v54, v54, v55, v122
	v_min_f32_e32 v55, v56, v57
	v_min3_f32 v56, v62, v55, v54
	v_add_co_u32 v54, vcc_lo, v60, v58
	v_add_co_ci_u32_e64 v55, null, v61, v59, vcc_lo
	flat_store_dword v[54:55], v56
.LBB7_171:
	s_or_b32 exec_lo, exec_lo, s8
	v_add_nc_u32_e32 v58, 24, v130
	v_mad_i64_i32 v[54:55], null, v58, s14, 0
	v_mad_i64_i32 v[56:57], null, v58, s9, 0
	v_cmp_gt_i32_e64 s8, s13, v58
	v_lshlrev_b64 v[54:55], 2, v[54:55]
	s_and_b32 s18, s0, s8
	v_lshlrev_b64 v[56:57], 2, v[56:57]
	v_add_co_u32 v58, vcc_lo, s10, v54
	v_add_co_ci_u32_e64 v59, null, s11, v55, vcc_lo
	v_add_co_u32 v56, vcc_lo, s16, v56
	v_add_co_ci_u32_e64 v57, null, s17, v57, vcc_lo
	s_and_saveexec_b32 s12, s18
	s_cbranch_execnz .LBB7_179
; %bb.172:
	s_or_b32 exec_lo, exec_lo, s12
	s_and_b32 s18, s1, s8
	s_and_saveexec_b32 s12, s18
	s_cbranch_execnz .LBB7_183
.LBB7_173:
	s_or_b32 exec_lo, exec_lo, s12
	s_and_b32 s18, s2, s8
	s_and_saveexec_b32 s12, s18
	s_cbranch_execnz .LBB7_187
.LBB7_174:
	s_or_b32 exec_lo, exec_lo, s12
	s_and_b32 s18, s3, s8
	s_and_saveexec_b32 s12, s18
	s_cbranch_execnz .LBB7_191
.LBB7_175:
	s_or_b32 exec_lo, exec_lo, s12
	s_and_b32 s18, s4, s8
	s_and_saveexec_b32 s12, s18
	s_cbranch_execnz .LBB7_195
.LBB7_176:
	s_or_b32 exec_lo, exec_lo, s12
	s_and_b32 s18, s5, s8
	s_and_saveexec_b32 s12, s18
	s_cbranch_execnz .LBB7_199
.LBB7_177:
	s_or_b32 exec_lo, exec_lo, s12
	s_and_b32 s18, s6, s8
	s_and_saveexec_b32 s12, s18
	s_cbranch_execnz .LBB7_203
.LBB7_178:
	s_or_b32 exec_lo, exec_lo, s12
	s_and_b32 s12, s7, s8
	s_and_saveexec_b32 s8, s12
	s_cbranch_execnz .LBB7_207
	s_branch .LBB7_211
.LBB7_179:
	v_cmp_ne_u32_e32 vcc_lo, 1, v121
	v_lshlrev_b64 v[54:55], 2, v[0:1]
	s_cbranch_vccnz .LBB7_181
; %bb.180:
	v_add_co_u32 v60, vcc_lo, v58, v54
	v_add_co_ci_u32_e64 v61, null, v59, v55, vcc_lo
	flat_load_dword v60, v[60:61]
	s_waitcnt vmcnt(0) lgkmcnt(0)
	v_mul_f32_e32 v60, s15, v60
	s_branch .LBB7_182
.LBB7_181:
	v_mov_b32_e32 v60, 0
.LBB7_182:
	v_add_f32_e32 v61, v35, v51
	v_add_f32_e32 v62, v34, v50
	;; [unrolled: 1-line block ×4, first 2 shown]
	v_add_co_u32 v54, vcc_lo, v56, v54
	v_min3_f32 v61, v62, v61, v123
	v_add_co_ci_u32_e64 v55, null, v57, v55, vcc_lo
	v_min_f32_e32 v62, v64, v63
	v_min3_f32 v60, v60, v62, v61
	flat_store_dword v[54:55], v60
	s_or_b32 exec_lo, exec_lo, s12
	s_and_b32 s18, s1, s8
	s_and_saveexec_b32 s12, s18
	s_cbranch_execz .LBB7_173
.LBB7_183:
	v_cmp_ne_u32_e32 vcc_lo, 1, v121
	v_lshlrev_b64 v[54:55], 2, v[66:67]
	s_cbranch_vccnz .LBB7_185
; %bb.184:
	v_add_co_u32 v60, vcc_lo, v58, v54
	v_add_co_ci_u32_e64 v61, null, v59, v55, vcc_lo
	flat_load_dword v60, v[60:61]
	s_waitcnt vmcnt(0) lgkmcnt(0)
	v_mul_f32_e32 v60, s15, v60
	s_branch .LBB7_186
.LBB7_185:
	v_mov_b32_e32 v60, 0
.LBB7_186:
	v_add_f32_e32 v61, v31, v51
	v_add_f32_e32 v62, v30, v50
	;; [unrolled: 1-line block ×4, first 2 shown]
	v_add_co_u32 v54, vcc_lo, v56, v54
	v_min3_f32 v61, v62, v61, v120
	v_add_co_ci_u32_e64 v55, null, v57, v55, vcc_lo
	v_min_f32_e32 v62, v64, v63
	v_min3_f32 v60, v60, v62, v61
	flat_store_dword v[54:55], v60
	s_or_b32 exec_lo, exec_lo, s12
	s_and_b32 s18, s2, s8
	s_and_saveexec_b32 s12, s18
	s_cbranch_execz .LBB7_174
.LBB7_187:
	v_cmp_ne_u32_e32 vcc_lo, 1, v121
	v_lshlrev_b64 v[54:55], 2, v[68:69]
	s_cbranch_vccnz .LBB7_189
; %bb.188:
	v_add_co_u32 v60, vcc_lo, v58, v54
	v_add_co_ci_u32_e64 v61, null, v59, v55, vcc_lo
	flat_load_dword v60, v[60:61]
	s_waitcnt vmcnt(0) lgkmcnt(0)
	v_mul_f32_e32 v60, s15, v60
	s_branch .LBB7_190
.LBB7_189:
	v_mov_b32_e32 v60, 0
.LBB7_190:
	v_add_f32_e32 v61, v27, v51
	v_add_f32_e32 v62, v26, v50
	v_add_f32_e32 v63, v29, v53
	v_add_f32_e32 v64, v28, v52
	v_add_co_u32 v54, vcc_lo, v56, v54
	v_min3_f32 v61, v62, v61, v119
	v_add_co_ci_u32_e64 v55, null, v57, v55, vcc_lo
	v_min_f32_e32 v62, v64, v63
	v_min3_f32 v60, v60, v62, v61
	flat_store_dword v[54:55], v60
	s_or_b32 exec_lo, exec_lo, s12
	s_and_b32 s18, s3, s8
	s_and_saveexec_b32 s12, s18
	s_cbranch_execz .LBB7_175
.LBB7_191:
	v_cmp_ne_u32_e32 vcc_lo, 1, v121
	v_lshlrev_b64 v[54:55], 2, v[70:71]
	s_cbranch_vccnz .LBB7_193
; %bb.192:
	v_add_co_u32 v60, vcc_lo, v58, v54
	v_add_co_ci_u32_e64 v61, null, v59, v55, vcc_lo
	flat_load_dword v60, v[60:61]
	s_waitcnt vmcnt(0) lgkmcnt(0)
	v_mul_f32_e32 v60, s15, v60
	s_branch .LBB7_194
.LBB7_193:
	v_mov_b32_e32 v60, 0
.LBB7_194:
	v_add_f32_e32 v61, v23, v51
	v_add_f32_e32 v62, v22, v50
	;; [unrolled: 1-line block ×4, first 2 shown]
	v_add_co_u32 v54, vcc_lo, v56, v54
	v_min3_f32 v61, v62, v61, v118
	v_add_co_ci_u32_e64 v55, null, v57, v55, vcc_lo
	v_min_f32_e32 v62, v64, v63
	v_min3_f32 v60, v60, v62, v61
	flat_store_dword v[54:55], v60
	s_or_b32 exec_lo, exec_lo, s12
	s_and_b32 s18, s4, s8
	s_and_saveexec_b32 s12, s18
	s_cbranch_execz .LBB7_176
.LBB7_195:
	v_cmp_ne_u32_e32 vcc_lo, 1, v121
	v_lshlrev_b64 v[54:55], 2, v[72:73]
	s_cbranch_vccnz .LBB7_197
; %bb.196:
	v_add_co_u32 v60, vcc_lo, v58, v54
	v_add_co_ci_u32_e64 v61, null, v59, v55, vcc_lo
	flat_load_dword v60, v[60:61]
	s_waitcnt vmcnt(0) lgkmcnt(0)
	v_mul_f32_e32 v60, s15, v60
	s_branch .LBB7_198
.LBB7_197:
	v_mov_b32_e32 v60, 0
.LBB7_198:
	v_add_f32_e32 v61, v19, v51
	v_add_f32_e32 v62, v18, v50
	;; [unrolled: 1-line block ×4, first 2 shown]
	v_add_co_u32 v54, vcc_lo, v56, v54
	v_min3_f32 v61, v62, v61, v117
	v_add_co_ci_u32_e64 v55, null, v57, v55, vcc_lo
	v_min_f32_e32 v62, v64, v63
	v_min3_f32 v60, v60, v62, v61
	flat_store_dword v[54:55], v60
	s_or_b32 exec_lo, exec_lo, s12
	s_and_b32 s18, s5, s8
	s_and_saveexec_b32 s12, s18
	s_cbranch_execz .LBB7_177
.LBB7_199:
	v_cmp_ne_u32_e32 vcc_lo, 1, v121
	v_lshlrev_b64 v[54:55], 2, v[74:75]
	s_cbranch_vccnz .LBB7_201
; %bb.200:
	v_add_co_u32 v60, vcc_lo, v58, v54
	v_add_co_ci_u32_e64 v61, null, v59, v55, vcc_lo
	flat_load_dword v60, v[60:61]
	s_waitcnt vmcnt(0) lgkmcnt(0)
	v_mul_f32_e32 v60, s15, v60
	s_branch .LBB7_202
.LBB7_201:
	v_mov_b32_e32 v60, 0
.LBB7_202:
	v_add_f32_e32 v61, v15, v51
	v_add_f32_e32 v62, v14, v50
	;; [unrolled: 1-line block ×4, first 2 shown]
	v_add_co_u32 v54, vcc_lo, v56, v54
	v_min3_f32 v61, v62, v61, v116
	v_add_co_ci_u32_e64 v55, null, v57, v55, vcc_lo
	v_min_f32_e32 v62, v64, v63
	v_min3_f32 v60, v60, v62, v61
	flat_store_dword v[54:55], v60
	s_or_b32 exec_lo, exec_lo, s12
	s_and_b32 s18, s6, s8
	s_and_saveexec_b32 s12, s18
	s_cbranch_execz .LBB7_178
.LBB7_203:
	v_cmp_ne_u32_e32 vcc_lo, 1, v121
	v_lshlrev_b64 v[54:55], 2, v[76:77]
	s_cbranch_vccnz .LBB7_205
; %bb.204:
	v_add_co_u32 v60, vcc_lo, v58, v54
	v_add_co_ci_u32_e64 v61, null, v59, v55, vcc_lo
	flat_load_dword v60, v[60:61]
	s_waitcnt vmcnt(0) lgkmcnt(0)
	v_mul_f32_e32 v60, s15, v60
	s_branch .LBB7_206
.LBB7_205:
	v_mov_b32_e32 v60, 0
.LBB7_206:
	v_add_f32_e32 v61, v11, v51
	v_add_f32_e32 v62, v10, v50
	;; [unrolled: 1-line block ×4, first 2 shown]
	v_add_co_u32 v54, vcc_lo, v56, v54
	v_min3_f32 v61, v62, v61, v115
	v_add_co_ci_u32_e64 v55, null, v57, v55, vcc_lo
	v_min_f32_e32 v62, v64, v63
	v_min3_f32 v60, v60, v62, v61
	flat_store_dword v[54:55], v60
	s_or_b32 exec_lo, exec_lo, s12
	s_and_b32 s12, s7, s8
	s_and_saveexec_b32 s8, s12
	s_cbranch_execz .LBB7_211
.LBB7_207:
	v_cmp_ne_u32_e32 vcc_lo, 1, v121
	v_lshlrev_b64 v[54:55], 2, v[78:79]
	s_cbranch_vccnz .LBB7_209
; %bb.208:
	v_add_co_u32 v58, vcc_lo, v58, v54
	v_add_co_ci_u32_e64 v59, null, v59, v55, vcc_lo
	flat_load_dword v58, v[58:59]
	s_waitcnt vmcnt(0) lgkmcnt(0)
	v_mul_f32_e32 v58, s15, v58
	s_branch .LBB7_210
.LBB7_209:
	v_mov_b32_e32 v58, 0
.LBB7_210:
	v_add_f32_e32 v51, v3, v51
	v_add_f32_e32 v50, v2, v50
	;; [unrolled: 1-line block ×4, first 2 shown]
	v_min3_f32 v50, v50, v51, v114
	v_min_f32_e32 v51, v52, v53
	v_min3_f32 v52, v58, v51, v50
	v_add_co_u32 v50, vcc_lo, v56, v54
	v_add_co_ci_u32_e64 v51, null, v57, v55, vcc_lo
	flat_store_dword v[50:51], v52
.LBB7_211:
	s_or_b32 exec_lo, exec_lo, s8
	v_add_nc_u32_e32 v54, 32, v130
	v_mad_i64_i32 v[50:51], null, v54, s14, 0
	v_mad_i64_i32 v[52:53], null, v54, s9, 0
	v_cmp_gt_i32_e64 s8, s13, v54
	v_lshlrev_b64 v[50:51], 2, v[50:51]
	s_and_b32 s18, s0, s8
	v_lshlrev_b64 v[52:53], 2, v[52:53]
	v_add_co_u32 v54, vcc_lo, s10, v50
	v_add_co_ci_u32_e64 v55, null, s11, v51, vcc_lo
	v_add_co_u32 v52, vcc_lo, s16, v52
	v_add_co_ci_u32_e64 v53, null, s17, v53, vcc_lo
	s_and_saveexec_b32 s12, s18
	s_cbranch_execnz .LBB7_219
; %bb.212:
	s_or_b32 exec_lo, exec_lo, s12
	s_and_b32 s18, s1, s8
	s_and_saveexec_b32 s12, s18
	s_cbranch_execnz .LBB7_223
.LBB7_213:
	s_or_b32 exec_lo, exec_lo, s12
	s_and_b32 s18, s2, s8
	s_and_saveexec_b32 s12, s18
	s_cbranch_execnz .LBB7_227
.LBB7_214:
	s_or_b32 exec_lo, exec_lo, s12
	s_and_b32 s18, s3, s8
	s_and_saveexec_b32 s12, s18
	s_cbranch_execnz .LBB7_231
.LBB7_215:
	s_or_b32 exec_lo, exec_lo, s12
	s_and_b32 s18, s4, s8
	s_and_saveexec_b32 s12, s18
	s_cbranch_execnz .LBB7_235
.LBB7_216:
	s_or_b32 exec_lo, exec_lo, s12
	s_and_b32 s18, s5, s8
	s_and_saveexec_b32 s12, s18
	s_cbranch_execnz .LBB7_239
.LBB7_217:
	s_or_b32 exec_lo, exec_lo, s12
	s_and_b32 s18, s6, s8
	s_and_saveexec_b32 s12, s18
	s_cbranch_execnz .LBB7_243
.LBB7_218:
	s_or_b32 exec_lo, exec_lo, s12
	s_and_b32 s12, s7, s8
	s_and_saveexec_b32 s8, s12
	s_cbranch_execnz .LBB7_247
	s_branch .LBB7_251
.LBB7_219:
	v_cmp_ne_u32_e32 vcc_lo, 1, v121
	v_lshlrev_b64 v[50:51], 2, v[0:1]
	s_cbranch_vccnz .LBB7_221
; %bb.220:
	v_add_co_u32 v56, vcc_lo, v54, v50
	v_add_co_ci_u32_e64 v57, null, v55, v51, vcc_lo
	flat_load_dword v56, v[56:57]
	s_waitcnt vmcnt(0) lgkmcnt(0)
	v_mul_f32_e32 v56, s15, v56
	s_branch .LBB7_222
.LBB7_221:
	v_mov_b32_e32 v56, 0
.LBB7_222:
	v_add_f32_e32 v57, v35, v47
	v_add_f32_e32 v58, v34, v46
	;; [unrolled: 1-line block ×4, first 2 shown]
	v_add_co_u32 v50, vcc_lo, v52, v50
	v_min3_f32 v57, v58, v57, v113
	v_add_co_ci_u32_e64 v51, null, v53, v51, vcc_lo
	v_min_f32_e32 v58, v60, v59
	v_min3_f32 v56, v56, v58, v57
	flat_store_dword v[50:51], v56
	s_or_b32 exec_lo, exec_lo, s12
	s_and_b32 s18, s1, s8
	s_and_saveexec_b32 s12, s18
	s_cbranch_execz .LBB7_213
.LBB7_223:
	v_cmp_ne_u32_e32 vcc_lo, 1, v121
	v_lshlrev_b64 v[50:51], 2, v[66:67]
	s_cbranch_vccnz .LBB7_225
; %bb.224:
	v_add_co_u32 v56, vcc_lo, v54, v50
	v_add_co_ci_u32_e64 v57, null, v55, v51, vcc_lo
	flat_load_dword v56, v[56:57]
	s_waitcnt vmcnt(0) lgkmcnt(0)
	v_mul_f32_e32 v56, s15, v56
	s_branch .LBB7_226
.LBB7_225:
	v_mov_b32_e32 v56, 0
.LBB7_226:
	v_add_f32_e32 v57, v31, v47
	v_add_f32_e32 v58, v30, v46
	;; [unrolled: 1-line block ×4, first 2 shown]
	v_add_co_u32 v50, vcc_lo, v52, v50
	v_min3_f32 v57, v58, v57, v112
	v_add_co_ci_u32_e64 v51, null, v53, v51, vcc_lo
	v_min_f32_e32 v58, v60, v59
	v_min3_f32 v56, v56, v58, v57
	flat_store_dword v[50:51], v56
	s_or_b32 exec_lo, exec_lo, s12
	s_and_b32 s18, s2, s8
	s_and_saveexec_b32 s12, s18
	s_cbranch_execz .LBB7_214
.LBB7_227:
	v_cmp_ne_u32_e32 vcc_lo, 1, v121
	v_lshlrev_b64 v[50:51], 2, v[68:69]
	s_cbranch_vccnz .LBB7_229
; %bb.228:
	v_add_co_u32 v56, vcc_lo, v54, v50
	v_add_co_ci_u32_e64 v57, null, v55, v51, vcc_lo
	flat_load_dword v56, v[56:57]
	s_waitcnt vmcnt(0) lgkmcnt(0)
	v_mul_f32_e32 v56, s15, v56
	s_branch .LBB7_230
.LBB7_229:
	v_mov_b32_e32 v56, 0
.LBB7_230:
	v_add_f32_e32 v57, v27, v47
	v_add_f32_e32 v58, v26, v46
	;; [unrolled: 1-line block ×4, first 2 shown]
	v_add_co_u32 v50, vcc_lo, v52, v50
	v_min3_f32 v57, v58, v57, v111
	v_add_co_ci_u32_e64 v51, null, v53, v51, vcc_lo
	v_min_f32_e32 v58, v60, v59
	v_min3_f32 v56, v56, v58, v57
	flat_store_dword v[50:51], v56
	s_or_b32 exec_lo, exec_lo, s12
	s_and_b32 s18, s3, s8
	s_and_saveexec_b32 s12, s18
	s_cbranch_execz .LBB7_215
.LBB7_231:
	v_cmp_ne_u32_e32 vcc_lo, 1, v121
	v_lshlrev_b64 v[50:51], 2, v[70:71]
	s_cbranch_vccnz .LBB7_233
; %bb.232:
	v_add_co_u32 v56, vcc_lo, v54, v50
	v_add_co_ci_u32_e64 v57, null, v55, v51, vcc_lo
	flat_load_dword v56, v[56:57]
	s_waitcnt vmcnt(0) lgkmcnt(0)
	v_mul_f32_e32 v56, s15, v56
	s_branch .LBB7_234
.LBB7_233:
	v_mov_b32_e32 v56, 0
.LBB7_234:
	v_add_f32_e32 v57, v23, v47
	v_add_f32_e32 v58, v22, v46
	;; [unrolled: 1-line block ×4, first 2 shown]
	v_add_co_u32 v50, vcc_lo, v52, v50
	v_min3_f32 v57, v58, v57, v110
	v_add_co_ci_u32_e64 v51, null, v53, v51, vcc_lo
	v_min_f32_e32 v58, v60, v59
	v_min3_f32 v56, v56, v58, v57
	flat_store_dword v[50:51], v56
	s_or_b32 exec_lo, exec_lo, s12
	s_and_b32 s18, s4, s8
	s_and_saveexec_b32 s12, s18
	s_cbranch_execz .LBB7_216
.LBB7_235:
	v_cmp_ne_u32_e32 vcc_lo, 1, v121
	v_lshlrev_b64 v[50:51], 2, v[72:73]
	s_cbranch_vccnz .LBB7_237
; %bb.236:
	v_add_co_u32 v56, vcc_lo, v54, v50
	v_add_co_ci_u32_e64 v57, null, v55, v51, vcc_lo
	flat_load_dword v56, v[56:57]
	s_waitcnt vmcnt(0) lgkmcnt(0)
	v_mul_f32_e32 v56, s15, v56
	s_branch .LBB7_238
.LBB7_237:
	v_mov_b32_e32 v56, 0
.LBB7_238:
	v_add_f32_e32 v57, v19, v47
	v_add_f32_e32 v58, v18, v46
	;; [unrolled: 1-line block ×4, first 2 shown]
	v_add_co_u32 v50, vcc_lo, v52, v50
	v_min3_f32 v57, v58, v57, v109
	v_add_co_ci_u32_e64 v51, null, v53, v51, vcc_lo
	v_min_f32_e32 v58, v60, v59
	v_min3_f32 v56, v56, v58, v57
	flat_store_dword v[50:51], v56
	s_or_b32 exec_lo, exec_lo, s12
	s_and_b32 s18, s5, s8
	s_and_saveexec_b32 s12, s18
	s_cbranch_execz .LBB7_217
.LBB7_239:
	v_cmp_ne_u32_e32 vcc_lo, 1, v121
	v_lshlrev_b64 v[50:51], 2, v[74:75]
	s_cbranch_vccnz .LBB7_241
; %bb.240:
	v_add_co_u32 v56, vcc_lo, v54, v50
	v_add_co_ci_u32_e64 v57, null, v55, v51, vcc_lo
	flat_load_dword v56, v[56:57]
	s_waitcnt vmcnt(0) lgkmcnt(0)
	v_mul_f32_e32 v56, s15, v56
	s_branch .LBB7_242
.LBB7_241:
	v_mov_b32_e32 v56, 0
.LBB7_242:
	v_add_f32_e32 v57, v15, v47
	v_add_f32_e32 v58, v14, v46
	;; [unrolled: 1-line block ×4, first 2 shown]
	v_add_co_u32 v50, vcc_lo, v52, v50
	v_min3_f32 v57, v58, v57, v108
	v_add_co_ci_u32_e64 v51, null, v53, v51, vcc_lo
	v_min_f32_e32 v58, v60, v59
	v_min3_f32 v56, v56, v58, v57
	flat_store_dword v[50:51], v56
	s_or_b32 exec_lo, exec_lo, s12
	s_and_b32 s18, s6, s8
	s_and_saveexec_b32 s12, s18
	s_cbranch_execz .LBB7_218
.LBB7_243:
	v_cmp_ne_u32_e32 vcc_lo, 1, v121
	v_lshlrev_b64 v[50:51], 2, v[76:77]
	s_cbranch_vccnz .LBB7_245
; %bb.244:
	v_add_co_u32 v56, vcc_lo, v54, v50
	v_add_co_ci_u32_e64 v57, null, v55, v51, vcc_lo
	flat_load_dword v56, v[56:57]
	s_waitcnt vmcnt(0) lgkmcnt(0)
	v_mul_f32_e32 v56, s15, v56
	s_branch .LBB7_246
.LBB7_245:
	v_mov_b32_e32 v56, 0
.LBB7_246:
	v_add_f32_e32 v57, v11, v47
	v_add_f32_e32 v58, v10, v46
	;; [unrolled: 1-line block ×4, first 2 shown]
	v_add_co_u32 v50, vcc_lo, v52, v50
	v_min3_f32 v57, v58, v57, v107
	v_add_co_ci_u32_e64 v51, null, v53, v51, vcc_lo
	v_min_f32_e32 v58, v60, v59
	v_min3_f32 v56, v56, v58, v57
	flat_store_dword v[50:51], v56
	s_or_b32 exec_lo, exec_lo, s12
	s_and_b32 s12, s7, s8
	s_and_saveexec_b32 s8, s12
	s_cbranch_execz .LBB7_251
.LBB7_247:
	v_cmp_ne_u32_e32 vcc_lo, 1, v121
	v_lshlrev_b64 v[50:51], 2, v[78:79]
	s_cbranch_vccnz .LBB7_249
; %bb.248:
	v_add_co_u32 v54, vcc_lo, v54, v50
	v_add_co_ci_u32_e64 v55, null, v55, v51, vcc_lo
	flat_load_dword v54, v[54:55]
	s_waitcnt vmcnt(0) lgkmcnt(0)
	v_mul_f32_e32 v54, s15, v54
	s_branch .LBB7_250
.LBB7_249:
	v_mov_b32_e32 v54, 0
.LBB7_250:
	v_add_f32_e32 v47, v3, v47
	v_add_f32_e32 v46, v2, v46
	;; [unrolled: 1-line block ×4, first 2 shown]
	v_min3_f32 v46, v46, v47, v106
	v_min_f32_e32 v47, v48, v49
	v_min3_f32 v48, v54, v47, v46
	v_add_co_u32 v46, vcc_lo, v52, v50
	v_add_co_ci_u32_e64 v47, null, v53, v51, vcc_lo
	flat_store_dword v[46:47], v48
.LBB7_251:
	s_or_b32 exec_lo, exec_lo, s8
	v_add_nc_u32_e32 v50, 40, v130
	v_mad_i64_i32 v[46:47], null, v50, s14, 0
	v_mad_i64_i32 v[48:49], null, v50, s9, 0
	v_cmp_gt_i32_e64 s8, s13, v50
	v_lshlrev_b64 v[46:47], 2, v[46:47]
	s_and_b32 s18, s0, s8
	v_lshlrev_b64 v[48:49], 2, v[48:49]
	v_add_co_u32 v50, vcc_lo, s10, v46
	v_add_co_ci_u32_e64 v51, null, s11, v47, vcc_lo
	v_add_co_u32 v48, vcc_lo, s16, v48
	v_add_co_ci_u32_e64 v49, null, s17, v49, vcc_lo
	s_and_saveexec_b32 s12, s18
	s_cbranch_execnz .LBB7_259
; %bb.252:
	s_or_b32 exec_lo, exec_lo, s12
	s_and_b32 s18, s1, s8
	s_and_saveexec_b32 s12, s18
	s_cbranch_execnz .LBB7_263
.LBB7_253:
	s_or_b32 exec_lo, exec_lo, s12
	s_and_b32 s18, s2, s8
	s_and_saveexec_b32 s12, s18
	s_cbranch_execnz .LBB7_267
.LBB7_254:
	s_or_b32 exec_lo, exec_lo, s12
	s_and_b32 s18, s3, s8
	s_and_saveexec_b32 s12, s18
	s_cbranch_execnz .LBB7_271
.LBB7_255:
	s_or_b32 exec_lo, exec_lo, s12
	s_and_b32 s18, s4, s8
	s_and_saveexec_b32 s12, s18
	s_cbranch_execnz .LBB7_275
.LBB7_256:
	s_or_b32 exec_lo, exec_lo, s12
	s_and_b32 s18, s5, s8
	s_and_saveexec_b32 s12, s18
	s_cbranch_execnz .LBB7_279
.LBB7_257:
	s_or_b32 exec_lo, exec_lo, s12
	s_and_b32 s18, s6, s8
	s_and_saveexec_b32 s12, s18
	s_cbranch_execnz .LBB7_283
.LBB7_258:
	s_or_b32 exec_lo, exec_lo, s12
	s_and_b32 s12, s7, s8
	s_and_saveexec_b32 s8, s12
	s_cbranch_execnz .LBB7_287
	s_branch .LBB7_291
.LBB7_259:
	v_cmp_ne_u32_e32 vcc_lo, 1, v121
	v_lshlrev_b64 v[46:47], 2, v[0:1]
	s_cbranch_vccnz .LBB7_261
; %bb.260:
	v_add_co_u32 v52, vcc_lo, v50, v46
	v_add_co_ci_u32_e64 v53, null, v51, v47, vcc_lo
	flat_load_dword v52, v[52:53]
	s_waitcnt vmcnt(0) lgkmcnt(0)
	v_mul_f32_e32 v52, s15, v52
	s_branch .LBB7_262
.LBB7_261:
	v_mov_b32_e32 v52, 0
.LBB7_262:
	v_add_f32_e32 v53, v35, v43
	v_add_f32_e32 v54, v34, v42
	v_add_f32_e32 v55, v37, v45
	v_add_f32_e32 v56, v36, v44
	v_add_co_u32 v46, vcc_lo, v48, v46
	v_min3_f32 v53, v54, v53, v105
	v_add_co_ci_u32_e64 v47, null, v49, v47, vcc_lo
	v_min_f32_e32 v54, v56, v55
	v_min3_f32 v52, v52, v54, v53
	flat_store_dword v[46:47], v52
	s_or_b32 exec_lo, exec_lo, s12
	s_and_b32 s18, s1, s8
	s_and_saveexec_b32 s12, s18
	s_cbranch_execz .LBB7_253
.LBB7_263:
	v_cmp_ne_u32_e32 vcc_lo, 1, v121
	v_lshlrev_b64 v[46:47], 2, v[66:67]
	s_cbranch_vccnz .LBB7_265
; %bb.264:
	v_add_co_u32 v52, vcc_lo, v50, v46
	v_add_co_ci_u32_e64 v53, null, v51, v47, vcc_lo
	flat_load_dword v52, v[52:53]
	s_waitcnt vmcnt(0) lgkmcnt(0)
	v_mul_f32_e32 v52, s15, v52
	s_branch .LBB7_266
.LBB7_265:
	v_mov_b32_e32 v52, 0
.LBB7_266:
	v_add_f32_e32 v53, v31, v43
	v_add_f32_e32 v54, v30, v42
	v_add_f32_e32 v55, v33, v45
	v_add_f32_e32 v56, v32, v44
	v_add_co_u32 v46, vcc_lo, v48, v46
	v_min3_f32 v53, v54, v53, v104
	v_add_co_ci_u32_e64 v47, null, v49, v47, vcc_lo
	v_min_f32_e32 v54, v56, v55
	v_min3_f32 v52, v52, v54, v53
	flat_store_dword v[46:47], v52
	s_or_b32 exec_lo, exec_lo, s12
	s_and_b32 s18, s2, s8
	s_and_saveexec_b32 s12, s18
	s_cbranch_execz .LBB7_254
.LBB7_267:
	v_cmp_ne_u32_e32 vcc_lo, 1, v121
	v_lshlrev_b64 v[46:47], 2, v[68:69]
	s_cbranch_vccnz .LBB7_269
; %bb.268:
	v_add_co_u32 v52, vcc_lo, v50, v46
	v_add_co_ci_u32_e64 v53, null, v51, v47, vcc_lo
	flat_load_dword v52, v[52:53]
	s_waitcnt vmcnt(0) lgkmcnt(0)
	v_mul_f32_e32 v52, s15, v52
	s_branch .LBB7_270
.LBB7_269:
	v_mov_b32_e32 v52, 0
.LBB7_270:
	v_add_f32_e32 v53, v27, v43
	v_add_f32_e32 v54, v26, v42
	;; [unrolled: 1-line block ×4, first 2 shown]
	v_add_co_u32 v46, vcc_lo, v48, v46
	v_min3_f32 v53, v54, v53, v103
	v_add_co_ci_u32_e64 v47, null, v49, v47, vcc_lo
	v_min_f32_e32 v54, v56, v55
	v_min3_f32 v52, v52, v54, v53
	flat_store_dword v[46:47], v52
	s_or_b32 exec_lo, exec_lo, s12
	s_and_b32 s18, s3, s8
	s_and_saveexec_b32 s12, s18
	s_cbranch_execz .LBB7_255
.LBB7_271:
	v_cmp_ne_u32_e32 vcc_lo, 1, v121
	v_lshlrev_b64 v[46:47], 2, v[70:71]
	s_cbranch_vccnz .LBB7_273
; %bb.272:
	v_add_co_u32 v52, vcc_lo, v50, v46
	v_add_co_ci_u32_e64 v53, null, v51, v47, vcc_lo
	flat_load_dword v52, v[52:53]
	s_waitcnt vmcnt(0) lgkmcnt(0)
	v_mul_f32_e32 v52, s15, v52
	s_branch .LBB7_274
.LBB7_273:
	v_mov_b32_e32 v52, 0
.LBB7_274:
	v_add_f32_e32 v53, v23, v43
	v_add_f32_e32 v54, v22, v42
	;; [unrolled: 1-line block ×4, first 2 shown]
	v_add_co_u32 v46, vcc_lo, v48, v46
	v_min3_f32 v53, v54, v53, v102
	v_add_co_ci_u32_e64 v47, null, v49, v47, vcc_lo
	v_min_f32_e32 v54, v56, v55
	v_min3_f32 v52, v52, v54, v53
	flat_store_dword v[46:47], v52
	s_or_b32 exec_lo, exec_lo, s12
	s_and_b32 s18, s4, s8
	s_and_saveexec_b32 s12, s18
	s_cbranch_execz .LBB7_256
.LBB7_275:
	v_cmp_ne_u32_e32 vcc_lo, 1, v121
	v_lshlrev_b64 v[46:47], 2, v[72:73]
	s_cbranch_vccnz .LBB7_277
; %bb.276:
	v_add_co_u32 v52, vcc_lo, v50, v46
	v_add_co_ci_u32_e64 v53, null, v51, v47, vcc_lo
	flat_load_dword v52, v[52:53]
	s_waitcnt vmcnt(0) lgkmcnt(0)
	v_mul_f32_e32 v52, s15, v52
	s_branch .LBB7_278
.LBB7_277:
	v_mov_b32_e32 v52, 0
.LBB7_278:
	v_add_f32_e32 v53, v19, v43
	v_add_f32_e32 v54, v18, v42
	;; [unrolled: 1-line block ×4, first 2 shown]
	v_add_co_u32 v46, vcc_lo, v48, v46
	v_min3_f32 v53, v54, v53, v101
	v_add_co_ci_u32_e64 v47, null, v49, v47, vcc_lo
	v_min_f32_e32 v54, v56, v55
	v_min3_f32 v52, v52, v54, v53
	flat_store_dword v[46:47], v52
	s_or_b32 exec_lo, exec_lo, s12
	s_and_b32 s18, s5, s8
	s_and_saveexec_b32 s12, s18
	s_cbranch_execz .LBB7_257
.LBB7_279:
	v_cmp_ne_u32_e32 vcc_lo, 1, v121
	v_lshlrev_b64 v[46:47], 2, v[74:75]
	s_cbranch_vccnz .LBB7_281
; %bb.280:
	v_add_co_u32 v52, vcc_lo, v50, v46
	v_add_co_ci_u32_e64 v53, null, v51, v47, vcc_lo
	flat_load_dword v52, v[52:53]
	s_waitcnt vmcnt(0) lgkmcnt(0)
	v_mul_f32_e32 v52, s15, v52
	s_branch .LBB7_282
.LBB7_281:
	v_mov_b32_e32 v52, 0
.LBB7_282:
	v_add_f32_e32 v53, v15, v43
	v_add_f32_e32 v54, v14, v42
	;; [unrolled: 1-line block ×4, first 2 shown]
	v_add_co_u32 v46, vcc_lo, v48, v46
	v_min3_f32 v53, v54, v53, v100
	v_add_co_ci_u32_e64 v47, null, v49, v47, vcc_lo
	v_min_f32_e32 v54, v56, v55
	v_min3_f32 v52, v52, v54, v53
	flat_store_dword v[46:47], v52
	s_or_b32 exec_lo, exec_lo, s12
	s_and_b32 s18, s6, s8
	s_and_saveexec_b32 s12, s18
	s_cbranch_execz .LBB7_258
.LBB7_283:
	v_cmp_ne_u32_e32 vcc_lo, 1, v121
	v_lshlrev_b64 v[46:47], 2, v[76:77]
	s_cbranch_vccnz .LBB7_285
; %bb.284:
	v_add_co_u32 v52, vcc_lo, v50, v46
	v_add_co_ci_u32_e64 v53, null, v51, v47, vcc_lo
	flat_load_dword v52, v[52:53]
	s_waitcnt vmcnt(0) lgkmcnt(0)
	v_mul_f32_e32 v52, s15, v52
	s_branch .LBB7_286
.LBB7_285:
	v_mov_b32_e32 v52, 0
.LBB7_286:
	v_add_f32_e32 v53, v11, v43
	v_add_f32_e32 v54, v10, v42
	;; [unrolled: 1-line block ×4, first 2 shown]
	v_add_co_u32 v46, vcc_lo, v48, v46
	v_min3_f32 v53, v54, v53, v99
	v_add_co_ci_u32_e64 v47, null, v49, v47, vcc_lo
	v_min_f32_e32 v54, v56, v55
	v_min3_f32 v52, v52, v54, v53
	flat_store_dword v[46:47], v52
	s_or_b32 exec_lo, exec_lo, s12
	s_and_b32 s12, s7, s8
	s_and_saveexec_b32 s8, s12
	s_cbranch_execz .LBB7_291
.LBB7_287:
	v_cmp_ne_u32_e32 vcc_lo, 1, v121
	v_lshlrev_b64 v[46:47], 2, v[78:79]
	s_cbranch_vccnz .LBB7_289
; %bb.288:
	v_add_co_u32 v50, vcc_lo, v50, v46
	v_add_co_ci_u32_e64 v51, null, v51, v47, vcc_lo
	flat_load_dword v50, v[50:51]
	s_waitcnt vmcnt(0) lgkmcnt(0)
	v_mul_f32_e32 v50, s15, v50
	s_branch .LBB7_290
.LBB7_289:
	v_mov_b32_e32 v50, 0
.LBB7_290:
	v_add_f32_e32 v43, v3, v43
	v_add_f32_e32 v42, v2, v42
	;; [unrolled: 1-line block ×4, first 2 shown]
	v_min3_f32 v42, v42, v43, v98
	v_min_f32_e32 v43, v44, v45
	v_min3_f32 v44, v50, v43, v42
	v_add_co_u32 v42, vcc_lo, v48, v46
	v_add_co_ci_u32_e64 v43, null, v49, v47, vcc_lo
	flat_store_dword v[42:43], v44
.LBB7_291:
	s_or_b32 exec_lo, exec_lo, s8
	v_add_nc_u32_e32 v46, 48, v130
	v_mad_i64_i32 v[42:43], null, v46, s14, 0
	v_mad_i64_i32 v[44:45], null, v46, s9, 0
	v_cmp_gt_i32_e64 s8, s13, v46
	v_lshlrev_b64 v[42:43], 2, v[42:43]
	s_and_b32 s18, s0, s8
	v_lshlrev_b64 v[44:45], 2, v[44:45]
	v_add_co_u32 v46, vcc_lo, s10, v42
	v_add_co_ci_u32_e64 v47, null, s11, v43, vcc_lo
	v_add_co_u32 v44, vcc_lo, s16, v44
	v_add_co_ci_u32_e64 v45, null, s17, v45, vcc_lo
	s_and_saveexec_b32 s12, s18
	s_cbranch_execnz .LBB7_299
; %bb.292:
	s_or_b32 exec_lo, exec_lo, s12
	s_and_b32 s18, s1, s8
	s_and_saveexec_b32 s12, s18
	s_cbranch_execnz .LBB7_303
.LBB7_293:
	s_or_b32 exec_lo, exec_lo, s12
	s_and_b32 s18, s2, s8
	s_and_saveexec_b32 s12, s18
	s_cbranch_execnz .LBB7_307
.LBB7_294:
	s_or_b32 exec_lo, exec_lo, s12
	s_and_b32 s18, s3, s8
	s_and_saveexec_b32 s12, s18
	s_cbranch_execnz .LBB7_311
.LBB7_295:
	s_or_b32 exec_lo, exec_lo, s12
	s_and_b32 s18, s4, s8
	s_and_saveexec_b32 s12, s18
	s_cbranch_execnz .LBB7_315
.LBB7_296:
	s_or_b32 exec_lo, exec_lo, s12
	s_and_b32 s18, s5, s8
	s_and_saveexec_b32 s12, s18
	s_cbranch_execnz .LBB7_319
.LBB7_297:
	s_or_b32 exec_lo, exec_lo, s12
	s_and_b32 s18, s6, s8
	s_and_saveexec_b32 s12, s18
	s_cbranch_execnz .LBB7_323
.LBB7_298:
	s_or_b32 exec_lo, exec_lo, s12
	s_and_b32 s12, s7, s8
	s_and_saveexec_b32 s8, s12
	s_cbranch_execnz .LBB7_327
	s_branch .LBB7_331
.LBB7_299:
	v_cmp_ne_u32_e32 vcc_lo, 1, v121
	v_lshlrev_b64 v[42:43], 2, v[0:1]
	s_cbranch_vccnz .LBB7_301
; %bb.300:
	v_add_co_u32 v48, vcc_lo, v46, v42
	v_add_co_ci_u32_e64 v49, null, v47, v43, vcc_lo
	flat_load_dword v48, v[48:49]
	s_waitcnt vmcnt(0) lgkmcnt(0)
	v_mul_f32_e32 v48, s15, v48
	s_branch .LBB7_302
.LBB7_301:
	v_mov_b32_e32 v48, 0
.LBB7_302:
	v_add_f32_e32 v49, v35, v39
	v_add_f32_e32 v50, v34, v38
	;; [unrolled: 1-line block ×4, first 2 shown]
	v_add_co_u32 v42, vcc_lo, v44, v42
	v_min3_f32 v49, v50, v49, v97
	v_add_co_ci_u32_e64 v43, null, v45, v43, vcc_lo
	v_min_f32_e32 v50, v52, v51
	v_min3_f32 v48, v48, v50, v49
	flat_store_dword v[42:43], v48
	s_or_b32 exec_lo, exec_lo, s12
	s_and_b32 s18, s1, s8
	s_and_saveexec_b32 s12, s18
	s_cbranch_execz .LBB7_293
.LBB7_303:
	v_cmp_ne_u32_e32 vcc_lo, 1, v121
	v_lshlrev_b64 v[42:43], 2, v[66:67]
	s_cbranch_vccnz .LBB7_305
; %bb.304:
	v_add_co_u32 v48, vcc_lo, v46, v42
	v_add_co_ci_u32_e64 v49, null, v47, v43, vcc_lo
	flat_load_dword v48, v[48:49]
	s_waitcnt vmcnt(0) lgkmcnt(0)
	v_mul_f32_e32 v48, s15, v48
	s_branch .LBB7_306
.LBB7_305:
	v_mov_b32_e32 v48, 0
.LBB7_306:
	v_add_f32_e32 v49, v31, v39
	v_add_f32_e32 v50, v30, v38
	v_add_f32_e32 v51, v33, v41
	v_add_f32_e32 v52, v32, v40
	v_add_co_u32 v42, vcc_lo, v44, v42
	v_min3_f32 v49, v50, v49, v96
	v_add_co_ci_u32_e64 v43, null, v45, v43, vcc_lo
	v_min_f32_e32 v50, v52, v51
	v_min3_f32 v48, v48, v50, v49
	flat_store_dword v[42:43], v48
	s_or_b32 exec_lo, exec_lo, s12
	s_and_b32 s18, s2, s8
	s_and_saveexec_b32 s12, s18
	s_cbranch_execz .LBB7_294
.LBB7_307:
	v_cmp_ne_u32_e32 vcc_lo, 1, v121
	v_lshlrev_b64 v[42:43], 2, v[68:69]
	s_cbranch_vccnz .LBB7_309
; %bb.308:
	v_add_co_u32 v48, vcc_lo, v46, v42
	v_add_co_ci_u32_e64 v49, null, v47, v43, vcc_lo
	flat_load_dword v48, v[48:49]
	s_waitcnt vmcnt(0) lgkmcnt(0)
	v_mul_f32_e32 v48, s15, v48
	s_branch .LBB7_310
.LBB7_309:
	v_mov_b32_e32 v48, 0
.LBB7_310:
	v_add_f32_e32 v49, v27, v39
	v_add_f32_e32 v50, v26, v38
	;; [unrolled: 1-line block ×4, first 2 shown]
	v_add_co_u32 v42, vcc_lo, v44, v42
	v_min3_f32 v49, v50, v49, v95
	v_add_co_ci_u32_e64 v43, null, v45, v43, vcc_lo
	v_min_f32_e32 v50, v52, v51
	v_min3_f32 v48, v48, v50, v49
	flat_store_dword v[42:43], v48
	s_or_b32 exec_lo, exec_lo, s12
	s_and_b32 s18, s3, s8
	s_and_saveexec_b32 s12, s18
	s_cbranch_execz .LBB7_295
.LBB7_311:
	v_cmp_ne_u32_e32 vcc_lo, 1, v121
	v_lshlrev_b64 v[42:43], 2, v[70:71]
	s_cbranch_vccnz .LBB7_313
; %bb.312:
	v_add_co_u32 v48, vcc_lo, v46, v42
	v_add_co_ci_u32_e64 v49, null, v47, v43, vcc_lo
	flat_load_dword v48, v[48:49]
	s_waitcnt vmcnt(0) lgkmcnt(0)
	v_mul_f32_e32 v48, s15, v48
	s_branch .LBB7_314
.LBB7_313:
	v_mov_b32_e32 v48, 0
.LBB7_314:
	v_add_f32_e32 v49, v23, v39
	v_add_f32_e32 v50, v22, v38
	;; [unrolled: 1-line block ×4, first 2 shown]
	v_add_co_u32 v42, vcc_lo, v44, v42
	v_min3_f32 v49, v50, v49, v94
	v_add_co_ci_u32_e64 v43, null, v45, v43, vcc_lo
	v_min_f32_e32 v50, v52, v51
	v_min3_f32 v48, v48, v50, v49
	flat_store_dword v[42:43], v48
	s_or_b32 exec_lo, exec_lo, s12
	s_and_b32 s18, s4, s8
	s_and_saveexec_b32 s12, s18
	s_cbranch_execz .LBB7_296
.LBB7_315:
	v_cmp_ne_u32_e32 vcc_lo, 1, v121
	v_lshlrev_b64 v[42:43], 2, v[72:73]
	s_cbranch_vccnz .LBB7_317
; %bb.316:
	v_add_co_u32 v48, vcc_lo, v46, v42
	v_add_co_ci_u32_e64 v49, null, v47, v43, vcc_lo
	flat_load_dword v48, v[48:49]
	s_waitcnt vmcnt(0) lgkmcnt(0)
	v_mul_f32_e32 v48, s15, v48
	s_branch .LBB7_318
.LBB7_317:
	v_mov_b32_e32 v48, 0
.LBB7_318:
	v_add_f32_e32 v49, v19, v39
	v_add_f32_e32 v50, v18, v38
	;; [unrolled: 1-line block ×4, first 2 shown]
	v_add_co_u32 v42, vcc_lo, v44, v42
	v_min3_f32 v49, v50, v49, v93
	v_add_co_ci_u32_e64 v43, null, v45, v43, vcc_lo
	v_min_f32_e32 v50, v52, v51
	v_min3_f32 v48, v48, v50, v49
	flat_store_dword v[42:43], v48
	s_or_b32 exec_lo, exec_lo, s12
	s_and_b32 s18, s5, s8
	s_and_saveexec_b32 s12, s18
	s_cbranch_execz .LBB7_297
.LBB7_319:
	v_cmp_ne_u32_e32 vcc_lo, 1, v121
	v_lshlrev_b64 v[42:43], 2, v[74:75]
	s_cbranch_vccnz .LBB7_321
; %bb.320:
	v_add_co_u32 v48, vcc_lo, v46, v42
	v_add_co_ci_u32_e64 v49, null, v47, v43, vcc_lo
	flat_load_dword v48, v[48:49]
	s_waitcnt vmcnt(0) lgkmcnt(0)
	v_mul_f32_e32 v48, s15, v48
	s_branch .LBB7_322
.LBB7_321:
	v_mov_b32_e32 v48, 0
.LBB7_322:
	v_add_f32_e32 v49, v15, v39
	v_add_f32_e32 v50, v14, v38
	;; [unrolled: 1-line block ×4, first 2 shown]
	v_add_co_u32 v42, vcc_lo, v44, v42
	v_min3_f32 v49, v50, v49, v92
	v_add_co_ci_u32_e64 v43, null, v45, v43, vcc_lo
	v_min_f32_e32 v50, v52, v51
	v_min3_f32 v48, v48, v50, v49
	flat_store_dword v[42:43], v48
	s_or_b32 exec_lo, exec_lo, s12
	s_and_b32 s18, s6, s8
	s_and_saveexec_b32 s12, s18
	s_cbranch_execz .LBB7_298
.LBB7_323:
	v_cmp_ne_u32_e32 vcc_lo, 1, v121
	v_lshlrev_b64 v[42:43], 2, v[76:77]
	s_cbranch_vccnz .LBB7_325
; %bb.324:
	v_add_co_u32 v48, vcc_lo, v46, v42
	v_add_co_ci_u32_e64 v49, null, v47, v43, vcc_lo
	flat_load_dword v48, v[48:49]
	s_waitcnt vmcnt(0) lgkmcnt(0)
	v_mul_f32_e32 v48, s15, v48
	s_branch .LBB7_326
.LBB7_325:
	v_mov_b32_e32 v48, 0
.LBB7_326:
	v_add_f32_e32 v49, v11, v39
	v_add_f32_e32 v50, v10, v38
	;; [unrolled: 1-line block ×4, first 2 shown]
	v_add_co_u32 v42, vcc_lo, v44, v42
	v_min3_f32 v49, v50, v49, v90
	v_add_co_ci_u32_e64 v43, null, v45, v43, vcc_lo
	v_min_f32_e32 v50, v52, v51
	v_min3_f32 v48, v48, v50, v49
	flat_store_dword v[42:43], v48
	s_or_b32 exec_lo, exec_lo, s12
	s_and_b32 s12, s7, s8
	s_and_saveexec_b32 s8, s12
	s_cbranch_execz .LBB7_331
.LBB7_327:
	v_cmp_ne_u32_e32 vcc_lo, 1, v121
	v_lshlrev_b64 v[42:43], 2, v[78:79]
	s_cbranch_vccnz .LBB7_329
; %bb.328:
	v_add_co_u32 v46, vcc_lo, v46, v42
	v_add_co_ci_u32_e64 v47, null, v47, v43, vcc_lo
	flat_load_dword v46, v[46:47]
	s_waitcnt vmcnt(0) lgkmcnt(0)
	v_mul_f32_e32 v46, s15, v46
	s_branch .LBB7_330
.LBB7_329:
	v_mov_b32_e32 v46, 0
.LBB7_330:
	v_add_f32_e32 v39, v3, v39
	v_add_f32_e32 v38, v2, v38
	;; [unrolled: 1-line block ×4, first 2 shown]
	v_min3_f32 v38, v38, v39, v89
	v_min_f32_e32 v39, v40, v41
	v_min3_f32 v40, v46, v39, v38
	v_add_co_u32 v38, vcc_lo, v44, v42
	v_add_co_ci_u32_e64 v39, null, v45, v43, vcc_lo
	flat_store_dword v[38:39], v40
.LBB7_331:
	s_or_b32 exec_lo, exec_lo, s8
	v_add_nc_u32_e32 v42, 56, v130
	v_mad_i64_i32 v[38:39], null, v42, s14, 0
	v_mad_i64_i32 v[40:41], null, v42, s9, 0
	v_cmp_gt_i32_e64 s8, s13, v42
	v_lshlrev_b64 v[38:39], 2, v[38:39]
	s_and_b32 s9, s0, s8
	v_lshlrev_b64 v[42:43], 2, v[40:41]
	v_add_co_u32 v40, vcc_lo, s10, v38
	v_add_co_ci_u32_e64 v41, null, s11, v39, vcc_lo
	v_add_co_u32 v38, vcc_lo, s16, v42
	v_add_co_ci_u32_e64 v39, null, s17, v43, vcc_lo
	s_and_saveexec_b32 s0, s9
	s_cbranch_execnz .LBB7_340
; %bb.332:
	s_or_b32 exec_lo, exec_lo, s0
	s_and_b32 s1, s1, s8
	s_and_saveexec_b32 s0, s1
	s_cbranch_execnz .LBB7_344
.LBB7_333:
	s_or_b32 exec_lo, exec_lo, s0
	s_and_b32 s1, s2, s8
	s_and_saveexec_b32 s0, s1
	s_cbranch_execnz .LBB7_348
.LBB7_334:
	s_or_b32 exec_lo, exec_lo, s0
	s_and_b32 s1, s3, s8
	s_and_saveexec_b32 s0, s1
	s_cbranch_execnz .LBB7_352
.LBB7_335:
	s_or_b32 exec_lo, exec_lo, s0
	s_and_b32 s1, s4, s8
	s_and_saveexec_b32 s0, s1
	s_cbranch_execnz .LBB7_356
.LBB7_336:
	s_or_b32 exec_lo, exec_lo, s0
	s_and_b32 s1, s5, s8
	s_and_saveexec_b32 s0, s1
	s_cbranch_execnz .LBB7_360
.LBB7_337:
	s_or_b32 exec_lo, exec_lo, s0
	s_and_b32 s1, s6, s8
	s_and_saveexec_b32 s0, s1
	s_cbranch_execnz .LBB7_364
.LBB7_338:
	s_or_b32 exec_lo, exec_lo, s0
	s_and_b32 s0, s7, s8
	s_and_saveexec_b32 s1, s0
	s_cbranch_execnz .LBB7_368
.LBB7_339:
	s_endpgm
.LBB7_340:
	v_cmp_ne_u32_e32 vcc_lo, 1, v121
	v_lshlrev_b64 v[0:1], 2, v[0:1]
	s_cbranch_vccnz .LBB7_342
; %bb.341:
	v_add_co_u32 v42, vcc_lo, v40, v0
	v_add_co_ci_u32_e64 v43, null, v41, v1, vcc_lo
	flat_load_dword v42, v[42:43]
	s_waitcnt vmcnt(0) lgkmcnt(0)
	v_mul_f32_e32 v42, s15, v42
	s_branch .LBB7_343
.LBB7_342:
	v_mov_b32_e32 v42, 0
.LBB7_343:
	v_add_f32_e32 v35, v35, v7
	v_add_f32_e32 v34, v34, v6
	;; [unrolled: 1-line block ×4, first 2 shown]
	v_add_co_u32 v0, vcc_lo, v38, v0
	v_min3_f32 v34, v34, v35, v88
	v_add_co_ci_u32_e64 v1, null, v39, v1, vcc_lo
	v_min_f32_e32 v35, v36, v37
	v_min3_f32 v34, v42, v35, v34
	flat_store_dword v[0:1], v34
	s_or_b32 exec_lo, exec_lo, s0
	s_and_b32 s1, s1, s8
	s_and_saveexec_b32 s0, s1
	s_cbranch_execz .LBB7_333
.LBB7_344:
	v_cmp_ne_u32_e32 vcc_lo, 1, v121
	v_lshlrev_b64 v[0:1], 2, v[66:67]
	s_cbranch_vccnz .LBB7_346
; %bb.345:
	v_add_co_u32 v34, vcc_lo, v40, v0
	v_add_co_ci_u32_e64 v35, null, v41, v1, vcc_lo
	flat_load_dword v34, v[34:35]
	s_waitcnt vmcnt(0) lgkmcnt(0)
	v_mul_f32_e32 v34, s15, v34
	s_branch .LBB7_347
.LBB7_346:
	v_mov_b32_e32 v34, 0
.LBB7_347:
	v_add_f32_e32 v31, v31, v7
	v_add_f32_e32 v30, v30, v6
	;; [unrolled: 1-line block ×4, first 2 shown]
	v_add_co_u32 v0, vcc_lo, v38, v0
	v_min3_f32 v30, v30, v31, v87
	v_add_co_ci_u32_e64 v1, null, v39, v1, vcc_lo
	v_min_f32_e32 v31, v32, v33
	v_min3_f32 v30, v34, v31, v30
	flat_store_dword v[0:1], v30
	s_or_b32 exec_lo, exec_lo, s0
	s_and_b32 s1, s2, s8
	s_and_saveexec_b32 s0, s1
	s_cbranch_execz .LBB7_334
.LBB7_348:
	v_cmp_ne_u32_e32 vcc_lo, 1, v121
	v_lshlrev_b64 v[0:1], 2, v[68:69]
	s_cbranch_vccnz .LBB7_350
; %bb.349:
	v_add_co_u32 v30, vcc_lo, v40, v0
	v_add_co_ci_u32_e64 v31, null, v41, v1, vcc_lo
	flat_load_dword v30, v[30:31]
	s_waitcnt vmcnt(0) lgkmcnt(0)
	v_mul_f32_e32 v30, s15, v30
	s_branch .LBB7_351
.LBB7_350:
	v_mov_b32_e32 v30, 0
.LBB7_351:
	v_add_f32_e32 v27, v27, v7
	v_add_f32_e32 v26, v26, v6
	;; [unrolled: 1-line block ×4, first 2 shown]
	v_add_co_u32 v0, vcc_lo, v38, v0
	v_min3_f32 v26, v26, v27, v86
	v_add_co_ci_u32_e64 v1, null, v39, v1, vcc_lo
	v_min_f32_e32 v27, v28, v29
	v_min3_f32 v26, v30, v27, v26
	flat_store_dword v[0:1], v26
	s_or_b32 exec_lo, exec_lo, s0
	s_and_b32 s1, s3, s8
	s_and_saveexec_b32 s0, s1
	s_cbranch_execz .LBB7_335
.LBB7_352:
	v_cmp_ne_u32_e32 vcc_lo, 1, v121
	v_lshlrev_b64 v[0:1], 2, v[70:71]
	s_cbranch_vccnz .LBB7_354
; %bb.353:
	v_add_co_u32 v26, vcc_lo, v40, v0
	v_add_co_ci_u32_e64 v27, null, v41, v1, vcc_lo
	flat_load_dword v26, v[26:27]
	s_waitcnt vmcnt(0) lgkmcnt(0)
	v_mul_f32_e32 v26, s15, v26
	s_branch .LBB7_355
.LBB7_354:
	v_mov_b32_e32 v26, 0
.LBB7_355:
	v_add_f32_e32 v23, v23, v7
	v_add_f32_e32 v22, v22, v6
	;; [unrolled: 1-line block ×4, first 2 shown]
	v_add_co_u32 v0, vcc_lo, v38, v0
	v_min3_f32 v22, v22, v23, v85
	v_add_co_ci_u32_e64 v1, null, v39, v1, vcc_lo
	v_min_f32_e32 v23, v24, v25
	v_min3_f32 v22, v26, v23, v22
	flat_store_dword v[0:1], v22
	s_or_b32 exec_lo, exec_lo, s0
	s_and_b32 s1, s4, s8
	s_and_saveexec_b32 s0, s1
	s_cbranch_execz .LBB7_336
.LBB7_356:
	v_cmp_ne_u32_e32 vcc_lo, 1, v121
	v_lshlrev_b64 v[0:1], 2, v[72:73]
	s_cbranch_vccnz .LBB7_358
; %bb.357:
	v_add_co_u32 v22, vcc_lo, v40, v0
	v_add_co_ci_u32_e64 v23, null, v41, v1, vcc_lo
	flat_load_dword v22, v[22:23]
	s_waitcnt vmcnt(0) lgkmcnt(0)
	v_mul_f32_e32 v22, s15, v22
	s_branch .LBB7_359
.LBB7_358:
	v_mov_b32_e32 v22, 0
.LBB7_359:
	v_add_f32_e32 v19, v19, v7
	v_add_f32_e32 v18, v18, v6
	;; [unrolled: 1-line block ×4, first 2 shown]
	v_add_co_u32 v0, vcc_lo, v38, v0
	v_min3_f32 v18, v18, v19, v84
	v_add_co_ci_u32_e64 v1, null, v39, v1, vcc_lo
	v_min_f32_e32 v19, v20, v21
	v_min3_f32 v18, v22, v19, v18
	flat_store_dword v[0:1], v18
	s_or_b32 exec_lo, exec_lo, s0
	s_and_b32 s1, s5, s8
	s_and_saveexec_b32 s0, s1
	s_cbranch_execz .LBB7_337
.LBB7_360:
	v_cmp_ne_u32_e32 vcc_lo, 1, v121
	v_lshlrev_b64 v[0:1], 2, v[74:75]
	s_cbranch_vccnz .LBB7_362
; %bb.361:
	v_add_co_u32 v18, vcc_lo, v40, v0
	v_add_co_ci_u32_e64 v19, null, v41, v1, vcc_lo
	flat_load_dword v18, v[18:19]
	s_waitcnt vmcnt(0) lgkmcnt(0)
	v_mul_f32_e32 v18, s15, v18
	s_branch .LBB7_363
.LBB7_362:
	v_mov_b32_e32 v18, 0
.LBB7_363:
	v_add_f32_e32 v15, v15, v7
	v_add_f32_e32 v14, v14, v6
	;; [unrolled: 1-line block ×4, first 2 shown]
	v_add_co_u32 v0, vcc_lo, v38, v0
	v_min3_f32 v14, v14, v15, v83
	v_add_co_ci_u32_e64 v1, null, v39, v1, vcc_lo
	v_min_f32_e32 v15, v16, v17
	v_min3_f32 v14, v18, v15, v14
	flat_store_dword v[0:1], v14
	s_or_b32 exec_lo, exec_lo, s0
	s_and_b32 s1, s6, s8
	s_and_saveexec_b32 s0, s1
	s_cbranch_execz .LBB7_338
.LBB7_364:
	v_cmp_ne_u32_e32 vcc_lo, 1, v121
	v_lshlrev_b64 v[0:1], 2, v[76:77]
	s_cbranch_vccnz .LBB7_366
; %bb.365:
	v_add_co_u32 v14, vcc_lo, v40, v0
	v_add_co_ci_u32_e64 v15, null, v41, v1, vcc_lo
	flat_load_dword v14, v[14:15]
	s_waitcnt vmcnt(0) lgkmcnt(0)
	v_mul_f32_e32 v14, s15, v14
	s_branch .LBB7_367
.LBB7_366:
	v_mov_b32_e32 v14, 0
.LBB7_367:
	v_add_f32_e32 v11, v11, v7
	v_add_f32_e32 v10, v10, v6
	v_add_f32_e32 v13, v13, v9
	v_add_f32_e32 v12, v12, v8
	v_add_co_u32 v0, vcc_lo, v38, v0
	v_min3_f32 v10, v10, v11, v82
	v_add_co_ci_u32_e64 v1, null, v39, v1, vcc_lo
	v_min_f32_e32 v11, v12, v13
	v_min3_f32 v10, v14, v11, v10
	flat_store_dword v[0:1], v10
	s_or_b32 exec_lo, exec_lo, s0
	s_and_b32 s0, s7, s8
	s_and_saveexec_b32 s1, s0
	s_cbranch_execz .LBB7_339
.LBB7_368:
	v_cmp_ne_u32_e32 vcc_lo, 1, v121
	v_lshlrev_b64 v[0:1], 2, v[78:79]
	s_cbranch_vccnz .LBB7_370
; %bb.369:
	v_add_co_u32 v10, vcc_lo, v40, v0
	v_add_co_ci_u32_e64 v11, null, v41, v1, vcc_lo
	flat_load_dword v10, v[10:11]
	s_waitcnt vmcnt(0) lgkmcnt(0)
	v_mul_f32_e32 v10, s15, v10
	s_branch .LBB7_371
.LBB7_370:
	v_mov_b32_e32 v10, 0
.LBB7_371:
	v_add_f32_e32 v3, v3, v7
	v_add_f32_e32 v2, v2, v6
	;; [unrolled: 1-line block ×4, first 2 shown]
	v_add_co_u32 v0, vcc_lo, v38, v0
	v_min3_f32 v2, v2, v3, v91
	v_add_co_ci_u32_e64 v1, null, v39, v1, vcc_lo
	v_min_f32_e32 v3, v4, v5
	v_min3_f32 v2, v10, v3, v2
	flat_store_dword v[0:1], v2
	s_endpgm
	.section	.rodata,"a",@progbits
	.p2align	6, 0x0
	.amdhsa_kernel _ZN12_GLOBAL__N_120geam_min_plus_kernelIf15HIP_vector_typeIfLj2EEfLi32ELi8ELi256ELi64ELi4ELi64ELi4ELi4ELi64ELc78ELc78ELb1ELb1ELb1EfKPKfKPfEEviiiT16_PT17_ilSA_ilS8_SA_ilPT18_ili26rocblas_geam_ex_operation_
		.amdhsa_group_segment_fixed_size 10240
		.amdhsa_private_segment_fixed_size 0
		.amdhsa_kernarg_size 128
		.amdhsa_user_sgpr_count 6
		.amdhsa_user_sgpr_private_segment_buffer 1
		.amdhsa_user_sgpr_dispatch_ptr 0
		.amdhsa_user_sgpr_queue_ptr 0
		.amdhsa_user_sgpr_kernarg_segment_ptr 1
		.amdhsa_user_sgpr_dispatch_id 0
		.amdhsa_user_sgpr_flat_scratch_init 0
		.amdhsa_user_sgpr_private_segment_size 0
		.amdhsa_wavefront_size32 1
		.amdhsa_uses_dynamic_stack 0
		.amdhsa_system_sgpr_private_segment_wavefront_offset 0
		.amdhsa_system_sgpr_workgroup_id_x 1
		.amdhsa_system_sgpr_workgroup_id_y 0
		.amdhsa_system_sgpr_workgroup_id_z 1
		.amdhsa_system_sgpr_workgroup_info 0
		.amdhsa_system_vgpr_workitem_id 1
		.amdhsa_next_free_vgpr 162
		.amdhsa_next_free_sgpr 27
		.amdhsa_reserve_vcc 1
		.amdhsa_reserve_flat_scratch 0
		.amdhsa_float_round_mode_32 0
		.amdhsa_float_round_mode_16_64 0
		.amdhsa_float_denorm_mode_32 3
		.amdhsa_float_denorm_mode_16_64 3
		.amdhsa_dx10_clamp 1
		.amdhsa_ieee_mode 1
		.amdhsa_fp16_overflow 0
		.amdhsa_workgroup_processor_mode 1
		.amdhsa_memory_ordered 1
		.amdhsa_forward_progress 1
		.amdhsa_shared_vgpr_count 0
		.amdhsa_exception_fp_ieee_invalid_op 0
		.amdhsa_exception_fp_denorm_src 0
		.amdhsa_exception_fp_ieee_div_zero 0
		.amdhsa_exception_fp_ieee_overflow 0
		.amdhsa_exception_fp_ieee_underflow 0
		.amdhsa_exception_fp_ieee_inexact 0
		.amdhsa_exception_int_div_zero 0
	.end_amdhsa_kernel
	.section	.text._ZN12_GLOBAL__N_120geam_min_plus_kernelIf15HIP_vector_typeIfLj2EEfLi32ELi8ELi256ELi64ELi4ELi64ELi4ELi4ELi64ELc78ELc78ELb1ELb1ELb1EfKPKfKPfEEviiiT16_PT17_ilSA_ilS8_SA_ilPT18_ili26rocblas_geam_ex_operation_,"axG",@progbits,_ZN12_GLOBAL__N_120geam_min_plus_kernelIf15HIP_vector_typeIfLj2EEfLi32ELi8ELi256ELi64ELi4ELi64ELi4ELi4ELi64ELc78ELc78ELb1ELb1ELb1EfKPKfKPfEEviiiT16_PT17_ilSA_ilS8_SA_ilPT18_ili26rocblas_geam_ex_operation_,comdat
.Lfunc_end7:
	.size	_ZN12_GLOBAL__N_120geam_min_plus_kernelIf15HIP_vector_typeIfLj2EEfLi32ELi8ELi256ELi64ELi4ELi64ELi4ELi4ELi64ELc78ELc78ELb1ELb1ELb1EfKPKfKPfEEviiiT16_PT17_ilSA_ilS8_SA_ilPT18_ili26rocblas_geam_ex_operation_, .Lfunc_end7-_ZN12_GLOBAL__N_120geam_min_plus_kernelIf15HIP_vector_typeIfLj2EEfLi32ELi8ELi256ELi64ELi4ELi64ELi4ELi4ELi64ELc78ELc78ELb1ELb1ELb1EfKPKfKPfEEviiiT16_PT17_ilSA_ilS8_SA_ilPT18_ili26rocblas_geam_ex_operation_
                                        ; -- End function
	.set _ZN12_GLOBAL__N_120geam_min_plus_kernelIf15HIP_vector_typeIfLj2EEfLi32ELi8ELi256ELi64ELi4ELi64ELi4ELi4ELi64ELc78ELc78ELb1ELb1ELb1EfKPKfKPfEEviiiT16_PT17_ilSA_ilS8_SA_ilPT18_ili26rocblas_geam_ex_operation_.num_vgpr, 162
	.set _ZN12_GLOBAL__N_120geam_min_plus_kernelIf15HIP_vector_typeIfLj2EEfLi32ELi8ELi256ELi64ELi4ELi64ELi4ELi4ELi64ELc78ELc78ELb1ELb1ELb1EfKPKfKPfEEviiiT16_PT17_ilSA_ilS8_SA_ilPT18_ili26rocblas_geam_ex_operation_.num_agpr, 0
	.set _ZN12_GLOBAL__N_120geam_min_plus_kernelIf15HIP_vector_typeIfLj2EEfLi32ELi8ELi256ELi64ELi4ELi64ELi4ELi4ELi64ELc78ELc78ELb1ELb1ELb1EfKPKfKPfEEviiiT16_PT17_ilSA_ilS8_SA_ilPT18_ili26rocblas_geam_ex_operation_.numbered_sgpr, 27
	.set _ZN12_GLOBAL__N_120geam_min_plus_kernelIf15HIP_vector_typeIfLj2EEfLi32ELi8ELi256ELi64ELi4ELi64ELi4ELi4ELi64ELc78ELc78ELb1ELb1ELb1EfKPKfKPfEEviiiT16_PT17_ilSA_ilS8_SA_ilPT18_ili26rocblas_geam_ex_operation_.num_named_barrier, 0
	.set _ZN12_GLOBAL__N_120geam_min_plus_kernelIf15HIP_vector_typeIfLj2EEfLi32ELi8ELi256ELi64ELi4ELi64ELi4ELi4ELi64ELc78ELc78ELb1ELb1ELb1EfKPKfKPfEEviiiT16_PT17_ilSA_ilS8_SA_ilPT18_ili26rocblas_geam_ex_operation_.private_seg_size, 0
	.set _ZN12_GLOBAL__N_120geam_min_plus_kernelIf15HIP_vector_typeIfLj2EEfLi32ELi8ELi256ELi64ELi4ELi64ELi4ELi4ELi64ELc78ELc78ELb1ELb1ELb1EfKPKfKPfEEviiiT16_PT17_ilSA_ilS8_SA_ilPT18_ili26rocblas_geam_ex_operation_.uses_vcc, 1
	.set _ZN12_GLOBAL__N_120geam_min_plus_kernelIf15HIP_vector_typeIfLj2EEfLi32ELi8ELi256ELi64ELi4ELi64ELi4ELi4ELi64ELc78ELc78ELb1ELb1ELb1EfKPKfKPfEEviiiT16_PT17_ilSA_ilS8_SA_ilPT18_ili26rocblas_geam_ex_operation_.uses_flat_scratch, 0
	.set _ZN12_GLOBAL__N_120geam_min_plus_kernelIf15HIP_vector_typeIfLj2EEfLi32ELi8ELi256ELi64ELi4ELi64ELi4ELi4ELi64ELc78ELc78ELb1ELb1ELb1EfKPKfKPfEEviiiT16_PT17_ilSA_ilS8_SA_ilPT18_ili26rocblas_geam_ex_operation_.has_dyn_sized_stack, 0
	.set _ZN12_GLOBAL__N_120geam_min_plus_kernelIf15HIP_vector_typeIfLj2EEfLi32ELi8ELi256ELi64ELi4ELi64ELi4ELi4ELi64ELc78ELc78ELb1ELb1ELb1EfKPKfKPfEEviiiT16_PT17_ilSA_ilS8_SA_ilPT18_ili26rocblas_geam_ex_operation_.has_recursion, 0
	.set _ZN12_GLOBAL__N_120geam_min_plus_kernelIf15HIP_vector_typeIfLj2EEfLi32ELi8ELi256ELi64ELi4ELi64ELi4ELi4ELi64ELc78ELc78ELb1ELb1ELb1EfKPKfKPfEEviiiT16_PT17_ilSA_ilS8_SA_ilPT18_ili26rocblas_geam_ex_operation_.has_indirect_call, 0
	.section	.AMDGPU.csdata,"",@progbits
; Kernel info:
; codeLenInByte = 19312
; TotalNumSgprs: 29
; NumVgprs: 162
; ScratchSize: 0
; MemoryBound: 0
; FloatMode: 240
; IeeeMode: 1
; LDSByteSize: 10240 bytes/workgroup (compile time only)
; SGPRBlocks: 0
; VGPRBlocks: 20
; NumSGPRsForWavesPerEU: 29
; NumVGPRsForWavesPerEU: 162
; Occupancy: 5
; WaveLimiterHint : 1
; COMPUTE_PGM_RSRC2:SCRATCH_EN: 0
; COMPUTE_PGM_RSRC2:USER_SGPR: 6
; COMPUTE_PGM_RSRC2:TRAP_HANDLER: 0
; COMPUTE_PGM_RSRC2:TGID_X_EN: 1
; COMPUTE_PGM_RSRC2:TGID_Y_EN: 0
; COMPUTE_PGM_RSRC2:TGID_Z_EN: 1
; COMPUTE_PGM_RSRC2:TIDIG_COMP_CNT: 1
	.section	.text._ZN12_GLOBAL__N_120geam_min_plus_kernelIf15HIP_vector_typeIfLj2EEfLi32ELi8ELi256ELi64ELi4ELi64ELi4ELi4ELi64ELc78ELc78ELb0ELb1ELb1EfKPKfKPfEEviiiT16_PT17_ilSA_ilS8_SA_ilPT18_ili26rocblas_geam_ex_operation_,"axG",@progbits,_ZN12_GLOBAL__N_120geam_min_plus_kernelIf15HIP_vector_typeIfLj2EEfLi32ELi8ELi256ELi64ELi4ELi64ELi4ELi4ELi64ELc78ELc78ELb0ELb1ELb1EfKPKfKPfEEviiiT16_PT17_ilSA_ilS8_SA_ilPT18_ili26rocblas_geam_ex_operation_,comdat
	.globl	_ZN12_GLOBAL__N_120geam_min_plus_kernelIf15HIP_vector_typeIfLj2EEfLi32ELi8ELi256ELi64ELi4ELi64ELi4ELi4ELi64ELc78ELc78ELb0ELb1ELb1EfKPKfKPfEEviiiT16_PT17_ilSA_ilS8_SA_ilPT18_ili26rocblas_geam_ex_operation_ ; -- Begin function _ZN12_GLOBAL__N_120geam_min_plus_kernelIf15HIP_vector_typeIfLj2EEfLi32ELi8ELi256ELi64ELi4ELi64ELi4ELi4ELi64ELc78ELc78ELb0ELb1ELb1EfKPKfKPfEEviiiT16_PT17_ilSA_ilS8_SA_ilPT18_ili26rocblas_geam_ex_operation_
	.p2align	8
	.type	_ZN12_GLOBAL__N_120geam_min_plus_kernelIf15HIP_vector_typeIfLj2EEfLi32ELi8ELi256ELi64ELi4ELi64ELi4ELi4ELi64ELc78ELc78ELb0ELb1ELb1EfKPKfKPfEEviiiT16_PT17_ilSA_ilS8_SA_ilPT18_ili26rocblas_geam_ex_operation_,@function
_ZN12_GLOBAL__N_120geam_min_plus_kernelIf15HIP_vector_typeIfLj2EEfLi32ELi8ELi256ELi64ELi4ELi64ELi4ELi4ELi64ELc78ELc78ELb0ELb1ELb1EfKPKfKPfEEviiiT16_PT17_ilSA_ilS8_SA_ilPT18_ili26rocblas_geam_ex_operation_: ; @_ZN12_GLOBAL__N_120geam_min_plus_kernelIf15HIP_vector_typeIfLj2EEfLi32ELi8ELi256ELi64ELi4ELi64ELi4ELi4ELi64ELc78ELc78ELb0ELb1ELb1EfKPKfKPfEEviiiT16_PT17_ilSA_ilS8_SA_ilPT18_ili26rocblas_geam_ex_operation_
; %bb.0:
	s_clause 0x1
	s_load_dwordx4 s[12:15], s[4:5], 0x0
	s_load_dwordx4 s[0:3], s[4:5], 0x20
	s_mov_b32 s16, s7
	s_mov_b32 s17, 0
	s_waitcnt lgkmcnt(0)
	v_cmp_eq_f32_e64 s7, s15, 0
	s_and_b32 vcc_lo, exec_lo, s7
	s_cbranch_vccnz .LBB8_3
; %bb.1:
	s_load_dwordx2 s[8:9], s[4:5], 0x10
	s_lshl_b64 s[10:11], s[16:17], 3
	s_waitcnt lgkmcnt(0)
	s_add_u32 s8, s8, s10
	s_addc_u32 s9, s9, s11
	s_lshl_b64 s[0:1], s[0:1], 2
	s_load_dwordx2 s[8:9], s[8:9], 0x0
	s_waitcnt lgkmcnt(0)
	s_add_u32 s8, s8, s0
	s_addc_u32 s9, s9, s1
	s_andn2_b32 vcc_lo, exec_lo, s7
	s_cbranch_vccnz .LBB8_4
.LBB8_2:
	s_mov_b32 s21, 0
	s_mov_b32 s20, s16
	;; [unrolled: 1-line block ×3, first 2 shown]
	s_mov_b64 s[10:11], 0
	s_andn2_b32 vcc_lo, exec_lo, s0
	s_mov_b64 s[18:19], 0
	s_cbranch_vccz .LBB8_5
	s_branch .LBB8_6
.LBB8_3:
	s_mov_b64 s[8:9], 0
	s_andn2_b32 vcc_lo, exec_lo, s7
	s_cbranch_vccz .LBB8_2
.LBB8_4:
	s_mov_b64 s[20:21], s[16:17]
	s_mov_b64 s[10:11], 0
	;; [unrolled: 1-line block ×3, first 2 shown]
.LBB8_5:
	s_lshl_b64 s[0:1], s[16:17], 3
	s_load_dwordx2 s[16:17], s[4:5], 0x38
	s_add_u32 s0, s2, s0
	s_addc_u32 s1, s3, s1
	s_load_dwordx2 s[0:1], s[0:1], 0x0
	s_waitcnt lgkmcnt(0)
	s_lshl_b64 s[2:3], s[16:17], 2
	s_add_u32 s18, s0, s2
	s_addc_u32 s19, s1, s3
.LBB8_6:
	s_clause 0x1
	s_load_dword s22, s[4:5], 0x40
	s_load_dwordx4 s[0:3], s[4:5], 0x58
	s_waitcnt lgkmcnt(0)
	v_cmp_eq_f32_e64 s7, s22, 0
	v_cmp_neq_f32_e64 s23, s22, 0
	s_and_b32 vcc_lo, exec_lo, s7
	s_cbranch_vccnz .LBB8_8
; %bb.7:
	s_load_dwordx2 s[10:11], s[4:5], 0x48
	s_lshl_b64 s[16:17], s[20:21], 3
	s_waitcnt lgkmcnt(0)
	s_add_u32 s10, s10, s16
	s_addc_u32 s11, s11, s17
	s_lshl_b64 s[0:1], s[0:1], 2
	s_load_dwordx2 s[10:11], s[10:11], 0x0
	s_waitcnt lgkmcnt(0)
	s_add_u32 s10, s10, s0
	s_addc_u32 s11, s11, s1
.LBB8_8:
	s_lshl_b64 s[0:1], s[20:21], 3
	s_load_dword s24, s[4:5], 0x18
	s_add_u32 s16, s2, s0
	s_addc_u32 s17, s3, s1
	s_add_i32 s0, s12, -1
	v_lshl_add_u32 v6, v1, 5, v0
	s_ashr_i32 s1, s0, 31
	v_cmp_eq_f32_e64 s26, s15, 0
	s_lshr_b32 s1, s1, 24
	s_add_i32 s0, s0, s1
	v_lshrrev_b32_e32 v70, 6, v6
	s_ashr_i32 s0, s0, 8
	s_add_i32 s1, s0, 1
	s_not_b32 s0, s0
	v_cvt_f32_u32_e32 v2, s1
	v_rcp_iflag_f32_e32 v2, v2
	v_mul_f32_e32 v2, 0x4f7ffffe, v2
	v_cvt_u32_f32_e32 v2, v2
	v_readfirstlane_b32 s2, v2
	v_and_b32_e32 v2, 63, v6
	s_mul_i32 s0, s0, s2
	s_mul_hi_u32 s0, s2, s0
	s_add_i32 s2, s2, s0
	s_mul_hi_u32 s0, s6, s2
	s_mul_i32 s2, s0, s1
	s_add_i32 s3, s0, 1
	s_sub_i32 s2, s6, s2
	s_sub_i32 s7, s2, s1
	s_cmp_ge_u32 s2, s1
	s_cselect_b32 s0, s3, s0
	s_cselect_b32 s2, s7, s2
	s_add_i32 s3, s0, 1
	s_cmp_ge_u32 s2, s1
	s_cselect_b32 s7, s3, s0
	s_add_i32 s25, s14, -1
	s_mul_i32 s0, s7, s1
	v_min_i32_e32 v3, s25, v70
	s_sub_i32 s0, s6, s0
	v_cmp_le_i32_e64 s3, s14, v70
	s_lshl_b32 s20, s0, 8
	s_waitcnt lgkmcnt(0)
	v_mad_i64_i32 v[3:4], null, s24, v3, 0
	v_or_b32_e32 v66, s20, v2
	v_cmp_le_i32_e32 vcc_lo, s12, v66
	v_lshlrev_b64 v[4:5], 2, v[3:4]
	v_ashrrev_i32_e32 v67, 31, v66
	s_or_b32 s1, vcc_lo, s3
	v_add_co_u32 v8, s0, s8, v4
	v_cndmask_b32_e64 v3, 0, 0x7f7fffff, s1
	v_add_co_ci_u32_e64 v9, null, s9, v5, s0
	s_nor_b32 s0, s26, s1
	s_and_saveexec_b32 s1, s0
	s_cbranch_execz .LBB8_10
; %bb.9:
	v_lshlrev_b64 v[3:4], 2, v[66:67]
	v_add_co_u32 v3, s0, v8, v3
	v_add_co_ci_u32_e64 v4, null, v9, v4, s0
	flat_load_dword v3, v[3:4]
	s_waitcnt vmcnt(0) lgkmcnt(0)
	v_mul_f32_e32 v3, s15, v3
.LBB8_10:
	s_or_b32 exec_lo, exec_lo, s1
	v_or_b32_e32 v4, 64, v66
	v_cmp_le_i32_e64 s0, s12, v4
	s_or_b32 s1, s0, s3
	v_cndmask_b32_e64 v4, 0, 0x7f7fffff, s1
	s_nor_b32 s1, s26, s1
	s_and_saveexec_b32 s2, s1
	s_cbranch_execz .LBB8_12
; %bb.11:
	v_lshlrev_b64 v[4:5], 2, v[66:67]
	v_add_co_u32 v4, s1, v8, v4
	v_add_co_ci_u32_e64 v5, null, v9, v5, s1
	flat_load_dword v4, v[4:5] offset:256
	s_waitcnt vmcnt(0) lgkmcnt(0)
	v_mul_f32_e32 v4, s15, v4
.LBB8_12:
	s_or_b32 exec_lo, exec_lo, s2
	v_or_b32_e32 v5, 0x80, v66
	v_cmp_le_i32_e64 s1, s12, v5
	s_or_b32 s2, s1, s3
	v_cndmask_b32_e64 v5, 0, 0x7f7fffff, s2
	s_nor_b32 s2, s26, s2
	s_and_saveexec_b32 s6, s2
	s_cbranch_execz .LBB8_14
; %bb.13:
	v_lshlrev_b64 v[10:11], 2, v[66:67]
	v_add_co_u32 v10, s2, v8, v10
	v_add_co_ci_u32_e64 v11, null, v9, v11, s2
	flat_load_dword v5, v[10:11] offset:512
	s_waitcnt vmcnt(0) lgkmcnt(0)
	v_mul_f32_e32 v5, s15, v5
.LBB8_14:
	;; [unrolled: 16-line block ×3, first 2 shown]
	s_or_b32 exec_lo, exec_lo, s6
	v_lshrrev_b32_e32 v6, 2, v6
	s_load_dword s27, s[4:5], 0x30
	s_lshl_b32 s21, s7, 6
	v_and_b32_e32 v72, 3, v0
	v_add_nc_u32_e32 v68, s21, v6
	v_cmp_le_i32_e64 s6, s14, v72
	v_cmp_le_i32_e64 s3, s13, v68
	s_or_b32 s6, s6, s3
	v_cndmask_b32_e64 v8, 0, 0x7f7fffff, s6
	s_nor_b32 s6, s26, s6
	s_and_saveexec_b32 s7, s6
	s_cbranch_execz .LBB8_18
; %bb.17:
	s_waitcnt lgkmcnt(0)
	v_mad_i64_i32 v[8:9], null, v68, s27, 0
	v_min_u32_e32 v10, s25, v72
	v_lshlrev_b32_e32 v10, 2, v10
	v_lshlrev_b64 v[8:9], 2, v[8:9]
	v_add_co_u32 v8, s6, s18, v8
	v_add_co_ci_u32_e64 v9, null, s19, v9, s6
	v_add_co_u32 v8, s6, v8, v10
	v_add_co_ci_u32_e64 v9, null, 0, v9, s6
	flat_load_dword v8, v[8:9]
	s_waitcnt vmcnt(0) lgkmcnt(0)
	v_mul_f32_e32 v8, s15, v8
.LBB8_18:
	s_or_b32 exec_lo, exec_lo, s7
	v_add_nc_u32_e32 v11, 4, v70
	v_min_i32_e32 v9, s25, v11
	v_cmp_le_i32_e64 s6, s14, v11
	v_mad_i64_i32 v[9:10], null, s24, v9, 0
	v_lshlrev_b64 v[9:10], 2, v[9:10]
	v_add_co_u32 v9, s7, s8, v9
	v_add_co_ci_u32_e64 v10, null, s9, v10, s7
	s_or_b32 s7, vcc_lo, s6
	v_cndmask_b32_e64 v69, 0, 0x7f7fffff, s7
	s_nor_b32 s7, s26, s7
	s_and_saveexec_b32 s28, s7
	s_cbranch_execz .LBB8_20
; %bb.19:
	v_lshlrev_b64 v[11:12], 2, v[66:67]
	v_add_co_u32 v11, s7, v9, v11
	v_add_co_ci_u32_e64 v12, null, v10, v12, s7
	flat_load_dword v11, v[11:12]
	s_waitcnt vmcnt(0) lgkmcnt(0)
	v_mul_f32_e32 v69, s15, v11
.LBB8_20:
	s_or_b32 exec_lo, exec_lo, s28
	s_or_b32 s7, s0, s6
	v_cndmask_b32_e64 v121, 0, 0x7f7fffff, s7
	s_nor_b32 s7, s26, s7
	s_and_saveexec_b32 s28, s7
	s_cbranch_execz .LBB8_22
; %bb.21:
	v_lshlrev_b64 v[11:12], 2, v[66:67]
	v_add_co_u32 v11, s7, v9, v11
	v_add_co_ci_u32_e64 v12, null, v10, v12, s7
	flat_load_dword v11, v[11:12] offset:256
	s_waitcnt vmcnt(0) lgkmcnt(0)
	v_mul_f32_e32 v121, s15, v11
.LBB8_22:
	s_or_b32 exec_lo, exec_lo, s28
	s_or_b32 s7, s1, s6
	v_cndmask_b32_e64 v132, 0, 0x7f7fffff, s7
	s_nor_b32 s7, s26, s7
	s_and_saveexec_b32 s28, s7
	s_cbranch_execz .LBB8_24
; %bb.23:
	v_lshlrev_b64 v[11:12], 2, v[66:67]
	v_add_co_u32 v11, s7, v9, v11
	v_add_co_ci_u32_e64 v12, null, v10, v12, s7
	flat_load_dword v11, v[11:12] offset:512
	s_waitcnt vmcnt(0) lgkmcnt(0)
	v_mul_f32_e32 v132, s15, v11
.LBB8_24:
	;; [unrolled: 14-line block ×3, first 2 shown]
	s_or_b32 exec_lo, exec_lo, s7
	v_or_b32_e32 v9, 4, v72
	v_cmp_le_i32_e64 s6, s14, v9
	s_or_b32 s6, s6, s3
	v_cndmask_b32_e64 v143, 0, 0x7f7fffff, s6
	s_nor_b32 s6, s26, s6
	s_and_saveexec_b32 s7, s6
	s_cbranch_execz .LBB8_28
; %bb.27:
	s_waitcnt lgkmcnt(0)
	v_mad_i64_i32 v[10:11], null, v68, s27, 0
	v_min_u32_e32 v12, s25, v9
	v_lshlrev_b64 v[9:10], 2, v[10:11]
	v_lshlrev_b32_e32 v11, 2, v12
	v_add_co_u32 v9, s6, s18, v9
	v_add_co_ci_u32_e64 v10, null, s19, v10, s6
	v_add_co_u32 v9, s6, v9, v11
	v_add_co_ci_u32_e64 v10, null, 0, v10, s6
	flat_load_dword v9, v[9:10]
	s_waitcnt vmcnt(0) lgkmcnt(0)
	v_mul_f32_e32 v143, s15, v9
.LBB8_28:
	s_or_b32 exec_lo, exec_lo, s7
	v_lshlrev_b32_e32 v2, 4, v2
	v_lshlrev_b32_e32 v142, 2, v72
	;; [unrolled: 1-line block ×3, first 2 shown]
	s_load_dwordx2 s[16:17], s[16:17], 0x0
	v_lshlrev_b32_e32 v71, 4, v1
	v_lshl_add_u32 v74, v70, 2, v2
	v_lshl_or_b32 v144, v6, 4, v142
	s_cmp_lt_i32 s14, 9
	ds_write2st64_b32 v74, v3, v4 offset1:4
	ds_write2st64_b32 v74, v5, v7 offset0:8 offset1:12
	ds_write_b32 v144, v8 offset:8192
	s_waitcnt lgkmcnt(0)
	s_barrier
	buffer_gl0_inv
	ds_read_b128 v[34:37], v73
	ds_read_b128 v[30:33], v73 offset:512
	ds_read_b128 v[26:29], v73 offset:1024
	;; [unrolled: 1-line block ×15, first 2 shown]
	ds_write2st64_b32 v74, v69, v121 offset0:16 offset1:20
	ds_write2st64_b32 v74, v132, v141 offset0:24 offset1:28
	ds_write_b32 v144, v143 offset:9216
	s_waitcnt lgkmcnt(0)
	s_barrier
	buffer_gl0_inv
	v_add_f32_e32 v75, v35, v63
	v_add_f32_e32 v76, v34, v62
	;; [unrolled: 1-line block ×6, first 2 shown]
	v_min3_f32 v75, v76, v75, 0x7f7fffff
	v_add_f32_e32 v76, v31, v63
	v_add_f32_e32 v81, v10, v62
	v_min3_f32 v76, v77, v76, 0x7f7fffff
	v_add_f32_e32 v77, v27, v63
	v_min3_f32 v77, v78, v77, 0x7f7fffff
	;; [unrolled: 2-line block ×5, first 2 shown]
	v_add_f32_e32 v79, v7, v63
	v_add_f32_e32 v81, v6, v62
	;; [unrolled: 1-line block ×4, first 2 shown]
	v_min3_f32 v118, v81, v79, 0x7f7fffff
	v_add_f32_e32 v79, v6, v38
	v_min3_f32 v119, v62, v63, 0x7f7fffff
	v_add_f32_e32 v62, v35, v59
	v_add_f32_e32 v63, v34, v58
	v_min3_f32 v116, v63, v62, 0x7f7fffff
	v_add_f32_e32 v62, v31, v59
	;; [unrolled: 3-line block ×7, first 2 shown]
	v_add_f32_e32 v63, v6, v58
	v_add_f32_e32 v59, v3, v59
	v_add_f32_e32 v58, v2, v58
	v_min3_f32 v110, v63, v62, 0x7f7fffff
	v_min3_f32 v109, v58, v59, 0x7f7fffff
	v_add_f32_e32 v58, v35, v55
	v_add_f32_e32 v59, v34, v54
	v_min3_f32 v108, v59, v58, 0x7f7fffff
	v_add_f32_e32 v58, v31, v55
	v_add_f32_e32 v59, v30, v54
	v_min3_f32 v107, v59, v58, 0x7f7fffff
	v_add_f32_e32 v58, v27, v55
	v_add_f32_e32 v59, v26, v54
	v_min3_f32 v106, v59, v58, 0x7f7fffff
	v_add_f32_e32 v58, v19, v55
	v_add_f32_e32 v59, v18, v54
	v_min3_f32 v105, v59, v58, 0x7f7fffff
	v_add_f32_e32 v58, v15, v55
	v_add_f32_e32 v59, v14, v54
	v_min3_f32 v104, v59, v58, 0x7f7fffff
	v_add_f32_e32 v58, v11, v55
	v_add_f32_e32 v59, v10, v54
	v_min3_f32 v103, v59, v58, 0x7f7fffff
	v_add_f32_e32 v58, v7, v55
	v_add_f32_e32 v59, v6, v54
	v_add_f32_e32 v55, v3, v55
	v_add_f32_e32 v54, v2, v54
	v_min3_f32 v102, v59, v58, 0x7f7fffff
	v_min3_f32 v101, v54, v55, 0x7f7fffff
	v_add_f32_e32 v54, v35, v51
	v_add_f32_e32 v55, v34, v50
	v_min3_f32 v100, v55, v54, 0x7f7fffff
	v_add_f32_e32 v54, v31, v51
	v_add_f32_e32 v55, v30, v50
	v_min3_f32 v99, v55, v54, 0x7f7fffff
	v_add_f32_e32 v54, v27, v51
	v_add_f32_e32 v55, v26, v50
	v_min3_f32 v98, v55, v54, 0x7f7fffff
	v_add_f32_e32 v54, v19, v51
	v_add_f32_e32 v55, v18, v50
	v_min3_f32 v97, v55, v54, 0x7f7fffff
	v_add_f32_e32 v54, v15, v51
	v_add_f32_e32 v55, v14, v50
	v_min3_f32 v96, v55, v54, 0x7f7fffff
	v_add_f32_e32 v54, v11, v51
	v_add_f32_e32 v55, v10, v50
	v_min3_f32 v95, v55, v54, 0x7f7fffff
	v_add_f32_e32 v54, v7, v51
	;; [unrolled: 24-line block ×4, first 2 shown]
	v_add_f32_e32 v47, v6, v42
	v_add_f32_e32 v43, v3, v43
	;; [unrolled: 1-line block ×4, first 2 shown]
	v_min3_f32 v58, v47, v46, 0x7f7fffff
	v_min3_f32 v55, v42, v43, 0x7f7fffff
	v_add_f32_e32 v42, v35, v39
	v_add_f32_e32 v43, v34, v38
	;; [unrolled: 1-line block ×4, first 2 shown]
	v_min3_f32 v54, v43, v42, 0x7f7fffff
	v_add_f32_e32 v42, v31, v39
	v_add_f32_e32 v43, v30, v38
	v_min3_f32 v34, v34, v35, 0x7f7fffff
	v_add_f32_e32 v31, v31, v23
	v_add_f32_e32 v30, v30, v22
	;; [unrolled: 3-line block ×9, first 2 shown]
	v_add_f32_e32 v38, v2, v38
	v_add_f32_e32 v2, v2, v22
	v_min3_f32 v14, v14, v15, 0x7f7fffff
	v_add_f32_e32 v11, v11, v23
	v_min3_f32 v43, v43, v42, 0x7f7fffff
	v_add_f32_e32 v42, v7, v39
	v_add_f32_e32 v39, v3, v39
	;; [unrolled: 1-line block ×5, first 2 shown]
	v_min3_f32 v42, v79, v42, 0x7f7fffff
	v_min3_f32 v38, v38, v39, 0x7f7fffff
	;; [unrolled: 1-line block ×4, first 2 shown]
	v_add_f32_e32 v3, v37, v65
	v_add_f32_e32 v7, v36, v64
	v_min3_f32 v10, v10, v11, 0x7f7fffff
	v_min3_f32 v81, v7, v3, v75
	v_add_f32_e32 v3, v33, v65
	v_add_f32_e32 v7, v32, v64
	v_min3_f32 v79, v7, v3, v76
	v_add_f32_e32 v3, v29, v65
	v_add_f32_e32 v7, v28, v64
	v_min3_f32 v77, v7, v3, v77
	v_add_f32_e32 v3, v21, v65
	v_add_f32_e32 v7, v20, v64
	v_min3_f32 v75, v7, v3, v78
	v_add_f32_e32 v3, v17, v65
	v_add_f32_e32 v7, v16, v64
	v_min3_f32 v76, v7, v3, v80
	v_add_f32_e32 v3, v13, v65
	v_add_f32_e32 v7, v12, v64
	v_min3_f32 v78, v7, v3, v117
	v_add_f32_e32 v3, v9, v65
	v_add_f32_e32 v7, v8, v64
	v_min3_f32 v80, v7, v3, v118
	v_add_f32_e32 v3, v5, v65
	v_add_f32_e32 v7, v4, v64
	v_min3_f32 v140, v7, v3, v119
	v_add_f32_e32 v3, v37, v61
	v_add_f32_e32 v7, v36, v60
	v_min3_f32 v139, v7, v3, v116
	v_add_f32_e32 v3, v33, v61
	v_add_f32_e32 v7, v32, v60
	v_min3_f32 v138, v7, v3, v115
	v_add_f32_e32 v3, v29, v61
	v_add_f32_e32 v7, v28, v60
	v_min3_f32 v137, v7, v3, v114
	v_add_f32_e32 v3, v21, v61
	v_add_f32_e32 v7, v20, v60
	v_min3_f32 v136, v7, v3, v113
	v_add_f32_e32 v3, v17, v61
	v_add_f32_e32 v7, v16, v60
	v_min3_f32 v135, v7, v3, v112
	v_add_f32_e32 v3, v13, v61
	v_add_f32_e32 v7, v12, v60
	v_min3_f32 v134, v7, v3, v111
	v_add_f32_e32 v3, v9, v61
	v_add_f32_e32 v7, v8, v60
	v_min3_f32 v133, v7, v3, v110
	v_add_f32_e32 v3, v5, v61
	v_add_f32_e32 v7, v4, v60
	v_min3_f32 v131, v7, v3, v109
	v_add_f32_e32 v3, v37, v57
	v_add_f32_e32 v7, v36, v56
	v_min3_f32 v130, v7, v3, v108
	v_add_f32_e32 v3, v33, v57
	v_add_f32_e32 v7, v32, v56
	v_min3_f32 v129, v7, v3, v107
	v_add_f32_e32 v3, v29, v57
	v_add_f32_e32 v7, v28, v56
	v_min3_f32 v128, v7, v3, v106
	v_add_f32_e32 v3, v21, v57
	v_add_f32_e32 v7, v20, v56
	v_min3_f32 v127, v7, v3, v105
	v_add_f32_e32 v3, v17, v57
	v_add_f32_e32 v7, v16, v56
	v_min3_f32 v126, v7, v3, v104
	v_add_f32_e32 v3, v13, v57
	v_add_f32_e32 v7, v12, v56
	v_min3_f32 v125, v7, v3, v103
	v_add_f32_e32 v3, v9, v57
	v_add_f32_e32 v7, v8, v56
	v_min3_f32 v124, v7, v3, v102
	v_add_f32_e32 v3, v5, v57
	v_add_f32_e32 v7, v4, v56
	v_min3_f32 v122, v7, v3, v101
	v_add_f32_e32 v3, v37, v53
	v_add_f32_e32 v7, v36, v52
	v_min3_f32 v123, v7, v3, v100
	v_add_f32_e32 v3, v33, v53
	v_add_f32_e32 v7, v32, v52
	v_min3_f32 v120, v7, v3, v99
	v_add_f32_e32 v3, v29, v53
	v_add_f32_e32 v7, v28, v52
	v_min3_f32 v119, v7, v3, v98
	v_add_f32_e32 v3, v21, v53
	v_add_f32_e32 v7, v20, v52
	v_min3_f32 v118, v7, v3, v97
	v_add_f32_e32 v3, v17, v53
	v_add_f32_e32 v7, v16, v52
	v_min3_f32 v117, v7, v3, v96
	v_add_f32_e32 v3, v13, v53
	v_add_f32_e32 v7, v12, v52
	v_min3_f32 v116, v7, v3, v95
	v_add_f32_e32 v3, v9, v53
	v_add_f32_e32 v7, v8, v52
	v_min3_f32 v115, v7, v3, v94
	v_add_f32_e32 v3, v5, v53
	v_add_f32_e32 v7, v4, v52
	v_min3_f32 v114, v7, v3, v93
	v_add_f32_e32 v3, v37, v49
	v_add_f32_e32 v7, v36, v48
	v_min3_f32 v113, v7, v3, v92
	v_add_f32_e32 v3, v33, v49
	v_add_f32_e32 v7, v32, v48
	v_min3_f32 v112, v7, v3, v91
	v_add_f32_e32 v3, v29, v49
	v_add_f32_e32 v7, v28, v48
	v_min3_f32 v111, v7, v3, v90
	v_add_f32_e32 v3, v21, v49
	v_add_f32_e32 v7, v20, v48
	v_min3_f32 v110, v7, v3, v89
	v_add_f32_e32 v3, v17, v49
	v_add_f32_e32 v7, v16, v48
	v_min3_f32 v109, v7, v3, v88
	v_add_f32_e32 v3, v13, v49
	v_add_f32_e32 v7, v12, v48
	v_min3_f32 v108, v7, v3, v87
	v_add_f32_e32 v3, v9, v49
	v_add_f32_e32 v7, v8, v48
	v_min3_f32 v107, v7, v3, v86
	v_add_f32_e32 v3, v5, v49
	v_add_f32_e32 v7, v4, v48
	v_min3_f32 v106, v7, v3, v85
	v_add_f32_e32 v3, v37, v45
	v_add_f32_e32 v7, v36, v44
	v_min3_f32 v105, v7, v3, v84
	v_add_f32_e32 v3, v33, v45
	v_add_f32_e32 v7, v32, v44
	v_min3_f32 v104, v7, v3, v83
	v_add_f32_e32 v3, v29, v45
	v_add_f32_e32 v7, v28, v44
	v_min3_f32 v103, v7, v3, v82
	v_add_f32_e32 v3, v21, v45
	v_add_f32_e32 v7, v20, v44
	v_min3_f32 v102, v7, v3, v63
	v_add_f32_e32 v3, v17, v45
	v_add_f32_e32 v7, v16, v44
	v_min3_f32 v101, v7, v3, v62
	v_add_f32_e32 v3, v13, v45
	v_add_f32_e32 v7, v12, v44
	v_min3_f32 v100, v7, v3, v59
	v_add_f32_e32 v3, v9, v45
	v_add_f32_e32 v7, v8, v44
	v_min3_f32 v99, v7, v3, v58
	v_add_f32_e32 v3, v5, v45
	v_add_f32_e32 v7, v4, v44
	v_min3_f32 v98, v7, v3, v55
	v_add_f32_e32 v3, v37, v41
	v_add_f32_e32 v7, v36, v40
	v_min3_f32 v97, v7, v3, v54
	v_add_f32_e32 v3, v33, v41
	v_add_f32_e32 v7, v32, v40
	v_min3_f32 v96, v7, v3, v51
	v_add_f32_e32 v3, v29, v41
	v_add_f32_e32 v7, v28, v40
	v_min3_f32 v95, v7, v3, v50
	v_add_f32_e32 v3, v21, v41
	v_add_f32_e32 v7, v20, v40
	v_min3_f32 v94, v7, v3, v47
	v_add_f32_e32 v3, v17, v41
	v_add_f32_e32 v7, v16, v40
	v_min3_f32 v93, v7, v3, v46
	v_add_f32_e32 v3, v13, v41
	v_add_f32_e32 v7, v12, v40
	v_min3_f32 v91, v7, v3, v43
	v_add_f32_e32 v3, v9, v41
	v_add_f32_e32 v7, v8, v40
	v_min3_f32 v90, v7, v3, v42
	v_add_f32_e32 v3, v5, v41
	v_add_f32_e32 v7, v4, v40
	v_add_f32_e32 v4, v4, v24
	v_min3_f32 v89, v7, v3, v38
	v_add_f32_e32 v3, v37, v25
	v_add_f32_e32 v7, v36, v24
	v_min3_f32 v88, v7, v3, v34
	v_add_f32_e32 v3, v33, v25
	;; [unrolled: 3-line block ×8, first 2 shown]
	v_min3_f32 v92, v4, v3, v2
	s_cbranch_scc1 .LBB8_51
; %bb.29:
	v_mad_i64_i32 v[2:3], null, s27, v68, 0
	v_lshlrev_b64 v[66:67], 2, v[66:67]
	v_add_nc_u32_e32 v121, 0x2000, v144
	v_or_b32_e32 v132, 0x2000, v71
	v_or_b32_e32 v141, 0x1000, v74
	v_add_nc_u32_e32 v143, 0x2400, v144
	v_lshl_or_b32 v144, v0, 4, 0x1000
	v_lshlrev_b64 v[2:3], 2, v[2:3]
	v_add_co_u32 v2, s6, v2, v142
	v_add_co_ci_u32_e64 v3, null, 0, v3, s6
	v_lshl_add_u32 v142, v1, 4, 0x2400
	v_add_co_u32 v2, s6, s18, v2
	v_add_co_ci_u32_e64 v3, null, s19, v3, s6
	s_add_i32 s18, s14, -8
	v_add_co_u32 v68, s6, v2, 48
	v_add_co_ci_u32_e64 v69, null, 0, v3, s6
	s_mov_b32 s19, 0
	s_branch .LBB8_31
.LBB8_30:                               ;   in Loop: Header=BB8_31 Depth=1
	s_or_b32 exec_lo, exec_lo, s6
	v_add_f32_e32 v150, v23, v63
	v_add_f32_e32 v151, v22, v62
	;; [unrolled: 1-line block ×6, first 2 shown]
	v_min3_f32 v81, v151, v150, v81
	v_add_f32_e32 v150, v7, v63
	v_min3_f32 v79, v153, v152, v79
	v_add_f32_e32 v151, v6, v62
	;; [unrolled: 2-line block ×3, first 2 shown]
	v_add_f32_e32 v153, v34, v62
	v_add_f32_e32 v154, v31, v63
	;; [unrolled: 1-line block ×7, first 2 shown]
	v_min3_f32 v75, v151, v150, v75
	v_min3_f32 v76, v153, v152, v76
	v_add_f32_e32 v150, v15, v59
	v_add_f32_e32 v151, v14, v58
	v_min3_f32 v62, v62, v63, v140
	v_add_f32_e32 v63, v23, v59
	v_add_f32_e32 v140, v22, v58
	v_add_f32_e32 v152, v11, v59
	v_add_f32_e32 v153, v10, v58
	v_min3_f32 v78, v155, v154, v78
	v_min3_f32 v80, v157, v156, v80
	v_add_f32_e32 v154, v7, v59
	v_add_f32_e32 v155, v6, v58
	;; [unrolled: 1-line block ×4, first 2 shown]
	v_min3_f32 v63, v140, v63, v139
	v_min3_f32 v138, v151, v150, v138
	;; [unrolled: 1-line block ×3, first 2 shown]
	v_add_f32_e32 v139, v31, v59
	v_add_f32_e32 v140, v30, v58
	;; [unrolled: 1-line block ×8, first 2 shown]
	v_min3_f32 v136, v155, v154, v136
	v_add_f32_e32 v154, v15, v55
	v_add_f32_e32 v155, v14, v54
	v_min3_f32 v134, v140, v139, v134
	v_min3_f32 v133, v151, v150, v133
	;; [unrolled: 1-line block ×4, first 2 shown]
	v_add_f32_e32 v130, v11, v55
	v_add_f32_e32 v131, v10, v54
	;; [unrolled: 1-line block ×6, first 2 shown]
	v_min3_f32 v129, v155, v154, v129
	v_add_f32_e32 v152, v31, v55
	v_add_f32_e32 v153, v30, v54
	;; [unrolled: 1-line block ×4, first 2 shown]
	v_min3_f32 v128, v131, v130, v128
	v_min3_f32 v127, v140, v139, v127
	;; [unrolled: 1-line block ×3, first 2 shown]
	v_add_f32_e32 v55, v3, v55
	v_add_f32_e32 v54, v2, v54
	;; [unrolled: 1-line block ×8, first 2 shown]
	v_min3_f32 v125, v153, v152, v125
	v_add_f32_e32 v152, v7, v51
	v_add_f32_e32 v153, v6, v50
	v_min3_f32 v54, v54, v55, v122
	v_min3_f32 v55, v131, v130, v123
	;; [unrolled: 1-line block ×4, first 2 shown]
	v_add_f32_e32 v122, v35, v51
	v_add_f32_e32 v123, v34, v50
	;; [unrolled: 1-line block ×10, first 2 shown]
	v_min3_f32 v117, v123, v122, v117
	v_min3_f32 v116, v131, v130, v116
	;; [unrolled: 1-line block ×3, first 2 shown]
	v_add_f32_e32 v114, v14, v46
	v_min3_f32 v51, v151, v150, v113
	v_add_f32_e32 v113, v15, v47
	v_add_f32_e32 v122, v11, v47
	;; [unrolled: 1-line block ×5, first 2 shown]
	v_min3_f32 v115, v140, v139, v115
	v_add_f32_e32 v139, v35, v47
	v_add_f32_e32 v140, v34, v46
	;; [unrolled: 1-line block ×4, first 2 shown]
	v_min3_f32 v112, v114, v113, v112
	v_min3_f32 v111, v123, v122, v111
	v_min3_f32 v110, v131, v130, v110
	v_add_f32_e32 v113, v27, v47
	v_add_f32_e32 v114, v26, v46
	;; [unrolled: 1-line block ×8, first 2 shown]
	v_min3_f32 v109, v140, v139, v109
	v_add_f32_e32 v139, v11, v43
	v_add_f32_e32 v140, v10, v42
	v_min3_f32 v107, v114, v113, v107
	v_min3_f32 v46, v46, v47, v106
	;; [unrolled: 1-line block ×4, first 2 shown]
	v_add_f32_e32 v105, v7, v43
	v_add_f32_e32 v106, v6, v42
	;; [unrolled: 1-line block ×10, first 2 shown]
	v_min3_f32 v102, v106, v105, v102
	v_add_f32_e32 v105, v15, v39
	v_add_f32_e32 v106, v14, v38
	;; [unrolled: 1-line block ×3, first 2 shown]
	v_min3_f32 v42, v42, v43, v98
	v_add_f32_e32 v43, v23, v39
	v_add_f32_e32 v98, v22, v38
	;; [unrolled: 1-line block ×5, first 2 shown]
	v_min3_f32 v101, v114, v113, v101
	v_min3_f32 v100, v123, v122, v100
	v_add_f32_e32 v113, v11, v39
	v_add_f32_e32 v114, v10, v38
	;; [unrolled: 1-line block ×4, first 2 shown]
	v_min3_f32 v22, v22, v23, v88
	v_min3_f32 v14, v14, v15, v87
	v_add_f32_e32 v11, v11, v19
	v_add_f32_e32 v10, v10, v18
	;; [unrolled: 1-line block ×6, first 2 shown]
	v_min3_f32 v99, v131, v130, v99
	v_add_f32_e32 v130, v35, v39
	v_add_f32_e32 v131, v34, v38
	v_min3_f32 v43, v98, v43, v97
	v_min3_f32 v96, v106, v105, v96
	v_add_f32_e32 v97, v31, v39
	v_add_f32_e32 v98, v30, v38
	;; [unrolled: 1-line block ×10, first 2 shown]
	v_min3_f32 v10, v10, v11, v86
	v_min3_f32 v34, v6, v7, v85
	;; [unrolled: 1-line block ×3, first 2 shown]
	v_add_f32_e32 v3, v3, v19
	v_add_f32_e32 v2, v2, v18
	;; [unrolled: 1-line block ×6, first 2 shown]
	v_min3_f32 v30, v30, v31, v83
	v_min3_f32 v26, v26, v27, v82
	v_add_f32_e32 v18, v13, v65
	v_add_f32_e32 v19, v12, v64
	;; [unrolled: 1-line block ×4, first 2 shown]
	v_min3_f32 v35, v2, v3, v92
	v_min3_f32 v81, v7, v6, v81
	;; [unrolled: 1-line block ×3, first 2 shown]
	v_add_f32_e32 v2, v37, v65
	v_add_f32_e32 v3, v36, v64
	;; [unrolled: 1-line block ×6, first 2 shown]
	v_min3_f32 v77, v19, v18, v77
	v_min3_f32 v75, v31, v27, v75
	v_add_f32_e32 v18, v5, v65
	v_add_f32_e32 v19, v4, v64
	;; [unrolled: 1-line block ×4, first 2 shown]
	v_min3_f32 v76, v3, v2, v76
	v_min3_f32 v78, v7, v6, v78
	;; [unrolled: 1-line block ×3, first 2 shown]
	v_add_f32_e32 v2, v17, v61
	v_add_f32_e32 v3, v16, v60
	;; [unrolled: 1-line block ×6, first 2 shown]
	v_min3_f32 v135, v157, v156, v135
	v_min3_f32 v82, v19, v18, v62
	;; [unrolled: 1-line block ×3, first 2 shown]
	v_add_f32_e32 v18, v37, v61
	v_add_f32_e32 v19, v36, v60
	;; [unrolled: 1-line block ×4, first 2 shown]
	v_min3_f32 v84, v3, v2, v138
	v_min3_f32 v85, v7, v6, v137
	;; [unrolled: 1-line block ×3, first 2 shown]
	v_add_f32_e32 v2, v29, v61
	v_add_f32_e32 v3, v28, v60
	;; [unrolled: 1-line block ×6, first 2 shown]
	v_min3_f32 v91, v98, v97, v91
	v_min3_f32 v38, v38, v39, v89
	;; [unrolled: 1-line block ×4, first 2 shown]
	v_add_f32_e32 v18, v17, v57
	v_add_f32_e32 v19, v16, v56
	;; [unrolled: 1-line block ×4, first 2 shown]
	v_min3_f32 v89, v3, v2, v133
	v_min3_f32 v92, v7, v6, v58
	;; [unrolled: 1-line block ×3, first 2 shown]
	v_add_f32_e32 v2, v9, v57
	v_add_f32_e32 v3, v8, v56
	;; [unrolled: 1-line block ×6, first 2 shown]
	v_min3_f32 v124, v155, v154, v124
	v_min3_f32 v95, v114, v113, v95
	v_min3_f32 v90, v106, v105, v90
	v_min3_f32 v98, v19, v18, v129
	v_min3_f32 v105, v31, v27, v128
	v_add_f32_e32 v18, v29, v57
	v_add_f32_e32 v19, v28, v56
	;; [unrolled: 1-line block ×4, first 2 shown]
	v_min3_f32 v106, v3, v2, v127
	v_min3_f32 v113, v7, v6, v126
	;; [unrolled: 1-line block ×3, first 2 shown]
	v_add_f32_e32 v2, v25, v53
	v_add_f32_e32 v3, v24, v52
	;; [unrolled: 1-line block ×6, first 2 shown]
	v_min3_f32 v118, v153, v152, v118
	v_min3_f32 v94, v123, v122, v94
	;; [unrolled: 1-line block ×4, first 2 shown]
	v_add_f32_e32 v18, v9, v53
	v_add_f32_e32 v19, v8, v52
	;; [unrolled: 1-line block ×4, first 2 shown]
	v_min3_f32 v124, v3, v2, v55
	v_min3_f32 v120, v7, v6, v120
	v_min3_f32 v119, v15, v11, v119
	v_add_f32_e32 v2, v33, v53
	v_add_f32_e32 v3, v32, v52
	;; [unrolled: 1-line block ×6, first 2 shown]
	v_min3_f32 v118, v19, v18, v118
	v_min3_f32 v117, v31, v27, v117
	v_add_f32_e32 v18, v25, v49
	v_add_f32_e32 v19, v24, v48
	v_add_f32_e32 v27, v17, v49
	v_add_f32_e32 v31, v16, v48
	v_min3_f32 v116, v3, v2, v116
	v_min3_f32 v115, v7, v6, v115
	v_min3_f32 v125, v15, v11, v50
	v_add_f32_e32 v2, v13, v49
	v_add_f32_e32 v3, v12, v48
	v_add_f32_e32 v6, v9, v49
	v_add_f32_e32 v7, v8, v48
	v_add_f32_e32 v11, v37, v49
	v_add_f32_e32 v15, v36, v48
	v_min3_f32 v108, v151, v150, v108
	v_min3_f32 v126, v19, v18, v51
	v_min3_f32 v112, v31, v27, v112
	v_add_f32_e32 v18, v33, v49
	v_add_f32_e32 v19, v32, v48
	v_add_f32_e32 v27, v29, v49
	v_add_f32_e32 v31, v28, v48
	v_min3_f32 v111, v3, v2, v111
	v_min3_f32 v110, v7, v6, v110
	v_min3_f32 v109, v15, v11, v109
	v_add_f32_e32 v2, v5, v49
	v_add_f32_e32 v3, v4, v48
	v_add_f32_e32 v6, v25, v45
	v_add_f32_e32 v7, v24, v44
	v_add_f32_e32 v11, v17, v45
	v_add_f32_e32 v15, v16, v44
	v_min3_f32 v103, v140, v139, v103
	;; [unrolled: 16-line block ×3, first 2 shown]
	v_min3_f32 v102, v31, v27, v102
	v_add_f32_e32 v18, v5, v45
	v_add_f32_e32 v19, v4, v44
	;; [unrolled: 1-line block ×4, first 2 shown]
	v_min3_f32 v101, v3, v2, v101
	v_min3_f32 v100, v7, v6, v100
	;; [unrolled: 1-line block ×3, first 2 shown]
	v_add_f32_e32 v2, v17, v41
	v_add_f32_e32 v3, v16, v40
	;; [unrolled: 1-line block ×6, first 2 shown]
	v_min3_f32 v93, v131, v130, v93
	v_min3_f32 v129, v19, v18, v42
	;; [unrolled: 1-line block ×3, first 2 shown]
	v_add_f32_e32 v18, v37, v41
	v_add_f32_e32 v19, v36, v40
	;; [unrolled: 1-line block ×4, first 2 shown]
	v_min3_f32 v96, v3, v2, v96
	v_min3_f32 v95, v7, v6, v95
	;; [unrolled: 1-line block ×3, first 2 shown]
	v_add_f32_e32 v2, v29, v41
	v_add_f32_e32 v3, v28, v40
	;; [unrolled: 1-line block ×10, first 2 shown]
	v_min3_f32 v93, v19, v18, v93
	v_min3_f32 v91, v31, v27, v91
	;; [unrolled: 1-line block ×7, first 2 shown]
	v_add_f32_e32 v18, v9, v21
	v_add_f32_e32 v19, v8, v20
	;; [unrolled: 1-line block ×8, first 2 shown]
	ds_read_b128 v[6:9], v73
	ds_read_b128 v[10:13], v132
	v_add_f32_e32 v21, v5, v21
	ds_read_b128 v[14:17], v73 offset:512
	v_add_f32_e32 v20, v4, v20
	ds_read_b128 v[2:5], v73 offset:1024
	v_min3_f32 v136, v19, v18, v34
	v_min3_f32 v137, v24, v22, v23
	;; [unrolled: 1-line block ×5, first 2 shown]
	ds_read_b128 v[18:21], v73 offset:1536
	ds_read_b128 v[22:25], v73 offset:2048
	;; [unrolled: 1-line block ×12, first 2 shown]
	v_add_co_u32 v68, s6, v68, 32
	v_add_co_ci_u32_e64 v69, null, 0, v69, s6
	s_add_i32 s19, s19, 8
	ds_write2st64_b32 v141, v145, v146 offset1:4
	ds_write2st64_b32 v141, v147, v148 offset0:8 offset1:12
	ds_write_b32 v143, v149
	s_cmp_ge_i32 s19, s18
	s_waitcnt lgkmcnt(0)
	v_add_f32_e32 v150, v7, v11
	v_add_f32_e32 v151, v6, v10
	;; [unrolled: 1-line block ×6, first 2 shown]
	v_min3_f32 v81, v151, v150, v81
	v_add_f32_e32 v150, v19, v11
	v_min3_f32 v79, v153, v152, v79
	v_add_f32_e32 v151, v18, v10
	;; [unrolled: 2-line block ×3, first 2 shown]
	v_add_f32_e32 v153, v22, v10
	v_add_f32_e32 v154, v27, v11
	v_add_f32_e32 v155, v26, v10
	v_add_f32_e32 v156, v31, v11
	v_add_f32_e32 v157, v30, v10
	v_add_f32_e32 v11, v35, v11
	v_add_f32_e32 v10, v34, v10
	v_min3_f32 v75, v151, v150, v75
	v_min3_f32 v76, v153, v152, v76
	v_min3_f32 v78, v155, v154, v78
	v_min3_f32 v80, v157, v156, v80
	v_min3_f32 v10, v10, v11, v82
	v_add_f32_e32 v11, v7, v39
	v_add_f32_e32 v82, v6, v38
	v_add_f32_e32 v150, v15, v39
	v_add_f32_e32 v151, v14, v38
	v_add_f32_e32 v152, v3, v39
	v_add_f32_e32 v153, v2, v38
	v_add_f32_e32 v154, v19, v39
	v_add_f32_e32 v155, v18, v38
	v_add_f32_e32 v156, v23, v39
	v_add_f32_e32 v157, v22, v38
	v_min3_f32 v11, v82, v11, v83
	v_min3_f32 v82, v151, v150, v84
	v_min3_f32 v83, v153, v152, v85
	v_min3_f32 v84, v155, v154, v86
	v_min3_f32 v85, v157, v156, v87
	v_add_f32_e32 v86, v27, v39
	v_add_f32_e32 v87, v26, v38
	v_add_f32_e32 v150, v31, v39
	;; [unrolled: 15-line block ×6, first 2 shown]
	v_add_f32_e32 v122, v2, v50
	v_add_f32_e32 v123, v19, v51
	;; [unrolled: 1-line block ×7, first 2 shown]
	v_min3_f32 v112, v119, v118, v112
	v_min3_f32 v111, v122, v120, v111
	;; [unrolled: 1-line block ×4, first 2 shown]
	v_add_f32_e32 v118, v31, v51
	v_add_f32_e32 v119, v30, v50
	;; [unrolled: 1-line block ×10, first 2 shown]
	v_min3_f32 v107, v119, v118, v107
	v_min3_f32 v50, v50, v51, v127
	v_min3_f32 v51, v122, v120, v128
	v_min3_f32 v104, v124, v123, v104
	v_min3_f32 v103, v126, v125, v103
	v_add_f32_e32 v118, v19, v55
	v_add_f32_e32 v119, v18, v54
	v_add_f32_e32 v120, v23, v55
	v_add_f32_e32 v122, v22, v54
	v_add_f32_e32 v123, v27, v55
	v_add_f32_e32 v124, v26, v54
	v_add_f32_e32 v125, v31, v55
	v_add_f32_e32 v126, v30, v54
	v_add_f32_e32 v55, v35, v55
	v_add_f32_e32 v54, v34, v54
	v_min3_f32 v102, v119, v118, v102
	v_min3_f32 v101, v122, v120, v101
	;; [unrolled: 1-line block ×3, first 2 shown]
	v_add_f32_e32 v118, v6, v58
	v_min3_f32 v54, v54, v55, v129
	v_add_f32_e32 v55, v7, v59
	v_add_f32_e32 v119, v15, v59
	;; [unrolled: 1-line block ×9, first 2 shown]
	v_min3_f32 v99, v126, v125, v99
	v_add_f32_e32 v124, v19, v59
	v_add_f32_e32 v125, v18, v58
	;; [unrolled: 1-line block ×4, first 2 shown]
	v_min3_f32 v55, v118, v55, v130
	v_min3_f32 v96, v120, v119, v96
	;; [unrolled: 1-line block ×3, first 2 shown]
	v_add_f32_e32 v118, v27, v59
	v_add_f32_e32 v119, v26, v58
	;; [unrolled: 1-line block ×6, first 2 shown]
	v_min3_f32 v6, v6, v7, v133
	v_min3_f32 v7, v14, v15, v134
	v_add_f32_e32 v3, v3, v63
	v_add_f32_e32 v2, v2, v62
	;; [unrolled: 1-line block ×10, first 2 shown]
	v_min3_f32 v58, v58, v59, v131
	v_min3_f32 v2, v2, v3, v135
	;; [unrolled: 1-line block ×6, first 2 shown]
	v_add_f32_e32 v19, v35, v63
	v_add_f32_e32 v22, v34, v62
	;; [unrolled: 1-line block ×10, first 2 shown]
	v_min3_f32 v19, v22, v19, v140
	v_min3_f32 v81, v26, v23, v81
	;; [unrolled: 1-line block ×5, first 2 shown]
	v_add_f32_e32 v22, v25, v13
	v_add_f32_e32 v23, v24, v12
	;; [unrolled: 1-line block ×10, first 2 shown]
	v_min3_f32 v76, v23, v22, v76
	v_min3_f32 v78, v27, v26, v78
	;; [unrolled: 1-line block ×3, first 2 shown]
	v_add_f32_e32 v10, v17, v41
	v_min3_f32 v139, v35, v34, v11
	v_add_f32_e32 v11, v16, v40
	v_add_f32_e32 v12, v5, v41
	;; [unrolled: 1-line block ×3, first 2 shown]
	v_min3_f32 v80, v31, v30, v80
	v_add_f32_e32 v22, v21, v41
	v_min3_f32 v138, v11, v10, v82
	v_add_f32_e32 v10, v33, v41
	;; [unrolled: 2-line block ×3, first 2 shown]
	v_add_f32_e32 v12, v37, v41
	v_add_f32_e32 v13, v36, v40
	;; [unrolled: 1-line block ×7, first 2 shown]
	v_min3_f32 v133, v11, v10, v87
	v_min3_f32 v131, v13, v12, v38
	v_add_f32_e32 v10, v21, v45
	v_add_f32_e32 v11, v20, v44
	v_add_f32_e32 v12, v25, v45
	v_add_f32_e32 v13, v24, v44
	v_min3_f32 v93, v127, v126, v93
	v_min3_f32 v136, v23, v22, v84
	v_min3_f32 v135, v27, v26, v85
	v_min3_f32 v134, v31, v30, v86
	v_add_f32_e32 v22, v9, v45
	v_add_f32_e32 v23, v8, v44
	v_add_f32_e32 v26, v17, v45
	v_add_f32_e32 v27, v16, v44
	v_add_f32_e32 v30, v5, v45
	v_add_f32_e32 v31, v4, v44
	v_min3_f32 v127, v11, v10, v92
	v_min3_f32 v126, v13, v12, v97
	v_add_f32_e32 v10, v9, v49
	v_add_f32_e32 v11, v8, v48
	v_add_f32_e32 v12, v17, v49
	v_add_f32_e32 v13, v16, v48
	v_min3_f32 v90, v122, v120, v90
	v_min3_f32 v130, v23, v22, v39
	v_min3_f32 v129, v27, v26, v88
	v_min3_f32 v128, v31, v30, v89
	v_add_f32_e32 v22, v29, v45
	v_add_f32_e32 v23, v28, v44
	v_add_f32_e32 v26, v33, v45
	v_add_f32_e32 v27, v32, v44
	v_add_f32_e32 v30, v37, v45
	v_add_f32_e32 v31, v36, v44
	;; [unrolled: 16-line block ×5, first 2 shown]
	v_min3_f32 v106, v11, v10, v50
	v_min3_f32 v105, v13, v12, v51
	v_add_f32_e32 v10, v25, v57
	v_add_f32_e32 v11, v24, v56
	;; [unrolled: 1-line block ×4, first 2 shown]
	v_min3_f32 v109, v23, v22, v109
	v_min3_f32 v108, v27, v26, v108
	;; [unrolled: 1-line block ×3, first 2 shown]
	v_add_f32_e32 v22, v17, v57
	v_add_f32_e32 v23, v16, v56
	;; [unrolled: 1-line block ×6, first 2 shown]
	v_min3_f32 v101, v11, v10, v101
	v_min3_f32 v100, v13, v12, v100
	v_add_f32_e32 v10, v17, v61
	v_add_f32_e32 v11, v16, v60
	;; [unrolled: 1-line block ×4, first 2 shown]
	v_min3_f32 v104, v23, v22, v104
	v_min3_f32 v103, v27, v26, v103
	v_min3_f32 v102, v31, v30, v102
	v_add_f32_e32 v22, v33, v57
	v_add_f32_e32 v23, v32, v56
	;; [unrolled: 1-line block ×6, first 2 shown]
	v_min3_f32 v96, v11, v10, v96
	v_min3_f32 v95, v13, v12, v95
	v_add_f32_e32 v10, v33, v61
	v_add_f32_e32 v11, v32, v60
	;; [unrolled: 1-line block ×10, first 2 shown]
	v_min3_f32 v99, v23, v22, v99
	v_min3_f32 v98, v27, v26, v54
	;; [unrolled: 1-line block ×3, first 2 shown]
	v_add_f32_e32 v22, v21, v61
	v_add_f32_e32 v23, v20, v60
	;; [unrolled: 1-line block ×6, first 2 shown]
	v_min3_f32 v90, v11, v10, v90
	v_min3_f32 v89, v13, v12, v58
	;; [unrolled: 1-line block ×5, first 2 shown]
	v_add_f32_e32 v2, v21, v65
	v_add_f32_e32 v4, v20, v64
	;; [unrolled: 1-line block ×10, first 2 shown]
	v_min3_f32 v94, v23, v22, v94
	v_min3_f32 v93, v27, v26, v93
	;; [unrolled: 1-line block ×8, first 2 shown]
	s_barrier
	buffer_gl0_inv
	s_cbranch_scc1 .LBB8_51
.LBB8_31:                               ; =>This Inner Loop Header: Depth=1
	v_add_nc_u32_e32 v2, s19, v70
	v_add_nc_u32_e32 v5, 8, v2
	v_min_i32_e32 v3, s25, v5
	v_cmp_le_i32_e64 s6, s14, v5
	v_mad_i64_i32 v[3:4], null, v3, s24, 0
	v_lshlrev_b64 v[3:4], 2, v[3:4]
	v_add_co_u32 v3, s7, s8, v3
	v_add_co_ci_u32_e64 v4, null, s9, v4, s7
	s_or_b32 s7, vcc_lo, s6
	v_cndmask_b32_e64 v145, 0, 0x7f7fffff, s7
	s_nor_b32 s7, s26, s7
	s_and_saveexec_b32 s27, s7
	s_cbranch_execz .LBB8_33
; %bb.32:                               ;   in Loop: Header=BB8_31 Depth=1
	v_add_co_u32 v5, s7, v3, v66
	v_add_co_ci_u32_e64 v6, null, v4, v67, s7
	flat_load_dword v5, v[5:6]
	s_waitcnt vmcnt(0) lgkmcnt(0)
	v_mul_f32_e32 v145, s15, v5
.LBB8_33:                               ;   in Loop: Header=BB8_31 Depth=1
	s_or_b32 exec_lo, exec_lo, s27
	s_or_b32 s7, s0, s6
	v_cndmask_b32_e64 v146, 0, 0x7f7fffff, s7
	s_nor_b32 s7, s26, s7
	s_and_saveexec_b32 s27, s7
	s_cbranch_execz .LBB8_35
; %bb.34:                               ;   in Loop: Header=BB8_31 Depth=1
	v_add_co_u32 v5, s7, v3, v66
	v_add_co_ci_u32_e64 v6, null, v4, v67, s7
	flat_load_dword v5, v[5:6] offset:256
	s_waitcnt vmcnt(0) lgkmcnt(0)
	v_mul_f32_e32 v146, s15, v5
.LBB8_35:                               ;   in Loop: Header=BB8_31 Depth=1
	s_or_b32 exec_lo, exec_lo, s27
	s_or_b32 s7, s1, s6
	v_cndmask_b32_e64 v147, 0, 0x7f7fffff, s7
	s_nor_b32 s7, s26, s7
	s_and_saveexec_b32 s27, s7
	s_cbranch_execz .LBB8_37
; %bb.36:                               ;   in Loop: Header=BB8_31 Depth=1
	v_add_co_u32 v5, s7, v3, v66
	v_add_co_ci_u32_e64 v6, null, v4, v67, s7
	flat_load_dword v5, v[5:6] offset:512
	s_waitcnt vmcnt(0) lgkmcnt(0)
	v_mul_f32_e32 v147, s15, v5
.LBB8_37:                               ;   in Loop: Header=BB8_31 Depth=1
	;; [unrolled: 13-line block ×3, first 2 shown]
	s_or_b32 exec_lo, exec_lo, s7
	v_add_nc_u32_e32 v149, s19, v72
	v_add_nc_u32_e32 v3, 8, v149
	v_cmp_le_i32_e64 s6, s14, v3
	s_or_b32 s6, s6, s3
	v_cndmask_b32_e64 v150, 0, 0x7f7fffff, s6
	s_nor_b32 s6, s26, s6
	s_and_saveexec_b32 s7, s6
	s_cbranch_execz .LBB8_41
; %bb.40:                               ;   in Loop: Header=BB8_31 Depth=1
	v_add_co_u32 v3, s6, -16, v68
	v_add_co_ci_u32_e64 v4, null, -1, v69, s6
	flat_load_dword v3, v[3:4]
	s_waitcnt vmcnt(0) lgkmcnt(0)
	v_mul_f32_e32 v150, s15, v3
.LBB8_41:                               ;   in Loop: Header=BB8_31 Depth=1
	s_or_b32 exec_lo, exec_lo, s7
	v_add_nc_u32_e32 v153, 12, v2
	ds_read_b128 v[22:25], v144
	ds_read_b128 v[14:17], v144 offset:512
	ds_read_b128 v[10:13], v144 offset:1024
	;; [unrolled: 1-line block ×7, first 2 shown]
	ds_read_b128 v[62:65], v142
	ds_read_b128 v[58:61], v142 offset:128
	ds_read_b128 v[54:57], v142 offset:256
	;; [unrolled: 1-line block ×3, first 2 shown]
	v_min_i32_e32 v18, s25, v153
	v_cmp_le_i32_e64 s6, s14, v153
	v_mad_i64_i32 v[151:152], null, v18, s24, 0
	ds_read_b128 v[46:49], v142 offset:512
	ds_read_b128 v[42:45], v142 offset:640
	;; [unrolled: 1-line block ×4, first 2 shown]
	ds_write2st64_b32 v74, v145, v146 offset1:4
	ds_write2st64_b32 v74, v147, v148 offset0:8 offset1:12
	ds_write_b32 v121, v150
	s_or_b32 s27, vcc_lo, s6
	s_waitcnt lgkmcnt(0)
	v_cndmask_b32_e64 v145, 0, 0x7f7fffff, s27
	v_lshlrev_b64 v[151:152], 2, v[151:152]
	s_barrier
	buffer_gl0_inv
	v_add_co_u32 v150, s7, s8, v151
	v_add_co_ci_u32_e64 v151, null, s9, v152, s7
	s_nor_b32 s7, s26, s27
	s_and_saveexec_b32 s27, s7
	s_cbranch_execz .LBB8_43
; %bb.42:                               ;   in Loop: Header=BB8_31 Depth=1
	v_add_co_u32 v145, s7, v150, v66
	v_add_co_ci_u32_e64 v146, null, v151, v67, s7
	flat_load_dword v145, v[145:146]
	s_waitcnt vmcnt(0) lgkmcnt(0)
	v_mul_f32_e32 v145, s15, v145
.LBB8_43:                               ;   in Loop: Header=BB8_31 Depth=1
	s_or_b32 exec_lo, exec_lo, s27
	s_or_b32 s7, s0, s6
	v_cndmask_b32_e64 v146, 0, 0x7f7fffff, s7
	s_nor_b32 s7, s26, s7
	s_and_saveexec_b32 s27, s7
	s_cbranch_execz .LBB8_45
; %bb.44:                               ;   in Loop: Header=BB8_31 Depth=1
	v_add_co_u32 v146, s7, v150, v66
	v_add_co_ci_u32_e64 v147, null, v151, v67, s7
	flat_load_dword v146, v[146:147] offset:256
	s_waitcnt vmcnt(0) lgkmcnt(0)
	v_mul_f32_e32 v146, s15, v146
.LBB8_45:                               ;   in Loop: Header=BB8_31 Depth=1
	s_or_b32 exec_lo, exec_lo, s27
	s_or_b32 s7, s1, s6
	v_cndmask_b32_e64 v147, 0, 0x7f7fffff, s7
	s_nor_b32 s7, s26, s7
	s_and_saveexec_b32 s27, s7
	s_cbranch_execz .LBB8_47
; %bb.46:                               ;   in Loop: Header=BB8_31 Depth=1
	v_add_co_u32 v147, s7, v150, v66
	v_add_co_ci_u32_e64 v148, null, v151, v67, s7
	flat_load_dword v147, v[147:148] offset:512
	s_waitcnt vmcnt(0) lgkmcnt(0)
	v_mul_f32_e32 v147, s15, v147
.LBB8_47:                               ;   in Loop: Header=BB8_31 Depth=1
	;; [unrolled: 13-line block ×3, first 2 shown]
	s_or_b32 exec_lo, exec_lo, s7
	v_add_nc_u32_e32 v149, 12, v149
	v_cmp_le_i32_e64 s6, s14, v149
	s_or_b32 s6, s6, s3
	v_cndmask_b32_e64 v149, 0, 0x7f7fffff, s6
	s_nor_b32 s7, s26, s6
	s_and_saveexec_b32 s6, s7
	s_cbranch_execz .LBB8_30
; %bb.50:                               ;   in Loop: Header=BB8_31 Depth=1
	flat_load_dword v149, v[68:69]
	s_waitcnt vmcnt(0) lgkmcnt(0)
	v_mul_f32_e32 v149, s15, v149
	s_branch .LBB8_30
.LBB8_51:
	s_clause 0x2
	s_load_dword s14, s[4:5], 0x50
	s_load_dword s9, s[4:5], 0x68
	s_load_dwordx2 s[0:1], s[4:5], 0x70
	v_add_nc_u32_e32 v132, s21, v1
	ds_read_b128 v[34:37], v73 offset:4096
	ds_read_b128 v[30:33], v73 offset:4608
	;; [unrolled: 1-line block ×16, first 2 shown]
	v_add_nc_u32_e32 v0, s20, v0
	v_cmp_gt_i32_e64 s8, s13, v132
	v_cndmask_b32_e64 v121, 0, 1, s23
	v_ashrrev_i32_e32 v1, 31, v0
	s_waitcnt lgkmcnt(0)
	v_mad_i64_i32 v[66:67], null, v132, s14, 0
	v_mad_i64_i32 v[68:69], null, v132, s9, 0
	s_lshl_b64 s[0:1], s[0:1], 2
	s_add_u32 s15, s16, s0
	s_addc_u32 s16, s17, s1
	v_lshlrev_b64 v[66:67], 2, v[66:67]
	v_cmp_gt_i32_e64 s0, s12, v0
	v_lshlrev_b64 v[68:69], 2, v[68:69]
	s_and_b32 s2, s0, s8
	v_add_co_u32 v143, vcc_lo, s10, v66
	v_add_co_ci_u32_e64 v144, null, s11, v67, vcc_lo
	v_add_co_u32 v141, vcc_lo, s15, v68
	v_add_co_ci_u32_e64 v142, null, s16, v69, vcc_lo
	s_and_saveexec_b32 s1, s2
	s_cbranch_execz .LBB8_56
; %bb.52:
	v_lshlrev_b64 v[66:67], 2, v[0:1]
	s_andn2_b32 vcc_lo, exec_lo, s23
	s_cbranch_vccnz .LBB8_54
; %bb.53:
	v_add_co_u32 v68, vcc_lo, v143, v66
	v_add_co_ci_u32_e64 v69, null, v144, v67, vcc_lo
	flat_load_dword v68, v[68:69]
	s_waitcnt vmcnt(0) lgkmcnt(0)
	v_mul_f32_e32 v68, s22, v68
	s_branch .LBB8_55
.LBB8_54:
	v_mov_b32_e32 v68, 0
.LBB8_55:
	v_add_f32_e32 v69, v35, v63
	v_add_f32_e32 v70, v34, v62
	;; [unrolled: 1-line block ×4, first 2 shown]
	v_add_co_u32 v66, vcc_lo, v141, v66
	v_min3_f32 v69, v70, v69, v81
	v_add_co_ci_u32_e64 v67, null, v142, v67, vcc_lo
	v_min_f32_e32 v70, v72, v71
	v_min3_f32 v68, v68, v70, v69
	flat_store_dword v[66:67], v68
.LBB8_56:
	s_or_b32 exec_lo, exec_lo, s1
	v_add_nc_u32_e32 v66, 32, v0
	v_cmp_gt_i32_e64 s1, s12, v66
	v_ashrrev_i32_e32 v67, 31, v66
	s_and_b32 s3, s1, s8
	s_and_saveexec_b32 s2, s3
	s_cbranch_execz .LBB8_61
; %bb.57:
	v_cmp_ne_u32_e32 vcc_lo, 1, v121
	v_lshlrev_b64 v[68:69], 2, v[66:67]
	s_cbranch_vccnz .LBB8_59
; %bb.58:
	v_add_co_u32 v70, vcc_lo, v143, v68
	v_add_co_ci_u32_e64 v71, null, v144, v69, vcc_lo
	flat_load_dword v70, v[70:71]
	s_waitcnt vmcnt(0) lgkmcnt(0)
	v_mul_f32_e32 v70, s22, v70
	s_branch .LBB8_60
.LBB8_59:
	v_mov_b32_e32 v70, 0
.LBB8_60:
	v_add_f32_e32 v71, v31, v63
	v_add_f32_e32 v72, v30, v62
	v_add_f32_e32 v73, v33, v65
	v_add_f32_e32 v74, v32, v64
	v_add_co_u32 v68, vcc_lo, v141, v68
	v_min3_f32 v71, v72, v71, v79
	v_add_co_ci_u32_e64 v69, null, v142, v69, vcc_lo
	v_min_f32_e32 v72, v74, v73
	v_min3_f32 v70, v70, v72, v71
	flat_store_dword v[68:69], v70
.LBB8_61:
	s_or_b32 exec_lo, exec_lo, s2
	v_add_nc_u32_e32 v68, 64, v0
	v_cmp_gt_i32_e64 s2, s12, v68
	v_ashrrev_i32_e32 v69, 31, v68
	s_and_b32 s4, s2, s8
	s_and_saveexec_b32 s3, s4
	s_cbranch_execz .LBB8_66
; %bb.62:
	v_cmp_ne_u32_e32 vcc_lo, 1, v121
	v_lshlrev_b64 v[70:71], 2, v[68:69]
	s_cbranch_vccnz .LBB8_64
; %bb.63:
	v_add_co_u32 v72, vcc_lo, v143, v70
	v_add_co_ci_u32_e64 v73, null, v144, v71, vcc_lo
	flat_load_dword v72, v[72:73]
	s_waitcnt vmcnt(0) lgkmcnt(0)
	v_mul_f32_e32 v72, s22, v72
	s_branch .LBB8_65
.LBB8_64:
	v_mov_b32_e32 v72, 0
.LBB8_65:
	v_add_f32_e32 v73, v27, v63
	v_add_f32_e32 v74, v26, v62
	v_add_f32_e32 v79, v29, v65
	v_add_f32_e32 v81, v28, v64
	v_add_co_u32 v70, vcc_lo, v141, v70
	v_min3_f32 v73, v74, v73, v77
	v_add_co_ci_u32_e64 v71, null, v142, v71, vcc_lo
	v_min_f32_e32 v74, v81, v79
	v_min3_f32 v72, v72, v74, v73
	flat_store_dword v[70:71], v72
.LBB8_66:
	;; [unrolled: 32-line block ×6, first 2 shown]
	s_or_b32 exec_lo, exec_lo, s7
	v_add_nc_u32_e32 v78, 0xe0, v0
	v_cmp_gt_i32_e64 s7, s12, v78
	v_ashrrev_i32_e32 v79, 31, v78
	s_and_b32 s12, s7, s8
	s_and_saveexec_b32 s8, s12
	s_cbranch_execz .LBB8_91
; %bb.87:
	v_cmp_ne_u32_e32 vcc_lo, 1, v121
	v_lshlrev_b64 v[80:81], 2, v[78:79]
	s_cbranch_vccnz .LBB8_89
; %bb.88:
	v_add_co_u32 v143, vcc_lo, v143, v80
	v_add_co_ci_u32_e64 v144, null, v144, v81, vcc_lo
	flat_load_dword v143, v[143:144]
	s_waitcnt vmcnt(0) lgkmcnt(0)
	v_mul_f32_e32 v143, s22, v143
	s_branch .LBB8_90
.LBB8_89:
	v_mov_b32_e32 v143, 0
.LBB8_90:
	v_add_f32_e32 v63, v3, v63
	v_add_f32_e32 v62, v2, v62
	;; [unrolled: 1-line block ×4, first 2 shown]
	v_min3_f32 v62, v62, v63, v140
	v_min_f32_e32 v63, v64, v65
	v_min3_f32 v64, v143, v63, v62
	v_add_co_u32 v62, vcc_lo, v141, v80
	v_add_co_ci_u32_e64 v63, null, v142, v81, vcc_lo
	flat_store_dword v[62:63], v64
.LBB8_91:
	s_or_b32 exec_lo, exec_lo, s8
	v_add_nc_u32_e32 v80, 8, v132
	v_mad_i64_i32 v[62:63], null, v80, s14, 0
	v_mad_i64_i32 v[64:65], null, v80, s9, 0
	v_cmp_gt_i32_e64 s8, s13, v80
	v_lshlrev_b64 v[62:63], 2, v[62:63]
	s_and_b32 s17, s0, s8
	v_lshlrev_b64 v[64:65], 2, v[64:65]
	v_add_co_u32 v80, vcc_lo, s10, v62
	v_add_co_ci_u32_e64 v81, null, s11, v63, vcc_lo
	v_add_co_u32 v64, vcc_lo, s15, v64
	v_add_co_ci_u32_e64 v65, null, s16, v65, vcc_lo
	s_and_saveexec_b32 s12, s17
	s_cbranch_execnz .LBB8_99
; %bb.92:
	s_or_b32 exec_lo, exec_lo, s12
	s_and_b32 s17, s1, s8
	s_and_saveexec_b32 s12, s17
	s_cbranch_execnz .LBB8_103
.LBB8_93:
	s_or_b32 exec_lo, exec_lo, s12
	s_and_b32 s17, s2, s8
	s_and_saveexec_b32 s12, s17
	s_cbranch_execnz .LBB8_107
.LBB8_94:
	s_or_b32 exec_lo, exec_lo, s12
	s_and_b32 s17, s3, s8
	s_and_saveexec_b32 s12, s17
	s_cbranch_execnz .LBB8_111
.LBB8_95:
	s_or_b32 exec_lo, exec_lo, s12
	s_and_b32 s17, s4, s8
	s_and_saveexec_b32 s12, s17
	s_cbranch_execnz .LBB8_115
.LBB8_96:
	s_or_b32 exec_lo, exec_lo, s12
	s_and_b32 s17, s5, s8
	s_and_saveexec_b32 s12, s17
	s_cbranch_execnz .LBB8_119
.LBB8_97:
	s_or_b32 exec_lo, exec_lo, s12
	s_and_b32 s17, s6, s8
	s_and_saveexec_b32 s12, s17
	s_cbranch_execnz .LBB8_123
.LBB8_98:
	s_or_b32 exec_lo, exec_lo, s12
	s_and_b32 s12, s7, s8
	s_and_saveexec_b32 s8, s12
	s_cbranch_execnz .LBB8_127
	s_branch .LBB8_131
.LBB8_99:
	v_cmp_ne_u32_e32 vcc_lo, 1, v121
	v_lshlrev_b64 v[62:63], 2, v[0:1]
	s_cbranch_vccnz .LBB8_101
; %bb.100:
	v_add_co_u32 v140, vcc_lo, v80, v62
	v_add_co_ci_u32_e64 v141, null, v81, v63, vcc_lo
	flat_load_dword v140, v[140:141]
	s_waitcnt vmcnt(0) lgkmcnt(0)
	v_mul_f32_e32 v140, s22, v140
	s_branch .LBB8_102
.LBB8_101:
	v_mov_b32_e32 v140, 0
.LBB8_102:
	v_add_f32_e32 v141, v35, v59
	v_add_f32_e32 v142, v34, v58
	;; [unrolled: 1-line block ×4, first 2 shown]
	v_add_co_u32 v62, vcc_lo, v64, v62
	v_min3_f32 v139, v142, v141, v139
	v_add_co_ci_u32_e64 v63, null, v65, v63, vcc_lo
	v_min_f32_e32 v141, v144, v143
	v_min3_f32 v139, v140, v141, v139
	flat_store_dword v[62:63], v139
	s_or_b32 exec_lo, exec_lo, s12
	s_and_b32 s17, s1, s8
	s_and_saveexec_b32 s12, s17
	s_cbranch_execz .LBB8_93
.LBB8_103:
	v_cmp_ne_u32_e32 vcc_lo, 1, v121
	v_lshlrev_b64 v[62:63], 2, v[66:67]
	s_cbranch_vccnz .LBB8_105
; %bb.104:
	v_add_co_u32 v139, vcc_lo, v80, v62
	v_add_co_ci_u32_e64 v140, null, v81, v63, vcc_lo
	flat_load_dword v139, v[139:140]
	s_waitcnt vmcnt(0) lgkmcnt(0)
	v_mul_f32_e32 v139, s22, v139
	s_branch .LBB8_106
.LBB8_105:
	v_mov_b32_e32 v139, 0
.LBB8_106:
	v_add_f32_e32 v140, v31, v59
	v_add_f32_e32 v141, v30, v58
	;; [unrolled: 1-line block ×4, first 2 shown]
	v_add_co_u32 v62, vcc_lo, v64, v62
	v_min3_f32 v138, v141, v140, v138
	v_add_co_ci_u32_e64 v63, null, v65, v63, vcc_lo
	v_min_f32_e32 v140, v143, v142
	v_min3_f32 v138, v139, v140, v138
	flat_store_dword v[62:63], v138
	s_or_b32 exec_lo, exec_lo, s12
	s_and_b32 s17, s2, s8
	s_and_saveexec_b32 s12, s17
	s_cbranch_execz .LBB8_94
.LBB8_107:
	v_cmp_ne_u32_e32 vcc_lo, 1, v121
	v_lshlrev_b64 v[62:63], 2, v[68:69]
	s_cbranch_vccnz .LBB8_109
; %bb.108:
	v_add_co_u32 v138, vcc_lo, v80, v62
	v_add_co_ci_u32_e64 v139, null, v81, v63, vcc_lo
	flat_load_dword v138, v[138:139]
	s_waitcnt vmcnt(0) lgkmcnt(0)
	v_mul_f32_e32 v138, s22, v138
	s_branch .LBB8_110
.LBB8_109:
	v_mov_b32_e32 v138, 0
.LBB8_110:
	v_add_f32_e32 v139, v27, v59
	v_add_f32_e32 v140, v26, v58
	;; [unrolled: 1-line block ×4, first 2 shown]
	v_add_co_u32 v62, vcc_lo, v64, v62
	v_min3_f32 v137, v140, v139, v137
	v_add_co_ci_u32_e64 v63, null, v65, v63, vcc_lo
	v_min_f32_e32 v139, v142, v141
	v_min3_f32 v137, v138, v139, v137
	flat_store_dword v[62:63], v137
	s_or_b32 exec_lo, exec_lo, s12
	s_and_b32 s17, s3, s8
	s_and_saveexec_b32 s12, s17
	s_cbranch_execz .LBB8_95
.LBB8_111:
	v_cmp_ne_u32_e32 vcc_lo, 1, v121
	v_lshlrev_b64 v[62:63], 2, v[70:71]
	s_cbranch_vccnz .LBB8_113
; %bb.112:
	v_add_co_u32 v137, vcc_lo, v80, v62
	v_add_co_ci_u32_e64 v138, null, v81, v63, vcc_lo
	flat_load_dword v137, v[137:138]
	s_waitcnt vmcnt(0) lgkmcnt(0)
	v_mul_f32_e32 v137, s22, v137
	s_branch .LBB8_114
.LBB8_113:
	v_mov_b32_e32 v137, 0
.LBB8_114:
	v_add_f32_e32 v138, v23, v59
	v_add_f32_e32 v139, v22, v58
	;; [unrolled: 1-line block ×4, first 2 shown]
	v_add_co_u32 v62, vcc_lo, v64, v62
	v_min3_f32 v136, v139, v138, v136
	v_add_co_ci_u32_e64 v63, null, v65, v63, vcc_lo
	v_min_f32_e32 v138, v141, v140
	v_min3_f32 v136, v137, v138, v136
	flat_store_dword v[62:63], v136
	s_or_b32 exec_lo, exec_lo, s12
	s_and_b32 s17, s4, s8
	s_and_saveexec_b32 s12, s17
	s_cbranch_execz .LBB8_96
.LBB8_115:
	v_cmp_ne_u32_e32 vcc_lo, 1, v121
	v_lshlrev_b64 v[62:63], 2, v[72:73]
	s_cbranch_vccnz .LBB8_117
; %bb.116:
	v_add_co_u32 v136, vcc_lo, v80, v62
	v_add_co_ci_u32_e64 v137, null, v81, v63, vcc_lo
	flat_load_dword v136, v[136:137]
	s_waitcnt vmcnt(0) lgkmcnt(0)
	v_mul_f32_e32 v136, s22, v136
	s_branch .LBB8_118
.LBB8_117:
	v_mov_b32_e32 v136, 0
.LBB8_118:
	v_add_f32_e32 v137, v19, v59
	v_add_f32_e32 v138, v18, v58
	;; [unrolled: 1-line block ×4, first 2 shown]
	v_add_co_u32 v62, vcc_lo, v64, v62
	v_min3_f32 v135, v138, v137, v135
	v_add_co_ci_u32_e64 v63, null, v65, v63, vcc_lo
	v_min_f32_e32 v137, v140, v139
	v_min3_f32 v135, v136, v137, v135
	flat_store_dword v[62:63], v135
	s_or_b32 exec_lo, exec_lo, s12
	s_and_b32 s17, s5, s8
	s_and_saveexec_b32 s12, s17
	s_cbranch_execz .LBB8_97
.LBB8_119:
	v_cmp_ne_u32_e32 vcc_lo, 1, v121
	v_lshlrev_b64 v[62:63], 2, v[74:75]
	s_cbranch_vccnz .LBB8_121
; %bb.120:
	v_add_co_u32 v135, vcc_lo, v80, v62
	v_add_co_ci_u32_e64 v136, null, v81, v63, vcc_lo
	flat_load_dword v135, v[135:136]
	s_waitcnt vmcnt(0) lgkmcnt(0)
	v_mul_f32_e32 v135, s22, v135
	s_branch .LBB8_122
.LBB8_121:
	v_mov_b32_e32 v135, 0
.LBB8_122:
	v_add_f32_e32 v136, v15, v59
	v_add_f32_e32 v137, v14, v58
	;; [unrolled: 1-line block ×4, first 2 shown]
	v_add_co_u32 v62, vcc_lo, v64, v62
	v_min3_f32 v134, v137, v136, v134
	v_add_co_ci_u32_e64 v63, null, v65, v63, vcc_lo
	v_min_f32_e32 v136, v139, v138
	v_min3_f32 v134, v135, v136, v134
	flat_store_dword v[62:63], v134
	s_or_b32 exec_lo, exec_lo, s12
	s_and_b32 s17, s6, s8
	s_and_saveexec_b32 s12, s17
	s_cbranch_execz .LBB8_98
.LBB8_123:
	v_cmp_ne_u32_e32 vcc_lo, 1, v121
	v_lshlrev_b64 v[62:63], 2, v[76:77]
	s_cbranch_vccnz .LBB8_125
; %bb.124:
	v_add_co_u32 v134, vcc_lo, v80, v62
	v_add_co_ci_u32_e64 v135, null, v81, v63, vcc_lo
	flat_load_dword v134, v[134:135]
	s_waitcnt vmcnt(0) lgkmcnt(0)
	v_mul_f32_e32 v134, s22, v134
	s_branch .LBB8_126
.LBB8_125:
	v_mov_b32_e32 v134, 0
.LBB8_126:
	v_add_f32_e32 v135, v11, v59
	v_add_f32_e32 v136, v10, v58
	;; [unrolled: 1-line block ×4, first 2 shown]
	v_add_co_u32 v62, vcc_lo, v64, v62
	v_min3_f32 v133, v136, v135, v133
	v_add_co_ci_u32_e64 v63, null, v65, v63, vcc_lo
	v_min_f32_e32 v135, v138, v137
	v_min3_f32 v133, v134, v135, v133
	flat_store_dword v[62:63], v133
	s_or_b32 exec_lo, exec_lo, s12
	s_and_b32 s12, s7, s8
	s_and_saveexec_b32 s8, s12
	s_cbranch_execz .LBB8_131
.LBB8_127:
	v_cmp_ne_u32_e32 vcc_lo, 1, v121
	v_lshlrev_b64 v[62:63], 2, v[78:79]
	s_cbranch_vccnz .LBB8_129
; %bb.128:
	v_add_co_u32 v80, vcc_lo, v80, v62
	v_add_co_ci_u32_e64 v81, null, v81, v63, vcc_lo
	flat_load_dword v80, v[80:81]
	s_waitcnt vmcnt(0) lgkmcnt(0)
	v_mul_f32_e32 v80, s22, v80
	s_branch .LBB8_130
.LBB8_129:
	v_mov_b32_e32 v80, 0
.LBB8_130:
	v_add_f32_e32 v59, v3, v59
	v_add_f32_e32 v58, v2, v58
	;; [unrolled: 1-line block ×4, first 2 shown]
	v_min3_f32 v58, v58, v59, v131
	v_min_f32_e32 v59, v60, v61
	v_min3_f32 v60, v80, v59, v58
	v_add_co_u32 v58, vcc_lo, v64, v62
	v_add_co_ci_u32_e64 v59, null, v65, v63, vcc_lo
	flat_store_dword v[58:59], v60
.LBB8_131:
	s_or_b32 exec_lo, exec_lo, s8
	v_add_nc_u32_e32 v62, 16, v132
	v_mad_i64_i32 v[58:59], null, v62, s14, 0
	v_mad_i64_i32 v[60:61], null, v62, s9, 0
	v_cmp_gt_i32_e64 s8, s13, v62
	v_lshlrev_b64 v[58:59], 2, v[58:59]
	s_and_b32 s17, s0, s8
	v_lshlrev_b64 v[60:61], 2, v[60:61]
	v_add_co_u32 v62, vcc_lo, s10, v58
	v_add_co_ci_u32_e64 v63, null, s11, v59, vcc_lo
	v_add_co_u32 v60, vcc_lo, s15, v60
	v_add_co_ci_u32_e64 v61, null, s16, v61, vcc_lo
	s_and_saveexec_b32 s12, s17
	s_cbranch_execnz .LBB8_139
; %bb.132:
	s_or_b32 exec_lo, exec_lo, s12
	s_and_b32 s17, s1, s8
	s_and_saveexec_b32 s12, s17
	s_cbranch_execnz .LBB8_143
.LBB8_133:
	s_or_b32 exec_lo, exec_lo, s12
	s_and_b32 s17, s2, s8
	s_and_saveexec_b32 s12, s17
	s_cbranch_execnz .LBB8_147
.LBB8_134:
	s_or_b32 exec_lo, exec_lo, s12
	s_and_b32 s17, s3, s8
	s_and_saveexec_b32 s12, s17
	s_cbranch_execnz .LBB8_151
.LBB8_135:
	s_or_b32 exec_lo, exec_lo, s12
	s_and_b32 s17, s4, s8
	s_and_saveexec_b32 s12, s17
	s_cbranch_execnz .LBB8_155
.LBB8_136:
	s_or_b32 exec_lo, exec_lo, s12
	s_and_b32 s17, s5, s8
	s_and_saveexec_b32 s12, s17
	s_cbranch_execnz .LBB8_159
.LBB8_137:
	s_or_b32 exec_lo, exec_lo, s12
	s_and_b32 s17, s6, s8
	s_and_saveexec_b32 s12, s17
	s_cbranch_execnz .LBB8_163
.LBB8_138:
	s_or_b32 exec_lo, exec_lo, s12
	s_and_b32 s12, s7, s8
	s_and_saveexec_b32 s8, s12
	s_cbranch_execnz .LBB8_167
	s_branch .LBB8_171
.LBB8_139:
	v_cmp_ne_u32_e32 vcc_lo, 1, v121
	v_lshlrev_b64 v[58:59], 2, v[0:1]
	s_cbranch_vccnz .LBB8_141
; %bb.140:
	v_add_co_u32 v64, vcc_lo, v62, v58
	v_add_co_ci_u32_e64 v65, null, v63, v59, vcc_lo
	flat_load_dword v64, v[64:65]
	s_waitcnt vmcnt(0) lgkmcnt(0)
	v_mul_f32_e32 v64, s22, v64
	s_branch .LBB8_142
.LBB8_141:
	v_mov_b32_e32 v64, 0
.LBB8_142:
	v_add_f32_e32 v65, v35, v55
	v_add_f32_e32 v80, v34, v54
	;; [unrolled: 1-line block ×4, first 2 shown]
	v_add_co_u32 v58, vcc_lo, v60, v58
	v_min3_f32 v65, v80, v65, v130
	v_add_co_ci_u32_e64 v59, null, v61, v59, vcc_lo
	v_min_f32_e32 v80, v131, v81
	v_min3_f32 v64, v64, v80, v65
	flat_store_dword v[58:59], v64
	s_or_b32 exec_lo, exec_lo, s12
	s_and_b32 s17, s1, s8
	s_and_saveexec_b32 s12, s17
	s_cbranch_execz .LBB8_133
.LBB8_143:
	v_cmp_ne_u32_e32 vcc_lo, 1, v121
	v_lshlrev_b64 v[58:59], 2, v[66:67]
	s_cbranch_vccnz .LBB8_145
; %bb.144:
	v_add_co_u32 v64, vcc_lo, v62, v58
	v_add_co_ci_u32_e64 v65, null, v63, v59, vcc_lo
	flat_load_dword v64, v[64:65]
	s_waitcnt vmcnt(0) lgkmcnt(0)
	v_mul_f32_e32 v64, s22, v64
	s_branch .LBB8_146
.LBB8_145:
	v_mov_b32_e32 v64, 0
.LBB8_146:
	v_add_f32_e32 v65, v31, v55
	v_add_f32_e32 v80, v30, v54
	;; [unrolled: 1-line block ×4, first 2 shown]
	v_add_co_u32 v58, vcc_lo, v60, v58
	v_min3_f32 v65, v80, v65, v129
	v_add_co_ci_u32_e64 v59, null, v61, v59, vcc_lo
	v_min_f32_e32 v80, v130, v81
	v_min3_f32 v64, v64, v80, v65
	flat_store_dword v[58:59], v64
	s_or_b32 exec_lo, exec_lo, s12
	s_and_b32 s17, s2, s8
	s_and_saveexec_b32 s12, s17
	s_cbranch_execz .LBB8_134
.LBB8_147:
	v_cmp_ne_u32_e32 vcc_lo, 1, v121
	v_lshlrev_b64 v[58:59], 2, v[68:69]
	s_cbranch_vccnz .LBB8_149
; %bb.148:
	v_add_co_u32 v64, vcc_lo, v62, v58
	v_add_co_ci_u32_e64 v65, null, v63, v59, vcc_lo
	flat_load_dword v64, v[64:65]
	s_waitcnt vmcnt(0) lgkmcnt(0)
	v_mul_f32_e32 v64, s22, v64
	s_branch .LBB8_150
.LBB8_149:
	v_mov_b32_e32 v64, 0
.LBB8_150:
	v_add_f32_e32 v65, v27, v55
	v_add_f32_e32 v80, v26, v54
	;; [unrolled: 1-line block ×4, first 2 shown]
	v_add_co_u32 v58, vcc_lo, v60, v58
	v_min3_f32 v65, v80, v65, v128
	v_add_co_ci_u32_e64 v59, null, v61, v59, vcc_lo
	v_min_f32_e32 v80, v129, v81
	v_min3_f32 v64, v64, v80, v65
	flat_store_dword v[58:59], v64
	s_or_b32 exec_lo, exec_lo, s12
	s_and_b32 s17, s3, s8
	s_and_saveexec_b32 s12, s17
	s_cbranch_execz .LBB8_135
.LBB8_151:
	v_cmp_ne_u32_e32 vcc_lo, 1, v121
	v_lshlrev_b64 v[58:59], 2, v[70:71]
	s_cbranch_vccnz .LBB8_153
; %bb.152:
	v_add_co_u32 v64, vcc_lo, v62, v58
	v_add_co_ci_u32_e64 v65, null, v63, v59, vcc_lo
	flat_load_dword v64, v[64:65]
	s_waitcnt vmcnt(0) lgkmcnt(0)
	v_mul_f32_e32 v64, s22, v64
	s_branch .LBB8_154
.LBB8_153:
	v_mov_b32_e32 v64, 0
.LBB8_154:
	v_add_f32_e32 v65, v23, v55
	v_add_f32_e32 v80, v22, v54
	;; [unrolled: 1-line block ×4, first 2 shown]
	v_add_co_u32 v58, vcc_lo, v60, v58
	v_min3_f32 v65, v80, v65, v127
	v_add_co_ci_u32_e64 v59, null, v61, v59, vcc_lo
	v_min_f32_e32 v80, v128, v81
	v_min3_f32 v64, v64, v80, v65
	flat_store_dword v[58:59], v64
	s_or_b32 exec_lo, exec_lo, s12
	s_and_b32 s17, s4, s8
	s_and_saveexec_b32 s12, s17
	s_cbranch_execz .LBB8_136
.LBB8_155:
	v_cmp_ne_u32_e32 vcc_lo, 1, v121
	v_lshlrev_b64 v[58:59], 2, v[72:73]
	s_cbranch_vccnz .LBB8_157
; %bb.156:
	v_add_co_u32 v64, vcc_lo, v62, v58
	v_add_co_ci_u32_e64 v65, null, v63, v59, vcc_lo
	flat_load_dword v64, v[64:65]
	s_waitcnt vmcnt(0) lgkmcnt(0)
	v_mul_f32_e32 v64, s22, v64
	s_branch .LBB8_158
.LBB8_157:
	v_mov_b32_e32 v64, 0
.LBB8_158:
	v_add_f32_e32 v65, v19, v55
	v_add_f32_e32 v80, v18, v54
	;; [unrolled: 1-line block ×4, first 2 shown]
	v_add_co_u32 v58, vcc_lo, v60, v58
	v_min3_f32 v65, v80, v65, v126
	v_add_co_ci_u32_e64 v59, null, v61, v59, vcc_lo
	v_min_f32_e32 v80, v127, v81
	v_min3_f32 v64, v64, v80, v65
	flat_store_dword v[58:59], v64
	s_or_b32 exec_lo, exec_lo, s12
	s_and_b32 s17, s5, s8
	s_and_saveexec_b32 s12, s17
	s_cbranch_execz .LBB8_137
.LBB8_159:
	v_cmp_ne_u32_e32 vcc_lo, 1, v121
	v_lshlrev_b64 v[58:59], 2, v[74:75]
	s_cbranch_vccnz .LBB8_161
; %bb.160:
	v_add_co_u32 v64, vcc_lo, v62, v58
	v_add_co_ci_u32_e64 v65, null, v63, v59, vcc_lo
	flat_load_dword v64, v[64:65]
	s_waitcnt vmcnt(0) lgkmcnt(0)
	v_mul_f32_e32 v64, s22, v64
	s_branch .LBB8_162
.LBB8_161:
	v_mov_b32_e32 v64, 0
.LBB8_162:
	v_add_f32_e32 v65, v15, v55
	v_add_f32_e32 v80, v14, v54
	;; [unrolled: 1-line block ×4, first 2 shown]
	v_add_co_u32 v58, vcc_lo, v60, v58
	v_min3_f32 v65, v80, v65, v125
	v_add_co_ci_u32_e64 v59, null, v61, v59, vcc_lo
	v_min_f32_e32 v80, v126, v81
	v_min3_f32 v64, v64, v80, v65
	flat_store_dword v[58:59], v64
	s_or_b32 exec_lo, exec_lo, s12
	s_and_b32 s17, s6, s8
	s_and_saveexec_b32 s12, s17
	s_cbranch_execz .LBB8_138
.LBB8_163:
	v_cmp_ne_u32_e32 vcc_lo, 1, v121
	v_lshlrev_b64 v[58:59], 2, v[76:77]
	s_cbranch_vccnz .LBB8_165
; %bb.164:
	v_add_co_u32 v64, vcc_lo, v62, v58
	v_add_co_ci_u32_e64 v65, null, v63, v59, vcc_lo
	flat_load_dword v64, v[64:65]
	s_waitcnt vmcnt(0) lgkmcnt(0)
	v_mul_f32_e32 v64, s22, v64
	s_branch .LBB8_166
.LBB8_165:
	v_mov_b32_e32 v64, 0
.LBB8_166:
	v_add_f32_e32 v65, v11, v55
	v_add_f32_e32 v80, v10, v54
	;; [unrolled: 1-line block ×4, first 2 shown]
	v_add_co_u32 v58, vcc_lo, v60, v58
	v_min3_f32 v65, v80, v65, v124
	v_add_co_ci_u32_e64 v59, null, v61, v59, vcc_lo
	v_min_f32_e32 v80, v125, v81
	v_min3_f32 v64, v64, v80, v65
	flat_store_dword v[58:59], v64
	s_or_b32 exec_lo, exec_lo, s12
	s_and_b32 s12, s7, s8
	s_and_saveexec_b32 s8, s12
	s_cbranch_execz .LBB8_171
.LBB8_167:
	v_cmp_ne_u32_e32 vcc_lo, 1, v121
	v_lshlrev_b64 v[58:59], 2, v[78:79]
	s_cbranch_vccnz .LBB8_169
; %bb.168:
	v_add_co_u32 v62, vcc_lo, v62, v58
	v_add_co_ci_u32_e64 v63, null, v63, v59, vcc_lo
	flat_load_dword v62, v[62:63]
	s_waitcnt vmcnt(0) lgkmcnt(0)
	v_mul_f32_e32 v62, s22, v62
	s_branch .LBB8_170
.LBB8_169:
	v_mov_b32_e32 v62, 0
.LBB8_170:
	v_add_f32_e32 v55, v3, v55
	v_add_f32_e32 v54, v2, v54
	;; [unrolled: 1-line block ×4, first 2 shown]
	v_min3_f32 v54, v54, v55, v122
	v_min_f32_e32 v55, v56, v57
	v_min3_f32 v56, v62, v55, v54
	v_add_co_u32 v54, vcc_lo, v60, v58
	v_add_co_ci_u32_e64 v55, null, v61, v59, vcc_lo
	flat_store_dword v[54:55], v56
.LBB8_171:
	s_or_b32 exec_lo, exec_lo, s8
	v_add_nc_u32_e32 v58, 24, v132
	v_mad_i64_i32 v[54:55], null, v58, s14, 0
	v_mad_i64_i32 v[56:57], null, v58, s9, 0
	v_cmp_gt_i32_e64 s8, s13, v58
	v_lshlrev_b64 v[54:55], 2, v[54:55]
	s_and_b32 s17, s0, s8
	v_lshlrev_b64 v[56:57], 2, v[56:57]
	v_add_co_u32 v58, vcc_lo, s10, v54
	v_add_co_ci_u32_e64 v59, null, s11, v55, vcc_lo
	v_add_co_u32 v56, vcc_lo, s15, v56
	v_add_co_ci_u32_e64 v57, null, s16, v57, vcc_lo
	s_and_saveexec_b32 s12, s17
	s_cbranch_execnz .LBB8_179
; %bb.172:
	s_or_b32 exec_lo, exec_lo, s12
	s_and_b32 s17, s1, s8
	s_and_saveexec_b32 s12, s17
	s_cbranch_execnz .LBB8_183
.LBB8_173:
	s_or_b32 exec_lo, exec_lo, s12
	s_and_b32 s17, s2, s8
	s_and_saveexec_b32 s12, s17
	s_cbranch_execnz .LBB8_187
.LBB8_174:
	s_or_b32 exec_lo, exec_lo, s12
	s_and_b32 s17, s3, s8
	s_and_saveexec_b32 s12, s17
	s_cbranch_execnz .LBB8_191
.LBB8_175:
	s_or_b32 exec_lo, exec_lo, s12
	s_and_b32 s17, s4, s8
	s_and_saveexec_b32 s12, s17
	s_cbranch_execnz .LBB8_195
.LBB8_176:
	s_or_b32 exec_lo, exec_lo, s12
	s_and_b32 s17, s5, s8
	s_and_saveexec_b32 s12, s17
	s_cbranch_execnz .LBB8_199
.LBB8_177:
	s_or_b32 exec_lo, exec_lo, s12
	s_and_b32 s17, s6, s8
	s_and_saveexec_b32 s12, s17
	s_cbranch_execnz .LBB8_203
.LBB8_178:
	s_or_b32 exec_lo, exec_lo, s12
	s_and_b32 s12, s7, s8
	s_and_saveexec_b32 s8, s12
	s_cbranch_execnz .LBB8_207
	s_branch .LBB8_211
.LBB8_179:
	v_cmp_ne_u32_e32 vcc_lo, 1, v121
	v_lshlrev_b64 v[54:55], 2, v[0:1]
	s_cbranch_vccnz .LBB8_181
; %bb.180:
	v_add_co_u32 v60, vcc_lo, v58, v54
	v_add_co_ci_u32_e64 v61, null, v59, v55, vcc_lo
	flat_load_dword v60, v[60:61]
	s_waitcnt vmcnt(0) lgkmcnt(0)
	v_mul_f32_e32 v60, s22, v60
	s_branch .LBB8_182
.LBB8_181:
	v_mov_b32_e32 v60, 0
.LBB8_182:
	v_add_f32_e32 v61, v35, v51
	v_add_f32_e32 v62, v34, v50
	;; [unrolled: 1-line block ×4, first 2 shown]
	v_add_co_u32 v54, vcc_lo, v56, v54
	v_min3_f32 v61, v62, v61, v123
	v_add_co_ci_u32_e64 v55, null, v57, v55, vcc_lo
	v_min_f32_e32 v62, v64, v63
	v_min3_f32 v60, v60, v62, v61
	flat_store_dword v[54:55], v60
	s_or_b32 exec_lo, exec_lo, s12
	s_and_b32 s17, s1, s8
	s_and_saveexec_b32 s12, s17
	s_cbranch_execz .LBB8_173
.LBB8_183:
	v_cmp_ne_u32_e32 vcc_lo, 1, v121
	v_lshlrev_b64 v[54:55], 2, v[66:67]
	s_cbranch_vccnz .LBB8_185
; %bb.184:
	v_add_co_u32 v60, vcc_lo, v58, v54
	v_add_co_ci_u32_e64 v61, null, v59, v55, vcc_lo
	flat_load_dword v60, v[60:61]
	s_waitcnt vmcnt(0) lgkmcnt(0)
	v_mul_f32_e32 v60, s22, v60
	s_branch .LBB8_186
.LBB8_185:
	v_mov_b32_e32 v60, 0
.LBB8_186:
	v_add_f32_e32 v61, v31, v51
	v_add_f32_e32 v62, v30, v50
	;; [unrolled: 1-line block ×4, first 2 shown]
	v_add_co_u32 v54, vcc_lo, v56, v54
	v_min3_f32 v61, v62, v61, v120
	v_add_co_ci_u32_e64 v55, null, v57, v55, vcc_lo
	v_min_f32_e32 v62, v64, v63
	v_min3_f32 v60, v60, v62, v61
	flat_store_dword v[54:55], v60
	s_or_b32 exec_lo, exec_lo, s12
	s_and_b32 s17, s2, s8
	s_and_saveexec_b32 s12, s17
	s_cbranch_execz .LBB8_174
.LBB8_187:
	v_cmp_ne_u32_e32 vcc_lo, 1, v121
	v_lshlrev_b64 v[54:55], 2, v[68:69]
	s_cbranch_vccnz .LBB8_189
; %bb.188:
	v_add_co_u32 v60, vcc_lo, v58, v54
	v_add_co_ci_u32_e64 v61, null, v59, v55, vcc_lo
	flat_load_dword v60, v[60:61]
	s_waitcnt vmcnt(0) lgkmcnt(0)
	v_mul_f32_e32 v60, s22, v60
	s_branch .LBB8_190
.LBB8_189:
	v_mov_b32_e32 v60, 0
.LBB8_190:
	v_add_f32_e32 v61, v27, v51
	v_add_f32_e32 v62, v26, v50
	;; [unrolled: 1-line block ×4, first 2 shown]
	v_add_co_u32 v54, vcc_lo, v56, v54
	v_min3_f32 v61, v62, v61, v119
	v_add_co_ci_u32_e64 v55, null, v57, v55, vcc_lo
	v_min_f32_e32 v62, v64, v63
	v_min3_f32 v60, v60, v62, v61
	flat_store_dword v[54:55], v60
	s_or_b32 exec_lo, exec_lo, s12
	s_and_b32 s17, s3, s8
	s_and_saveexec_b32 s12, s17
	s_cbranch_execz .LBB8_175
.LBB8_191:
	v_cmp_ne_u32_e32 vcc_lo, 1, v121
	v_lshlrev_b64 v[54:55], 2, v[70:71]
	s_cbranch_vccnz .LBB8_193
; %bb.192:
	v_add_co_u32 v60, vcc_lo, v58, v54
	v_add_co_ci_u32_e64 v61, null, v59, v55, vcc_lo
	flat_load_dword v60, v[60:61]
	s_waitcnt vmcnt(0) lgkmcnt(0)
	v_mul_f32_e32 v60, s22, v60
	s_branch .LBB8_194
.LBB8_193:
	v_mov_b32_e32 v60, 0
.LBB8_194:
	v_add_f32_e32 v61, v23, v51
	v_add_f32_e32 v62, v22, v50
	;; [unrolled: 1-line block ×4, first 2 shown]
	v_add_co_u32 v54, vcc_lo, v56, v54
	v_min3_f32 v61, v62, v61, v118
	v_add_co_ci_u32_e64 v55, null, v57, v55, vcc_lo
	v_min_f32_e32 v62, v64, v63
	v_min3_f32 v60, v60, v62, v61
	flat_store_dword v[54:55], v60
	s_or_b32 exec_lo, exec_lo, s12
	s_and_b32 s17, s4, s8
	s_and_saveexec_b32 s12, s17
	s_cbranch_execz .LBB8_176
.LBB8_195:
	v_cmp_ne_u32_e32 vcc_lo, 1, v121
	v_lshlrev_b64 v[54:55], 2, v[72:73]
	s_cbranch_vccnz .LBB8_197
; %bb.196:
	v_add_co_u32 v60, vcc_lo, v58, v54
	v_add_co_ci_u32_e64 v61, null, v59, v55, vcc_lo
	flat_load_dword v60, v[60:61]
	s_waitcnt vmcnt(0) lgkmcnt(0)
	v_mul_f32_e32 v60, s22, v60
	s_branch .LBB8_198
.LBB8_197:
	v_mov_b32_e32 v60, 0
.LBB8_198:
	v_add_f32_e32 v61, v19, v51
	v_add_f32_e32 v62, v18, v50
	;; [unrolled: 1-line block ×4, first 2 shown]
	v_add_co_u32 v54, vcc_lo, v56, v54
	v_min3_f32 v61, v62, v61, v117
	v_add_co_ci_u32_e64 v55, null, v57, v55, vcc_lo
	v_min_f32_e32 v62, v64, v63
	v_min3_f32 v60, v60, v62, v61
	flat_store_dword v[54:55], v60
	s_or_b32 exec_lo, exec_lo, s12
	s_and_b32 s17, s5, s8
	s_and_saveexec_b32 s12, s17
	s_cbranch_execz .LBB8_177
.LBB8_199:
	v_cmp_ne_u32_e32 vcc_lo, 1, v121
	v_lshlrev_b64 v[54:55], 2, v[74:75]
	s_cbranch_vccnz .LBB8_201
; %bb.200:
	v_add_co_u32 v60, vcc_lo, v58, v54
	v_add_co_ci_u32_e64 v61, null, v59, v55, vcc_lo
	flat_load_dword v60, v[60:61]
	s_waitcnt vmcnt(0) lgkmcnt(0)
	v_mul_f32_e32 v60, s22, v60
	s_branch .LBB8_202
.LBB8_201:
	v_mov_b32_e32 v60, 0
.LBB8_202:
	v_add_f32_e32 v61, v15, v51
	v_add_f32_e32 v62, v14, v50
	;; [unrolled: 1-line block ×4, first 2 shown]
	v_add_co_u32 v54, vcc_lo, v56, v54
	v_min3_f32 v61, v62, v61, v116
	v_add_co_ci_u32_e64 v55, null, v57, v55, vcc_lo
	v_min_f32_e32 v62, v64, v63
	v_min3_f32 v60, v60, v62, v61
	flat_store_dword v[54:55], v60
	s_or_b32 exec_lo, exec_lo, s12
	s_and_b32 s17, s6, s8
	s_and_saveexec_b32 s12, s17
	s_cbranch_execz .LBB8_178
.LBB8_203:
	v_cmp_ne_u32_e32 vcc_lo, 1, v121
	v_lshlrev_b64 v[54:55], 2, v[76:77]
	s_cbranch_vccnz .LBB8_205
; %bb.204:
	v_add_co_u32 v60, vcc_lo, v58, v54
	v_add_co_ci_u32_e64 v61, null, v59, v55, vcc_lo
	flat_load_dword v60, v[60:61]
	s_waitcnt vmcnt(0) lgkmcnt(0)
	v_mul_f32_e32 v60, s22, v60
	s_branch .LBB8_206
.LBB8_205:
	v_mov_b32_e32 v60, 0
.LBB8_206:
	v_add_f32_e32 v61, v11, v51
	v_add_f32_e32 v62, v10, v50
	;; [unrolled: 1-line block ×4, first 2 shown]
	v_add_co_u32 v54, vcc_lo, v56, v54
	v_min3_f32 v61, v62, v61, v115
	v_add_co_ci_u32_e64 v55, null, v57, v55, vcc_lo
	v_min_f32_e32 v62, v64, v63
	v_min3_f32 v60, v60, v62, v61
	flat_store_dword v[54:55], v60
	s_or_b32 exec_lo, exec_lo, s12
	s_and_b32 s12, s7, s8
	s_and_saveexec_b32 s8, s12
	s_cbranch_execz .LBB8_211
.LBB8_207:
	v_cmp_ne_u32_e32 vcc_lo, 1, v121
	v_lshlrev_b64 v[54:55], 2, v[78:79]
	s_cbranch_vccnz .LBB8_209
; %bb.208:
	v_add_co_u32 v58, vcc_lo, v58, v54
	v_add_co_ci_u32_e64 v59, null, v59, v55, vcc_lo
	flat_load_dword v58, v[58:59]
	s_waitcnt vmcnt(0) lgkmcnt(0)
	v_mul_f32_e32 v58, s22, v58
	s_branch .LBB8_210
.LBB8_209:
	v_mov_b32_e32 v58, 0
.LBB8_210:
	v_add_f32_e32 v51, v3, v51
	v_add_f32_e32 v50, v2, v50
	;; [unrolled: 1-line block ×4, first 2 shown]
	v_min3_f32 v50, v50, v51, v114
	v_min_f32_e32 v51, v52, v53
	v_min3_f32 v52, v58, v51, v50
	v_add_co_u32 v50, vcc_lo, v56, v54
	v_add_co_ci_u32_e64 v51, null, v57, v55, vcc_lo
	flat_store_dword v[50:51], v52
.LBB8_211:
	s_or_b32 exec_lo, exec_lo, s8
	v_add_nc_u32_e32 v54, 32, v132
	v_mad_i64_i32 v[50:51], null, v54, s14, 0
	v_mad_i64_i32 v[52:53], null, v54, s9, 0
	v_cmp_gt_i32_e64 s8, s13, v54
	v_lshlrev_b64 v[50:51], 2, v[50:51]
	s_and_b32 s17, s0, s8
	v_lshlrev_b64 v[52:53], 2, v[52:53]
	v_add_co_u32 v54, vcc_lo, s10, v50
	v_add_co_ci_u32_e64 v55, null, s11, v51, vcc_lo
	v_add_co_u32 v52, vcc_lo, s15, v52
	v_add_co_ci_u32_e64 v53, null, s16, v53, vcc_lo
	s_and_saveexec_b32 s12, s17
	s_cbranch_execnz .LBB8_219
; %bb.212:
	s_or_b32 exec_lo, exec_lo, s12
	s_and_b32 s17, s1, s8
	s_and_saveexec_b32 s12, s17
	s_cbranch_execnz .LBB8_223
.LBB8_213:
	s_or_b32 exec_lo, exec_lo, s12
	s_and_b32 s17, s2, s8
	s_and_saveexec_b32 s12, s17
	s_cbranch_execnz .LBB8_227
.LBB8_214:
	s_or_b32 exec_lo, exec_lo, s12
	s_and_b32 s17, s3, s8
	s_and_saveexec_b32 s12, s17
	s_cbranch_execnz .LBB8_231
.LBB8_215:
	s_or_b32 exec_lo, exec_lo, s12
	s_and_b32 s17, s4, s8
	s_and_saveexec_b32 s12, s17
	s_cbranch_execnz .LBB8_235
.LBB8_216:
	s_or_b32 exec_lo, exec_lo, s12
	s_and_b32 s17, s5, s8
	s_and_saveexec_b32 s12, s17
	s_cbranch_execnz .LBB8_239
.LBB8_217:
	s_or_b32 exec_lo, exec_lo, s12
	s_and_b32 s17, s6, s8
	s_and_saveexec_b32 s12, s17
	s_cbranch_execnz .LBB8_243
.LBB8_218:
	s_or_b32 exec_lo, exec_lo, s12
	s_and_b32 s12, s7, s8
	s_and_saveexec_b32 s8, s12
	s_cbranch_execnz .LBB8_247
	s_branch .LBB8_251
.LBB8_219:
	v_cmp_ne_u32_e32 vcc_lo, 1, v121
	v_lshlrev_b64 v[50:51], 2, v[0:1]
	s_cbranch_vccnz .LBB8_221
; %bb.220:
	v_add_co_u32 v56, vcc_lo, v54, v50
	v_add_co_ci_u32_e64 v57, null, v55, v51, vcc_lo
	flat_load_dword v56, v[56:57]
	s_waitcnt vmcnt(0) lgkmcnt(0)
	v_mul_f32_e32 v56, s22, v56
	s_branch .LBB8_222
.LBB8_221:
	v_mov_b32_e32 v56, 0
.LBB8_222:
	v_add_f32_e32 v57, v35, v47
	v_add_f32_e32 v58, v34, v46
	;; [unrolled: 1-line block ×4, first 2 shown]
	v_add_co_u32 v50, vcc_lo, v52, v50
	v_min3_f32 v57, v58, v57, v113
	v_add_co_ci_u32_e64 v51, null, v53, v51, vcc_lo
	v_min_f32_e32 v58, v60, v59
	v_min3_f32 v56, v56, v58, v57
	flat_store_dword v[50:51], v56
	s_or_b32 exec_lo, exec_lo, s12
	s_and_b32 s17, s1, s8
	s_and_saveexec_b32 s12, s17
	s_cbranch_execz .LBB8_213
.LBB8_223:
	v_cmp_ne_u32_e32 vcc_lo, 1, v121
	v_lshlrev_b64 v[50:51], 2, v[66:67]
	s_cbranch_vccnz .LBB8_225
; %bb.224:
	v_add_co_u32 v56, vcc_lo, v54, v50
	v_add_co_ci_u32_e64 v57, null, v55, v51, vcc_lo
	flat_load_dword v56, v[56:57]
	s_waitcnt vmcnt(0) lgkmcnt(0)
	v_mul_f32_e32 v56, s22, v56
	s_branch .LBB8_226
.LBB8_225:
	v_mov_b32_e32 v56, 0
.LBB8_226:
	v_add_f32_e32 v57, v31, v47
	v_add_f32_e32 v58, v30, v46
	;; [unrolled: 1-line block ×4, first 2 shown]
	v_add_co_u32 v50, vcc_lo, v52, v50
	v_min3_f32 v57, v58, v57, v112
	v_add_co_ci_u32_e64 v51, null, v53, v51, vcc_lo
	v_min_f32_e32 v58, v60, v59
	v_min3_f32 v56, v56, v58, v57
	flat_store_dword v[50:51], v56
	s_or_b32 exec_lo, exec_lo, s12
	s_and_b32 s17, s2, s8
	s_and_saveexec_b32 s12, s17
	s_cbranch_execz .LBB8_214
.LBB8_227:
	v_cmp_ne_u32_e32 vcc_lo, 1, v121
	v_lshlrev_b64 v[50:51], 2, v[68:69]
	s_cbranch_vccnz .LBB8_229
; %bb.228:
	v_add_co_u32 v56, vcc_lo, v54, v50
	v_add_co_ci_u32_e64 v57, null, v55, v51, vcc_lo
	flat_load_dword v56, v[56:57]
	s_waitcnt vmcnt(0) lgkmcnt(0)
	v_mul_f32_e32 v56, s22, v56
	s_branch .LBB8_230
.LBB8_229:
	v_mov_b32_e32 v56, 0
.LBB8_230:
	v_add_f32_e32 v57, v27, v47
	v_add_f32_e32 v58, v26, v46
	;; [unrolled: 1-line block ×4, first 2 shown]
	v_add_co_u32 v50, vcc_lo, v52, v50
	v_min3_f32 v57, v58, v57, v111
	v_add_co_ci_u32_e64 v51, null, v53, v51, vcc_lo
	v_min_f32_e32 v58, v60, v59
	v_min3_f32 v56, v56, v58, v57
	flat_store_dword v[50:51], v56
	s_or_b32 exec_lo, exec_lo, s12
	s_and_b32 s17, s3, s8
	s_and_saveexec_b32 s12, s17
	s_cbranch_execz .LBB8_215
.LBB8_231:
	v_cmp_ne_u32_e32 vcc_lo, 1, v121
	v_lshlrev_b64 v[50:51], 2, v[70:71]
	s_cbranch_vccnz .LBB8_233
; %bb.232:
	v_add_co_u32 v56, vcc_lo, v54, v50
	v_add_co_ci_u32_e64 v57, null, v55, v51, vcc_lo
	flat_load_dword v56, v[56:57]
	s_waitcnt vmcnt(0) lgkmcnt(0)
	v_mul_f32_e32 v56, s22, v56
	s_branch .LBB8_234
.LBB8_233:
	v_mov_b32_e32 v56, 0
.LBB8_234:
	v_add_f32_e32 v57, v23, v47
	v_add_f32_e32 v58, v22, v46
	;; [unrolled: 1-line block ×4, first 2 shown]
	v_add_co_u32 v50, vcc_lo, v52, v50
	v_min3_f32 v57, v58, v57, v110
	v_add_co_ci_u32_e64 v51, null, v53, v51, vcc_lo
	v_min_f32_e32 v58, v60, v59
	v_min3_f32 v56, v56, v58, v57
	flat_store_dword v[50:51], v56
	s_or_b32 exec_lo, exec_lo, s12
	s_and_b32 s17, s4, s8
	s_and_saveexec_b32 s12, s17
	s_cbranch_execz .LBB8_216
.LBB8_235:
	v_cmp_ne_u32_e32 vcc_lo, 1, v121
	v_lshlrev_b64 v[50:51], 2, v[72:73]
	s_cbranch_vccnz .LBB8_237
; %bb.236:
	v_add_co_u32 v56, vcc_lo, v54, v50
	v_add_co_ci_u32_e64 v57, null, v55, v51, vcc_lo
	flat_load_dword v56, v[56:57]
	s_waitcnt vmcnt(0) lgkmcnt(0)
	v_mul_f32_e32 v56, s22, v56
	s_branch .LBB8_238
.LBB8_237:
	v_mov_b32_e32 v56, 0
.LBB8_238:
	v_add_f32_e32 v57, v19, v47
	v_add_f32_e32 v58, v18, v46
	;; [unrolled: 1-line block ×4, first 2 shown]
	v_add_co_u32 v50, vcc_lo, v52, v50
	v_min3_f32 v57, v58, v57, v109
	v_add_co_ci_u32_e64 v51, null, v53, v51, vcc_lo
	v_min_f32_e32 v58, v60, v59
	v_min3_f32 v56, v56, v58, v57
	flat_store_dword v[50:51], v56
	s_or_b32 exec_lo, exec_lo, s12
	s_and_b32 s17, s5, s8
	s_and_saveexec_b32 s12, s17
	s_cbranch_execz .LBB8_217
.LBB8_239:
	v_cmp_ne_u32_e32 vcc_lo, 1, v121
	v_lshlrev_b64 v[50:51], 2, v[74:75]
	s_cbranch_vccnz .LBB8_241
; %bb.240:
	v_add_co_u32 v56, vcc_lo, v54, v50
	v_add_co_ci_u32_e64 v57, null, v55, v51, vcc_lo
	flat_load_dword v56, v[56:57]
	s_waitcnt vmcnt(0) lgkmcnt(0)
	v_mul_f32_e32 v56, s22, v56
	s_branch .LBB8_242
.LBB8_241:
	v_mov_b32_e32 v56, 0
.LBB8_242:
	v_add_f32_e32 v57, v15, v47
	v_add_f32_e32 v58, v14, v46
	v_add_f32_e32 v59, v17, v49
	v_add_f32_e32 v60, v16, v48
	v_add_co_u32 v50, vcc_lo, v52, v50
	v_min3_f32 v57, v58, v57, v108
	v_add_co_ci_u32_e64 v51, null, v53, v51, vcc_lo
	v_min_f32_e32 v58, v60, v59
	v_min3_f32 v56, v56, v58, v57
	flat_store_dword v[50:51], v56
	s_or_b32 exec_lo, exec_lo, s12
	s_and_b32 s17, s6, s8
	s_and_saveexec_b32 s12, s17
	s_cbranch_execz .LBB8_218
.LBB8_243:
	v_cmp_ne_u32_e32 vcc_lo, 1, v121
	v_lshlrev_b64 v[50:51], 2, v[76:77]
	s_cbranch_vccnz .LBB8_245
; %bb.244:
	v_add_co_u32 v56, vcc_lo, v54, v50
	v_add_co_ci_u32_e64 v57, null, v55, v51, vcc_lo
	flat_load_dword v56, v[56:57]
	s_waitcnt vmcnt(0) lgkmcnt(0)
	v_mul_f32_e32 v56, s22, v56
	s_branch .LBB8_246
.LBB8_245:
	v_mov_b32_e32 v56, 0
.LBB8_246:
	v_add_f32_e32 v57, v11, v47
	v_add_f32_e32 v58, v10, v46
	;; [unrolled: 1-line block ×4, first 2 shown]
	v_add_co_u32 v50, vcc_lo, v52, v50
	v_min3_f32 v57, v58, v57, v107
	v_add_co_ci_u32_e64 v51, null, v53, v51, vcc_lo
	v_min_f32_e32 v58, v60, v59
	v_min3_f32 v56, v56, v58, v57
	flat_store_dword v[50:51], v56
	s_or_b32 exec_lo, exec_lo, s12
	s_and_b32 s12, s7, s8
	s_and_saveexec_b32 s8, s12
	s_cbranch_execz .LBB8_251
.LBB8_247:
	v_cmp_ne_u32_e32 vcc_lo, 1, v121
	v_lshlrev_b64 v[50:51], 2, v[78:79]
	s_cbranch_vccnz .LBB8_249
; %bb.248:
	v_add_co_u32 v54, vcc_lo, v54, v50
	v_add_co_ci_u32_e64 v55, null, v55, v51, vcc_lo
	flat_load_dword v54, v[54:55]
	s_waitcnt vmcnt(0) lgkmcnt(0)
	v_mul_f32_e32 v54, s22, v54
	s_branch .LBB8_250
.LBB8_249:
	v_mov_b32_e32 v54, 0
.LBB8_250:
	v_add_f32_e32 v47, v3, v47
	v_add_f32_e32 v46, v2, v46
	;; [unrolled: 1-line block ×4, first 2 shown]
	v_min3_f32 v46, v46, v47, v106
	v_min_f32_e32 v47, v48, v49
	v_min3_f32 v48, v54, v47, v46
	v_add_co_u32 v46, vcc_lo, v52, v50
	v_add_co_ci_u32_e64 v47, null, v53, v51, vcc_lo
	flat_store_dword v[46:47], v48
.LBB8_251:
	s_or_b32 exec_lo, exec_lo, s8
	v_add_nc_u32_e32 v50, 40, v132
	v_mad_i64_i32 v[46:47], null, v50, s14, 0
	v_mad_i64_i32 v[48:49], null, v50, s9, 0
	v_cmp_gt_i32_e64 s8, s13, v50
	v_lshlrev_b64 v[46:47], 2, v[46:47]
	s_and_b32 s17, s0, s8
	v_lshlrev_b64 v[48:49], 2, v[48:49]
	v_add_co_u32 v50, vcc_lo, s10, v46
	v_add_co_ci_u32_e64 v51, null, s11, v47, vcc_lo
	v_add_co_u32 v48, vcc_lo, s15, v48
	v_add_co_ci_u32_e64 v49, null, s16, v49, vcc_lo
	s_and_saveexec_b32 s12, s17
	s_cbranch_execnz .LBB8_259
; %bb.252:
	s_or_b32 exec_lo, exec_lo, s12
	s_and_b32 s17, s1, s8
	s_and_saveexec_b32 s12, s17
	s_cbranch_execnz .LBB8_263
.LBB8_253:
	s_or_b32 exec_lo, exec_lo, s12
	s_and_b32 s17, s2, s8
	s_and_saveexec_b32 s12, s17
	s_cbranch_execnz .LBB8_267
.LBB8_254:
	s_or_b32 exec_lo, exec_lo, s12
	s_and_b32 s17, s3, s8
	s_and_saveexec_b32 s12, s17
	s_cbranch_execnz .LBB8_271
.LBB8_255:
	s_or_b32 exec_lo, exec_lo, s12
	s_and_b32 s17, s4, s8
	s_and_saveexec_b32 s12, s17
	s_cbranch_execnz .LBB8_275
.LBB8_256:
	s_or_b32 exec_lo, exec_lo, s12
	s_and_b32 s17, s5, s8
	s_and_saveexec_b32 s12, s17
	s_cbranch_execnz .LBB8_279
.LBB8_257:
	s_or_b32 exec_lo, exec_lo, s12
	s_and_b32 s17, s6, s8
	s_and_saveexec_b32 s12, s17
	s_cbranch_execnz .LBB8_283
.LBB8_258:
	s_or_b32 exec_lo, exec_lo, s12
	s_and_b32 s12, s7, s8
	s_and_saveexec_b32 s8, s12
	s_cbranch_execnz .LBB8_287
	s_branch .LBB8_291
.LBB8_259:
	v_cmp_ne_u32_e32 vcc_lo, 1, v121
	v_lshlrev_b64 v[46:47], 2, v[0:1]
	s_cbranch_vccnz .LBB8_261
; %bb.260:
	v_add_co_u32 v52, vcc_lo, v50, v46
	v_add_co_ci_u32_e64 v53, null, v51, v47, vcc_lo
	flat_load_dword v52, v[52:53]
	s_waitcnt vmcnt(0) lgkmcnt(0)
	v_mul_f32_e32 v52, s22, v52
	s_branch .LBB8_262
.LBB8_261:
	v_mov_b32_e32 v52, 0
.LBB8_262:
	v_add_f32_e32 v53, v35, v43
	v_add_f32_e32 v54, v34, v42
	;; [unrolled: 1-line block ×4, first 2 shown]
	v_add_co_u32 v46, vcc_lo, v48, v46
	v_min3_f32 v53, v54, v53, v105
	v_add_co_ci_u32_e64 v47, null, v49, v47, vcc_lo
	v_min_f32_e32 v54, v56, v55
	v_min3_f32 v52, v52, v54, v53
	flat_store_dword v[46:47], v52
	s_or_b32 exec_lo, exec_lo, s12
	s_and_b32 s17, s1, s8
	s_and_saveexec_b32 s12, s17
	s_cbranch_execz .LBB8_253
.LBB8_263:
	v_cmp_ne_u32_e32 vcc_lo, 1, v121
	v_lshlrev_b64 v[46:47], 2, v[66:67]
	s_cbranch_vccnz .LBB8_265
; %bb.264:
	v_add_co_u32 v52, vcc_lo, v50, v46
	v_add_co_ci_u32_e64 v53, null, v51, v47, vcc_lo
	flat_load_dword v52, v[52:53]
	s_waitcnt vmcnt(0) lgkmcnt(0)
	v_mul_f32_e32 v52, s22, v52
	s_branch .LBB8_266
.LBB8_265:
	v_mov_b32_e32 v52, 0
.LBB8_266:
	v_add_f32_e32 v53, v31, v43
	v_add_f32_e32 v54, v30, v42
	;; [unrolled: 1-line block ×4, first 2 shown]
	v_add_co_u32 v46, vcc_lo, v48, v46
	v_min3_f32 v53, v54, v53, v104
	v_add_co_ci_u32_e64 v47, null, v49, v47, vcc_lo
	v_min_f32_e32 v54, v56, v55
	v_min3_f32 v52, v52, v54, v53
	flat_store_dword v[46:47], v52
	s_or_b32 exec_lo, exec_lo, s12
	s_and_b32 s17, s2, s8
	s_and_saveexec_b32 s12, s17
	s_cbranch_execz .LBB8_254
.LBB8_267:
	v_cmp_ne_u32_e32 vcc_lo, 1, v121
	v_lshlrev_b64 v[46:47], 2, v[68:69]
	s_cbranch_vccnz .LBB8_269
; %bb.268:
	v_add_co_u32 v52, vcc_lo, v50, v46
	v_add_co_ci_u32_e64 v53, null, v51, v47, vcc_lo
	flat_load_dword v52, v[52:53]
	s_waitcnt vmcnt(0) lgkmcnt(0)
	v_mul_f32_e32 v52, s22, v52
	s_branch .LBB8_270
.LBB8_269:
	v_mov_b32_e32 v52, 0
.LBB8_270:
	v_add_f32_e32 v53, v27, v43
	v_add_f32_e32 v54, v26, v42
	;; [unrolled: 1-line block ×4, first 2 shown]
	v_add_co_u32 v46, vcc_lo, v48, v46
	v_min3_f32 v53, v54, v53, v103
	v_add_co_ci_u32_e64 v47, null, v49, v47, vcc_lo
	v_min_f32_e32 v54, v56, v55
	v_min3_f32 v52, v52, v54, v53
	flat_store_dword v[46:47], v52
	s_or_b32 exec_lo, exec_lo, s12
	s_and_b32 s17, s3, s8
	s_and_saveexec_b32 s12, s17
	s_cbranch_execz .LBB8_255
.LBB8_271:
	v_cmp_ne_u32_e32 vcc_lo, 1, v121
	v_lshlrev_b64 v[46:47], 2, v[70:71]
	s_cbranch_vccnz .LBB8_273
; %bb.272:
	v_add_co_u32 v52, vcc_lo, v50, v46
	v_add_co_ci_u32_e64 v53, null, v51, v47, vcc_lo
	flat_load_dword v52, v[52:53]
	s_waitcnt vmcnt(0) lgkmcnt(0)
	v_mul_f32_e32 v52, s22, v52
	s_branch .LBB8_274
.LBB8_273:
	v_mov_b32_e32 v52, 0
.LBB8_274:
	v_add_f32_e32 v53, v23, v43
	v_add_f32_e32 v54, v22, v42
	;; [unrolled: 1-line block ×4, first 2 shown]
	v_add_co_u32 v46, vcc_lo, v48, v46
	v_min3_f32 v53, v54, v53, v102
	v_add_co_ci_u32_e64 v47, null, v49, v47, vcc_lo
	v_min_f32_e32 v54, v56, v55
	v_min3_f32 v52, v52, v54, v53
	flat_store_dword v[46:47], v52
	s_or_b32 exec_lo, exec_lo, s12
	s_and_b32 s17, s4, s8
	s_and_saveexec_b32 s12, s17
	s_cbranch_execz .LBB8_256
.LBB8_275:
	v_cmp_ne_u32_e32 vcc_lo, 1, v121
	v_lshlrev_b64 v[46:47], 2, v[72:73]
	s_cbranch_vccnz .LBB8_277
; %bb.276:
	v_add_co_u32 v52, vcc_lo, v50, v46
	v_add_co_ci_u32_e64 v53, null, v51, v47, vcc_lo
	flat_load_dword v52, v[52:53]
	s_waitcnt vmcnt(0) lgkmcnt(0)
	v_mul_f32_e32 v52, s22, v52
	s_branch .LBB8_278
.LBB8_277:
	v_mov_b32_e32 v52, 0
.LBB8_278:
	v_add_f32_e32 v53, v19, v43
	v_add_f32_e32 v54, v18, v42
	;; [unrolled: 1-line block ×4, first 2 shown]
	v_add_co_u32 v46, vcc_lo, v48, v46
	v_min3_f32 v53, v54, v53, v101
	v_add_co_ci_u32_e64 v47, null, v49, v47, vcc_lo
	v_min_f32_e32 v54, v56, v55
	v_min3_f32 v52, v52, v54, v53
	flat_store_dword v[46:47], v52
	s_or_b32 exec_lo, exec_lo, s12
	s_and_b32 s17, s5, s8
	s_and_saveexec_b32 s12, s17
	s_cbranch_execz .LBB8_257
.LBB8_279:
	v_cmp_ne_u32_e32 vcc_lo, 1, v121
	v_lshlrev_b64 v[46:47], 2, v[74:75]
	s_cbranch_vccnz .LBB8_281
; %bb.280:
	v_add_co_u32 v52, vcc_lo, v50, v46
	v_add_co_ci_u32_e64 v53, null, v51, v47, vcc_lo
	flat_load_dword v52, v[52:53]
	s_waitcnt vmcnt(0) lgkmcnt(0)
	v_mul_f32_e32 v52, s22, v52
	s_branch .LBB8_282
.LBB8_281:
	v_mov_b32_e32 v52, 0
.LBB8_282:
	v_add_f32_e32 v53, v15, v43
	v_add_f32_e32 v54, v14, v42
	;; [unrolled: 1-line block ×4, first 2 shown]
	v_add_co_u32 v46, vcc_lo, v48, v46
	v_min3_f32 v53, v54, v53, v100
	v_add_co_ci_u32_e64 v47, null, v49, v47, vcc_lo
	v_min_f32_e32 v54, v56, v55
	v_min3_f32 v52, v52, v54, v53
	flat_store_dword v[46:47], v52
	s_or_b32 exec_lo, exec_lo, s12
	s_and_b32 s17, s6, s8
	s_and_saveexec_b32 s12, s17
	s_cbranch_execz .LBB8_258
.LBB8_283:
	v_cmp_ne_u32_e32 vcc_lo, 1, v121
	v_lshlrev_b64 v[46:47], 2, v[76:77]
	s_cbranch_vccnz .LBB8_285
; %bb.284:
	v_add_co_u32 v52, vcc_lo, v50, v46
	v_add_co_ci_u32_e64 v53, null, v51, v47, vcc_lo
	flat_load_dword v52, v[52:53]
	s_waitcnt vmcnt(0) lgkmcnt(0)
	v_mul_f32_e32 v52, s22, v52
	s_branch .LBB8_286
.LBB8_285:
	v_mov_b32_e32 v52, 0
.LBB8_286:
	v_add_f32_e32 v53, v11, v43
	v_add_f32_e32 v54, v10, v42
	;; [unrolled: 1-line block ×4, first 2 shown]
	v_add_co_u32 v46, vcc_lo, v48, v46
	v_min3_f32 v53, v54, v53, v99
	v_add_co_ci_u32_e64 v47, null, v49, v47, vcc_lo
	v_min_f32_e32 v54, v56, v55
	v_min3_f32 v52, v52, v54, v53
	flat_store_dword v[46:47], v52
	s_or_b32 exec_lo, exec_lo, s12
	s_and_b32 s12, s7, s8
	s_and_saveexec_b32 s8, s12
	s_cbranch_execz .LBB8_291
.LBB8_287:
	v_cmp_ne_u32_e32 vcc_lo, 1, v121
	v_lshlrev_b64 v[46:47], 2, v[78:79]
	s_cbranch_vccnz .LBB8_289
; %bb.288:
	v_add_co_u32 v50, vcc_lo, v50, v46
	v_add_co_ci_u32_e64 v51, null, v51, v47, vcc_lo
	flat_load_dword v50, v[50:51]
	s_waitcnt vmcnt(0) lgkmcnt(0)
	v_mul_f32_e32 v50, s22, v50
	s_branch .LBB8_290
.LBB8_289:
	v_mov_b32_e32 v50, 0
.LBB8_290:
	v_add_f32_e32 v43, v3, v43
	v_add_f32_e32 v42, v2, v42
	;; [unrolled: 1-line block ×4, first 2 shown]
	v_min3_f32 v42, v42, v43, v98
	v_min_f32_e32 v43, v44, v45
	v_min3_f32 v44, v50, v43, v42
	v_add_co_u32 v42, vcc_lo, v48, v46
	v_add_co_ci_u32_e64 v43, null, v49, v47, vcc_lo
	flat_store_dword v[42:43], v44
.LBB8_291:
	s_or_b32 exec_lo, exec_lo, s8
	v_add_nc_u32_e32 v46, 48, v132
	v_mad_i64_i32 v[42:43], null, v46, s14, 0
	v_mad_i64_i32 v[44:45], null, v46, s9, 0
	v_cmp_gt_i32_e64 s8, s13, v46
	v_lshlrev_b64 v[42:43], 2, v[42:43]
	s_and_b32 s17, s0, s8
	v_lshlrev_b64 v[44:45], 2, v[44:45]
	v_add_co_u32 v46, vcc_lo, s10, v42
	v_add_co_ci_u32_e64 v47, null, s11, v43, vcc_lo
	v_add_co_u32 v44, vcc_lo, s15, v44
	v_add_co_ci_u32_e64 v45, null, s16, v45, vcc_lo
	s_and_saveexec_b32 s12, s17
	s_cbranch_execnz .LBB8_299
; %bb.292:
	s_or_b32 exec_lo, exec_lo, s12
	s_and_b32 s17, s1, s8
	s_and_saveexec_b32 s12, s17
	s_cbranch_execnz .LBB8_303
.LBB8_293:
	s_or_b32 exec_lo, exec_lo, s12
	s_and_b32 s17, s2, s8
	s_and_saveexec_b32 s12, s17
	s_cbranch_execnz .LBB8_307
.LBB8_294:
	s_or_b32 exec_lo, exec_lo, s12
	s_and_b32 s17, s3, s8
	s_and_saveexec_b32 s12, s17
	s_cbranch_execnz .LBB8_311
.LBB8_295:
	s_or_b32 exec_lo, exec_lo, s12
	s_and_b32 s17, s4, s8
	s_and_saveexec_b32 s12, s17
	s_cbranch_execnz .LBB8_315
.LBB8_296:
	s_or_b32 exec_lo, exec_lo, s12
	s_and_b32 s17, s5, s8
	s_and_saveexec_b32 s12, s17
	s_cbranch_execnz .LBB8_319
.LBB8_297:
	s_or_b32 exec_lo, exec_lo, s12
	s_and_b32 s17, s6, s8
	s_and_saveexec_b32 s12, s17
	s_cbranch_execnz .LBB8_323
.LBB8_298:
	s_or_b32 exec_lo, exec_lo, s12
	s_and_b32 s12, s7, s8
	s_and_saveexec_b32 s8, s12
	s_cbranch_execnz .LBB8_327
	s_branch .LBB8_331
.LBB8_299:
	v_cmp_ne_u32_e32 vcc_lo, 1, v121
	v_lshlrev_b64 v[42:43], 2, v[0:1]
	s_cbranch_vccnz .LBB8_301
; %bb.300:
	v_add_co_u32 v48, vcc_lo, v46, v42
	v_add_co_ci_u32_e64 v49, null, v47, v43, vcc_lo
	flat_load_dword v48, v[48:49]
	s_waitcnt vmcnt(0) lgkmcnt(0)
	v_mul_f32_e32 v48, s22, v48
	s_branch .LBB8_302
.LBB8_301:
	v_mov_b32_e32 v48, 0
.LBB8_302:
	v_add_f32_e32 v49, v35, v39
	v_add_f32_e32 v50, v34, v38
	;; [unrolled: 1-line block ×4, first 2 shown]
	v_add_co_u32 v42, vcc_lo, v44, v42
	v_min3_f32 v49, v50, v49, v97
	v_add_co_ci_u32_e64 v43, null, v45, v43, vcc_lo
	v_min_f32_e32 v50, v52, v51
	v_min3_f32 v48, v48, v50, v49
	flat_store_dword v[42:43], v48
	s_or_b32 exec_lo, exec_lo, s12
	s_and_b32 s17, s1, s8
	s_and_saveexec_b32 s12, s17
	s_cbranch_execz .LBB8_293
.LBB8_303:
	v_cmp_ne_u32_e32 vcc_lo, 1, v121
	v_lshlrev_b64 v[42:43], 2, v[66:67]
	s_cbranch_vccnz .LBB8_305
; %bb.304:
	v_add_co_u32 v48, vcc_lo, v46, v42
	v_add_co_ci_u32_e64 v49, null, v47, v43, vcc_lo
	flat_load_dword v48, v[48:49]
	s_waitcnt vmcnt(0) lgkmcnt(0)
	v_mul_f32_e32 v48, s22, v48
	s_branch .LBB8_306
.LBB8_305:
	v_mov_b32_e32 v48, 0
.LBB8_306:
	v_add_f32_e32 v49, v31, v39
	v_add_f32_e32 v50, v30, v38
	;; [unrolled: 1-line block ×4, first 2 shown]
	v_add_co_u32 v42, vcc_lo, v44, v42
	v_min3_f32 v49, v50, v49, v96
	v_add_co_ci_u32_e64 v43, null, v45, v43, vcc_lo
	v_min_f32_e32 v50, v52, v51
	v_min3_f32 v48, v48, v50, v49
	flat_store_dword v[42:43], v48
	s_or_b32 exec_lo, exec_lo, s12
	s_and_b32 s17, s2, s8
	s_and_saveexec_b32 s12, s17
	s_cbranch_execz .LBB8_294
.LBB8_307:
	v_cmp_ne_u32_e32 vcc_lo, 1, v121
	v_lshlrev_b64 v[42:43], 2, v[68:69]
	s_cbranch_vccnz .LBB8_309
; %bb.308:
	v_add_co_u32 v48, vcc_lo, v46, v42
	v_add_co_ci_u32_e64 v49, null, v47, v43, vcc_lo
	flat_load_dword v48, v[48:49]
	s_waitcnt vmcnt(0) lgkmcnt(0)
	v_mul_f32_e32 v48, s22, v48
	s_branch .LBB8_310
.LBB8_309:
	v_mov_b32_e32 v48, 0
.LBB8_310:
	v_add_f32_e32 v49, v27, v39
	v_add_f32_e32 v50, v26, v38
	;; [unrolled: 1-line block ×4, first 2 shown]
	v_add_co_u32 v42, vcc_lo, v44, v42
	v_min3_f32 v49, v50, v49, v95
	v_add_co_ci_u32_e64 v43, null, v45, v43, vcc_lo
	v_min_f32_e32 v50, v52, v51
	v_min3_f32 v48, v48, v50, v49
	flat_store_dword v[42:43], v48
	s_or_b32 exec_lo, exec_lo, s12
	s_and_b32 s17, s3, s8
	s_and_saveexec_b32 s12, s17
	s_cbranch_execz .LBB8_295
.LBB8_311:
	v_cmp_ne_u32_e32 vcc_lo, 1, v121
	v_lshlrev_b64 v[42:43], 2, v[70:71]
	s_cbranch_vccnz .LBB8_313
; %bb.312:
	v_add_co_u32 v48, vcc_lo, v46, v42
	v_add_co_ci_u32_e64 v49, null, v47, v43, vcc_lo
	flat_load_dword v48, v[48:49]
	s_waitcnt vmcnt(0) lgkmcnt(0)
	v_mul_f32_e32 v48, s22, v48
	s_branch .LBB8_314
.LBB8_313:
	v_mov_b32_e32 v48, 0
.LBB8_314:
	v_add_f32_e32 v49, v23, v39
	v_add_f32_e32 v50, v22, v38
	;; [unrolled: 1-line block ×4, first 2 shown]
	v_add_co_u32 v42, vcc_lo, v44, v42
	v_min3_f32 v49, v50, v49, v94
	v_add_co_ci_u32_e64 v43, null, v45, v43, vcc_lo
	v_min_f32_e32 v50, v52, v51
	v_min3_f32 v48, v48, v50, v49
	flat_store_dword v[42:43], v48
	s_or_b32 exec_lo, exec_lo, s12
	s_and_b32 s17, s4, s8
	s_and_saveexec_b32 s12, s17
	s_cbranch_execz .LBB8_296
.LBB8_315:
	v_cmp_ne_u32_e32 vcc_lo, 1, v121
	v_lshlrev_b64 v[42:43], 2, v[72:73]
	s_cbranch_vccnz .LBB8_317
; %bb.316:
	v_add_co_u32 v48, vcc_lo, v46, v42
	v_add_co_ci_u32_e64 v49, null, v47, v43, vcc_lo
	flat_load_dword v48, v[48:49]
	s_waitcnt vmcnt(0) lgkmcnt(0)
	v_mul_f32_e32 v48, s22, v48
	s_branch .LBB8_318
.LBB8_317:
	v_mov_b32_e32 v48, 0
.LBB8_318:
	v_add_f32_e32 v49, v19, v39
	v_add_f32_e32 v50, v18, v38
	;; [unrolled: 1-line block ×4, first 2 shown]
	v_add_co_u32 v42, vcc_lo, v44, v42
	v_min3_f32 v49, v50, v49, v93
	v_add_co_ci_u32_e64 v43, null, v45, v43, vcc_lo
	v_min_f32_e32 v50, v52, v51
	v_min3_f32 v48, v48, v50, v49
	flat_store_dword v[42:43], v48
	s_or_b32 exec_lo, exec_lo, s12
	s_and_b32 s17, s5, s8
	s_and_saveexec_b32 s12, s17
	s_cbranch_execz .LBB8_297
.LBB8_319:
	v_cmp_ne_u32_e32 vcc_lo, 1, v121
	v_lshlrev_b64 v[42:43], 2, v[74:75]
	s_cbranch_vccnz .LBB8_321
; %bb.320:
	v_add_co_u32 v48, vcc_lo, v46, v42
	v_add_co_ci_u32_e64 v49, null, v47, v43, vcc_lo
	flat_load_dword v48, v[48:49]
	s_waitcnt vmcnt(0) lgkmcnt(0)
	v_mul_f32_e32 v48, s22, v48
	s_branch .LBB8_322
.LBB8_321:
	v_mov_b32_e32 v48, 0
.LBB8_322:
	v_add_f32_e32 v49, v15, v39
	v_add_f32_e32 v50, v14, v38
	;; [unrolled: 1-line block ×4, first 2 shown]
	v_add_co_u32 v42, vcc_lo, v44, v42
	v_min3_f32 v49, v50, v49, v91
	v_add_co_ci_u32_e64 v43, null, v45, v43, vcc_lo
	v_min_f32_e32 v50, v52, v51
	v_min3_f32 v48, v48, v50, v49
	flat_store_dword v[42:43], v48
	s_or_b32 exec_lo, exec_lo, s12
	s_and_b32 s17, s6, s8
	s_and_saveexec_b32 s12, s17
	s_cbranch_execz .LBB8_298
.LBB8_323:
	v_cmp_ne_u32_e32 vcc_lo, 1, v121
	v_lshlrev_b64 v[42:43], 2, v[76:77]
	s_cbranch_vccnz .LBB8_325
; %bb.324:
	v_add_co_u32 v48, vcc_lo, v46, v42
	v_add_co_ci_u32_e64 v49, null, v47, v43, vcc_lo
	flat_load_dword v48, v[48:49]
	s_waitcnt vmcnt(0) lgkmcnt(0)
	v_mul_f32_e32 v48, s22, v48
	s_branch .LBB8_326
.LBB8_325:
	v_mov_b32_e32 v48, 0
.LBB8_326:
	v_add_f32_e32 v49, v11, v39
	v_add_f32_e32 v50, v10, v38
	;; [unrolled: 1-line block ×4, first 2 shown]
	v_add_co_u32 v42, vcc_lo, v44, v42
	v_min3_f32 v49, v50, v49, v90
	v_add_co_ci_u32_e64 v43, null, v45, v43, vcc_lo
	v_min_f32_e32 v50, v52, v51
	v_min3_f32 v48, v48, v50, v49
	flat_store_dword v[42:43], v48
	s_or_b32 exec_lo, exec_lo, s12
	s_and_b32 s12, s7, s8
	s_and_saveexec_b32 s8, s12
	s_cbranch_execz .LBB8_331
.LBB8_327:
	v_cmp_ne_u32_e32 vcc_lo, 1, v121
	v_lshlrev_b64 v[42:43], 2, v[78:79]
	s_cbranch_vccnz .LBB8_329
; %bb.328:
	v_add_co_u32 v46, vcc_lo, v46, v42
	v_add_co_ci_u32_e64 v47, null, v47, v43, vcc_lo
	flat_load_dword v46, v[46:47]
	s_waitcnt vmcnt(0) lgkmcnt(0)
	v_mul_f32_e32 v46, s22, v46
	s_branch .LBB8_330
.LBB8_329:
	v_mov_b32_e32 v46, 0
.LBB8_330:
	v_add_f32_e32 v39, v3, v39
	v_add_f32_e32 v38, v2, v38
	;; [unrolled: 1-line block ×4, first 2 shown]
	v_min3_f32 v38, v38, v39, v89
	v_min_f32_e32 v39, v40, v41
	v_min3_f32 v40, v46, v39, v38
	v_add_co_u32 v38, vcc_lo, v44, v42
	v_add_co_ci_u32_e64 v39, null, v45, v43, vcc_lo
	flat_store_dword v[38:39], v40
.LBB8_331:
	s_or_b32 exec_lo, exec_lo, s8
	v_add_nc_u32_e32 v42, 56, v132
	v_mad_i64_i32 v[38:39], null, v42, s14, 0
	v_mad_i64_i32 v[40:41], null, v42, s9, 0
	v_cmp_gt_i32_e64 s8, s13, v42
	v_lshlrev_b64 v[38:39], 2, v[38:39]
	s_and_b32 s9, s0, s8
	v_lshlrev_b64 v[42:43], 2, v[40:41]
	v_add_co_u32 v40, vcc_lo, s10, v38
	v_add_co_ci_u32_e64 v41, null, s11, v39, vcc_lo
	v_add_co_u32 v38, vcc_lo, s15, v42
	v_add_co_ci_u32_e64 v39, null, s16, v43, vcc_lo
	s_and_saveexec_b32 s0, s9
	s_cbranch_execnz .LBB8_340
; %bb.332:
	s_or_b32 exec_lo, exec_lo, s0
	s_and_b32 s1, s1, s8
	s_and_saveexec_b32 s0, s1
	s_cbranch_execnz .LBB8_344
.LBB8_333:
	s_or_b32 exec_lo, exec_lo, s0
	s_and_b32 s1, s2, s8
	s_and_saveexec_b32 s0, s1
	s_cbranch_execnz .LBB8_348
.LBB8_334:
	s_or_b32 exec_lo, exec_lo, s0
	s_and_b32 s1, s3, s8
	s_and_saveexec_b32 s0, s1
	s_cbranch_execnz .LBB8_352
.LBB8_335:
	s_or_b32 exec_lo, exec_lo, s0
	s_and_b32 s1, s4, s8
	s_and_saveexec_b32 s0, s1
	s_cbranch_execnz .LBB8_356
.LBB8_336:
	s_or_b32 exec_lo, exec_lo, s0
	s_and_b32 s1, s5, s8
	s_and_saveexec_b32 s0, s1
	s_cbranch_execnz .LBB8_360
.LBB8_337:
	s_or_b32 exec_lo, exec_lo, s0
	s_and_b32 s1, s6, s8
	s_and_saveexec_b32 s0, s1
	s_cbranch_execnz .LBB8_364
.LBB8_338:
	s_or_b32 exec_lo, exec_lo, s0
	s_and_b32 s0, s7, s8
	s_and_saveexec_b32 s1, s0
	s_cbranch_execnz .LBB8_368
.LBB8_339:
	s_endpgm
.LBB8_340:
	v_cmp_ne_u32_e32 vcc_lo, 1, v121
	v_lshlrev_b64 v[0:1], 2, v[0:1]
	s_cbranch_vccnz .LBB8_342
; %bb.341:
	v_add_co_u32 v42, vcc_lo, v40, v0
	v_add_co_ci_u32_e64 v43, null, v41, v1, vcc_lo
	flat_load_dword v42, v[42:43]
	s_waitcnt vmcnt(0) lgkmcnt(0)
	v_mul_f32_e32 v42, s22, v42
	s_branch .LBB8_343
.LBB8_342:
	v_mov_b32_e32 v42, 0
.LBB8_343:
	v_add_f32_e32 v35, v35, v7
	v_add_f32_e32 v34, v34, v6
	v_add_f32_e32 v37, v37, v9
	v_add_f32_e32 v36, v36, v8
	v_add_co_u32 v0, vcc_lo, v38, v0
	v_min3_f32 v34, v34, v35, v88
	v_add_co_ci_u32_e64 v1, null, v39, v1, vcc_lo
	v_min_f32_e32 v35, v36, v37
	v_min3_f32 v34, v42, v35, v34
	flat_store_dword v[0:1], v34
	s_or_b32 exec_lo, exec_lo, s0
	s_and_b32 s1, s1, s8
	s_and_saveexec_b32 s0, s1
	s_cbranch_execz .LBB8_333
.LBB8_344:
	v_cmp_ne_u32_e32 vcc_lo, 1, v121
	v_lshlrev_b64 v[0:1], 2, v[66:67]
	s_cbranch_vccnz .LBB8_346
; %bb.345:
	v_add_co_u32 v34, vcc_lo, v40, v0
	v_add_co_ci_u32_e64 v35, null, v41, v1, vcc_lo
	flat_load_dword v34, v[34:35]
	s_waitcnt vmcnt(0) lgkmcnt(0)
	v_mul_f32_e32 v34, s22, v34
	s_branch .LBB8_347
.LBB8_346:
	v_mov_b32_e32 v34, 0
.LBB8_347:
	v_add_f32_e32 v31, v31, v7
	v_add_f32_e32 v30, v30, v6
	;; [unrolled: 1-line block ×4, first 2 shown]
	v_add_co_u32 v0, vcc_lo, v38, v0
	v_min3_f32 v30, v30, v31, v87
	v_add_co_ci_u32_e64 v1, null, v39, v1, vcc_lo
	v_min_f32_e32 v31, v32, v33
	v_min3_f32 v30, v34, v31, v30
	flat_store_dword v[0:1], v30
	s_or_b32 exec_lo, exec_lo, s0
	s_and_b32 s1, s2, s8
	s_and_saveexec_b32 s0, s1
	s_cbranch_execz .LBB8_334
.LBB8_348:
	v_cmp_ne_u32_e32 vcc_lo, 1, v121
	v_lshlrev_b64 v[0:1], 2, v[68:69]
	s_cbranch_vccnz .LBB8_350
; %bb.349:
	v_add_co_u32 v30, vcc_lo, v40, v0
	v_add_co_ci_u32_e64 v31, null, v41, v1, vcc_lo
	flat_load_dword v30, v[30:31]
	s_waitcnt vmcnt(0) lgkmcnt(0)
	v_mul_f32_e32 v30, s22, v30
	s_branch .LBB8_351
.LBB8_350:
	v_mov_b32_e32 v30, 0
.LBB8_351:
	v_add_f32_e32 v27, v27, v7
	v_add_f32_e32 v26, v26, v6
	;; [unrolled: 1-line block ×4, first 2 shown]
	v_add_co_u32 v0, vcc_lo, v38, v0
	v_min3_f32 v26, v26, v27, v86
	v_add_co_ci_u32_e64 v1, null, v39, v1, vcc_lo
	v_min_f32_e32 v27, v28, v29
	v_min3_f32 v26, v30, v27, v26
	flat_store_dword v[0:1], v26
	s_or_b32 exec_lo, exec_lo, s0
	s_and_b32 s1, s3, s8
	s_and_saveexec_b32 s0, s1
	s_cbranch_execz .LBB8_335
.LBB8_352:
	v_cmp_ne_u32_e32 vcc_lo, 1, v121
	v_lshlrev_b64 v[0:1], 2, v[70:71]
	s_cbranch_vccnz .LBB8_354
; %bb.353:
	v_add_co_u32 v26, vcc_lo, v40, v0
	v_add_co_ci_u32_e64 v27, null, v41, v1, vcc_lo
	flat_load_dword v26, v[26:27]
	s_waitcnt vmcnt(0) lgkmcnt(0)
	v_mul_f32_e32 v26, s22, v26
	s_branch .LBB8_355
.LBB8_354:
	v_mov_b32_e32 v26, 0
.LBB8_355:
	v_add_f32_e32 v23, v23, v7
	v_add_f32_e32 v22, v22, v6
	;; [unrolled: 1-line block ×4, first 2 shown]
	v_add_co_u32 v0, vcc_lo, v38, v0
	v_min3_f32 v22, v22, v23, v85
	v_add_co_ci_u32_e64 v1, null, v39, v1, vcc_lo
	v_min_f32_e32 v23, v24, v25
	v_min3_f32 v22, v26, v23, v22
	flat_store_dword v[0:1], v22
	s_or_b32 exec_lo, exec_lo, s0
	s_and_b32 s1, s4, s8
	s_and_saveexec_b32 s0, s1
	s_cbranch_execz .LBB8_336
.LBB8_356:
	v_cmp_ne_u32_e32 vcc_lo, 1, v121
	v_lshlrev_b64 v[0:1], 2, v[72:73]
	s_cbranch_vccnz .LBB8_358
; %bb.357:
	v_add_co_u32 v22, vcc_lo, v40, v0
	v_add_co_ci_u32_e64 v23, null, v41, v1, vcc_lo
	flat_load_dword v22, v[22:23]
	s_waitcnt vmcnt(0) lgkmcnt(0)
	v_mul_f32_e32 v22, s22, v22
	s_branch .LBB8_359
.LBB8_358:
	v_mov_b32_e32 v22, 0
.LBB8_359:
	v_add_f32_e32 v19, v19, v7
	v_add_f32_e32 v18, v18, v6
	;; [unrolled: 1-line block ×4, first 2 shown]
	v_add_co_u32 v0, vcc_lo, v38, v0
	v_min3_f32 v18, v18, v19, v84
	v_add_co_ci_u32_e64 v1, null, v39, v1, vcc_lo
	v_min_f32_e32 v19, v20, v21
	v_min3_f32 v18, v22, v19, v18
	flat_store_dword v[0:1], v18
	s_or_b32 exec_lo, exec_lo, s0
	s_and_b32 s1, s5, s8
	s_and_saveexec_b32 s0, s1
	s_cbranch_execz .LBB8_337
.LBB8_360:
	v_cmp_ne_u32_e32 vcc_lo, 1, v121
	v_lshlrev_b64 v[0:1], 2, v[74:75]
	s_cbranch_vccnz .LBB8_362
; %bb.361:
	v_add_co_u32 v18, vcc_lo, v40, v0
	v_add_co_ci_u32_e64 v19, null, v41, v1, vcc_lo
	flat_load_dword v18, v[18:19]
	s_waitcnt vmcnt(0) lgkmcnt(0)
	v_mul_f32_e32 v18, s22, v18
	s_branch .LBB8_363
.LBB8_362:
	v_mov_b32_e32 v18, 0
.LBB8_363:
	v_add_f32_e32 v15, v15, v7
	v_add_f32_e32 v14, v14, v6
	;; [unrolled: 1-line block ×4, first 2 shown]
	v_add_co_u32 v0, vcc_lo, v38, v0
	v_min3_f32 v14, v14, v15, v83
	v_add_co_ci_u32_e64 v1, null, v39, v1, vcc_lo
	v_min_f32_e32 v15, v16, v17
	v_min3_f32 v14, v18, v15, v14
	flat_store_dword v[0:1], v14
	s_or_b32 exec_lo, exec_lo, s0
	s_and_b32 s1, s6, s8
	s_and_saveexec_b32 s0, s1
	s_cbranch_execz .LBB8_338
.LBB8_364:
	v_cmp_ne_u32_e32 vcc_lo, 1, v121
	v_lshlrev_b64 v[0:1], 2, v[76:77]
	s_cbranch_vccnz .LBB8_366
; %bb.365:
	v_add_co_u32 v14, vcc_lo, v40, v0
	v_add_co_ci_u32_e64 v15, null, v41, v1, vcc_lo
	flat_load_dword v14, v[14:15]
	s_waitcnt vmcnt(0) lgkmcnt(0)
	v_mul_f32_e32 v14, s22, v14
	s_branch .LBB8_367
.LBB8_366:
	v_mov_b32_e32 v14, 0
.LBB8_367:
	v_add_f32_e32 v11, v11, v7
	v_add_f32_e32 v10, v10, v6
	;; [unrolled: 1-line block ×4, first 2 shown]
	v_add_co_u32 v0, vcc_lo, v38, v0
	v_min3_f32 v10, v10, v11, v82
	v_add_co_ci_u32_e64 v1, null, v39, v1, vcc_lo
	v_min_f32_e32 v11, v12, v13
	v_min3_f32 v10, v14, v11, v10
	flat_store_dword v[0:1], v10
	s_or_b32 exec_lo, exec_lo, s0
	s_and_b32 s0, s7, s8
	s_and_saveexec_b32 s1, s0
	s_cbranch_execz .LBB8_339
.LBB8_368:
	v_cmp_ne_u32_e32 vcc_lo, 1, v121
	v_lshlrev_b64 v[0:1], 2, v[78:79]
	s_cbranch_vccnz .LBB8_370
; %bb.369:
	v_add_co_u32 v10, vcc_lo, v40, v0
	v_add_co_ci_u32_e64 v11, null, v41, v1, vcc_lo
	flat_load_dword v10, v[10:11]
	s_waitcnt vmcnt(0) lgkmcnt(0)
	v_mul_f32_e32 v10, s22, v10
	s_branch .LBB8_371
.LBB8_370:
	v_mov_b32_e32 v10, 0
.LBB8_371:
	v_add_f32_e32 v3, v3, v7
	v_add_f32_e32 v2, v2, v6
	v_add_f32_e32 v5, v5, v9
	v_add_f32_e32 v4, v4, v8
	v_add_co_u32 v0, vcc_lo, v38, v0
	v_min3_f32 v2, v2, v3, v92
	v_add_co_ci_u32_e64 v1, null, v39, v1, vcc_lo
	v_min_f32_e32 v3, v4, v5
	v_min3_f32 v2, v10, v3, v2
	flat_store_dword v[0:1], v2
	s_endpgm
	.section	.rodata,"a",@progbits
	.p2align	6, 0x0
	.amdhsa_kernel _ZN12_GLOBAL__N_120geam_min_plus_kernelIf15HIP_vector_typeIfLj2EEfLi32ELi8ELi256ELi64ELi4ELi64ELi4ELi4ELi64ELc78ELc78ELb0ELb1ELb1EfKPKfKPfEEviiiT16_PT17_ilSA_ilS8_SA_ilPT18_ili26rocblas_geam_ex_operation_
		.amdhsa_group_segment_fixed_size 10240
		.amdhsa_private_segment_fixed_size 0
		.amdhsa_kernarg_size 128
		.amdhsa_user_sgpr_count 6
		.amdhsa_user_sgpr_private_segment_buffer 1
		.amdhsa_user_sgpr_dispatch_ptr 0
		.amdhsa_user_sgpr_queue_ptr 0
		.amdhsa_user_sgpr_kernarg_segment_ptr 1
		.amdhsa_user_sgpr_dispatch_id 0
		.amdhsa_user_sgpr_flat_scratch_init 0
		.amdhsa_user_sgpr_private_segment_size 0
		.amdhsa_wavefront_size32 1
		.amdhsa_uses_dynamic_stack 0
		.amdhsa_system_sgpr_private_segment_wavefront_offset 0
		.amdhsa_system_sgpr_workgroup_id_x 1
		.amdhsa_system_sgpr_workgroup_id_y 0
		.amdhsa_system_sgpr_workgroup_id_z 1
		.amdhsa_system_sgpr_workgroup_info 0
		.amdhsa_system_vgpr_workitem_id 1
		.amdhsa_next_free_vgpr 158
		.amdhsa_next_free_sgpr 29
		.amdhsa_reserve_vcc 1
		.amdhsa_reserve_flat_scratch 0
		.amdhsa_float_round_mode_32 0
		.amdhsa_float_round_mode_16_64 0
		.amdhsa_float_denorm_mode_32 3
		.amdhsa_float_denorm_mode_16_64 3
		.amdhsa_dx10_clamp 1
		.amdhsa_ieee_mode 1
		.amdhsa_fp16_overflow 0
		.amdhsa_workgroup_processor_mode 1
		.amdhsa_memory_ordered 1
		.amdhsa_forward_progress 1
		.amdhsa_shared_vgpr_count 0
		.amdhsa_exception_fp_ieee_invalid_op 0
		.amdhsa_exception_fp_denorm_src 0
		.amdhsa_exception_fp_ieee_div_zero 0
		.amdhsa_exception_fp_ieee_overflow 0
		.amdhsa_exception_fp_ieee_underflow 0
		.amdhsa_exception_fp_ieee_inexact 0
		.amdhsa_exception_int_div_zero 0
	.end_amdhsa_kernel
	.section	.text._ZN12_GLOBAL__N_120geam_min_plus_kernelIf15HIP_vector_typeIfLj2EEfLi32ELi8ELi256ELi64ELi4ELi64ELi4ELi4ELi64ELc78ELc78ELb0ELb1ELb1EfKPKfKPfEEviiiT16_PT17_ilSA_ilS8_SA_ilPT18_ili26rocblas_geam_ex_operation_,"axG",@progbits,_ZN12_GLOBAL__N_120geam_min_plus_kernelIf15HIP_vector_typeIfLj2EEfLi32ELi8ELi256ELi64ELi4ELi64ELi4ELi4ELi64ELc78ELc78ELb0ELb1ELb1EfKPKfKPfEEviiiT16_PT17_ilSA_ilS8_SA_ilPT18_ili26rocblas_geam_ex_operation_,comdat
.Lfunc_end8:
	.size	_ZN12_GLOBAL__N_120geam_min_plus_kernelIf15HIP_vector_typeIfLj2EEfLi32ELi8ELi256ELi64ELi4ELi64ELi4ELi4ELi64ELc78ELc78ELb0ELb1ELb1EfKPKfKPfEEviiiT16_PT17_ilSA_ilS8_SA_ilPT18_ili26rocblas_geam_ex_operation_, .Lfunc_end8-_ZN12_GLOBAL__N_120geam_min_plus_kernelIf15HIP_vector_typeIfLj2EEfLi32ELi8ELi256ELi64ELi4ELi64ELi4ELi4ELi64ELc78ELc78ELb0ELb1ELb1EfKPKfKPfEEviiiT16_PT17_ilSA_ilS8_SA_ilPT18_ili26rocblas_geam_ex_operation_
                                        ; -- End function
	.set _ZN12_GLOBAL__N_120geam_min_plus_kernelIf15HIP_vector_typeIfLj2EEfLi32ELi8ELi256ELi64ELi4ELi64ELi4ELi4ELi64ELc78ELc78ELb0ELb1ELb1EfKPKfKPfEEviiiT16_PT17_ilSA_ilS8_SA_ilPT18_ili26rocblas_geam_ex_operation_.num_vgpr, 158
	.set _ZN12_GLOBAL__N_120geam_min_plus_kernelIf15HIP_vector_typeIfLj2EEfLi32ELi8ELi256ELi64ELi4ELi64ELi4ELi4ELi64ELc78ELc78ELb0ELb1ELb1EfKPKfKPfEEviiiT16_PT17_ilSA_ilS8_SA_ilPT18_ili26rocblas_geam_ex_operation_.num_agpr, 0
	.set _ZN12_GLOBAL__N_120geam_min_plus_kernelIf15HIP_vector_typeIfLj2EEfLi32ELi8ELi256ELi64ELi4ELi64ELi4ELi4ELi64ELc78ELc78ELb0ELb1ELb1EfKPKfKPfEEviiiT16_PT17_ilSA_ilS8_SA_ilPT18_ili26rocblas_geam_ex_operation_.numbered_sgpr, 29
	.set _ZN12_GLOBAL__N_120geam_min_plus_kernelIf15HIP_vector_typeIfLj2EEfLi32ELi8ELi256ELi64ELi4ELi64ELi4ELi4ELi64ELc78ELc78ELb0ELb1ELb1EfKPKfKPfEEviiiT16_PT17_ilSA_ilS8_SA_ilPT18_ili26rocblas_geam_ex_operation_.num_named_barrier, 0
	.set _ZN12_GLOBAL__N_120geam_min_plus_kernelIf15HIP_vector_typeIfLj2EEfLi32ELi8ELi256ELi64ELi4ELi64ELi4ELi4ELi64ELc78ELc78ELb0ELb1ELb1EfKPKfKPfEEviiiT16_PT17_ilSA_ilS8_SA_ilPT18_ili26rocblas_geam_ex_operation_.private_seg_size, 0
	.set _ZN12_GLOBAL__N_120geam_min_plus_kernelIf15HIP_vector_typeIfLj2EEfLi32ELi8ELi256ELi64ELi4ELi64ELi4ELi4ELi64ELc78ELc78ELb0ELb1ELb1EfKPKfKPfEEviiiT16_PT17_ilSA_ilS8_SA_ilPT18_ili26rocblas_geam_ex_operation_.uses_vcc, 1
	.set _ZN12_GLOBAL__N_120geam_min_plus_kernelIf15HIP_vector_typeIfLj2EEfLi32ELi8ELi256ELi64ELi4ELi64ELi4ELi4ELi64ELc78ELc78ELb0ELb1ELb1EfKPKfKPfEEviiiT16_PT17_ilSA_ilS8_SA_ilPT18_ili26rocblas_geam_ex_operation_.uses_flat_scratch, 0
	.set _ZN12_GLOBAL__N_120geam_min_plus_kernelIf15HIP_vector_typeIfLj2EEfLi32ELi8ELi256ELi64ELi4ELi64ELi4ELi4ELi64ELc78ELc78ELb0ELb1ELb1EfKPKfKPfEEviiiT16_PT17_ilSA_ilS8_SA_ilPT18_ili26rocblas_geam_ex_operation_.has_dyn_sized_stack, 0
	.set _ZN12_GLOBAL__N_120geam_min_plus_kernelIf15HIP_vector_typeIfLj2EEfLi32ELi8ELi256ELi64ELi4ELi64ELi4ELi4ELi64ELc78ELc78ELb0ELb1ELb1EfKPKfKPfEEviiiT16_PT17_ilSA_ilS8_SA_ilPT18_ili26rocblas_geam_ex_operation_.has_recursion, 0
	.set _ZN12_GLOBAL__N_120geam_min_plus_kernelIf15HIP_vector_typeIfLj2EEfLi32ELi8ELi256ELi64ELi4ELi64ELi4ELi4ELi64ELc78ELc78ELb0ELb1ELb1EfKPKfKPfEEviiiT16_PT17_ilSA_ilS8_SA_ilPT18_ili26rocblas_geam_ex_operation_.has_indirect_call, 0
	.section	.AMDGPU.csdata,"",@progbits
; Kernel info:
; codeLenInByte = 19576
; TotalNumSgprs: 31
; NumVgprs: 158
; ScratchSize: 0
; MemoryBound: 0
; FloatMode: 240
; IeeeMode: 1
; LDSByteSize: 10240 bytes/workgroup (compile time only)
; SGPRBlocks: 0
; VGPRBlocks: 19
; NumSGPRsForWavesPerEU: 31
; NumVGPRsForWavesPerEU: 158
; Occupancy: 6
; WaveLimiterHint : 1
; COMPUTE_PGM_RSRC2:SCRATCH_EN: 0
; COMPUTE_PGM_RSRC2:USER_SGPR: 6
; COMPUTE_PGM_RSRC2:TRAP_HANDLER: 0
; COMPUTE_PGM_RSRC2:TGID_X_EN: 1
; COMPUTE_PGM_RSRC2:TGID_Y_EN: 0
; COMPUTE_PGM_RSRC2:TGID_Z_EN: 1
; COMPUTE_PGM_RSRC2:TIDIG_COMP_CNT: 1
	.section	.text._ZN12_GLOBAL__N_120geam_min_plus_kernelIf15HIP_vector_typeIfLj2EEfLi32ELi8ELi128ELi128ELi4ELi4ELi64ELi4ELi64ELc84ELc78ELb0ELb0ELb1EPKfKS4_KPfEEviiiT16_PT17_ilSA_ilS8_SA_ilPT18_ili26rocblas_geam_ex_operation_,"axG",@progbits,_ZN12_GLOBAL__N_120geam_min_plus_kernelIf15HIP_vector_typeIfLj2EEfLi32ELi8ELi128ELi128ELi4ELi4ELi64ELi4ELi64ELc84ELc78ELb0ELb0ELb1EPKfKS4_KPfEEviiiT16_PT17_ilSA_ilS8_SA_ilPT18_ili26rocblas_geam_ex_operation_,comdat
	.globl	_ZN12_GLOBAL__N_120geam_min_plus_kernelIf15HIP_vector_typeIfLj2EEfLi32ELi8ELi128ELi128ELi4ELi4ELi64ELi4ELi64ELc84ELc78ELb0ELb0ELb1EPKfKS4_KPfEEviiiT16_PT17_ilSA_ilS8_SA_ilPT18_ili26rocblas_geam_ex_operation_ ; -- Begin function _ZN12_GLOBAL__N_120geam_min_plus_kernelIf15HIP_vector_typeIfLj2EEfLi32ELi8ELi128ELi128ELi4ELi4ELi64ELi4ELi64ELc84ELc78ELb0ELb0ELb1EPKfKS4_KPfEEviiiT16_PT17_ilSA_ilS8_SA_ilPT18_ili26rocblas_geam_ex_operation_
	.p2align	8
	.type	_ZN12_GLOBAL__N_120geam_min_plus_kernelIf15HIP_vector_typeIfLj2EEfLi32ELi8ELi128ELi128ELi4ELi4ELi64ELi4ELi64ELc84ELc78ELb0ELb0ELb1EPKfKS4_KPfEEviiiT16_PT17_ilSA_ilS8_SA_ilPT18_ili26rocblas_geam_ex_operation_,@function
_ZN12_GLOBAL__N_120geam_min_plus_kernelIf15HIP_vector_typeIfLj2EEfLi32ELi8ELi128ELi128ELi4ELi4ELi64ELi4ELi64ELc84ELc78ELb0ELb0ELb1EPKfKS4_KPfEEviiiT16_PT17_ilSA_ilS8_SA_ilPT18_ili26rocblas_geam_ex_operation_: ; @_ZN12_GLOBAL__N_120geam_min_plus_kernelIf15HIP_vector_typeIfLj2EEfLi32ELi8ELi128ELi128ELi4ELi4ELi64ELi4ELi64ELc84ELc78ELb0ELb0ELb1EPKfKS4_KPfEEviiiT16_PT17_ilSA_ilS8_SA_ilPT18_ili26rocblas_geam_ex_operation_
; %bb.0:
	s_clause 0x1
	s_load_dwordx4 s[0:3], s[4:5], 0x10
	s_load_dwordx4 s[8:11], s[4:5], 0x28
	s_mov_b32 s18, s7
	s_mov_b32 s19, 0
	s_lshl_b64 s[16:17], s[18:19], 2
	s_waitcnt lgkmcnt(0)
	s_add_u32 s0, s0, s16
	s_addc_u32 s1, s1, s17
	s_load_dword s24, s[0:1], 0x0
	s_clause 0x1
	s_load_dwordx4 s[12:15], s[4:5], 0x40
	s_load_dwordx2 s[20:21], s[4:5], 0x50
	s_waitcnt lgkmcnt(0)
	v_cmp_eq_f32_e64 s1, s24, 0
	s_add_u32 s22, s14, s16
	v_cmp_neq_f32_e64 s0, s24, 0
	s_addc_u32 s23, s15, s17
	s_mov_b64 s[16:17], 0
	s_and_b32 s1, exec_lo, s1
	s_mov_b64 s[14:15], 0
	s_mov_b32 vcc_lo, s1
	s_cbranch_vccnz .LBB9_2
; %bb.1:
	s_lshl_b64 s[14:15], s[18:19], 3
	s_add_u32 s2, s2, s14
	s_addc_u32 s3, s3, s15
	s_lshl_b64 s[8:9], s[8:9], 2
	s_load_dwordx2 s[2:3], s[2:3], 0x0
	s_waitcnt lgkmcnt(0)
	s_add_u32 s14, s2, s8
	s_addc_u32 s15, s3, s9
.LBB9_2:
	s_load_dword s3, s[22:23], 0x0
	v_cndmask_b32_e64 v2, 0, 1, s0
	s_andn2_b32 vcc_lo, exec_lo, s0
	v_cmp_ne_u32_e64 s2, 1, v2
	s_cbranch_vccnz .LBB9_4
; %bb.3:
	s_lshl_b64 s[8:9], s[18:19], 3
	s_add_u32 s8, s10, s8
	s_addc_u32 s9, s11, s9
	s_lshl_b64 s[10:11], s[12:13], 2
	s_load_dwordx2 s[8:9], s[8:9], 0x0
	s_waitcnt lgkmcnt(0)
	s_add_u32 s16, s8, s10
	s_addc_u32 s17, s9, s11
.LBB9_4:
	s_load_dwordx4 s[8:11], s[4:5], 0x60
	s_waitcnt lgkmcnt(0)
	v_cmp_eq_f32_e64 s0, s3, 0
	s_and_b32 s0, exec_lo, s0
	s_mov_b32 vcc_lo, s0
	s_cbranch_vccnz .LBB9_6
; %bb.5:
	s_lshl_b64 s[12:13], s[18:19], 3
	s_add_u32 s12, s20, s12
	s_addc_u32 s13, s21, s13
	s_lshl_b64 s[8:9], s[8:9], 2
	s_load_dwordx2 s[12:13], s[12:13], 0x0
	s_waitcnt lgkmcnt(0)
	s_add_u32 s8, s12, s8
	s_addc_u32 s9, s13, s9
	s_branch .LBB9_7
.LBB9_6:
	s_mov_b64 s[8:9], 0
.LBB9_7:
	s_load_dword s7, s[4:5], 0x0
	s_lshl_b64 s[12:13], s[18:19], 3
	s_load_dword s18, s[4:5], 0x20
	s_add_u32 s10, s10, s12
	s_addc_u32 s11, s11, s13
	v_lshl_add_u32 v3, v1, 5, v0
	v_mov_b32_e32 v4, 0
	v_lshrrev_b32_e32 v3, 2, v3
	s_waitcnt lgkmcnt(0)
	s_add_i32 s7, s7, -1
	s_ashr_i32 s12, s7, 31
	s_lshr_b32 s12, s12, 25
	s_add_i32 s7, s7, s12
	s_ashr_i32 s7, s7, 7
	s_add_i32 s12, s7, 1
	s_not_b32 s7, s7
	v_cvt_f32_u32_e32 v2, s12
	v_rcp_iflag_f32_e32 v2, v2
	v_mul_f32_e32 v2, 0x4f7ffffe, v2
	v_cvt_u32_f32_e32 v2, v2
	v_readfirstlane_b32 s13, v2
	v_and_b32_e32 v2, 3, v0
	s_mul_i32 s7, s7, s13
	v_lshlrev_b32_e32 v84, 2, v2
	s_mul_hi_u32 s7, s13, s7
	s_add_i32 s13, s13, s7
	s_mul_hi_u32 s7, s6, s13
	s_mul_i32 s13, s7, s12
	s_add_i32 s19, s7, 1
	s_sub_i32 s13, s6, s13
	s_sub_i32 s20, s13, s12
	s_cmp_ge_u32 s13, s12
	s_cselect_b32 s7, s19, s7
	s_cselect_b32 s13, s20, s13
	s_add_i32 s19, s7, 1
	s_cmp_ge_u32 s13, s12
	s_cselect_b32 s7, s19, s7
	s_and_b32 vcc_lo, exec_lo, s2
	s_mul_i32 s12, s7, s12
	s_sub_i32 s6, s6, s12
	s_lshl_b32 s12, s6, 7
	v_add_co_u32 v5, s6, s14, v84
	v_add_nc_u32_e32 v82, s12, v3
	v_add_co_ci_u32_e64 v6, null, s15, 0, s6
	s_mov_b32 s6, -1
	s_cbranch_vccnz .LBB9_9
; %bb.8:
	v_mad_i64_i32 v[7:8], null, v82, s18, 0
	v_lshlrev_b64 v[7:8], 2, v[7:8]
	v_add_co_u32 v7, vcc_lo, v5, v7
	v_add_co_ci_u32_e64 v8, null, v6, v8, vcc_lo
	flat_load_dword v4, v[7:8]
	s_waitcnt vmcnt(0) lgkmcnt(0)
	v_mul_f32_e32 v4, s24, v4
.LBB9_9:
	s_load_dword s19, s[4:5], 0x38
	s_lshl_b32 s13, s7, 7
	s_mov_b32 vcc_lo, s1
                                        ; implicit-def: $vgpr7
	s_cbranch_vccz .LBB9_11
; %bb.10:
	v_mov_b32_e32 v7, 0
	s_mov_b32 s6, 0
.LBB9_11:
	v_add_nc_u32_e32 v137, s13, v3
	v_mov_b32_e32 v153, 0
	v_add_nc_u32_e32 v83, 64, v82
	v_mov_b32_e32 v8, 0
	v_mov_b32_e32 v9, 0
	v_add_nc_u32_e32 v152, 64, v137
	s_andn2_b32 vcc_lo, exec_lo, s6
	s_cbranch_vccnz .LBB9_13
; %bb.12:
	v_mad_i64_i32 v[7:8], null, v83, s18, 0
	s_waitcnt lgkmcnt(0)
	v_mad_i64_i32 v[9:10], null, v137, s19, 0
	v_mad_i64_i32 v[11:12], null, v152, s19, 0
	v_add_co_u32 v13, s6, s16, v84
	v_lshlrev_b64 v[7:8], 2, v[7:8]
	v_add_co_ci_u32_e64 v14, null, s17, 0, s6
	v_lshlrev_b64 v[9:10], 2, v[9:10]
	v_lshlrev_b64 v[11:12], 2, v[11:12]
	v_add_co_u32 v7, vcc_lo, v5, v7
	v_add_co_ci_u32_e64 v8, null, v6, v8, vcc_lo
	v_add_co_u32 v9, vcc_lo, v13, v9
	v_add_co_ci_u32_e64 v10, null, v14, v10, vcc_lo
	;; [unrolled: 2-line block ×3, first 2 shown]
	flat_load_dword v7, v[7:8]
	s_clause 0x1
	flat_load_dword v8, v[9:10]
	flat_load_dword v10, v[11:12]
	s_waitcnt vmcnt(2) lgkmcnt(2)
	v_mul_f32_e32 v7, s24, v7
	s_waitcnt vmcnt(1) lgkmcnt(1)
	v_mul_f32_e32 v9, s24, v8
	;; [unrolled: 2-line block ×3, first 2 shown]
.LBB9_13:
	s_and_b32 vcc_lo, exec_lo, s2
	s_cbranch_vccnz .LBB9_15
; %bb.14:
	v_mad_i64_i32 v[10:11], null, v82, s18, 0
	v_lshlrev_b64 v[10:11], 2, v[10:11]
	v_add_co_u32 v10, vcc_lo, v5, v10
	v_add_co_ci_u32_e64 v11, null, v6, v11, vcc_lo
	flat_load_dword v10, v[10:11] offset:16
	s_waitcnt vmcnt(0) lgkmcnt(0)
	v_mul_f32_e32 v153, s24, v10
.LBB9_15:
	v_mov_b32_e32 v155, 0
	s_mov_b32 vcc_lo, s1
	s_cbranch_vccz .LBB9_17
; %bb.16:
	v_mov_b32_e32 v156, 0
	v_mov_b32_e32 v157, 0
	s_cbranch_execz .LBB9_18
	s_branch .LBB9_19
.LBB9_17:
                                        ; implicit-def: $vgpr156
	v_mov_b32_e32 v157, 0
.LBB9_18:
	v_mad_i64_i32 v[10:11], null, v83, s18, 0
	s_waitcnt lgkmcnt(0)
	v_mad_i64_i32 v[12:13], null, v137, s19, 0
	v_mad_i64_i32 v[14:15], null, v152, s19, 0
	v_add_co_u32 v16, s6, s16, v84
	v_lshlrev_b64 v[10:11], 2, v[10:11]
	v_add_co_ci_u32_e64 v17, null, s17, 0, s6
	v_lshlrev_b64 v[12:13], 2, v[12:13]
	v_add_co_u32 v5, vcc_lo, v5, v10
	v_add_co_ci_u32_e64 v6, null, v6, v11, vcc_lo
	v_lshlrev_b64 v[10:11], 2, v[14:15]
	v_add_co_u32 v12, vcc_lo, v16, v12
	v_add_co_ci_u32_e64 v13, null, v17, v13, vcc_lo
	v_add_co_u32 v10, vcc_lo, v16, v10
	v_add_co_ci_u32_e64 v11, null, v17, v11, vcc_lo
	flat_load_dword v5, v[5:6] offset:16
	s_clause 0x1
	flat_load_dword v6, v[12:13] offset:16
	flat_load_dword v10, v[10:11] offset:16
	s_waitcnt vmcnt(2) lgkmcnt(2)
	v_mul_f32_e32 v156, s24, v5
	s_waitcnt vmcnt(1) lgkmcnt(1)
	v_mul_f32_e32 v157, s24, v6
	;; [unrolled: 2-line block ×3, first 2 shown]
.LBB9_19:
	v_lshlrev_b32_e32 v3, 4, v3
	v_lshlrev_b32_e32 v86, 4, v0
	;; [unrolled: 1-line block ×3, first 2 shown]
	s_load_dwordx2 s[6:7], s[10:11], 0x0
	s_load_dword s10, s[4:5], 0x8
	v_lshl_or_b32 v87, v2, 2, v3
	ds_write2st64_b32 v87, v4, v7 offset1:4
	ds_write2st64_b32 v87, v9, v8 offset0:16 offset1:20
	s_waitcnt lgkmcnt(0)
	s_barrier
	buffer_gl0_inv
	ds_read_b128 v[14:17], v86
	ds_read_b128 v[10:13], v86 offset:512
	ds_read_b128 v[6:9], v86 offset:1024
	;; [unrolled: 1-line block ×19, first 2 shown]
	ds_write2st64_b32 v87, v153, v156 offset0:8 offset1:12
	ds_write2st64_b32 v87, v157, v155 offset0:24 offset1:28
	s_waitcnt lgkmcnt(0)
	s_barrier
	buffer_gl0_inv
	v_add_f32_e32 v88, v15, v79
	v_add_f32_e32 v89, v14, v78
	s_cmp_lt_i32 s10, 9
	v_min3_f32 v115, v89, v88, 0x7f7fffff
	v_add_f32_e32 v88, v11, v79
	v_add_f32_e32 v89, v10, v78
	v_min3_f32 v116, v89, v88, 0x7f7fffff
	v_add_f32_e32 v88, v7, v79
	v_add_f32_e32 v89, v6, v78
	;; [unrolled: 1-line block ×5, first 2 shown]
	v_min3_f32 v117, v89, v88, 0x7f7fffff
	v_min3_f32 v118, v78, v79, 0x7f7fffff
	v_add_f32_e32 v78, v15, v75
	v_add_f32_e32 v79, v14, v74
	v_min3_f32 v114, v79, v78, 0x7f7fffff
	v_add_f32_e32 v78, v11, v75
	v_add_f32_e32 v79, v10, v74
	v_min3_f32 v113, v79, v78, 0x7f7fffff
	v_add_f32_e32 v78, v7, v75
	v_add_f32_e32 v79, v6, v74
	v_add_f32_e32 v75, v3, v75
	v_add_f32_e32 v74, v2, v74
	v_min3_f32 v112, v79, v78, 0x7f7fffff
	v_min3_f32 v111, v74, v75, 0x7f7fffff
	v_add_f32_e32 v74, v15, v71
	v_add_f32_e32 v75, v14, v70
	v_min3_f32 v110, v75, v74, 0x7f7fffff
	v_add_f32_e32 v74, v11, v71
	v_add_f32_e32 v75, v10, v70
	v_min3_f32 v109, v75, v74, 0x7f7fffff
	v_add_f32_e32 v74, v7, v71
	v_add_f32_e32 v75, v6, v70
	v_add_f32_e32 v71, v3, v71
	v_add_f32_e32 v70, v2, v70
	;; [unrolled: 12-line block ×13, first 2 shown]
	v_add_f32_e32 v6, v6, v18
	v_min3_f32 v34, v31, v30, 0x7f7fffff
	v_min3_f32 v31, v26, v27, 0x7f7fffff
	v_add_f32_e32 v26, v15, v23
	v_add_f32_e32 v27, v14, v22
	;; [unrolled: 1-line block ×4, first 2 shown]
	v_min3_f32 v30, v27, v26, 0x7f7fffff
	v_add_f32_e32 v26, v11, v23
	v_add_f32_e32 v27, v10, v22
	;; [unrolled: 1-line block ×4, first 2 shown]
	v_min3_f32 v14, v14, v15, 0x7f7fffff
	v_add_f32_e32 v11, v11, v19
	v_min3_f32 v27, v27, v26, 0x7f7fffff
	v_add_f32_e32 v26, v7, v23
	v_add_f32_e32 v23, v3, v23
	v_add_f32_e32 v7, v7, v19
	v_add_f32_e32 v3, v3, v19
	v_add_f32_e32 v10, v10, v18
	v_min3_f32 v26, v119, v26, 0x7f7fffff
	v_min3_f32 v22, v22, v23, 0x7f7fffff
	;; [unrolled: 1-line block ×4, first 2 shown]
	v_add_f32_e32 v3, v17, v81
	v_add_f32_e32 v7, v16, v80
	v_min3_f32 v10, v10, v11, 0x7f7fffff
	v_min3_f32 v154, v7, v3, v115
	v_add_f32_e32 v3, v13, v81
	v_add_f32_e32 v7, v12, v80
	v_min3_f32 v150, v7, v3, v116
	v_add_f32_e32 v3, v9, v81
	v_add_f32_e32 v7, v8, v80
	;; [unrolled: 3-line block ×59, first 2 shown]
	v_add_f32_e32 v4, v4, v20
	v_min3_f32 v91, v7, v3, v22
	v_add_f32_e32 v3, v17, v21
	v_add_f32_e32 v7, v16, v20
	v_min3_f32 v90, v7, v3, v14
	v_add_f32_e32 v3, v13, v21
	;; [unrolled: 3-line block ×4, first 2 shown]
	v_min3_f32 v99, v4, v3, v2
	s_cbranch_scc1 .LBB9_34
; %bb.20:
	v_mad_i64_i32 v[2:3], null, s19, v152, 0
	v_mad_i64_i32 v[4:5], null, s19, v137, 0
	;; [unrolled: 1-line block ×4, first 2 shown]
	v_lshlrev_b64 v[2:3], 2, v[2:3]
	v_add_nc_u32_e32 v153, 0x1000, v87
	v_lshlrev_b64 v[4:5], 2, v[4:5]
	v_or_b32_e32 v155, 0x1000, v85
	v_add_nc_u32_e32 v152, 0x800, v87
	v_add_nc_u32_e32 v137, 0x1800, v87
	v_add_co_u32 v159, vcc_lo, s16, v2
	v_add_co_ci_u32_e64 v160, null, s17, v3, vcc_lo
	v_lshlrev_b64 v[2:3], 2, v[6:7]
	v_add_co_u32 v161, vcc_lo, s16, v4
	v_add_co_ci_u32_e64 v162, null, s17, v5, vcc_lo
	v_lshlrev_b64 v[4:5], 2, v[8:9]
	v_add_co_u32 v163, vcc_lo, s14, v2
	v_add_co_ci_u32_e64 v164, null, s15, v3, vcc_lo
	v_lshl_add_u32 v156, v0, 4, 0x800
	v_add_co_u32 v165, vcc_lo, s14, v4
	v_lshl_add_u32 v157, v1, 4, 0x1800
	v_mov_b32_e32 v158, 0
	v_add_co_ci_u32_e64 v166, null, s15, v5, vcc_lo
	s_add_i32 s10, s10, -8
	s_mov_b32 s11, 0
	s_branch .LBB9_22
.LBB9_21:                               ;   in Loop: Header=BB9_22 Depth=1
	v_add_f32_e32 v169, v15, v79
	v_add_f32_e32 v170, v14, v78
	;; [unrolled: 1-line block ×10, first 2 shown]
	v_min3_f32 v154, v170, v169, v154
	v_min3_f32 v150, v172, v171, v150
	;; [unrolled: 1-line block ×3, first 2 shown]
	v_add_f32_e32 v148, v11, v75
	v_min3_f32 v79, v176, v175, v149
	v_add_f32_e32 v149, v10, v74
	v_add_f32_e32 v169, v7, v75
	v_add_f32_e32 v170, v6, v74
	v_add_f32_e32 v75, v3, v75
	v_add_f32_e32 v74, v2, v74
	v_add_f32_e32 v171, v15, v71
	v_add_f32_e32 v172, v14, v70
	v_min3_f32 v151, v174, v173, v151
	v_add_f32_e32 v173, v11, v71
	v_add_f32_e32 v174, v10, v70
	v_min3_f32 v146, v149, v148, v146
	v_min3_f32 v74, v74, v75, v144
	;; [unrolled: 1-line block ×3, first 2 shown]
	v_add_f32_e32 v144, v7, v71
	v_add_f32_e32 v145, v6, v70
	;; [unrolled: 1-line block ×6, first 2 shown]
	v_min3_f32 v147, v170, v169, v147
	v_add_f32_e32 v169, v11, v67
	v_add_f32_e32 v170, v10, v66
	v_add_f32_e32 v171, v7, v67
	v_add_f32_e32 v172, v6, v66
	v_min3_f32 v142, v145, v144, v142
	v_min3_f32 v70, v70, v71, v140
	;; [unrolled: 1-line block ×3, first 2 shown]
	v_add_f32_e32 v67, v3, v67
	v_add_f32_e32 v66, v2, v66
	;; [unrolled: 1-line block ×10, first 2 shown]
	v_min3_f32 v66, v66, v67, v135
	v_min3_f32 v67, v141, v140, v136
	v_min3_f32 v133, v145, v144, v133
	v_add_f32_e32 v135, v11, v59
	v_min3_f32 v62, v62, v63, v131
	v_add_f32_e32 v63, v15, v59
	v_add_f32_e32 v131, v14, v58
	;; [unrolled: 1-line block ×9, first 2 shown]
	v_min3_f32 v63, v131, v63, v132
	v_min3_f32 v129, v136, v135, v129
	;; [unrolled: 1-line block ×3, first 2 shown]
	v_add_f32_e32 v127, v11, v55
	v_min3_f32 v59, v145, v144, v128
	v_add_f32_e32 v128, v10, v54
	v_add_f32_e32 v131, v7, v55
	;; [unrolled: 1-line block ×7, first 2 shown]
	v_min3_f32 v130, v141, v140, v130
	v_add_f32_e32 v140, v11, v51
	v_add_f32_e32 v141, v10, v50
	v_min3_f32 v125, v128, v127, v125
	v_min3_f32 v54, v54, v55, v123
	;; [unrolled: 1-line block ×3, first 2 shown]
	v_add_f32_e32 v123, v7, v51
	v_add_f32_e32 v124, v6, v50
	v_add_f32_e32 v51, v3, v51
	v_add_f32_e32 v50, v2, v50
	v_add_f32_e32 v127, v15, v47
	v_add_f32_e32 v128, v14, v46
	v_min3_f32 v126, v132, v131, v126
	v_add_f32_e32 v131, v11, v47
	v_add_f32_e32 v132, v10, v46
	;; [unrolled: 1-line block ×4, first 2 shown]
	v_min3_f32 v121, v124, v123, v121
	v_min3_f32 v50, v50, v51, v119
	;; [unrolled: 1-line block ×3, first 2 shown]
	v_add_f32_e32 v47, v3, v47
	v_add_f32_e32 v46, v2, v46
	;; [unrolled: 1-line block ×10, first 2 shown]
	v_min3_f32 v46, v46, v47, v115
	v_min3_f32 v47, v120, v119, v116
	;; [unrolled: 1-line block ×3, first 2 shown]
	v_add_f32_e32 v115, v11, v39
	v_min3_f32 v42, v42, v43, v111
	v_add_f32_e32 v43, v15, v39
	v_add_f32_e32 v111, v14, v38
	;; [unrolled: 1-line block ×9, first 2 shown]
	v_min3_f32 v43, v111, v43, v112
	v_min3_f32 v109, v116, v115, v109
	;; [unrolled: 1-line block ×3, first 2 shown]
	v_add_f32_e32 v107, v11, v35
	v_min3_f32 v39, v124, v123, v108
	v_add_f32_e32 v108, v10, v34
	v_add_f32_e32 v111, v7, v35
	;; [unrolled: 1-line block ×7, first 2 shown]
	v_min3_f32 v110, v120, v119, v110
	v_add_f32_e32 v119, v11, v31
	v_add_f32_e32 v120, v10, v30
	v_min3_f32 v105, v108, v107, v105
	v_min3_f32 v34, v34, v35, v103
	;; [unrolled: 1-line block ×3, first 2 shown]
	v_add_f32_e32 v103, v7, v31
	v_add_f32_e32 v104, v6, v30
	;; [unrolled: 1-line block ×6, first 2 shown]
	v_min3_f32 v106, v112, v111, v106
	v_add_f32_e32 v111, v11, v27
	v_add_f32_e32 v112, v10, v26
	;; [unrolled: 1-line block ×4, first 2 shown]
	v_min3_f32 v101, v104, v103, v101
	v_min3_f32 v30, v30, v31, v98
	;; [unrolled: 1-line block ×3, first 2 shown]
	v_add_f32_e32 v27, v3, v27
	v_add_f32_e32 v26, v2, v26
	v_add_f32_e32 v98, v15, v23
	v_add_f32_e32 v100, v14, v22
	v_add_f32_e32 v103, v11, v23
	v_add_f32_e32 v104, v10, v22
	v_add_f32_e32 v107, v7, v23
	v_add_f32_e32 v108, v6, v22
	v_add_f32_e32 v23, v3, v23
	v_add_f32_e32 v22, v2, v22
	v_add_f32_e32 v15, v15, v19
	v_add_f32_e32 v14, v14, v18
	v_add_f32_e32 v11, v11, v19
	v_add_f32_e32 v10, v10, v18
	v_add_f32_e32 v7, v7, v19
	v_add_f32_e32 v6, v6, v18
	v_add_f32_e32 v3, v3, v19
	v_add_f32_e32 v2, v2, v18
	v_add_f32_e32 v18, v17, v81
	v_add_f32_e32 v19, v16, v80
	v_min3_f32 v22, v22, v23, v91
	v_min3_f32 v10, v10, v11, v88
	;; [unrolled: 1-line block ×3, first 2 shown]
	v_add_f32_e32 v2, v13, v81
	v_min3_f32 v88, v19, v18, v154
	v_add_f32_e32 v3, v12, v80
	v_add_f32_e32 v11, v5, v81
	;; [unrolled: 1-line block ×3, first 2 shown]
	v_min3_f32 v26, v26, v27, v94
	v_min3_f32 v14, v14, v15, v90
	;; [unrolled: 1-line block ×3, first 2 shown]
	v_add_f32_e32 v6, v9, v81
	v_add_f32_e32 v7, v8, v80
	;; [unrolled: 1-line block ×4, first 2 shown]
	v_min3_f32 v90, v3, v2, v150
	v_min3_f32 v94, v18, v11, v78
	v_add_f32_e32 v2, v9, v77
	v_add_f32_e32 v3, v8, v76
	;; [unrolled: 1-line block ×4, first 2 shown]
	v_min3_f32 v143, v174, v173, v143
	v_min3_f32 v138, v170, v169, v138
	;; [unrolled: 1-line block ×3, first 2 shown]
	v_add_f32_e32 v89, v12, v76
	v_min3_f32 v91, v7, v6, v151
	v_min3_f32 v95, v80, v19, v79
	v_add_f32_e32 v6, v5, v77
	v_add_f32_e32 v7, v4, v76
	;; [unrolled: 1-line block ×4, first 2 shown]
	v_min3_f32 v98, v3, v2, v147
	v_min3_f32 v100, v18, v11, v75
	v_add_f32_e32 v2, v5, v73
	v_add_f32_e32 v3, v4, v72
	;; [unrolled: 1-line block ×4, first 2 shown]
	v_min3_f32 v139, v172, v171, v139
	v_min3_f32 v134, v149, v148, v134
	;; [unrolled: 1-line block ×5, first 2 shown]
	v_add_f32_e32 v78, v8, v72
	v_min3_f32 v99, v7, v6, v74
	v_min3_f32 v103, v76, v19, v143
	v_add_f32_e32 v6, v17, v69
	v_add_f32_e32 v7, v16, v68
	;; [unrolled: 1-line block ×4, first 2 shown]
	v_min3_f32 v107, v3, v2, v70
	v_min3_f32 v111, v18, v11, v138
	v_add_f32_e32 v2, v17, v65
	v_add_f32_e32 v3, v16, v64
	;; [unrolled: 1-line block ×4, first 2 shown]
	v_min3_f32 v102, v120, v119, v102
	v_min3_f32 v97, v116, v115, v97
	v_add_f32_e32 v69, v5, v69
	v_add_f32_e32 v68, v4, v68
	v_min3_f32 v108, v7, v6, v71
	v_min3_f32 v112, v72, v19, v139
	v_add_f32_e32 v6, v13, v65
	v_add_f32_e32 v7, v12, v64
	;; [unrolled: 1-line block ×4, first 2 shown]
	v_min3_f32 v116, v3, v2, v67
	v_min3_f32 v120, v18, v11, v134
	v_add_f32_e32 v2, v13, v61
	v_add_f32_e32 v3, v12, v60
	;; [unrolled: 1-line block ×4, first 2 shown]
	v_min3_f32 v114, v128, v127, v114
	v_min3_f32 v115, v68, v69, v66
	v_add_f32_e32 v66, v16, v60
	v_min3_f32 v119, v7, v6, v133
	v_min3_f32 v123, v64, v19, v62
	v_add_f32_e32 v6, v9, v61
	v_add_f32_e32 v7, v8, v60
	;; [unrolled: 1-line block ×4, first 2 shown]
	v_min3_f32 v127, v3, v2, v129
	v_min3_f32 v129, v18, v11, v58
	v_add_f32_e32 v2, v9, v57
	v_add_f32_e32 v3, v8, v56
	;; [unrolled: 1-line block ×4, first 2 shown]
	v_min3_f32 v122, v141, v140, v122
	v_min3_f32 v117, v132, v131, v117
	v_add_f32_e32 v62, v12, v56
	v_min3_f32 v128, v7, v6, v130
	v_min3_f32 v130, v60, v19, v59
	v_add_f32_e32 v6, v5, v57
	v_add_f32_e32 v7, v4, v56
	;; [unrolled: 1-line block ×4, first 2 shown]
	v_min3_f32 v126, v3, v2, v126
	v_min3_f32 v132, v18, v11, v55
	v_add_f32_e32 v2, v5, v53
	v_add_f32_e32 v3, v4, v52
	;; [unrolled: 1-line block ×4, first 2 shown]
	v_min3_f32 v118, v136, v135, v118
	v_add_f32_e32 v58, v8, v52
	v_min3_f32 v131, v7, v6, v54
	v_min3_f32 v122, v56, v19, v122
	v_add_f32_e32 v6, v17, v49
	v_add_f32_e32 v7, v16, v48
	;; [unrolled: 1-line block ×4, first 2 shown]
	v_min3_f32 v133, v3, v2, v50
	v_min3_f32 v117, v18, v11, v117
	v_add_f32_e32 v2, v17, v45
	v_add_f32_e32 v3, v16, v44
	;; [unrolled: 1-line block ×6, first 2 shown]
	v_min3_f32 v134, v7, v6, v51
	v_min3_f32 v118, v52, v19, v118
	v_add_f32_e32 v6, v13, v45
	v_add_f32_e32 v7, v12, v44
	;; [unrolled: 1-line block ×4, first 2 shown]
	v_min3_f32 v136, v3, v2, v47
	v_min3_f32 v114, v18, v11, v114
	v_add_f32_e32 v2, v13, v41
	v_add_f32_e32 v3, v12, v40
	;; [unrolled: 1-line block ×4, first 2 shown]
	v_min3_f32 v135, v48, v49, v46
	v_add_f32_e32 v46, v16, v40
	v_min3_f32 v113, v7, v6, v113
	v_min3_f32 v138, v44, v19, v42
	v_add_f32_e32 v6, v9, v41
	v_add_f32_e32 v7, v8, v40
	;; [unrolled: 1-line block ×4, first 2 shown]
	v_min3_f32 v109, v3, v2, v109
	v_min3_f32 v140, v18, v11, v38
	v_add_f32_e32 v2, v9, v37
	v_add_f32_e32 v3, v8, v36
	;; [unrolled: 1-line block ×7, first 2 shown]
	v_min3_f32 v110, v7, v6, v110
	v_min3_f32 v141, v40, v19, v39
	v_add_f32_e32 v6, v5, v37
	v_add_f32_e32 v7, v4, v36
	;; [unrolled: 1-line block ×4, first 2 shown]
	v_min3_f32 v106, v3, v2, v106
	v_min3_f32 v143, v18, v11, v35
	v_add_f32_e32 v2, v5, v33
	v_add_f32_e32 v3, v4, v32
	;; [unrolled: 1-line block ×4, first 2 shown]
	v_min3_f32 v104, v78, v77, v142
	v_add_f32_e32 v65, v17, v61
	v_add_f32_e32 v45, v17, v41
	;; [unrolled: 1-line block ×3, first 2 shown]
	v_min3_f32 v142, v7, v6, v34
	v_min3_f32 v102, v36, v19, v102
	v_add_f32_e32 v6, v17, v29
	v_add_f32_e32 v7, v16, v28
	;; [unrolled: 1-line block ×4, first 2 shown]
	v_min3_f32 v144, v3, v2, v30
	v_min3_f32 v96, v18, v11, v96
	v_add_f32_e32 v2, v17, v25
	v_add_f32_e32 v3, v16, v24
	;; [unrolled: 1-line block ×6, first 2 shown]
	v_min3_f32 v145, v7, v6, v31
	v_min3_f32 v97, v32, v19, v97
	v_add_f32_e32 v6, v13, v25
	v_add_f32_e32 v7, v12, v24
	;; [unrolled: 1-line block ×4, first 2 shown]
	v_min3_f32 v93, v18, v11, v93
	v_min3_f32 v149, v16, v17, v14
	v_add_f32_e32 v11, v13, v21
	v_add_f32_e32 v12, v12, v20
	;; [unrolled: 1-line block ×10, first 2 shown]
	v_min3_f32 v147, v3, v2, v27
	v_min3_f32 v92, v7, v6, v92
	;; [unrolled: 1-line block ×3, first 2 shown]
	v_add_f32_e32 v18, v5, v21
	v_add_f32_e32 v19, v4, v20
	ds_read_b128 v[2:5], v86
	ds_read_b128 v[6:9], v155
	v_min3_f32 v150, v12, v11, v10
	ds_read_b128 v[10:13], v86 offset:512
	v_min3_f32 v151, v16, v14, v15
	ds_read_b128 v[14:17], v86 offset:1024
	v_min3_f32 v89, v89, v81, v146
	v_min3_f32 v124, v66, v65, v63
	;; [unrolled: 1-line block ×9, first 2 shown]
	ds_read_b128 v[18:21], v86 offset:1536
	ds_read_b128 v[22:25], v155 offset:128
	;; [unrolled: 1-line block ×16, first 2 shown]
	v_add_co_u32 v159, vcc_lo, v159, 32
	v_add_co_ci_u32_e64 v160, null, 0, v160, vcc_lo
	s_waitcnt lgkmcnt(18)
	v_add_f32_e32 v169, v3, v7
	v_add_f32_e32 v170, v2, v6
	s_waitcnt lgkmcnt(17)
	v_add_f32_e32 v171, v11, v7
	v_add_f32_e32 v172, v10, v6
	;; [unrolled: 3-line block ×3, first 2 shown]
	v_min3_f32 v88, v170, v169, v88
	s_waitcnt lgkmcnt(15)
	v_add_f32_e32 v7, v19, v7
	v_min3_f32 v90, v172, v171, v90
	v_add_f32_e32 v6, v18, v6
	v_min3_f32 v91, v174, v173, v91
	s_waitcnt lgkmcnt(14)
	v_add_f32_e32 v169, v3, v23
	v_add_f32_e32 v170, v2, v22
	;; [unrolled: 1-line block ×8, first 2 shown]
	v_min3_f32 v6, v6, v7, v94
	v_min3_f32 v7, v170, v169, v95
	;; [unrolled: 1-line block ×5, first 2 shown]
	s_waitcnt lgkmcnt(13)
	v_add_f32_e32 v23, v3, v27
	v_add_f32_e32 v95, v2, v26
	;; [unrolled: 1-line block ×8, first 2 shown]
	s_waitcnt lgkmcnt(12)
	v_add_f32_e32 v171, v3, v31
	v_add_f32_e32 v172, v2, v30
	v_min3_f32 v23, v95, v23, v100
	v_min3_f32 v95, v99, v98, v103
	;; [unrolled: 1-line block ×5, first 2 shown]
	v_add_f32_e32 v99, v11, v31
	v_add_f32_e32 v100, v10, v30
	;; [unrolled: 1-line block ×6, first 2 shown]
	s_waitcnt lgkmcnt(11)
	v_add_f32_e32 v107, v3, v35
	v_add_f32_e32 v108, v2, v34
	;; [unrolled: 1-line block ×4, first 2 shown]
	v_min3_f32 v99, v100, v99, v111
	v_min3_f32 v100, v104, v103, v112
	;; [unrolled: 1-line block ×5, first 2 shown]
	v_add_f32_e32 v104, v15, v35
	v_add_f32_e32 v107, v14, v34
	;; [unrolled: 1-line block ×4, first 2 shown]
	s_waitcnt lgkmcnt(10)
	v_add_f32_e32 v108, v3, v39
	v_add_f32_e32 v111, v2, v38
	;; [unrolled: 1-line block ×6, first 2 shown]
	v_min3_f32 v104, v107, v104, v120
	v_min3_f32 v34, v34, v35, v123
	v_min3_f32 v35, v111, v108, v124
	v_min3_f32 v107, v115, v112, v127
	v_min3_f32 v108, v119, v116, v128
	v_add_f32_e32 v39, v19, v39
	v_add_f32_e32 v38, v18, v38
	s_waitcnt lgkmcnt(9)
	v_add_f32_e32 v111, v3, v43
	v_add_f32_e32 v112, v2, v42
	v_add_f32_e32 v115, v11, v43
	v_add_f32_e32 v116, v10, v42
	v_add_f32_e32 v119, v15, v43
	v_add_f32_e32 v120, v14, v42
	v_add_f32_e32 v43, v19, v43
	v_add_f32_e32 v42, v18, v42
	v_min3_f32 v38, v38, v39, v129
	v_min3_f32 v39, v112, v111, v130
	;; [unrolled: 1-line block ×5, first 2 shown]
	s_waitcnt lgkmcnt(8)
	v_add_f32_e32 v43, v3, v47
	v_add_f32_e32 v115, v2, v46
	;; [unrolled: 1-line block ×8, first 2 shown]
	s_waitcnt lgkmcnt(7)
	v_add_f32_e32 v124, v3, v51
	v_add_f32_e32 v125, v2, v50
	v_min3_f32 v43, v115, v43, v132
	v_min3_f32 v115, v119, v116, v122
	;; [unrolled: 1-line block ×5, first 2 shown]
	v_add_f32_e32 v119, v11, v51
	v_add_f32_e32 v120, v10, v50
	;; [unrolled: 1-line block ×6, first 2 shown]
	s_waitcnt lgkmcnt(6)
	v_add_f32_e32 v123, v3, v55
	v_add_f32_e32 v124, v2, v54
	;; [unrolled: 1-line block ×4, first 2 shown]
	v_min3_f32 v117, v120, v119, v117
	v_min3_f32 v118, v122, v121, v118
	;; [unrolled: 1-line block ×4, first 2 shown]
	v_add_f32_e32 v119, v15, v55
	v_add_f32_e32 v120, v14, v54
	;; [unrolled: 1-line block ×4, first 2 shown]
	s_waitcnt lgkmcnt(5)
	v_add_f32_e32 v121, v3, v59
	v_add_f32_e32 v122, v2, v58
	;; [unrolled: 1-line block ×4, first 2 shown]
	v_min3_f32 v113, v126, v125, v113
	v_add_f32_e32 v125, v15, v59
	v_add_f32_e32 v126, v14, v58
	v_min3_f32 v114, v120, v119, v114
	v_min3_f32 v54, v54, v55, v138
	;; [unrolled: 1-line block ×4, first 2 shown]
	v_add_f32_e32 v59, v19, v59
	v_add_f32_e32 v58, v18, v58
	s_waitcnt lgkmcnt(4)
	v_add_f32_e32 v119, v3, v63
	v_add_f32_e32 v120, v2, v62
	;; [unrolled: 1-line block ×8, first 2 shown]
	v_min3_f32 v58, v58, v59, v140
	v_min3_f32 v59, v120, v119, v141
	;; [unrolled: 1-line block ×3, first 2 shown]
	s_waitcnt lgkmcnt(3)
	v_add_f32_e32 v119, v2, v66
	v_min3_f32 v62, v62, v63, v142
	v_add_f32_e32 v63, v3, v67
	v_add_f32_e32 v120, v11, v67
	;; [unrolled: 1-line block ×3, first 2 shown]
	v_min3_f32 v110, v126, v125, v110
	v_min3_f32 v106, v124, v123, v106
	v_add_f32_e32 v122, v15, v67
	v_add_f32_e32 v123, v14, v66
	;; [unrolled: 1-line block ×4, first 2 shown]
	s_waitcnt lgkmcnt(2)
	v_add_f32_e32 v124, v3, v71
	v_add_f32_e32 v125, v2, v70
	v_min3_f32 v63, v119, v63, v143
	v_min3_f32 v102, v121, v120, v102
	v_add_f32_e32 v119, v11, v71
	v_add_f32_e32 v120, v10, v70
	v_min3_f32 v101, v123, v122, v101
	v_min3_f32 v66, v66, v67, v144
	v_min3_f32 v67, v125, v124, v145
	v_add_f32_e32 v121, v15, v71
	v_add_f32_e32 v122, v14, v70
	s_waitcnt lgkmcnt(1)
	v_add_f32_e32 v123, v3, v75
	v_add_f32_e32 v124, v2, v74
	;; [unrolled: 1-line block ×4, first 2 shown]
	v_min3_f32 v96, v120, v119, v96
	v_add_f32_e32 v119, v15, v75
	v_add_f32_e32 v120, v14, v74
	;; [unrolled: 1-line block ×4, first 2 shown]
	s_waitcnt lgkmcnt(0)
	v_add_f32_e32 v3, v3, v79
	v_add_f32_e32 v2, v2, v78
	;; [unrolled: 1-line block ×8, first 2 shown]
	v_min3_f32 v74, v74, v75, v148
	v_min3_f32 v2, v2, v3, v149
	;; [unrolled: 1-line block ×4, first 2 shown]
	v_add_f32_e32 v11, v19, v79
	v_add_f32_e32 v14, v18, v78
	;; [unrolled: 1-line block ×10, first 2 shown]
	v_min3_f32 v11, v14, v11, v154
	v_min3_f32 v154, v18, v15, v88
	v_add_f32_e32 v14, v12, v24
	v_add_f32_e32 v15, v17, v25
	v_min3_f32 v148, v8, v9, v6
	v_add_f32_e32 v6, v5, v25
	v_add_f32_e32 v8, v4, v24
	;; [unrolled: 1-line block ×4, first 2 shown]
	v_min3_f32 v70, v70, v71, v146
	v_min3_f32 v71, v124, v123, v147
	;; [unrolled: 1-line block ×3, first 2 shown]
	v_add_f32_e32 v19, v21, v25
	v_add_f32_e32 v24, v20, v24
	v_add_f32_e32 v25, v5, v29
	v_add_f32_e32 v75, v4, v28
	v_min3_f32 v149, v8, v6, v7
	v_min3_f32 v146, v14, v9, v89
	v_min3_f32 v147, v18, v15, v94
	v_add_f32_e32 v6, v13, v29
	v_add_f32_e32 v7, v12, v28
	v_add_f32_e32 v8, v17, v29
	v_add_f32_e32 v9, v16, v28
	v_add_f32_e32 v14, v21, v29
	v_add_f32_e32 v15, v20, v28
	v_min3_f32 v144, v24, v19, v22
	v_min3_f32 v145, v75, v25, v23
	v_add_f32_e32 v18, v5, v33
	v_add_f32_e32 v19, v4, v32
	v_add_f32_e32 v22, v13, v33
	v_add_f32_e32 v23, v12, v32
	v_min3_f32 v143, v7, v6, v95
	v_min3_f32 v142, v9, v8, v98
	v_min3_f32 v140, v15, v14, v26
	v_add_f32_e32 v6, v17, v33
	v_add_f32_e32 v7, v16, v32
	v_add_f32_e32 v8, v21, v33
	v_add_f32_e32 v9, v20, v32
	v_add_f32_e32 v14, v5, v37
	v_add_f32_e32 v15, v4, v36
	v_min3_f32 v141, v19, v18, v27
	v_min3_f32 v138, v23, v22, v99
	;; [unrolled: 15-line block ×4, first 2 shown]
	v_min3_f32 v127, v23, v22, v38
	v_add_f32_e32 v18, v21, v45
	v_add_f32_e32 v19, v20, v44
	v_add_f32_e32 v22, v5, v49
	v_add_f32_e32 v23, v4, v48
	v_min3_f32 v128, v7, v6, v39
	v_min3_f32 v125, v9, v8, v111
	;; [unrolled: 1-line block ×3, first 2 shown]
	v_add_f32_e32 v6, v13, v49
	v_add_f32_e32 v7, v12, v48
	;; [unrolled: 1-line block ×6, first 2 shown]
	v_min3_f32 v97, v122, v121, v97
	v_min3_f32 v93, v120, v119, v93
	;; [unrolled: 1-line block ×4, first 2 shown]
	v_add_f32_e32 v18, v5, v53
	v_add_f32_e32 v19, v4, v52
	v_add_f32_e32 v22, v13, v53
	v_add_f32_e32 v23, v12, v52
	v_min3_f32 v122, v7, v6, v115
	v_min3_f32 v121, v9, v8, v116
	v_min3_f32 v119, v15, v14, v46
	v_add_f32_e32 v6, v17, v53
	v_add_f32_e32 v7, v16, v52
	v_add_f32_e32 v8, v21, v53
	v_add_f32_e32 v9, v20, v52
	v_add_f32_e32 v14, v5, v57
	v_add_f32_e32 v15, v4, v56
	v_min3_f32 v120, v19, v18, v47
	v_min3_f32 v117, v23, v22, v117
	v_add_f32_e32 v18, v13, v57
	v_add_f32_e32 v19, v12, v56
	v_add_f32_e32 v22, v17, v57
	v_add_f32_e32 v23, v16, v56
	v_min3_f32 v118, v7, v6, v118
	v_min3_f32 v115, v9, v8, v50
	v_min3_f32 v116, v15, v14, v51
	v_add_f32_e32 v6, v21, v57
	v_add_f32_e32 v7, v20, v56
	v_add_f32_e32 v8, v5, v61
	v_add_f32_e32 v9, v4, v60
	v_add_f32_e32 v14, v13, v61
	v_add_f32_e32 v15, v12, v60
	v_min3_f32 v113, v19, v18, v113
	v_min3_f32 v114, v23, v22, v114
	;; [unrolled: 15-line block ×4, first 2 shown]
	v_add_f32_e32 v18, v5, v73
	v_add_f32_e32 v19, v4, v72
	;; [unrolled: 1-line block ×4, first 2 shown]
	v_min3_f32 v102, v7, v6, v102
	v_min3_f32 v101, v9, v8, v101
	;; [unrolled: 1-line block ×3, first 2 shown]
	v_add_f32_e32 v6, v17, v73
	v_add_f32_e32 v7, v16, v72
	;; [unrolled: 1-line block ×6, first 2 shown]
	v_add_co_u32 v161, vcc_lo, v161, 32
	v_min3_f32 v100, v19, v18, v67
	v_min3_f32 v96, v23, v22, v96
	v_add_f32_e32 v18, v13, v77
	v_add_f32_e32 v19, v12, v76
	;; [unrolled: 1-line block ×4, first 2 shown]
	v_min3_f32 v97, v7, v6, v97
	v_min3_f32 v94, v9, v8, v70
	v_min3_f32 v95, v15, v14, v71
	v_add_f32_e32 v6, v21, v77
	v_add_f32_e32 v7, v20, v76
	;; [unrolled: 1-line block ×10, first 2 shown]
	v_add_co_ci_u32_e64 v162, null, 0, v162, vcc_lo
	v_add_co_u32 v163, vcc_lo, v163, 32
	v_add_co_ci_u32_e64 v164, null, 0, v164, vcc_lo
	v_add_co_u32 v165, vcc_lo, v165, 32
	v_min3_f32 v151, v79, v78, v91
	v_min3_f32 v92, v19, v18, v92
	;; [unrolled: 1-line block ×8, first 2 shown]
	v_add_co_ci_u32_e64 v166, null, 0, v166, vcc_lo
	s_add_i32 s11, s11, 8
	ds_write2st64_b32 v152, v167, v83 offset1:4
	ds_write2st64_b32 v137, v82, v168 offset1:4
	s_cmp_ge_i32 s11, s10
	s_waitcnt lgkmcnt(0)
	s_barrier
	buffer_gl0_inv
	s_cbranch_scc1 .LBB9_34
.LBB9_22:                               ; =>This Inner Loop Header: Depth=1
	v_mov_b32_e32 v168, 0
	s_and_b32 vcc_lo, exec_lo, s2
	s_cbranch_vccnz .LBB9_24
; %bb.23:                               ;   in Loop: Header=BB9_22 Depth=1
	v_add_co_u32 v2, vcc_lo, v165, v84
	v_add_co_ci_u32_e64 v3, null, 0, v166, vcc_lo
	flat_load_dword v2, v[2:3] offset:32
	s_waitcnt vmcnt(0) lgkmcnt(0)
	v_mul_f32_e32 v168, s24, v2
.LBB9_24:                               ;   in Loop: Header=BB9_22 Depth=1
	s_mov_b32 s14, -1
	s_mov_b32 vcc_lo, s1
                                        ; implicit-def: $vgpr82_vgpr83
                                        ; implicit-def: $vgpr83
	s_cbranch_vccz .LBB9_26
; %bb.25:                               ;   in Loop: Header=BB9_22 Depth=1
	v_mov_b32_e32 v83, v158
	v_mov_b32_e32 v82, 0
	s_mov_b32 s14, 0
.LBB9_26:                               ;   in Loop: Header=BB9_22 Depth=1
	v_mov_b32_e32 v167, 0
	v_mov_b32_e32 v169, 0
	s_andn2_b32 vcc_lo, exec_lo, s14
	s_cbranch_vccnz .LBB9_28
; %bb.27:                               ;   in Loop: Header=BB9_22 Depth=1
	v_add_co_u32 v2, vcc_lo, v163, v84
	v_add_co_ci_u32_e64 v3, null, 0, v164, vcc_lo
	v_add_co_u32 v4, vcc_lo, v161, v84
	v_add_co_ci_u32_e64 v5, null, 0, v162, vcc_lo
	;; [unrolled: 2-line block ×3, first 2 shown]
	flat_load_dword v2, v[2:3] offset:32
	flat_load_dword v3, v[4:5] offset:32
	;; [unrolled: 1-line block ×3, first 2 shown]
	s_waitcnt vmcnt(2) lgkmcnt(2)
	v_mul_f32_e32 v83, s24, v2
	s_waitcnt vmcnt(1) lgkmcnt(1)
	v_mul_f32_e32 v82, s24, v3
	;; [unrolled: 2-line block ×3, first 2 shown]
.LBB9_28:                               ;   in Loop: Header=BB9_22 Depth=1
	ds_read_b128 v[14:17], v156
	ds_read_b128 v[10:13], v156 offset:512
	ds_read_b128 v[6:9], v156 offset:1024
	;; [unrolled: 1-line block ×3, first 2 shown]
	ds_read_b128 v[78:81], v157
	ds_read_b128 v[74:77], v157 offset:128
	ds_read_b128 v[70:73], v157 offset:256
	ds_read_b128 v[66:69], v157 offset:384
	ds_read_b128 v[62:65], v157 offset:512
	ds_read_b128 v[58:61], v157 offset:640
	ds_read_b128 v[54:57], v157 offset:768
	ds_read_b128 v[50:53], v157 offset:896
	ds_read_b128 v[46:49], v157 offset:1024
	ds_read_b128 v[42:45], v157 offset:1152
	ds_read_b128 v[38:41], v157 offset:1280
	ds_read_b128 v[34:37], v157 offset:1408
	ds_read_b128 v[30:33], v157 offset:1536
	ds_read_b128 v[26:29], v157 offset:1664
	ds_read_b128 v[22:25], v157 offset:1792
	ds_read_b128 v[18:21], v157 offset:1920
	s_and_b32 vcc_lo, exec_lo, s2
	ds_write2st64_b32 v87, v168, v83 offset1:4
	ds_write2st64_b32 v153, v82, v169 offset1:4
	s_waitcnt lgkmcnt(0)
	s_barrier
	buffer_gl0_inv
	s_cbranch_vccnz .LBB9_30
; %bb.29:                               ;   in Loop: Header=BB9_22 Depth=1
	v_add_co_u32 v82, vcc_lo, v165, v84
	v_add_co_ci_u32_e64 v83, null, 0, v166, vcc_lo
	flat_load_dword v82, v[82:83] offset:48
	s_waitcnt vmcnt(0) lgkmcnt(0)
	v_mul_f32_e32 v167, s24, v82
.LBB9_30:                               ;   in Loop: Header=BB9_22 Depth=1
	s_mov_b32 s14, -1
	s_mov_b32 vcc_lo, s1
                                        ; implicit-def: $vgpr82_vgpr83
                                        ; implicit-def: $vgpr83
	s_cbranch_vccz .LBB9_32
; %bb.31:                               ;   in Loop: Header=BB9_22 Depth=1
	v_mov_b32_e32 v83, v158
	v_mov_b32_e32 v82, 0
	s_mov_b32 s14, 0
.LBB9_32:                               ;   in Loop: Header=BB9_22 Depth=1
	v_mov_b32_e32 v168, 0
	s_andn2_b32 vcc_lo, exec_lo, s14
	s_cbranch_vccnz .LBB9_21
; %bb.33:                               ;   in Loop: Header=BB9_22 Depth=1
	v_add_co_u32 v82, vcc_lo, v163, v84
	v_add_co_ci_u32_e64 v83, null, 0, v164, vcc_lo
	v_add_co_u32 v168, vcc_lo, v161, v84
	v_add_co_ci_u32_e64 v169, null, 0, v162, vcc_lo
	;; [unrolled: 2-line block ×3, first 2 shown]
	flat_load_dword v82, v[82:83] offset:48
	flat_load_dword v168, v[168:169] offset:48
	;; [unrolled: 1-line block ×3, first 2 shown]
	s_waitcnt vmcnt(2) lgkmcnt(2)
	v_mul_f32_e32 v83, s24, v82
	s_waitcnt vmcnt(1) lgkmcnt(1)
	v_mul_f32_e32 v82, s24, v168
	s_waitcnt vmcnt(0) lgkmcnt(0)
	v_mul_f32_e32 v168, s24, v169
	s_branch .LBB9_21
.LBB9_34:
	ds_read_b128 v[18:21], v86 offset:2048
	ds_read_b128 v[78:81], v85 offset:6144
	s_clause 0x2
	s_load_dword s1, s[4:5], 0x58
	s_load_dword s2, s[4:5], 0x70
	s_load_dwordx2 s[10:11], s[4:5], 0x78
	ds_read_b128 v[14:17], v86 offset:2560
	ds_read_b128 v[10:13], v86 offset:3072
	;; [unrolled: 1-line block ×14, first 2 shown]
	v_add_nc_u32_e32 v137, s13, v1
	ds_read_b128 v[30:33], v85 offset:7680
	ds_read_b128 v[26:29], v85 offset:7808
	v_add_nc_u32_e32 v84, s12, v0
	v_add_nc_u32_e32 v0, 32, v84
	s_waitcnt lgkmcnt(0)
	v_mad_i64_i32 v[86:87], null, v137, s1, 0
	v_add_f32_e32 v6, v19, v79
	v_add_f32_e32 v7, v18, v78
	v_mad_i64_i32 v[82:83], null, v137, s2, 0
	v_add_f32_e32 v152, v21, v81
	v_add_f32_e32 v153, v20, v80
	v_min3_f32 v1, v7, v6, v154
	ds_read_b128 v[22:25], v85 offset:7936
	ds_read_b128 v[6:9], v85 offset:8064
	s_lshl_b64 s[4:5], s[10:11], 2
	v_lshlrev_b64 v[86:87], 2, v[86:87]
	v_lshlrev_b64 v[82:83], 2, v[82:83]
	s_add_u32 s4, s6, s4
	v_ashrrev_i32_e32 v85, 31, v84
	v_min3_f32 v156, v153, v152, v1
	s_addc_u32 s5, s7, s5
	v_ashrrev_i32_e32 v1, 31, v0
	v_add_co_u32 v152, vcc_lo, s4, v82
	v_add_co_ci_u32_e64 v153, null, s5, v83, vcc_lo
	v_add_co_u32 v154, vcc_lo, s8, v86
	v_lshlrev_b64 v[82:83], 2, v[84:85]
	v_add_co_ci_u32_e64 v155, null, s9, v87, vcc_lo
	v_max_f32_e32 v85, v156, v156
	s_mov_b32 s6, -1
	s_mov_b32 vcc_lo, s0
	s_cbranch_vccz .LBB9_36
; %bb.35:
	v_add_co_u32 v86, vcc_lo, v152, v82
	v_min_f32_e32 v156, 0, v85
	v_add_co_ci_u32_e64 v87, null, v153, v83, vcc_lo
	s_mov_b32 s6, 0
	flat_store_dword v[86:87], v156
.LBB9_36:
	v_lshlrev_b64 v[0:1], 2, v[0:1]
	v_mov_b32_e32 v87, 0
	s_andn2_b32 vcc_lo, exec_lo, s6
	s_cbranch_vccnz .LBB9_38
; %bb.37:
	v_add_co_u32 v86, vcc_lo, v154, v82
	v_add_co_ci_u32_e64 v87, null, v155, v83, vcc_lo
	flat_load_dword v86, v[86:87]
	s_waitcnt vmcnt(0) lgkmcnt(0)
	v_mul_f32_e32 v156, s3, v86
	v_add_co_u32 v86, vcc_lo, v152, v82
	v_add_co_ci_u32_e64 v87, null, v153, v83, vcc_lo
	v_min_f32_e32 v85, v156, v85
	v_add_co_u32 v156, vcc_lo, v154, v0
	v_add_co_ci_u32_e64 v157, null, v155, v1, vcc_lo
	flat_store_dword v[86:87], v85
	flat_load_dword v85, v[156:157]
	s_waitcnt vmcnt(0) lgkmcnt(0)
	v_mul_f32_e32 v87, s3, v85
.LBB9_38:
	v_add_f32_e32 v85, v15, v79
	v_add_f32_e32 v86, v14, v78
	;; [unrolled: 1-line block ×6, first 2 shown]
	v_min3_f32 v85, v86, v85, v150
	v_add_nc_u32_e32 v150, 64, v84
	v_min3_f32 v156, v157, v156, v151
	v_add_f32_e32 v157, v13, v81
	v_min_f32_e32 v151, v159, v158
	v_add_f32_e32 v158, v12, v80
	v_add_nc_u32_e32 v86, 0x60, v84
	v_add_co_u32 v84, vcc_lo, v152, v0
	v_min3_f32 v159, v87, v151, v85
	v_add_co_ci_u32_e64 v85, null, v153, v1, vcc_lo
	v_ashrrev_i32_e32 v151, 31, v150
	v_min3_f32 v156, v158, v157, v156
	v_ashrrev_i32_e32 v87, 31, v86
	flat_store_dword v[84:85], v159
	s_mov_b32 s6, -1
	v_lshlrev_b64 v[84:85], 2, v[150:151]
	v_max_f32_e32 v150, v156, v156
	s_mov_b32 vcc_lo, s0
	s_cbranch_vccz .LBB9_40
; %bb.39:
	v_add_co_u32 v156, vcc_lo, v152, v84
	v_min_f32_e32 v151, 0, v150
	v_add_co_ci_u32_e64 v157, null, v153, v85, vcc_lo
	s_mov_b32 s6, 0
	flat_store_dword v[156:157], v151
.LBB9_40:
	v_lshlrev_b64 v[86:87], 2, v[86:87]
	v_mov_b32_e32 v151, 0
	s_andn2_b32 vcc_lo, exec_lo, s6
	s_cbranch_vccnz .LBB9_42
; %bb.41:
	v_add_co_u32 v156, vcc_lo, v154, v84
	v_add_co_ci_u32_e64 v157, null, v155, v85, vcc_lo
	flat_load_dword v151, v[156:157]
	v_add_co_u32 v156, vcc_lo, v152, v84
	v_add_co_ci_u32_e64 v157, null, v153, v85, vcc_lo
	s_waitcnt vmcnt(0) lgkmcnt(0)
	v_mul_f32_e32 v151, s3, v151
	v_min_f32_e32 v158, v151, v150
	v_add_co_u32 v150, vcc_lo, v154, v86
	v_add_co_ci_u32_e64 v151, null, v155, v87, vcc_lo
	flat_store_dword v[156:157], v158
	flat_load_dword v150, v[150:151]
	s_waitcnt vmcnt(0) lgkmcnt(0)
	v_mul_f32_e32 v151, s3, v150
.LBB9_42:
	v_add_f32_e32 v79, v3, v79
	v_add_f32_e32 v78, v2, v78
	;; [unrolled: 1-line block ×6, first 2 shown]
	v_min3_f32 v78, v78, v79, v148
	v_add_f32_e32 v155, v20, v76
	v_min_f32_e32 v79, v80, v81
	v_add_nc_u32_e32 v80, 8, v137
	v_min3_f32 v150, v154, v150, v149
	v_add_f32_e32 v154, v21, v77
	v_add_co_u32 v148, vcc_lo, v152, v86
	v_min3_f32 v151, v151, v79, v78
	v_mad_i64_i32 v[78:79], null, v80, s2, 0
	v_mad_i64_i32 v[80:81], null, v80, s1, 0
	v_add_co_ci_u32_e64 v149, null, v153, v87, vcc_lo
	v_min3_f32 v150, v155, v154, v150
	s_mov_b32 s6, -1
	v_lshlrev_b64 v[78:79], 2, v[78:79]
	flat_store_dword v[148:149], v151
	v_lshlrev_b64 v[80:81], 2, v[80:81]
	v_max_f32_e32 v148, v150, v150
	v_add_co_u32 v78, vcc_lo, s4, v78
	v_add_co_ci_u32_e64 v79, null, s5, v79, vcc_lo
	v_add_co_u32 v80, vcc_lo, s8, v80
	v_add_co_ci_u32_e64 v81, null, s9, v81, vcc_lo
	s_mov_b32 vcc_lo, s0
	s_cbranch_vccz .LBB9_44
; %bb.43:
	v_add_co_u32 v149, vcc_lo, v78, v82
	v_min_f32_e32 v151, 0, v148
	v_add_co_ci_u32_e64 v150, null, v79, v83, vcc_lo
	s_mov_b32 s6, 0
	flat_store_dword v[149:150], v151
.LBB9_44:
	v_mov_b32_e32 v149, 0
	s_andn2_b32 vcc_lo, exec_lo, s6
	s_cbranch_vccnz .LBB9_46
; %bb.45:
	v_add_co_u32 v149, vcc_lo, v80, v82
	v_add_co_ci_u32_e64 v150, null, v81, v83, vcc_lo
	flat_load_dword v149, v[149:150]
	s_waitcnt vmcnt(0) lgkmcnt(0)
	v_mul_f32_e32 v151, s3, v149
	v_add_co_u32 v149, vcc_lo, v78, v82
	v_add_co_ci_u32_e64 v150, null, v79, v83, vcc_lo
	v_min_f32_e32 v148, v151, v148
	v_add_co_u32 v151, vcc_lo, v80, v0
	v_add_co_ci_u32_e64 v152, null, v81, v1, vcc_lo
	flat_store_dword v[149:150], v148
	flat_load_dword v148, v[151:152]
	s_waitcnt vmcnt(0) lgkmcnt(0)
	v_mul_f32_e32 v149, s3, v148
.LBB9_46:
	v_add_f32_e32 v148, v15, v75
	v_add_f32_e32 v150, v14, v74
	;; [unrolled: 1-line block ×6, first 2 shown]
	v_min3_f32 v146, v150, v148, v146
	s_mov_b32 s6, -1
	v_min_f32_e32 v148, v152, v151
	v_add_f32_e32 v151, v13, v77
	v_min3_f32 v150, v154, v153, v147
	v_add_f32_e32 v152, v12, v76
	v_min3_f32 v148, v149, v148, v146
	v_add_co_u32 v146, vcc_lo, v78, v0
	v_add_co_ci_u32_e64 v147, null, v79, v1, vcc_lo
	v_min3_f32 v149, v152, v151, v150
	s_mov_b32 vcc_lo, s0
	flat_store_dword v[146:147], v148
	v_max_f32_e32 v146, v149, v149
	s_cbranch_vccz .LBB9_48
; %bb.47:
	v_add_co_u32 v147, vcc_lo, v78, v84
	v_min_f32_e32 v149, 0, v146
	v_add_co_ci_u32_e64 v148, null, v79, v85, vcc_lo
	s_mov_b32 s6, 0
	flat_store_dword v[147:148], v149
.LBB9_48:
	v_mov_b32_e32 v147, 0
	s_andn2_b32 vcc_lo, exec_lo, s6
	s_cbranch_vccnz .LBB9_50
; %bb.49:
	v_add_co_u32 v147, vcc_lo, v80, v84
	v_add_co_ci_u32_e64 v148, null, v81, v85, vcc_lo
	flat_load_dword v147, v[147:148]
	s_waitcnt vmcnt(0) lgkmcnt(0)
	v_mul_f32_e32 v149, s3, v147
	v_add_co_u32 v147, vcc_lo, v78, v84
	v_add_co_ci_u32_e64 v148, null, v79, v85, vcc_lo
	v_add_co_u32 v80, vcc_lo, v80, v86
	v_min_f32_e32 v146, v149, v146
	v_add_co_ci_u32_e64 v81, null, v81, v87, vcc_lo
	flat_store_dword v[147:148], v146
	flat_load_dword v80, v[80:81]
	s_waitcnt vmcnt(0) lgkmcnt(0)
	v_mul_f32_e32 v147, s3, v80
.LBB9_50:
	v_add_f32_e32 v75, v3, v75
	v_add_f32_e32 v74, v2, v74
	;; [unrolled: 1-line block ×6, first 2 shown]
	v_min3_f32 v74, v74, v75, v144
	v_add_f32_e32 v144, v20, v72
	v_min_f32_e32 v75, v76, v77
	v_add_nc_u32_e32 v76, 16, v137
	v_min3_f32 v80, v81, v80, v145
	v_add_f32_e32 v81, v21, v73
	v_add_co_u32 v78, vcc_lo, v78, v86
	v_min3_f32 v145, v147, v75, v74
	v_mad_i64_i32 v[74:75], null, v76, s2, 0
	v_mad_i64_i32 v[76:77], null, v76, s1, 0
	v_add_co_ci_u32_e64 v79, null, v79, v87, vcc_lo
	v_min3_f32 v80, v144, v81, v80
	s_mov_b32 s6, -1
	v_lshlrev_b64 v[74:75], 2, v[74:75]
	flat_store_dword v[78:79], v145
	v_lshlrev_b64 v[76:77], 2, v[76:77]
	v_max_f32_e32 v78, v80, v80
	v_add_co_u32 v74, vcc_lo, s4, v74
	v_add_co_ci_u32_e64 v75, null, s5, v75, vcc_lo
	v_add_co_u32 v76, vcc_lo, s8, v76
	v_add_co_ci_u32_e64 v77, null, s9, v77, vcc_lo
	s_mov_b32 vcc_lo, s0
	s_cbranch_vccz .LBB9_52
; %bb.51:
	v_add_co_u32 v79, vcc_lo, v74, v82
	v_min_f32_e32 v81, 0, v78
	v_add_co_ci_u32_e64 v80, null, v75, v83, vcc_lo
	s_mov_b32 s6, 0
	flat_store_dword v[79:80], v81
.LBB9_52:
	v_mov_b32_e32 v79, 0
	s_andn2_b32 vcc_lo, exec_lo, s6
	s_cbranch_vccnz .LBB9_54
; %bb.53:
	v_add_co_u32 v79, vcc_lo, v76, v82
	v_add_co_ci_u32_e64 v80, null, v77, v83, vcc_lo
	flat_load_dword v79, v[79:80]
	s_waitcnt vmcnt(0) lgkmcnt(0)
	v_mul_f32_e32 v81, s3, v79
	v_add_co_u32 v79, vcc_lo, v74, v82
	v_add_co_ci_u32_e64 v80, null, v75, v83, vcc_lo
	v_add_co_u32 v144, vcc_lo, v76, v0
	v_min_f32_e32 v78, v81, v78
	v_add_co_ci_u32_e64 v145, null, v77, v1, vcc_lo
	flat_store_dword v[79:80], v78
	flat_load_dword v78, v[144:145]
	s_waitcnt vmcnt(0) lgkmcnt(0)
	v_mul_f32_e32 v79, s3, v78
.LBB9_54:
	v_add_f32_e32 v78, v15, v71
	v_add_f32_e32 v80, v14, v70
	;; [unrolled: 1-line block ×6, first 2 shown]
	v_min3_f32 v78, v80, v78, v143
	v_add_f32_e32 v143, v12, v72
	v_min_f32_e32 v80, v144, v81
	s_mov_b32 s6, -1
	v_min3_f32 v81, v146, v145, v142
	v_add_f32_e32 v142, v13, v73
	v_min3_f32 v80, v79, v80, v78
	v_add_co_u32 v78, vcc_lo, v74, v0
	v_add_co_ci_u32_e64 v79, null, v75, v1, vcc_lo
	v_min3_f32 v81, v143, v142, v81
	s_mov_b32 vcc_lo, s0
	flat_store_dword v[78:79], v80
	v_max_f32_e32 v78, v81, v81
	s_cbranch_vccz .LBB9_56
; %bb.55:
	v_add_co_u32 v79, vcc_lo, v74, v84
	v_min_f32_e32 v81, 0, v78
	v_add_co_ci_u32_e64 v80, null, v75, v85, vcc_lo
	s_mov_b32 s6, 0
	flat_store_dword v[79:80], v81
.LBB9_56:
	v_mov_b32_e32 v79, 0
	s_andn2_b32 vcc_lo, exec_lo, s6
	s_cbranch_vccnz .LBB9_58
; %bb.57:
	v_add_co_u32 v79, vcc_lo, v76, v84
	v_add_co_ci_u32_e64 v80, null, v77, v85, vcc_lo
	flat_load_dword v79, v[79:80]
	s_waitcnt vmcnt(0) lgkmcnt(0)
	v_mul_f32_e32 v81, s3, v79
	v_add_co_u32 v79, vcc_lo, v74, v84
	v_add_co_ci_u32_e64 v80, null, v75, v85, vcc_lo
	v_add_co_u32 v76, vcc_lo, v76, v86
	v_min_f32_e32 v78, v81, v78
	v_add_co_ci_u32_e64 v77, null, v77, v87, vcc_lo
	flat_store_dword v[79:80], v78
	flat_load_dword v76, v[76:77]
	s_waitcnt vmcnt(0) lgkmcnt(0)
	v_mul_f32_e32 v79, s3, v76
.LBB9_58:
	v_add_f32_e32 v71, v3, v71
	v_add_f32_e32 v70, v2, v70
	;; [unrolled: 1-line block ×6, first 2 shown]
	v_min3_f32 v70, v70, v71, v140
	v_add_f32_e32 v78, v20, v68
	v_min_f32_e32 v71, v72, v73
	v_add_nc_u32_e32 v72, 24, v137
	v_min3_f32 v76, v77, v76, v141
	v_add_f32_e32 v77, v21, v69
	v_add_co_u32 v74, vcc_lo, v74, v86
	v_min3_f32 v79, v79, v71, v70
	v_mad_i64_i32 v[70:71], null, v72, s2, 0
	v_mad_i64_i32 v[72:73], null, v72, s1, 0
	v_add_co_ci_u32_e64 v75, null, v75, v87, vcc_lo
	v_min3_f32 v76, v78, v77, v76
	s_mov_b32 s6, -1
	v_lshlrev_b64 v[70:71], 2, v[70:71]
	flat_store_dword v[74:75], v79
	v_lshlrev_b64 v[72:73], 2, v[72:73]
	v_max_f32_e32 v74, v76, v76
	v_add_co_u32 v70, vcc_lo, s4, v70
	v_add_co_ci_u32_e64 v71, null, s5, v71, vcc_lo
	v_add_co_u32 v72, vcc_lo, s8, v72
	v_add_co_ci_u32_e64 v73, null, s9, v73, vcc_lo
	s_mov_b32 vcc_lo, s0
	s_cbranch_vccz .LBB9_60
; %bb.59:
	v_add_co_u32 v75, vcc_lo, v70, v82
	v_min_f32_e32 v77, 0, v74
	v_add_co_ci_u32_e64 v76, null, v71, v83, vcc_lo
	s_mov_b32 s6, 0
	flat_store_dword v[75:76], v77
.LBB9_60:
	v_mov_b32_e32 v75, 0
	s_andn2_b32 vcc_lo, exec_lo, s6
	s_cbranch_vccnz .LBB9_62
; %bb.61:
	v_add_co_u32 v75, vcc_lo, v72, v82
	v_add_co_ci_u32_e64 v76, null, v73, v83, vcc_lo
	flat_load_dword v75, v[75:76]
	s_waitcnt vmcnt(0) lgkmcnt(0)
	v_mul_f32_e32 v77, s3, v75
	v_add_co_u32 v75, vcc_lo, v70, v82
	v_add_co_ci_u32_e64 v76, null, v71, v83, vcc_lo
	v_min_f32_e32 v74, v77, v74
	v_add_co_u32 v77, vcc_lo, v72, v0
	v_add_co_ci_u32_e64 v78, null, v73, v1, vcc_lo
	flat_store_dword v[75:76], v74
	flat_load_dword v74, v[77:78]
	s_waitcnt vmcnt(0) lgkmcnt(0)
	v_mul_f32_e32 v75, s3, v74
.LBB9_62:
	v_add_f32_e32 v74, v15, v67
	v_add_f32_e32 v76, v14, v66
	;; [unrolled: 1-line block ×6, first 2 shown]
	v_min3_f32 v74, v76, v74, v138
	s_mov_b32 s6, -1
	v_min_f32_e32 v76, v78, v77
	v_add_f32_e32 v78, v13, v69
	v_min3_f32 v77, v80, v79, v139
	v_add_f32_e32 v79, v12, v68
	v_min3_f32 v76, v75, v76, v74
	v_add_co_u32 v74, vcc_lo, v70, v0
	v_add_co_ci_u32_e64 v75, null, v71, v1, vcc_lo
	v_min3_f32 v77, v79, v78, v77
	s_mov_b32 vcc_lo, s0
	flat_store_dword v[74:75], v76
	v_max_f32_e32 v74, v77, v77
	s_cbranch_vccz .LBB9_64
; %bb.63:
	v_add_co_u32 v75, vcc_lo, v70, v84
	v_min_f32_e32 v77, 0, v74
	v_add_co_ci_u32_e64 v76, null, v71, v85, vcc_lo
	s_mov_b32 s6, 0
	flat_store_dword v[75:76], v77
.LBB9_64:
	v_mov_b32_e32 v75, 0
	s_andn2_b32 vcc_lo, exec_lo, s6
	s_cbranch_vccnz .LBB9_66
; %bb.65:
	v_add_co_u32 v75, vcc_lo, v72, v84
	v_add_co_ci_u32_e64 v76, null, v73, v85, vcc_lo
	flat_load_dword v75, v[75:76]
	s_waitcnt vmcnt(0) lgkmcnt(0)
	v_mul_f32_e32 v77, s3, v75
	v_add_co_u32 v75, vcc_lo, v70, v84
	v_add_co_ci_u32_e64 v76, null, v71, v85, vcc_lo
	v_add_co_u32 v72, vcc_lo, v72, v86
	v_min_f32_e32 v74, v77, v74
	v_add_co_ci_u32_e64 v73, null, v73, v87, vcc_lo
	flat_store_dword v[75:76], v74
	flat_load_dword v72, v[72:73]
	s_waitcnt vmcnt(0) lgkmcnt(0)
	v_mul_f32_e32 v75, s3, v72
.LBB9_66:
	v_add_f32_e32 v67, v3, v67
	v_add_f32_e32 v66, v2, v66
	v_add_f32_e32 v69, v5, v69
	v_add_f32_e32 v68, v4, v68
	v_add_f32_e32 v72, v19, v63
	v_add_f32_e32 v73, v18, v62
	v_min3_f32 v66, v66, v67, v135
	v_add_f32_e32 v74, v20, v64
	v_min_f32_e32 v67, v68, v69
	v_add_nc_u32_e32 v68, 32, v137
	v_min3_f32 v72, v73, v72, v136
	v_add_f32_e32 v73, v21, v65
	v_add_co_u32 v70, vcc_lo, v70, v86
	v_min3_f32 v75, v75, v67, v66
	v_mad_i64_i32 v[66:67], null, v68, s2, 0
	v_mad_i64_i32 v[68:69], null, v68, s1, 0
	v_add_co_ci_u32_e64 v71, null, v71, v87, vcc_lo
	v_min3_f32 v72, v74, v73, v72
	s_mov_b32 s6, -1
	v_lshlrev_b64 v[66:67], 2, v[66:67]
	flat_store_dword v[70:71], v75
	v_lshlrev_b64 v[68:69], 2, v[68:69]
	v_max_f32_e32 v70, v72, v72
	v_add_co_u32 v66, vcc_lo, s4, v66
	v_add_co_ci_u32_e64 v67, null, s5, v67, vcc_lo
	v_add_co_u32 v68, vcc_lo, s8, v68
	v_add_co_ci_u32_e64 v69, null, s9, v69, vcc_lo
	s_mov_b32 vcc_lo, s0
	s_cbranch_vccz .LBB9_68
; %bb.67:
	v_add_co_u32 v71, vcc_lo, v66, v82
	v_min_f32_e32 v73, 0, v70
	v_add_co_ci_u32_e64 v72, null, v67, v83, vcc_lo
	s_mov_b32 s6, 0
	flat_store_dword v[71:72], v73
.LBB9_68:
	v_mov_b32_e32 v71, 0
	s_andn2_b32 vcc_lo, exec_lo, s6
	s_cbranch_vccnz .LBB9_70
; %bb.69:
	v_add_co_u32 v71, vcc_lo, v68, v82
	v_add_co_ci_u32_e64 v72, null, v69, v83, vcc_lo
	flat_load_dword v71, v[71:72]
	s_waitcnt vmcnt(0) lgkmcnt(0)
	v_mul_f32_e32 v73, s3, v71
	v_add_co_u32 v71, vcc_lo, v66, v82
	v_add_co_ci_u32_e64 v72, null, v67, v83, vcc_lo
	v_min_f32_e32 v70, v73, v70
	v_add_co_u32 v73, vcc_lo, v68, v0
	v_add_co_ci_u32_e64 v74, null, v69, v1, vcc_lo
	flat_store_dword v[71:72], v70
	flat_load_dword v70, v[73:74]
	s_waitcnt vmcnt(0) lgkmcnt(0)
	v_mul_f32_e32 v71, s3, v70
.LBB9_70:
	v_add_f32_e32 v70, v15, v63
	v_add_f32_e32 v72, v14, v62
	;; [unrolled: 1-line block ×6, first 2 shown]
	v_min3_f32 v70, v72, v70, v133
	s_mov_b32 s6, -1
	v_min_f32_e32 v72, v74, v73
	v_add_f32_e32 v74, v13, v65
	v_min3_f32 v73, v76, v75, v134
	v_add_f32_e32 v75, v12, v64
	v_min3_f32 v72, v71, v72, v70
	v_add_co_u32 v70, vcc_lo, v66, v0
	v_add_co_ci_u32_e64 v71, null, v67, v1, vcc_lo
	v_min3_f32 v73, v75, v74, v73
	s_mov_b32 vcc_lo, s0
	flat_store_dword v[70:71], v72
	v_max_f32_e32 v70, v73, v73
	s_cbranch_vccz .LBB9_72
; %bb.71:
	v_add_co_u32 v71, vcc_lo, v66, v84
	v_min_f32_e32 v73, 0, v70
	v_add_co_ci_u32_e64 v72, null, v67, v85, vcc_lo
	s_mov_b32 s6, 0
	flat_store_dword v[71:72], v73
.LBB9_72:
	v_mov_b32_e32 v71, 0
	s_andn2_b32 vcc_lo, exec_lo, s6
	s_cbranch_vccnz .LBB9_74
; %bb.73:
	v_add_co_u32 v71, vcc_lo, v68, v84
	v_add_co_ci_u32_e64 v72, null, v69, v85, vcc_lo
	flat_load_dword v71, v[71:72]
	s_waitcnt vmcnt(0) lgkmcnt(0)
	v_mul_f32_e32 v73, s3, v71
	v_add_co_u32 v71, vcc_lo, v66, v84
	v_add_co_ci_u32_e64 v72, null, v67, v85, vcc_lo
	v_add_co_u32 v68, vcc_lo, v68, v86
	v_min_f32_e32 v70, v73, v70
	v_add_co_ci_u32_e64 v69, null, v69, v87, vcc_lo
	flat_store_dword v[71:72], v70
	flat_load_dword v68, v[68:69]
	s_waitcnt vmcnt(0) lgkmcnt(0)
	v_mul_f32_e32 v71, s3, v68
.LBB9_74:
	v_add_f32_e32 v63, v3, v63
	v_add_f32_e32 v62, v2, v62
	;; [unrolled: 1-line block ×6, first 2 shown]
	v_min3_f32 v62, v62, v63, v131
	v_add_f32_e32 v70, v20, v60
	v_min_f32_e32 v63, v64, v65
	v_add_nc_u32_e32 v64, 40, v137
	v_min3_f32 v68, v69, v68, v132
	v_add_f32_e32 v69, v21, v61
	v_add_co_u32 v66, vcc_lo, v66, v86
	v_min3_f32 v71, v71, v63, v62
	v_mad_i64_i32 v[62:63], null, v64, s2, 0
	v_mad_i64_i32 v[64:65], null, v64, s1, 0
	v_add_co_ci_u32_e64 v67, null, v67, v87, vcc_lo
	v_min3_f32 v68, v70, v69, v68
	s_mov_b32 s6, -1
	v_lshlrev_b64 v[62:63], 2, v[62:63]
	flat_store_dword v[66:67], v71
	v_lshlrev_b64 v[64:65], 2, v[64:65]
	v_max_f32_e32 v66, v68, v68
	v_add_co_u32 v62, vcc_lo, s4, v62
	v_add_co_ci_u32_e64 v63, null, s5, v63, vcc_lo
	v_add_co_u32 v64, vcc_lo, s8, v64
	v_add_co_ci_u32_e64 v65, null, s9, v65, vcc_lo
	s_mov_b32 vcc_lo, s0
	s_cbranch_vccz .LBB9_76
; %bb.75:
	v_add_co_u32 v67, vcc_lo, v62, v82
	v_min_f32_e32 v69, 0, v66
	v_add_co_ci_u32_e64 v68, null, v63, v83, vcc_lo
	s_mov_b32 s6, 0
	flat_store_dword v[67:68], v69
.LBB9_76:
	v_mov_b32_e32 v67, 0
	s_andn2_b32 vcc_lo, exec_lo, s6
	s_cbranch_vccnz .LBB9_78
; %bb.77:
	v_add_co_u32 v67, vcc_lo, v64, v82
	v_add_co_ci_u32_e64 v68, null, v65, v83, vcc_lo
	flat_load_dword v67, v[67:68]
	s_waitcnt vmcnt(0) lgkmcnt(0)
	v_mul_f32_e32 v69, s3, v67
	v_add_co_u32 v67, vcc_lo, v62, v82
	v_add_co_ci_u32_e64 v68, null, v63, v83, vcc_lo
	v_min_f32_e32 v66, v69, v66
	v_add_co_u32 v69, vcc_lo, v64, v0
	v_add_co_ci_u32_e64 v70, null, v65, v1, vcc_lo
	flat_store_dword v[67:68], v66
	flat_load_dword v66, v[69:70]
	s_waitcnt vmcnt(0) lgkmcnt(0)
	v_mul_f32_e32 v67, s3, v66
.LBB9_78:
	v_add_f32_e32 v66, v15, v59
	v_add_f32_e32 v68, v14, v58
	;; [unrolled: 1-line block ×6, first 2 shown]
	v_min3_f32 v66, v68, v66, v129
	s_mov_b32 s6, -1
	v_min_f32_e32 v68, v70, v69
	v_add_f32_e32 v70, v13, v61
	v_min3_f32 v69, v72, v71, v130
	v_add_f32_e32 v71, v12, v60
	v_min3_f32 v68, v67, v68, v66
	v_add_co_u32 v66, vcc_lo, v62, v0
	v_add_co_ci_u32_e64 v67, null, v63, v1, vcc_lo
	v_min3_f32 v69, v71, v70, v69
	s_mov_b32 vcc_lo, s0
	flat_store_dword v[66:67], v68
	v_max_f32_e32 v66, v69, v69
	s_cbranch_vccz .LBB9_80
; %bb.79:
	v_add_co_u32 v67, vcc_lo, v62, v84
	v_min_f32_e32 v69, 0, v66
	v_add_co_ci_u32_e64 v68, null, v63, v85, vcc_lo
	s_mov_b32 s6, 0
	flat_store_dword v[67:68], v69
.LBB9_80:
	v_mov_b32_e32 v67, 0
	s_andn2_b32 vcc_lo, exec_lo, s6
	s_cbranch_vccnz .LBB9_82
; %bb.81:
	v_add_co_u32 v67, vcc_lo, v64, v84
	v_add_co_ci_u32_e64 v68, null, v65, v85, vcc_lo
	flat_load_dword v67, v[67:68]
	s_waitcnt vmcnt(0) lgkmcnt(0)
	v_mul_f32_e32 v69, s3, v67
	v_add_co_u32 v67, vcc_lo, v62, v84
	v_add_co_ci_u32_e64 v68, null, v63, v85, vcc_lo
	v_add_co_u32 v64, vcc_lo, v64, v86
	v_min_f32_e32 v66, v69, v66
	v_add_co_ci_u32_e64 v65, null, v65, v87, vcc_lo
	flat_store_dword v[67:68], v66
	flat_load_dword v64, v[64:65]
	s_waitcnt vmcnt(0) lgkmcnt(0)
	v_mul_f32_e32 v67, s3, v64
.LBB9_82:
	v_add_f32_e32 v59, v3, v59
	v_add_f32_e32 v58, v2, v58
	;; [unrolled: 1-line block ×6, first 2 shown]
	v_min3_f32 v58, v58, v59, v127
	v_add_f32_e32 v66, v20, v56
	v_min_f32_e32 v59, v60, v61
	v_add_nc_u32_e32 v60, 48, v137
	v_min3_f32 v64, v65, v64, v128
	v_add_f32_e32 v65, v21, v57
	v_add_co_u32 v62, vcc_lo, v62, v86
	v_min3_f32 v67, v67, v59, v58
	v_mad_i64_i32 v[58:59], null, v60, s2, 0
	v_mad_i64_i32 v[60:61], null, v60, s1, 0
	v_add_co_ci_u32_e64 v63, null, v63, v87, vcc_lo
	v_min3_f32 v64, v66, v65, v64
	s_mov_b32 s6, -1
	v_lshlrev_b64 v[58:59], 2, v[58:59]
	flat_store_dword v[62:63], v67
	v_lshlrev_b64 v[60:61], 2, v[60:61]
	v_max_f32_e32 v62, v64, v64
	v_add_co_u32 v58, vcc_lo, s4, v58
	v_add_co_ci_u32_e64 v59, null, s5, v59, vcc_lo
	v_add_co_u32 v60, vcc_lo, s8, v60
	v_add_co_ci_u32_e64 v61, null, s9, v61, vcc_lo
	s_mov_b32 vcc_lo, s0
	s_cbranch_vccz .LBB9_84
; %bb.83:
	v_add_co_u32 v63, vcc_lo, v58, v82
	v_min_f32_e32 v65, 0, v62
	v_add_co_ci_u32_e64 v64, null, v59, v83, vcc_lo
	s_mov_b32 s6, 0
	flat_store_dword v[63:64], v65
.LBB9_84:
	v_mov_b32_e32 v63, 0
	s_andn2_b32 vcc_lo, exec_lo, s6
	s_cbranch_vccnz .LBB9_86
; %bb.85:
	v_add_co_u32 v63, vcc_lo, v60, v82
	v_add_co_ci_u32_e64 v64, null, v61, v83, vcc_lo
	flat_load_dword v63, v[63:64]
	s_waitcnt vmcnt(0) lgkmcnt(0)
	v_mul_f32_e32 v65, s3, v63
	v_add_co_u32 v63, vcc_lo, v58, v82
	v_add_co_ci_u32_e64 v64, null, v59, v83, vcc_lo
	v_min_f32_e32 v62, v65, v62
	v_add_co_u32 v65, vcc_lo, v60, v0
	v_add_co_ci_u32_e64 v66, null, v61, v1, vcc_lo
	flat_store_dword v[63:64], v62
	flat_load_dword v62, v[65:66]
	s_waitcnt vmcnt(0) lgkmcnt(0)
	v_mul_f32_e32 v63, s3, v62
.LBB9_86:
	v_add_f32_e32 v62, v15, v55
	v_add_f32_e32 v64, v14, v54
	;; [unrolled: 1-line block ×6, first 2 shown]
	v_min3_f32 v62, v64, v62, v125
	s_mov_b32 s6, -1
	v_min_f32_e32 v64, v66, v65
	v_add_f32_e32 v66, v13, v57
	v_min3_f32 v65, v68, v67, v126
	v_add_f32_e32 v67, v12, v56
	v_min3_f32 v64, v63, v64, v62
	v_add_co_u32 v62, vcc_lo, v58, v0
	v_add_co_ci_u32_e64 v63, null, v59, v1, vcc_lo
	v_min3_f32 v65, v67, v66, v65
	s_mov_b32 vcc_lo, s0
	flat_store_dword v[62:63], v64
	v_max_f32_e32 v62, v65, v65
	s_cbranch_vccz .LBB9_88
; %bb.87:
	v_add_co_u32 v63, vcc_lo, v58, v84
	v_min_f32_e32 v65, 0, v62
	v_add_co_ci_u32_e64 v64, null, v59, v85, vcc_lo
	s_mov_b32 s6, 0
	flat_store_dword v[63:64], v65
.LBB9_88:
	v_mov_b32_e32 v63, 0
	s_andn2_b32 vcc_lo, exec_lo, s6
	s_cbranch_vccnz .LBB9_90
; %bb.89:
	v_add_co_u32 v63, vcc_lo, v60, v84
	v_add_co_ci_u32_e64 v64, null, v61, v85, vcc_lo
	flat_load_dword v63, v[63:64]
	s_waitcnt vmcnt(0) lgkmcnt(0)
	v_mul_f32_e32 v65, s3, v63
	v_add_co_u32 v63, vcc_lo, v58, v84
	v_add_co_ci_u32_e64 v64, null, v59, v85, vcc_lo
	v_add_co_u32 v60, vcc_lo, v60, v86
	v_min_f32_e32 v62, v65, v62
	v_add_co_ci_u32_e64 v61, null, v61, v87, vcc_lo
	flat_store_dword v[63:64], v62
	flat_load_dword v60, v[60:61]
	s_waitcnt vmcnt(0) lgkmcnt(0)
	v_mul_f32_e32 v63, s3, v60
.LBB9_90:
	v_add_f32_e32 v55, v3, v55
	v_add_f32_e32 v54, v2, v54
	;; [unrolled: 1-line block ×6, first 2 shown]
	v_min3_f32 v54, v54, v55, v123
	v_add_f32_e32 v62, v20, v52
	v_min_f32_e32 v55, v56, v57
	v_add_nc_u32_e32 v56, 56, v137
	v_min3_f32 v60, v61, v60, v124
	v_add_f32_e32 v61, v21, v53
	v_add_co_u32 v58, vcc_lo, v58, v86
	v_min3_f32 v63, v63, v55, v54
	v_mad_i64_i32 v[54:55], null, v56, s2, 0
	v_mad_i64_i32 v[56:57], null, v56, s1, 0
	v_add_co_ci_u32_e64 v59, null, v59, v87, vcc_lo
	v_min3_f32 v60, v62, v61, v60
	s_mov_b32 s6, -1
	v_lshlrev_b64 v[54:55], 2, v[54:55]
	flat_store_dword v[58:59], v63
	v_lshlrev_b64 v[56:57], 2, v[56:57]
	v_max_f32_e32 v58, v60, v60
	v_add_co_u32 v54, vcc_lo, s4, v54
	v_add_co_ci_u32_e64 v55, null, s5, v55, vcc_lo
	v_add_co_u32 v56, vcc_lo, s8, v56
	v_add_co_ci_u32_e64 v57, null, s9, v57, vcc_lo
	s_mov_b32 vcc_lo, s0
	s_cbranch_vccz .LBB9_92
; %bb.91:
	v_add_co_u32 v59, vcc_lo, v54, v82
	v_min_f32_e32 v61, 0, v58
	v_add_co_ci_u32_e64 v60, null, v55, v83, vcc_lo
	s_mov_b32 s6, 0
	flat_store_dword v[59:60], v61
.LBB9_92:
	v_mov_b32_e32 v59, 0
	s_andn2_b32 vcc_lo, exec_lo, s6
	s_cbranch_vccnz .LBB9_94
; %bb.93:
	v_add_co_u32 v59, vcc_lo, v56, v82
	v_add_co_ci_u32_e64 v60, null, v57, v83, vcc_lo
	flat_load_dword v59, v[59:60]
	s_waitcnt vmcnt(0) lgkmcnt(0)
	v_mul_f32_e32 v61, s3, v59
	v_add_co_u32 v59, vcc_lo, v54, v82
	v_add_co_ci_u32_e64 v60, null, v55, v83, vcc_lo
	v_min_f32_e32 v58, v61, v58
	v_add_co_u32 v61, vcc_lo, v56, v0
	v_add_co_ci_u32_e64 v62, null, v57, v1, vcc_lo
	flat_store_dword v[59:60], v58
	flat_load_dword v58, v[61:62]
	s_waitcnt vmcnt(0) lgkmcnt(0)
	v_mul_f32_e32 v59, s3, v58
.LBB9_94:
	v_add_f32_e32 v58, v15, v51
	v_add_f32_e32 v60, v14, v50
	;; [unrolled: 1-line block ×6, first 2 shown]
	v_min3_f32 v58, v60, v58, v122
	s_mov_b32 s6, -1
	v_min_f32_e32 v60, v62, v61
	v_add_f32_e32 v62, v13, v53
	v_min3_f32 v61, v64, v63, v121
	v_add_f32_e32 v63, v12, v52
	v_min3_f32 v60, v59, v60, v58
	v_add_co_u32 v58, vcc_lo, v54, v0
	v_add_co_ci_u32_e64 v59, null, v55, v1, vcc_lo
	v_min3_f32 v61, v63, v62, v61
	s_mov_b32 vcc_lo, s0
	flat_store_dword v[58:59], v60
	v_max_f32_e32 v58, v61, v61
	s_cbranch_vccz .LBB9_96
; %bb.95:
	v_add_co_u32 v59, vcc_lo, v54, v84
	v_min_f32_e32 v61, 0, v58
	v_add_co_ci_u32_e64 v60, null, v55, v85, vcc_lo
	s_mov_b32 s6, 0
	flat_store_dword v[59:60], v61
.LBB9_96:
	v_mov_b32_e32 v59, 0
	s_andn2_b32 vcc_lo, exec_lo, s6
	s_cbranch_vccnz .LBB9_98
; %bb.97:
	v_add_co_u32 v59, vcc_lo, v56, v84
	v_add_co_ci_u32_e64 v60, null, v57, v85, vcc_lo
	flat_load_dword v59, v[59:60]
	s_waitcnt vmcnt(0) lgkmcnt(0)
	v_mul_f32_e32 v61, s3, v59
	v_add_co_u32 v59, vcc_lo, v54, v84
	v_add_co_ci_u32_e64 v60, null, v55, v85, vcc_lo
	v_add_co_u32 v56, vcc_lo, v56, v86
	v_min_f32_e32 v58, v61, v58
	v_add_co_ci_u32_e64 v57, null, v57, v87, vcc_lo
	flat_store_dword v[59:60], v58
	flat_load_dword v56, v[56:57]
	s_waitcnt vmcnt(0) lgkmcnt(0)
	v_mul_f32_e32 v59, s3, v56
.LBB9_98:
	v_add_f32_e32 v51, v3, v51
	v_add_f32_e32 v50, v2, v50
	;; [unrolled: 1-line block ×6, first 2 shown]
	v_min3_f32 v50, v50, v51, v119
	v_add_f32_e32 v58, v20, v48
	v_min_f32_e32 v51, v52, v53
	v_add_nc_u32_e32 v52, 64, v137
	v_min3_f32 v56, v57, v56, v120
	v_add_f32_e32 v57, v21, v49
	v_add_co_u32 v54, vcc_lo, v54, v86
	v_min3_f32 v59, v59, v51, v50
	v_mad_i64_i32 v[50:51], null, v52, s2, 0
	v_mad_i64_i32 v[52:53], null, v52, s1, 0
	v_add_co_ci_u32_e64 v55, null, v55, v87, vcc_lo
	v_min3_f32 v56, v58, v57, v56
	s_mov_b32 s6, -1
	v_lshlrev_b64 v[50:51], 2, v[50:51]
	flat_store_dword v[54:55], v59
	v_lshlrev_b64 v[52:53], 2, v[52:53]
	v_max_f32_e32 v54, v56, v56
	v_add_co_u32 v50, vcc_lo, s4, v50
	v_add_co_ci_u32_e64 v51, null, s5, v51, vcc_lo
	v_add_co_u32 v52, vcc_lo, s8, v52
	v_add_co_ci_u32_e64 v53, null, s9, v53, vcc_lo
	s_mov_b32 vcc_lo, s0
	s_cbranch_vccz .LBB9_100
; %bb.99:
	v_add_co_u32 v55, vcc_lo, v50, v82
	v_min_f32_e32 v57, 0, v54
	v_add_co_ci_u32_e64 v56, null, v51, v83, vcc_lo
	s_mov_b32 s6, 0
	flat_store_dword v[55:56], v57
.LBB9_100:
	v_mov_b32_e32 v55, 0
	s_andn2_b32 vcc_lo, exec_lo, s6
	s_cbranch_vccnz .LBB9_102
; %bb.101:
	v_add_co_u32 v55, vcc_lo, v52, v82
	v_add_co_ci_u32_e64 v56, null, v53, v83, vcc_lo
	flat_load_dword v55, v[55:56]
	s_waitcnt vmcnt(0) lgkmcnt(0)
	v_mul_f32_e32 v57, s3, v55
	v_add_co_u32 v55, vcc_lo, v50, v82
	v_add_co_ci_u32_e64 v56, null, v51, v83, vcc_lo
	v_min_f32_e32 v54, v57, v54
	v_add_co_u32 v57, vcc_lo, v52, v0
	v_add_co_ci_u32_e64 v58, null, v53, v1, vcc_lo
	flat_store_dword v[55:56], v54
	flat_load_dword v54, v[57:58]
	s_waitcnt vmcnt(0) lgkmcnt(0)
	v_mul_f32_e32 v55, s3, v54
.LBB9_102:
	v_add_f32_e32 v54, v15, v47
	v_add_f32_e32 v56, v14, v46
	v_add_f32_e32 v57, v17, v49
	v_add_f32_e32 v58, v16, v48
	v_add_f32_e32 v59, v11, v47
	v_add_f32_e32 v60, v10, v46
	v_min3_f32 v54, v56, v54, v117
	s_mov_b32 s6, -1
	v_min_f32_e32 v56, v58, v57
	v_add_f32_e32 v58, v13, v49
	v_min3_f32 v57, v60, v59, v118
	v_add_f32_e32 v59, v12, v48
	v_min3_f32 v56, v55, v56, v54
	v_add_co_u32 v54, vcc_lo, v50, v0
	v_add_co_ci_u32_e64 v55, null, v51, v1, vcc_lo
	v_min3_f32 v57, v59, v58, v57
	s_mov_b32 vcc_lo, s0
	flat_store_dword v[54:55], v56
	v_max_f32_e32 v54, v57, v57
	s_cbranch_vccz .LBB9_104
; %bb.103:
	v_add_co_u32 v55, vcc_lo, v50, v84
	v_min_f32_e32 v57, 0, v54
	v_add_co_ci_u32_e64 v56, null, v51, v85, vcc_lo
	s_mov_b32 s6, 0
	flat_store_dword v[55:56], v57
.LBB9_104:
	v_mov_b32_e32 v55, 0
	s_andn2_b32 vcc_lo, exec_lo, s6
	s_cbranch_vccnz .LBB9_106
; %bb.105:
	v_add_co_u32 v55, vcc_lo, v52, v84
	v_add_co_ci_u32_e64 v56, null, v53, v85, vcc_lo
	flat_load_dword v55, v[55:56]
	s_waitcnt vmcnt(0) lgkmcnt(0)
	v_mul_f32_e32 v57, s3, v55
	v_add_co_u32 v55, vcc_lo, v50, v84
	v_add_co_ci_u32_e64 v56, null, v51, v85, vcc_lo
	v_add_co_u32 v52, vcc_lo, v52, v86
	v_min_f32_e32 v54, v57, v54
	v_add_co_ci_u32_e64 v53, null, v53, v87, vcc_lo
	flat_store_dword v[55:56], v54
	flat_load_dword v52, v[52:53]
	s_waitcnt vmcnt(0) lgkmcnt(0)
	v_mul_f32_e32 v55, s3, v52
.LBB9_106:
	v_add_f32_e32 v47, v3, v47
	v_add_f32_e32 v46, v2, v46
	;; [unrolled: 1-line block ×6, first 2 shown]
	v_min3_f32 v46, v46, v47, v115
	v_add_f32_e32 v54, v20, v44
	v_min_f32_e32 v47, v48, v49
	v_add_nc_u32_e32 v48, 0x48, v137
	v_min3_f32 v52, v53, v52, v116
	v_add_f32_e32 v53, v21, v45
	v_add_co_u32 v50, vcc_lo, v50, v86
	v_min3_f32 v55, v55, v47, v46
	v_mad_i64_i32 v[46:47], null, v48, s2, 0
	v_mad_i64_i32 v[48:49], null, v48, s1, 0
	v_add_co_ci_u32_e64 v51, null, v51, v87, vcc_lo
	v_min3_f32 v52, v54, v53, v52
	s_mov_b32 s6, -1
	v_lshlrev_b64 v[46:47], 2, v[46:47]
	flat_store_dword v[50:51], v55
	v_lshlrev_b64 v[48:49], 2, v[48:49]
	v_max_f32_e32 v50, v52, v52
	v_add_co_u32 v46, vcc_lo, s4, v46
	v_add_co_ci_u32_e64 v47, null, s5, v47, vcc_lo
	v_add_co_u32 v48, vcc_lo, s8, v48
	v_add_co_ci_u32_e64 v49, null, s9, v49, vcc_lo
	s_mov_b32 vcc_lo, s0
	s_cbranch_vccz .LBB9_108
; %bb.107:
	v_add_co_u32 v51, vcc_lo, v46, v82
	v_min_f32_e32 v53, 0, v50
	v_add_co_ci_u32_e64 v52, null, v47, v83, vcc_lo
	s_mov_b32 s6, 0
	flat_store_dword v[51:52], v53
.LBB9_108:
	v_mov_b32_e32 v51, 0
	s_andn2_b32 vcc_lo, exec_lo, s6
	s_cbranch_vccnz .LBB9_110
; %bb.109:
	v_add_co_u32 v51, vcc_lo, v48, v82
	v_add_co_ci_u32_e64 v52, null, v49, v83, vcc_lo
	flat_load_dword v51, v[51:52]
	s_waitcnt vmcnt(0) lgkmcnt(0)
	v_mul_f32_e32 v53, s3, v51
	v_add_co_u32 v51, vcc_lo, v46, v82
	v_add_co_ci_u32_e64 v52, null, v47, v83, vcc_lo
	v_min_f32_e32 v50, v53, v50
	v_add_co_u32 v53, vcc_lo, v48, v0
	v_add_co_ci_u32_e64 v54, null, v49, v1, vcc_lo
	flat_store_dword v[51:52], v50
	flat_load_dword v50, v[53:54]
	s_waitcnt vmcnt(0) lgkmcnt(0)
	v_mul_f32_e32 v51, s3, v50
.LBB9_110:
	v_add_f32_e32 v50, v15, v43
	v_add_f32_e32 v52, v14, v42
	;; [unrolled: 1-line block ×6, first 2 shown]
	v_min3_f32 v50, v52, v50, v113
	s_mov_b32 s6, -1
	v_min_f32_e32 v52, v54, v53
	v_add_f32_e32 v54, v13, v45
	v_min3_f32 v53, v56, v55, v114
	v_add_f32_e32 v55, v12, v44
	v_min3_f32 v52, v51, v52, v50
	v_add_co_u32 v50, vcc_lo, v46, v0
	v_add_co_ci_u32_e64 v51, null, v47, v1, vcc_lo
	v_min3_f32 v53, v55, v54, v53
	s_mov_b32 vcc_lo, s0
	flat_store_dword v[50:51], v52
	v_max_f32_e32 v50, v53, v53
	s_cbranch_vccz .LBB9_112
; %bb.111:
	v_add_co_u32 v51, vcc_lo, v46, v84
	v_min_f32_e32 v53, 0, v50
	v_add_co_ci_u32_e64 v52, null, v47, v85, vcc_lo
	s_mov_b32 s6, 0
	flat_store_dword v[51:52], v53
.LBB9_112:
	v_mov_b32_e32 v51, 0
	s_andn2_b32 vcc_lo, exec_lo, s6
	s_cbranch_vccnz .LBB9_114
; %bb.113:
	v_add_co_u32 v51, vcc_lo, v48, v84
	v_add_co_ci_u32_e64 v52, null, v49, v85, vcc_lo
	flat_load_dword v51, v[51:52]
	s_waitcnt vmcnt(0) lgkmcnt(0)
	v_mul_f32_e32 v53, s3, v51
	v_add_co_u32 v51, vcc_lo, v46, v84
	v_add_co_ci_u32_e64 v52, null, v47, v85, vcc_lo
	v_add_co_u32 v48, vcc_lo, v48, v86
	v_min_f32_e32 v50, v53, v50
	v_add_co_ci_u32_e64 v49, null, v49, v87, vcc_lo
	flat_store_dword v[51:52], v50
	flat_load_dword v48, v[48:49]
	s_waitcnt vmcnt(0) lgkmcnt(0)
	v_mul_f32_e32 v51, s3, v48
.LBB9_114:
	v_add_f32_e32 v43, v3, v43
	v_add_f32_e32 v42, v2, v42
	;; [unrolled: 1-line block ×6, first 2 shown]
	v_min3_f32 v42, v42, v43, v111
	v_add_f32_e32 v50, v20, v40
	v_min_f32_e32 v43, v44, v45
	v_add_nc_u32_e32 v44, 0x50, v137
	v_min3_f32 v48, v49, v48, v112
	v_add_f32_e32 v49, v21, v41
	v_add_co_u32 v46, vcc_lo, v46, v86
	v_min3_f32 v51, v51, v43, v42
	v_mad_i64_i32 v[42:43], null, v44, s2, 0
	v_mad_i64_i32 v[44:45], null, v44, s1, 0
	v_add_co_ci_u32_e64 v47, null, v47, v87, vcc_lo
	v_min3_f32 v48, v50, v49, v48
	s_mov_b32 s6, -1
	v_lshlrev_b64 v[42:43], 2, v[42:43]
	flat_store_dword v[46:47], v51
	v_lshlrev_b64 v[44:45], 2, v[44:45]
	v_max_f32_e32 v46, v48, v48
	v_add_co_u32 v42, vcc_lo, s4, v42
	v_add_co_ci_u32_e64 v43, null, s5, v43, vcc_lo
	v_add_co_u32 v44, vcc_lo, s8, v44
	v_add_co_ci_u32_e64 v45, null, s9, v45, vcc_lo
	s_mov_b32 vcc_lo, s0
	s_cbranch_vccz .LBB9_116
; %bb.115:
	v_add_co_u32 v47, vcc_lo, v42, v82
	v_min_f32_e32 v49, 0, v46
	v_add_co_ci_u32_e64 v48, null, v43, v83, vcc_lo
	s_mov_b32 s6, 0
	flat_store_dword v[47:48], v49
.LBB9_116:
	v_mov_b32_e32 v47, 0
	s_andn2_b32 vcc_lo, exec_lo, s6
	s_cbranch_vccnz .LBB9_118
; %bb.117:
	v_add_co_u32 v47, vcc_lo, v44, v82
	v_add_co_ci_u32_e64 v48, null, v45, v83, vcc_lo
	flat_load_dword v47, v[47:48]
	s_waitcnt vmcnt(0) lgkmcnt(0)
	v_mul_f32_e32 v49, s3, v47
	v_add_co_u32 v47, vcc_lo, v42, v82
	v_add_co_ci_u32_e64 v48, null, v43, v83, vcc_lo
	v_min_f32_e32 v46, v49, v46
	v_add_co_u32 v49, vcc_lo, v44, v0
	v_add_co_ci_u32_e64 v50, null, v45, v1, vcc_lo
	flat_store_dword v[47:48], v46
	flat_load_dword v46, v[49:50]
	s_waitcnt vmcnt(0) lgkmcnt(0)
	v_mul_f32_e32 v47, s3, v46
.LBB9_118:
	v_add_f32_e32 v46, v15, v39
	v_add_f32_e32 v48, v14, v38
	v_add_f32_e32 v49, v17, v41
	v_add_f32_e32 v50, v16, v40
	v_add_f32_e32 v51, v11, v39
	v_add_f32_e32 v52, v10, v38
	v_min3_f32 v46, v48, v46, v109
	s_mov_b32 s6, -1
	v_min_f32_e32 v48, v50, v49
	v_add_f32_e32 v50, v13, v41
	v_min3_f32 v49, v52, v51, v110
	v_add_f32_e32 v51, v12, v40
	v_min3_f32 v48, v47, v48, v46
	v_add_co_u32 v46, vcc_lo, v42, v0
	v_add_co_ci_u32_e64 v47, null, v43, v1, vcc_lo
	v_min3_f32 v49, v51, v50, v49
	s_mov_b32 vcc_lo, s0
	flat_store_dword v[46:47], v48
	v_max_f32_e32 v46, v49, v49
	s_cbranch_vccz .LBB9_120
; %bb.119:
	v_add_co_u32 v47, vcc_lo, v42, v84
	v_min_f32_e32 v49, 0, v46
	v_add_co_ci_u32_e64 v48, null, v43, v85, vcc_lo
	s_mov_b32 s6, 0
	flat_store_dword v[47:48], v49
.LBB9_120:
	v_mov_b32_e32 v47, 0
	s_andn2_b32 vcc_lo, exec_lo, s6
	s_cbranch_vccnz .LBB9_122
; %bb.121:
	v_add_co_u32 v47, vcc_lo, v44, v84
	v_add_co_ci_u32_e64 v48, null, v45, v85, vcc_lo
	flat_load_dword v47, v[47:48]
	s_waitcnt vmcnt(0) lgkmcnt(0)
	v_mul_f32_e32 v49, s3, v47
	v_add_co_u32 v47, vcc_lo, v42, v84
	v_add_co_ci_u32_e64 v48, null, v43, v85, vcc_lo
	v_add_co_u32 v44, vcc_lo, v44, v86
	v_min_f32_e32 v46, v49, v46
	v_add_co_ci_u32_e64 v45, null, v45, v87, vcc_lo
	flat_store_dword v[47:48], v46
	flat_load_dword v44, v[44:45]
	s_waitcnt vmcnt(0) lgkmcnt(0)
	v_mul_f32_e32 v47, s3, v44
.LBB9_122:
	v_add_f32_e32 v39, v3, v39
	v_add_f32_e32 v38, v2, v38
	;; [unrolled: 1-line block ×6, first 2 shown]
	v_min3_f32 v38, v38, v39, v107
	v_add_f32_e32 v46, v20, v36
	v_min_f32_e32 v39, v40, v41
	v_add_nc_u32_e32 v40, 0x58, v137
	v_min3_f32 v44, v45, v44, v108
	v_add_f32_e32 v45, v21, v37
	v_add_co_u32 v42, vcc_lo, v42, v86
	v_min3_f32 v47, v47, v39, v38
	v_mad_i64_i32 v[38:39], null, v40, s2, 0
	v_mad_i64_i32 v[40:41], null, v40, s1, 0
	v_add_co_ci_u32_e64 v43, null, v43, v87, vcc_lo
	v_min3_f32 v44, v46, v45, v44
	s_mov_b32 s6, -1
	v_lshlrev_b64 v[38:39], 2, v[38:39]
	flat_store_dword v[42:43], v47
	v_lshlrev_b64 v[40:41], 2, v[40:41]
	v_max_f32_e32 v42, v44, v44
	v_add_co_u32 v38, vcc_lo, s4, v38
	v_add_co_ci_u32_e64 v39, null, s5, v39, vcc_lo
	v_add_co_u32 v40, vcc_lo, s8, v40
	v_add_co_ci_u32_e64 v41, null, s9, v41, vcc_lo
	s_mov_b32 vcc_lo, s0
	s_cbranch_vccz .LBB9_124
; %bb.123:
	v_add_co_u32 v43, vcc_lo, v38, v82
	v_min_f32_e32 v45, 0, v42
	v_add_co_ci_u32_e64 v44, null, v39, v83, vcc_lo
	s_mov_b32 s6, 0
	flat_store_dword v[43:44], v45
.LBB9_124:
	v_mov_b32_e32 v43, 0
	s_andn2_b32 vcc_lo, exec_lo, s6
	s_cbranch_vccnz .LBB9_126
; %bb.125:
	v_add_co_u32 v43, vcc_lo, v40, v82
	v_add_co_ci_u32_e64 v44, null, v41, v83, vcc_lo
	flat_load_dword v43, v[43:44]
	s_waitcnt vmcnt(0) lgkmcnt(0)
	v_mul_f32_e32 v45, s3, v43
	v_add_co_u32 v43, vcc_lo, v38, v82
	v_add_co_ci_u32_e64 v44, null, v39, v83, vcc_lo
	v_min_f32_e32 v42, v45, v42
	v_add_co_u32 v45, vcc_lo, v40, v0
	v_add_co_ci_u32_e64 v46, null, v41, v1, vcc_lo
	flat_store_dword v[43:44], v42
	flat_load_dword v42, v[45:46]
	s_waitcnt vmcnt(0) lgkmcnt(0)
	v_mul_f32_e32 v43, s3, v42
.LBB9_126:
	v_add_f32_e32 v42, v15, v35
	v_add_f32_e32 v44, v14, v34
	;; [unrolled: 1-line block ×6, first 2 shown]
	v_min3_f32 v42, v44, v42, v105
	s_mov_b32 s6, -1
	v_min_f32_e32 v44, v46, v45
	v_add_f32_e32 v46, v13, v37
	v_min3_f32 v45, v48, v47, v106
	v_add_f32_e32 v47, v12, v36
	v_min3_f32 v44, v43, v44, v42
	v_add_co_u32 v42, vcc_lo, v38, v0
	v_add_co_ci_u32_e64 v43, null, v39, v1, vcc_lo
	v_min3_f32 v45, v47, v46, v45
	s_mov_b32 vcc_lo, s0
	flat_store_dword v[42:43], v44
	v_max_f32_e32 v42, v45, v45
	s_cbranch_vccz .LBB9_128
; %bb.127:
	v_add_co_u32 v43, vcc_lo, v38, v84
	v_min_f32_e32 v45, 0, v42
	v_add_co_ci_u32_e64 v44, null, v39, v85, vcc_lo
	s_mov_b32 s6, 0
	flat_store_dword v[43:44], v45
.LBB9_128:
	v_mov_b32_e32 v43, 0
	s_andn2_b32 vcc_lo, exec_lo, s6
	s_cbranch_vccnz .LBB9_130
; %bb.129:
	v_add_co_u32 v43, vcc_lo, v40, v84
	v_add_co_ci_u32_e64 v44, null, v41, v85, vcc_lo
	flat_load_dword v43, v[43:44]
	s_waitcnt vmcnt(0) lgkmcnt(0)
	v_mul_f32_e32 v45, s3, v43
	v_add_co_u32 v43, vcc_lo, v38, v84
	v_add_co_ci_u32_e64 v44, null, v39, v85, vcc_lo
	v_add_co_u32 v40, vcc_lo, v40, v86
	v_min_f32_e32 v42, v45, v42
	v_add_co_ci_u32_e64 v41, null, v41, v87, vcc_lo
	flat_store_dword v[43:44], v42
	flat_load_dword v40, v[40:41]
	s_waitcnt vmcnt(0) lgkmcnt(0)
	v_mul_f32_e32 v43, s3, v40
.LBB9_130:
	v_add_f32_e32 v35, v3, v35
	v_add_f32_e32 v34, v2, v34
	;; [unrolled: 1-line block ×6, first 2 shown]
	v_min3_f32 v34, v34, v35, v103
	v_add_f32_e32 v42, v20, v32
	v_min_f32_e32 v35, v36, v37
	v_add_nc_u32_e32 v36, 0x60, v137
	v_min3_f32 v40, v41, v40, v104
	v_add_f32_e32 v41, v21, v33
	v_add_co_u32 v38, vcc_lo, v38, v86
	v_min3_f32 v43, v43, v35, v34
	v_mad_i64_i32 v[34:35], null, v36, s2, 0
	v_mad_i64_i32 v[36:37], null, v36, s1, 0
	v_add_co_ci_u32_e64 v39, null, v39, v87, vcc_lo
	v_min3_f32 v40, v42, v41, v40
	s_mov_b32 s6, -1
	v_lshlrev_b64 v[34:35], 2, v[34:35]
	flat_store_dword v[38:39], v43
	v_lshlrev_b64 v[36:37], 2, v[36:37]
	v_max_f32_e32 v38, v40, v40
	v_add_co_u32 v34, vcc_lo, s4, v34
	v_add_co_ci_u32_e64 v35, null, s5, v35, vcc_lo
	v_add_co_u32 v36, vcc_lo, s8, v36
	v_add_co_ci_u32_e64 v37, null, s9, v37, vcc_lo
	s_mov_b32 vcc_lo, s0
	s_cbranch_vccz .LBB9_132
; %bb.131:
	v_add_co_u32 v39, vcc_lo, v34, v82
	v_min_f32_e32 v41, 0, v38
	v_add_co_ci_u32_e64 v40, null, v35, v83, vcc_lo
	s_mov_b32 s6, 0
	flat_store_dword v[39:40], v41
.LBB9_132:
	v_mov_b32_e32 v39, 0
	s_andn2_b32 vcc_lo, exec_lo, s6
	s_cbranch_vccnz .LBB9_134
; %bb.133:
	v_add_co_u32 v39, vcc_lo, v36, v82
	v_add_co_ci_u32_e64 v40, null, v37, v83, vcc_lo
	flat_load_dword v39, v[39:40]
	s_waitcnt vmcnt(0) lgkmcnt(0)
	v_mul_f32_e32 v41, s3, v39
	v_add_co_u32 v39, vcc_lo, v34, v82
	v_add_co_ci_u32_e64 v40, null, v35, v83, vcc_lo
	v_min_f32_e32 v38, v41, v38
	v_add_co_u32 v41, vcc_lo, v36, v0
	v_add_co_ci_u32_e64 v42, null, v37, v1, vcc_lo
	flat_store_dword v[39:40], v38
	flat_load_dword v38, v[41:42]
	s_waitcnt vmcnt(0) lgkmcnt(0)
	v_mul_f32_e32 v39, s3, v38
.LBB9_134:
	v_add_f32_e32 v38, v15, v31
	v_add_f32_e32 v40, v14, v30
	;; [unrolled: 1-line block ×6, first 2 shown]
	v_min3_f32 v38, v40, v38, v102
	s_mov_b32 s6, -1
	v_min_f32_e32 v40, v42, v41
	v_add_f32_e32 v42, v13, v33
	v_min3_f32 v41, v44, v43, v101
	v_add_f32_e32 v43, v12, v32
	v_min3_f32 v40, v39, v40, v38
	v_add_co_u32 v38, vcc_lo, v34, v0
	v_add_co_ci_u32_e64 v39, null, v35, v1, vcc_lo
	v_min3_f32 v41, v43, v42, v41
	s_mov_b32 vcc_lo, s0
	flat_store_dword v[38:39], v40
	v_max_f32_e32 v38, v41, v41
	s_cbranch_vccz .LBB9_136
; %bb.135:
	v_add_co_u32 v39, vcc_lo, v34, v84
	v_min_f32_e32 v41, 0, v38
	v_add_co_ci_u32_e64 v40, null, v35, v85, vcc_lo
	s_mov_b32 s6, 0
	flat_store_dword v[39:40], v41
.LBB9_136:
	v_mov_b32_e32 v39, 0
	s_andn2_b32 vcc_lo, exec_lo, s6
	s_cbranch_vccnz .LBB9_138
; %bb.137:
	v_add_co_u32 v39, vcc_lo, v36, v84
	v_add_co_ci_u32_e64 v40, null, v37, v85, vcc_lo
	flat_load_dword v39, v[39:40]
	s_waitcnt vmcnt(0) lgkmcnt(0)
	v_mul_f32_e32 v41, s3, v39
	v_add_co_u32 v39, vcc_lo, v34, v84
	v_add_co_ci_u32_e64 v40, null, v35, v85, vcc_lo
	v_add_co_u32 v36, vcc_lo, v36, v86
	v_min_f32_e32 v38, v41, v38
	v_add_co_ci_u32_e64 v37, null, v37, v87, vcc_lo
	flat_store_dword v[39:40], v38
	flat_load_dword v36, v[36:37]
	s_waitcnt vmcnt(0) lgkmcnt(0)
	v_mul_f32_e32 v39, s3, v36
.LBB9_138:
	v_add_f32_e32 v31, v3, v31
	v_add_f32_e32 v30, v2, v30
	;; [unrolled: 1-line block ×6, first 2 shown]
	v_min3_f32 v30, v30, v31, v98
	v_add_f32_e32 v38, v20, v28
	v_min_f32_e32 v31, v32, v33
	v_add_nc_u32_e32 v32, 0x68, v137
	v_min3_f32 v36, v37, v36, v100
	v_add_f32_e32 v37, v21, v29
	v_add_co_u32 v34, vcc_lo, v34, v86
	v_min3_f32 v39, v39, v31, v30
	v_mad_i64_i32 v[30:31], null, v32, s2, 0
	v_mad_i64_i32 v[32:33], null, v32, s1, 0
	v_add_co_ci_u32_e64 v35, null, v35, v87, vcc_lo
	v_min3_f32 v36, v38, v37, v36
	s_mov_b32 s6, -1
	v_lshlrev_b64 v[30:31], 2, v[30:31]
	flat_store_dword v[34:35], v39
	v_lshlrev_b64 v[32:33], 2, v[32:33]
	v_max_f32_e32 v34, v36, v36
	v_add_co_u32 v30, vcc_lo, s4, v30
	v_add_co_ci_u32_e64 v31, null, s5, v31, vcc_lo
	v_add_co_u32 v32, vcc_lo, s8, v32
	v_add_co_ci_u32_e64 v33, null, s9, v33, vcc_lo
	s_mov_b32 vcc_lo, s0
	s_cbranch_vccz .LBB9_140
; %bb.139:
	v_add_co_u32 v35, vcc_lo, v30, v82
	v_min_f32_e32 v37, 0, v34
	v_add_co_ci_u32_e64 v36, null, v31, v83, vcc_lo
	s_mov_b32 s6, 0
	flat_store_dword v[35:36], v37
.LBB9_140:
	v_mov_b32_e32 v35, 0
	s_andn2_b32 vcc_lo, exec_lo, s6
	s_cbranch_vccnz .LBB9_142
; %bb.141:
	v_add_co_u32 v35, vcc_lo, v32, v82
	v_add_co_ci_u32_e64 v36, null, v33, v83, vcc_lo
	flat_load_dword v35, v[35:36]
	s_waitcnt vmcnt(0) lgkmcnt(0)
	v_mul_f32_e32 v37, s3, v35
	v_add_co_u32 v35, vcc_lo, v30, v82
	v_add_co_ci_u32_e64 v36, null, v31, v83, vcc_lo
	v_min_f32_e32 v34, v37, v34
	v_add_co_u32 v37, vcc_lo, v32, v0
	v_add_co_ci_u32_e64 v38, null, v33, v1, vcc_lo
	flat_store_dword v[35:36], v34
	flat_load_dword v34, v[37:38]
	s_waitcnt vmcnt(0) lgkmcnt(0)
	v_mul_f32_e32 v35, s3, v34
.LBB9_142:
	v_add_f32_e32 v34, v15, v27
	v_add_f32_e32 v36, v14, v26
	;; [unrolled: 1-line block ×6, first 2 shown]
	v_min3_f32 v34, v36, v34, v96
	s_mov_b32 s6, -1
	v_min_f32_e32 v36, v38, v37
	v_add_f32_e32 v38, v13, v29
	v_min3_f32 v37, v40, v39, v97
	v_add_f32_e32 v39, v12, v28
	v_min3_f32 v36, v35, v36, v34
	v_add_co_u32 v34, vcc_lo, v30, v0
	v_add_co_ci_u32_e64 v35, null, v31, v1, vcc_lo
	v_min3_f32 v37, v39, v38, v37
	s_mov_b32 vcc_lo, s0
	flat_store_dword v[34:35], v36
	v_max_f32_e32 v34, v37, v37
	s_cbranch_vccz .LBB9_144
; %bb.143:
	v_add_co_u32 v35, vcc_lo, v30, v84
	v_min_f32_e32 v37, 0, v34
	v_add_co_ci_u32_e64 v36, null, v31, v85, vcc_lo
	s_mov_b32 s6, 0
	flat_store_dword v[35:36], v37
.LBB9_144:
	v_mov_b32_e32 v35, 0
	s_andn2_b32 vcc_lo, exec_lo, s6
	s_cbranch_vccnz .LBB9_146
; %bb.145:
	v_add_co_u32 v35, vcc_lo, v32, v84
	v_add_co_ci_u32_e64 v36, null, v33, v85, vcc_lo
	flat_load_dword v35, v[35:36]
	s_waitcnt vmcnt(0) lgkmcnt(0)
	v_mul_f32_e32 v37, s3, v35
	v_add_co_u32 v35, vcc_lo, v30, v84
	v_add_co_ci_u32_e64 v36, null, v31, v85, vcc_lo
	v_add_co_u32 v32, vcc_lo, v32, v86
	v_min_f32_e32 v34, v37, v34
	v_add_co_ci_u32_e64 v33, null, v33, v87, vcc_lo
	flat_store_dword v[35:36], v34
	flat_load_dword v32, v[32:33]
	s_waitcnt vmcnt(0) lgkmcnt(0)
	v_mul_f32_e32 v35, s3, v32
.LBB9_146:
	v_add_f32_e32 v27, v3, v27
	v_add_f32_e32 v26, v2, v26
	v_add_f32_e32 v29, v5, v29
	v_add_f32_e32 v28, v4, v28
	s_waitcnt lgkmcnt(28)
	v_add_f32_e32 v32, v19, v23
	v_add_f32_e32 v33, v18, v22
	v_min3_f32 v26, v26, v27, v94
	v_add_f32_e32 v34, v20, v24
	v_min_f32_e32 v27, v28, v29
	v_add_nc_u32_e32 v28, 0x70, v137
	v_min3_f32 v32, v33, v32, v95
	v_add_f32_e32 v33, v21, v25
	v_add_co_u32 v30, vcc_lo, v30, v86
	v_min3_f32 v35, v35, v27, v26
	v_mad_i64_i32 v[26:27], null, v28, s2, 0
	v_mad_i64_i32 v[28:29], null, v28, s1, 0
	v_add_co_ci_u32_e64 v31, null, v31, v87, vcc_lo
	v_min3_f32 v32, v34, v33, v32
	s_mov_b32 s6, -1
	v_lshlrev_b64 v[26:27], 2, v[26:27]
	flat_store_dword v[30:31], v35
	v_lshlrev_b64 v[28:29], 2, v[28:29]
	v_max_f32_e32 v30, v32, v32
	v_add_co_u32 v26, vcc_lo, s4, v26
	v_add_co_ci_u32_e64 v27, null, s5, v27, vcc_lo
	v_add_co_u32 v28, vcc_lo, s8, v28
	v_add_co_ci_u32_e64 v29, null, s9, v29, vcc_lo
	s_mov_b32 vcc_lo, s0
	s_cbranch_vccz .LBB9_148
; %bb.147:
	v_add_co_u32 v31, vcc_lo, v26, v82
	v_min_f32_e32 v33, 0, v30
	v_add_co_ci_u32_e64 v32, null, v27, v83, vcc_lo
	s_mov_b32 s6, 0
	flat_store_dword v[31:32], v33
.LBB9_148:
	v_mov_b32_e32 v31, 0
	s_andn2_b32 vcc_lo, exec_lo, s6
	s_cbranch_vccnz .LBB9_150
; %bb.149:
	v_add_co_u32 v31, vcc_lo, v28, v82
	v_add_co_ci_u32_e64 v32, null, v29, v83, vcc_lo
	flat_load_dword v31, v[31:32]
	s_waitcnt vmcnt(0) lgkmcnt(0)
	v_mul_f32_e32 v33, s3, v31
	v_add_co_u32 v31, vcc_lo, v26, v82
	v_add_co_ci_u32_e64 v32, null, v27, v83, vcc_lo
	v_min_f32_e32 v30, v33, v30
	v_add_co_u32 v33, vcc_lo, v28, v0
	v_add_co_ci_u32_e64 v34, null, v29, v1, vcc_lo
	flat_store_dword v[31:32], v30
	flat_load_dword v30, v[33:34]
	s_waitcnt vmcnt(0) lgkmcnt(0)
	v_mul_f32_e32 v31, s3, v30
.LBB9_150:
	v_add_f32_e32 v30, v15, v23
	v_add_f32_e32 v32, v14, v22
	;; [unrolled: 1-line block ×6, first 2 shown]
	v_min3_f32 v30, v32, v30, v92
	s_mov_b32 s6, -1
	v_min_f32_e32 v32, v34, v33
	v_add_f32_e32 v34, v13, v25
	v_min3_f32 v33, v36, v35, v93
	v_add_f32_e32 v35, v12, v24
	v_min3_f32 v32, v31, v32, v30
	v_add_co_u32 v30, vcc_lo, v26, v0
	v_add_co_ci_u32_e64 v31, null, v27, v1, vcc_lo
	v_min3_f32 v33, v35, v34, v33
	s_mov_b32 vcc_lo, s0
	flat_store_dword v[30:31], v32
	v_max_f32_e32 v30, v33, v33
	s_cbranch_vccz .LBB9_152
; %bb.151:
	v_add_co_u32 v31, vcc_lo, v26, v84
	v_min_f32_e32 v33, 0, v30
	v_add_co_ci_u32_e64 v32, null, v27, v85, vcc_lo
	s_mov_b32 s6, 0
	flat_store_dword v[31:32], v33
.LBB9_152:
	v_mov_b32_e32 v31, 0
	s_andn2_b32 vcc_lo, exec_lo, s6
	s_cbranch_vccnz .LBB9_154
; %bb.153:
	v_add_co_u32 v31, vcc_lo, v28, v84
	v_add_co_ci_u32_e64 v32, null, v29, v85, vcc_lo
	flat_load_dword v31, v[31:32]
	s_waitcnt vmcnt(0) lgkmcnt(0)
	v_mul_f32_e32 v33, s3, v31
	v_add_co_u32 v31, vcc_lo, v26, v84
	v_add_co_ci_u32_e64 v32, null, v27, v85, vcc_lo
	v_add_co_u32 v28, vcc_lo, v28, v86
	v_min_f32_e32 v30, v33, v30
	v_add_co_ci_u32_e64 v29, null, v29, v87, vcc_lo
	flat_store_dword v[31:32], v30
	flat_load_dword v28, v[28:29]
	s_waitcnt vmcnt(0) lgkmcnt(0)
	v_mul_f32_e32 v31, s3, v28
.LBB9_154:
	v_add_f32_e32 v23, v3, v23
	v_add_f32_e32 v22, v2, v22
	;; [unrolled: 1-line block ×4, first 2 shown]
	s_waitcnt lgkmcnt(29)
	v_add_f32_e32 v19, v19, v7
	v_add_f32_e32 v18, v18, v6
	v_min3_f32 v22, v22, v23, v91
	v_add_f32_e32 v28, v21, v9
	v_min_f32_e32 v23, v24, v25
	v_add_nc_u32_e32 v25, 0x78, v137
	v_min3_f32 v24, v18, v19, v90
	v_add_f32_e32 v29, v20, v8
	v_min3_f32 v30, v31, v23, v22
	v_mad_i64_i32 v[18:19], null, v25, s2, 0
	v_mad_i64_i32 v[20:21], null, v25, s1, 0
	v_add_co_u32 v22, vcc_lo, v26, v86
	v_add_co_ci_u32_e64 v23, null, v27, v87, vcc_lo
	v_lshlrev_b64 v[18:19], 2, v[18:19]
	v_min3_f32 v24, v29, v28, v24
	v_lshlrev_b64 v[20:21], 2, v[20:21]
	flat_store_dword v[22:23], v30
	s_mov_b32 s1, -1
	v_add_co_u32 v18, vcc_lo, s4, v18
	v_add_co_ci_u32_e64 v19, null, s5, v19, vcc_lo
	v_add_co_u32 v20, vcc_lo, s8, v20
	v_add_co_ci_u32_e64 v21, null, s9, v21, vcc_lo
	v_max_f32_e32 v22, v24, v24
	s_mov_b32 vcc_lo, s0
	s_cbranch_vccz .LBB9_156
; %bb.155:
	v_add_co_u32 v23, vcc_lo, v18, v82
	v_min_f32_e32 v25, 0, v22
	v_add_co_ci_u32_e64 v24, null, v19, v83, vcc_lo
	s_mov_b32 s1, 0
	flat_store_dword v[23:24], v25
.LBB9_156:
	v_mov_b32_e32 v23, 0
	s_andn2_b32 vcc_lo, exec_lo, s1
	s_cbranch_vccnz .LBB9_158
; %bb.157:
	v_add_co_u32 v23, vcc_lo, v20, v82
	v_add_co_ci_u32_e64 v24, null, v21, v83, vcc_lo
	flat_load_dword v23, v[23:24]
	s_waitcnt vmcnt(0) lgkmcnt(0)
	v_mul_f32_e32 v25, s3, v23
	v_add_co_u32 v23, vcc_lo, v18, v82
	v_add_co_ci_u32_e64 v24, null, v19, v83, vcc_lo
	v_min_f32_e32 v22, v25, v22
	v_add_co_u32 v25, vcc_lo, v20, v0
	v_add_co_ci_u32_e64 v26, null, v21, v1, vcc_lo
	flat_store_dword v[23:24], v22
	flat_load_dword v22, v[25:26]
	s_waitcnt vmcnt(0) lgkmcnt(0)
	v_mul_f32_e32 v23, s3, v22
.LBB9_158:
	v_add_f32_e32 v15, v15, v7
	v_add_f32_e32 v14, v14, v6
	;; [unrolled: 1-line block ×6, first 2 shown]
	v_min3_f32 v14, v14, v15, v88
	v_add_f32_e32 v12, v12, v8
	v_min_f32_e32 v15, v16, v17
	v_add_co_u32 v0, vcc_lo, v18, v0
	v_min3_f32 v10, v10, v11, v89
	v_add_f32_e32 v11, v13, v9
	v_min3_f32 v13, v23, v15, v14
	v_add_co_ci_u32_e64 v1, null, v19, v1, vcc_lo
	s_mov_b32 s1, -1
	v_min3_f32 v10, v12, v11, v10
	s_mov_b32 vcc_lo, s0
	flat_store_dword v[0:1], v13
	v_max_f32_e32 v0, v10, v10
	s_cbranch_vccz .LBB9_160
; %bb.159:
	v_add_co_u32 v10, vcc_lo, v18, v84
	v_min_f32_e32 v1, 0, v0
	v_add_co_ci_u32_e64 v11, null, v19, v85, vcc_lo
	s_mov_b32 s1, 0
	flat_store_dword v[10:11], v1
.LBB9_160:
	v_mov_b32_e32 v1, 0
	s_andn2_b32 vcc_lo, exec_lo, s1
	s_cbranch_vccnz .LBB9_162
; %bb.161:
	v_add_co_u32 v10, vcc_lo, v20, v84
	v_add_co_ci_u32_e64 v11, null, v21, v85, vcc_lo
	flat_load_dword v1, v[10:11]
	v_add_co_u32 v10, vcc_lo, v18, v84
	v_add_co_ci_u32_e64 v11, null, v19, v85, vcc_lo
	s_waitcnt vmcnt(0) lgkmcnt(0)
	v_mul_f32_e32 v1, s3, v1
	v_min_f32_e32 v12, v1, v0
	v_add_co_u32 v0, vcc_lo, v20, v86
	v_add_co_ci_u32_e64 v1, null, v21, v87, vcc_lo
	flat_store_dword v[10:11], v12
	flat_load_dword v0, v[0:1]
	s_waitcnt vmcnt(0) lgkmcnt(0)
	v_mul_f32_e32 v1, s3, v0
.LBB9_162:
	v_add_f32_e32 v0, v5, v9
	v_add_f32_e32 v4, v4, v8
	;; [unrolled: 1-line block ×4, first 2 shown]
	v_min_f32_e32 v0, v4, v0
	v_min3_f32 v2, v2, v3, v99
	v_min3_f32 v2, v1, v0, v2
	v_add_co_u32 v0, vcc_lo, v18, v86
	v_add_co_ci_u32_e64 v1, null, v19, v87, vcc_lo
	flat_store_dword v[0:1], v2
	s_endpgm
	.section	.rodata,"a",@progbits
	.p2align	6, 0x0
	.amdhsa_kernel _ZN12_GLOBAL__N_120geam_min_plus_kernelIf15HIP_vector_typeIfLj2EEfLi32ELi8ELi128ELi128ELi4ELi4ELi64ELi4ELi64ELc84ELc78ELb0ELb0ELb1EPKfKS4_KPfEEviiiT16_PT17_ilSA_ilS8_SA_ilPT18_ili26rocblas_geam_ex_operation_
		.amdhsa_group_segment_fixed_size 8192
		.amdhsa_private_segment_fixed_size 0
		.amdhsa_kernarg_size 136
		.amdhsa_user_sgpr_count 6
		.amdhsa_user_sgpr_private_segment_buffer 1
		.amdhsa_user_sgpr_dispatch_ptr 0
		.amdhsa_user_sgpr_queue_ptr 0
		.amdhsa_user_sgpr_kernarg_segment_ptr 1
		.amdhsa_user_sgpr_dispatch_id 0
		.amdhsa_user_sgpr_flat_scratch_init 0
		.amdhsa_user_sgpr_private_segment_size 0
		.amdhsa_wavefront_size32 1
		.amdhsa_uses_dynamic_stack 0
		.amdhsa_system_sgpr_private_segment_wavefront_offset 0
		.amdhsa_system_sgpr_workgroup_id_x 1
		.amdhsa_system_sgpr_workgroup_id_y 0
		.amdhsa_system_sgpr_workgroup_id_z 1
		.amdhsa_system_sgpr_workgroup_info 0
		.amdhsa_system_vgpr_workitem_id 1
		.amdhsa_next_free_vgpr 177
		.amdhsa_next_free_sgpr 25
		.amdhsa_reserve_vcc 1
		.amdhsa_reserve_flat_scratch 1
		.amdhsa_float_round_mode_32 0
		.amdhsa_float_round_mode_16_64 0
		.amdhsa_float_denorm_mode_32 3
		.amdhsa_float_denorm_mode_16_64 3
		.amdhsa_dx10_clamp 1
		.amdhsa_ieee_mode 1
		.amdhsa_fp16_overflow 0
		.amdhsa_workgroup_processor_mode 1
		.amdhsa_memory_ordered 1
		.amdhsa_forward_progress 1
		.amdhsa_shared_vgpr_count 0
		.amdhsa_exception_fp_ieee_invalid_op 0
		.amdhsa_exception_fp_denorm_src 0
		.amdhsa_exception_fp_ieee_div_zero 0
		.amdhsa_exception_fp_ieee_overflow 0
		.amdhsa_exception_fp_ieee_underflow 0
		.amdhsa_exception_fp_ieee_inexact 0
		.amdhsa_exception_int_div_zero 0
	.end_amdhsa_kernel
	.section	.text._ZN12_GLOBAL__N_120geam_min_plus_kernelIf15HIP_vector_typeIfLj2EEfLi32ELi8ELi128ELi128ELi4ELi4ELi64ELi4ELi64ELc84ELc78ELb0ELb0ELb1EPKfKS4_KPfEEviiiT16_PT17_ilSA_ilS8_SA_ilPT18_ili26rocblas_geam_ex_operation_,"axG",@progbits,_ZN12_GLOBAL__N_120geam_min_plus_kernelIf15HIP_vector_typeIfLj2EEfLi32ELi8ELi128ELi128ELi4ELi4ELi64ELi4ELi64ELc84ELc78ELb0ELb0ELb1EPKfKS4_KPfEEviiiT16_PT17_ilSA_ilS8_SA_ilPT18_ili26rocblas_geam_ex_operation_,comdat
.Lfunc_end9:
	.size	_ZN12_GLOBAL__N_120geam_min_plus_kernelIf15HIP_vector_typeIfLj2EEfLi32ELi8ELi128ELi128ELi4ELi4ELi64ELi4ELi64ELc84ELc78ELb0ELb0ELb1EPKfKS4_KPfEEviiiT16_PT17_ilSA_ilS8_SA_ilPT18_ili26rocblas_geam_ex_operation_, .Lfunc_end9-_ZN12_GLOBAL__N_120geam_min_plus_kernelIf15HIP_vector_typeIfLj2EEfLi32ELi8ELi128ELi128ELi4ELi4ELi64ELi4ELi64ELc84ELc78ELb0ELb0ELb1EPKfKS4_KPfEEviiiT16_PT17_ilSA_ilS8_SA_ilPT18_ili26rocblas_geam_ex_operation_
                                        ; -- End function
	.set _ZN12_GLOBAL__N_120geam_min_plus_kernelIf15HIP_vector_typeIfLj2EEfLi32ELi8ELi128ELi128ELi4ELi4ELi64ELi4ELi64ELc84ELc78ELb0ELb0ELb1EPKfKS4_KPfEEviiiT16_PT17_ilSA_ilS8_SA_ilPT18_ili26rocblas_geam_ex_operation_.num_vgpr, 177
	.set _ZN12_GLOBAL__N_120geam_min_plus_kernelIf15HIP_vector_typeIfLj2EEfLi32ELi8ELi128ELi128ELi4ELi4ELi64ELi4ELi64ELc84ELc78ELb0ELb0ELb1EPKfKS4_KPfEEviiiT16_PT17_ilSA_ilS8_SA_ilPT18_ili26rocblas_geam_ex_operation_.num_agpr, 0
	.set _ZN12_GLOBAL__N_120geam_min_plus_kernelIf15HIP_vector_typeIfLj2EEfLi32ELi8ELi128ELi128ELi4ELi4ELi64ELi4ELi64ELc84ELc78ELb0ELb0ELb1EPKfKS4_KPfEEviiiT16_PT17_ilSA_ilS8_SA_ilPT18_ili26rocblas_geam_ex_operation_.numbered_sgpr, 25
	.set _ZN12_GLOBAL__N_120geam_min_plus_kernelIf15HIP_vector_typeIfLj2EEfLi32ELi8ELi128ELi128ELi4ELi4ELi64ELi4ELi64ELc84ELc78ELb0ELb0ELb1EPKfKS4_KPfEEviiiT16_PT17_ilSA_ilS8_SA_ilPT18_ili26rocblas_geam_ex_operation_.num_named_barrier, 0
	.set _ZN12_GLOBAL__N_120geam_min_plus_kernelIf15HIP_vector_typeIfLj2EEfLi32ELi8ELi128ELi128ELi4ELi4ELi64ELi4ELi64ELc84ELc78ELb0ELb0ELb1EPKfKS4_KPfEEviiiT16_PT17_ilSA_ilS8_SA_ilPT18_ili26rocblas_geam_ex_operation_.private_seg_size, 0
	.set _ZN12_GLOBAL__N_120geam_min_plus_kernelIf15HIP_vector_typeIfLj2EEfLi32ELi8ELi128ELi128ELi4ELi4ELi64ELi4ELi64ELc84ELc78ELb0ELb0ELb1EPKfKS4_KPfEEviiiT16_PT17_ilSA_ilS8_SA_ilPT18_ili26rocblas_geam_ex_operation_.uses_vcc, 1
	.set _ZN12_GLOBAL__N_120geam_min_plus_kernelIf15HIP_vector_typeIfLj2EEfLi32ELi8ELi128ELi128ELi4ELi4ELi64ELi4ELi64ELc84ELc78ELb0ELb0ELb1EPKfKS4_KPfEEviiiT16_PT17_ilSA_ilS8_SA_ilPT18_ili26rocblas_geam_ex_operation_.uses_flat_scratch, 1
	.set _ZN12_GLOBAL__N_120geam_min_plus_kernelIf15HIP_vector_typeIfLj2EEfLi32ELi8ELi128ELi128ELi4ELi4ELi64ELi4ELi64ELc84ELc78ELb0ELb0ELb1EPKfKS4_KPfEEviiiT16_PT17_ilSA_ilS8_SA_ilPT18_ili26rocblas_geam_ex_operation_.has_dyn_sized_stack, 0
	.set _ZN12_GLOBAL__N_120geam_min_plus_kernelIf15HIP_vector_typeIfLj2EEfLi32ELi8ELi128ELi128ELi4ELi4ELi64ELi4ELi64ELc84ELc78ELb0ELb0ELb1EPKfKS4_KPfEEviiiT16_PT17_ilSA_ilS8_SA_ilPT18_ili26rocblas_geam_ex_operation_.has_recursion, 0
	.set _ZN12_GLOBAL__N_120geam_min_plus_kernelIf15HIP_vector_typeIfLj2EEfLi32ELi8ELi128ELi128ELi4ELi4ELi64ELi4ELi64ELc84ELc78ELb0ELb0ELb1EPKfKS4_KPfEEviiiT16_PT17_ilSA_ilS8_SA_ilPT18_ili26rocblas_geam_ex_operation_.has_indirect_call, 0
	.section	.AMDGPU.csdata,"",@progbits
; Kernel info:
; codeLenInByte = 18008
; TotalNumSgprs: 27
; NumVgprs: 177
; ScratchSize: 0
; MemoryBound: 0
; FloatMode: 240
; IeeeMode: 1
; LDSByteSize: 8192 bytes/workgroup (compile time only)
; SGPRBlocks: 0
; VGPRBlocks: 22
; NumSGPRsForWavesPerEU: 27
; NumVGPRsForWavesPerEU: 177
; Occupancy: 5
; WaveLimiterHint : 1
; COMPUTE_PGM_RSRC2:SCRATCH_EN: 0
; COMPUTE_PGM_RSRC2:USER_SGPR: 6
; COMPUTE_PGM_RSRC2:TRAP_HANDLER: 0
; COMPUTE_PGM_RSRC2:TGID_X_EN: 1
; COMPUTE_PGM_RSRC2:TGID_Y_EN: 0
; COMPUTE_PGM_RSRC2:TGID_Z_EN: 1
; COMPUTE_PGM_RSRC2:TIDIG_COMP_CNT: 1
	.section	.text._ZN12_GLOBAL__N_120geam_min_plus_kernelIf15HIP_vector_typeIfLj2EEfLi32ELi8ELi128ELi128ELi4ELi4ELi64ELi4ELi64ELc84ELc78ELb1ELb0ELb1EfKPKfKPfEEviiiT16_PT17_ilSA_ilS8_SA_ilPT18_ili26rocblas_geam_ex_operation_,"axG",@progbits,_ZN12_GLOBAL__N_120geam_min_plus_kernelIf15HIP_vector_typeIfLj2EEfLi32ELi8ELi128ELi128ELi4ELi4ELi64ELi4ELi64ELc84ELc78ELb1ELb0ELb1EfKPKfKPfEEviiiT16_PT17_ilSA_ilS8_SA_ilPT18_ili26rocblas_geam_ex_operation_,comdat
	.globl	_ZN12_GLOBAL__N_120geam_min_plus_kernelIf15HIP_vector_typeIfLj2EEfLi32ELi8ELi128ELi128ELi4ELi4ELi64ELi4ELi64ELc84ELc78ELb1ELb0ELb1EfKPKfKPfEEviiiT16_PT17_ilSA_ilS8_SA_ilPT18_ili26rocblas_geam_ex_operation_ ; -- Begin function _ZN12_GLOBAL__N_120geam_min_plus_kernelIf15HIP_vector_typeIfLj2EEfLi32ELi8ELi128ELi128ELi4ELi4ELi64ELi4ELi64ELc84ELc78ELb1ELb0ELb1EfKPKfKPfEEviiiT16_PT17_ilSA_ilS8_SA_ilPT18_ili26rocblas_geam_ex_operation_
	.p2align	8
	.type	_ZN12_GLOBAL__N_120geam_min_plus_kernelIf15HIP_vector_typeIfLj2EEfLi32ELi8ELi128ELi128ELi4ELi4ELi64ELi4ELi64ELc84ELc78ELb1ELb0ELb1EfKPKfKPfEEviiiT16_PT17_ilSA_ilS8_SA_ilPT18_ili26rocblas_geam_ex_operation_,@function
_ZN12_GLOBAL__N_120geam_min_plus_kernelIf15HIP_vector_typeIfLj2EEfLi32ELi8ELi128ELi128ELi4ELi4ELi64ELi4ELi64ELc84ELc78ELb1ELb0ELb1EfKPKfKPfEEviiiT16_PT17_ilSA_ilS8_SA_ilPT18_ili26rocblas_geam_ex_operation_: ; @_ZN12_GLOBAL__N_120geam_min_plus_kernelIf15HIP_vector_typeIfLj2EEfLi32ELi8ELi128ELi128ELi4ELi4ELi64ELi4ELi64ELc84ELc78ELb1ELb0ELb1EfKPKfKPfEEviiiT16_PT17_ilSA_ilS8_SA_ilPT18_ili26rocblas_geam_ex_operation_
; %bb.0:
	s_clause 0x1
	s_load_dwordx2 s[14:15], s[4:5], 0x8
	s_load_dwordx4 s[0:3], s[4:5], 0x20
	s_mov_b32 s8, s7
	s_mov_b32 s9, 0
	s_waitcnt lgkmcnt(0)
	v_cmp_eq_f32_e64 s7, s15, 0
	s_and_b32 vcc_lo, exec_lo, s7
	s_cbranch_vccnz .LBB10_3
; %bb.1:
	s_load_dwordx2 s[10:11], s[4:5], 0x10
	s_lshl_b64 s[12:13], s[8:9], 3
	s_waitcnt lgkmcnt(0)
	s_add_u32 s10, s10, s12
	s_addc_u32 s11, s11, s13
	s_lshl_b64 s[0:1], s[0:1], 2
	s_load_dwordx2 s[10:11], s[10:11], 0x0
	s_waitcnt lgkmcnt(0)
	s_add_u32 s16, s10, s0
	s_addc_u32 s17, s11, s1
	s_andn2_b32 vcc_lo, exec_lo, s7
	s_cbranch_vccnz .LBB10_4
.LBB10_2:
	s_mov_b32 s21, 0
	s_mov_b32 s20, s8
	;; [unrolled: 1-line block ×3, first 2 shown]
	s_mov_b64 s[12:13], 0
	s_andn2_b32 vcc_lo, exec_lo, s0
	s_mov_b64 s[18:19], 0
	s_cbranch_vccz .LBB10_5
	s_branch .LBB10_6
.LBB10_3:
	s_mov_b64 s[16:17], 0
	s_andn2_b32 vcc_lo, exec_lo, s7
	s_cbranch_vccz .LBB10_2
.LBB10_4:
	s_mov_b64 s[20:21], s[8:9]
	s_mov_b64 s[12:13], 0
	;; [unrolled: 1-line block ×3, first 2 shown]
.LBB10_5:
	s_lshl_b64 s[0:1], s[8:9], 3
	s_load_dwordx2 s[8:9], s[4:5], 0x38
	s_add_u32 s0, s2, s0
	s_addc_u32 s1, s3, s1
	s_load_dwordx2 s[0:1], s[0:1], 0x0
	s_waitcnt lgkmcnt(0)
	s_lshl_b64 s[2:3], s[8:9], 2
	s_add_u32 s18, s0, s2
	s_addc_u32 s19, s1, s3
.LBB10_6:
	s_clause 0x1
	s_load_dword s1, s[4:5], 0x40
	s_load_dwordx4 s[8:11], s[4:5], 0x58
	s_waitcnt lgkmcnt(0)
	v_cmp_eq_f32_e64 s0, s1, 0
	s_and_b32 s0, exec_lo, s0
	s_mov_b32 vcc_lo, s0
	s_cbranch_vccnz .LBB10_8
; %bb.7:
	s_load_dwordx2 s[2:3], s[4:5], 0x48
	s_lshl_b64 s[12:13], s[20:21], 3
	s_waitcnt lgkmcnt(0)
	s_add_u32 s2, s2, s12
	s_addc_u32 s3, s3, s13
	s_lshl_b64 s[8:9], s[8:9], 2
	s_load_dwordx2 s[2:3], s[2:3], 0x0
	s_waitcnt lgkmcnt(0)
	s_add_u32 s12, s2, s8
	s_addc_u32 s13, s3, s9
.LBB10_8:
	s_clause 0x2
	s_load_dword s7, s[4:5], 0x0
	s_load_dword s9, s[4:5], 0x18
	;; [unrolled: 1-line block ×3, first 2 shown]
	s_lshl_b64 s[2:3], s[20:21], 3
	v_and_b32_e32 v3, 3, v0
	s_add_u32 s2, s10, s2
	s_addc_u32 s3, s11, s3
	v_lshlrev_b32_e32 v92, 4, v0
	s_load_dwordx2 s[2:3], s[2:3], 0x0
	v_lshlrev_b32_e32 v91, 2, v3
	v_lshlrev_b32_e32 v90, 4, v1
	s_waitcnt lgkmcnt(0)
	s_add_i32 s7, s7, -1
	s_ashr_i32 s10, s7, 31
	s_lshr_b32 s10, s10, 25
	s_add_i32 s7, s7, s10
	s_ashr_i32 s7, s7, 7
	s_add_i32 s10, s7, 1
	s_not_b32 s7, s7
	v_cvt_f32_u32_e32 v2, s10
	v_rcp_iflag_f32_e32 v2, v2
	v_mul_f32_e32 v2, 0x4f7ffffe, v2
	v_cvt_u32_f32_e32 v2, v2
	v_readfirstlane_b32 s11, v2
	v_lshl_add_u32 v2, v1, 5, v0
	s_mul_i32 s7, s7, s11
	v_lshrrev_b32_e32 v10, 2, v2
	s_mul_hi_u32 s7, s11, s7
	s_add_i32 s11, s11, s7
	v_lshl_or_b32 v93, v10, 4, v91
	s_mul_hi_u32 s7, s6, s11
	s_mul_i32 s11, s7, s10
	s_add_i32 s15, s7, 1
	s_sub_i32 s11, s6, s11
	s_sub_i32 s20, s11, s10
	s_cmp_ge_u32 s11, s10
	s_cselect_b32 s7, s15, s7
	s_cselect_b32 s11, s20, s11
	s_add_i32 s15, s7, 1
	s_cmp_ge_u32 s11, s10
	s_cselect_b32 s7, s15, s7
	s_mul_i32 s10, s7, s10
	s_lshl_b32 s7, s7, 7
	s_sub_i32 s6, s6, s10
	v_add_co_u32 v6, s10, s16, v91
	s_lshl_b32 s6, s6, 7
	v_add_co_ci_u32_e64 v7, null, s17, 0, s10
	v_add_nc_u32_e32 v4, s6, v10
	v_add_nc_u32_e32 v8, s7, v10
	s_cmp_lt_i32 s14, 9
	v_mad_i64_i32 v[2:3], null, v4, s9, 0
	v_add_nc_u32_e32 v4, 64, v4
	v_mad_i64_i32 v[4:5], null, v4, s9, 0
	v_lshlrev_b64 v[82:83], 2, v[2:3]
	v_add_co_u32 v13, s9, s18, v91
	v_add_co_ci_u32_e64 v14, null, s19, 0, s9
	v_lshlrev_b64 v[84:85], 2, v[4:5]
	v_add_co_u32 v2, vcc_lo, v6, v82
	v_add_co_ci_u32_e64 v3, null, v7, v83, vcc_lo
	v_add_co_u32 v4, vcc_lo, v6, v84
	v_add_co_ci_u32_e64 v5, null, v7, v85, vcc_lo
	v_mad_i64_i32 v[6:7], null, v8, s8, 0
	v_add_nc_u32_e32 v8, 64, v8
	s_clause 0x1
	flat_load_dword v11, v[2:3]
	flat_load_dword v12, v[4:5]
	v_mad_i64_i32 v[8:9], null, v8, s8, 0
	v_lshlrev_b64 v[86:87], 2, v[6:7]
	v_lshlrev_b64 v[88:89], 2, v[8:9]
	v_add_co_u32 v6, vcc_lo, v13, v86
	v_add_co_ci_u32_e64 v7, null, v14, v87, vcc_lo
	v_add_co_u32 v8, vcc_lo, v13, v88
	v_add_co_ci_u32_e64 v9, null, v14, v89, vcc_lo
	s_clause 0x1
	flat_load_dword v15, v[6:7]
	flat_load_dword v13, v[8:9]
	s_clause 0x1
	flat_load_dword v107, v[2:3] offset:16
	flat_load_dword v108, v[4:5] offset:16
	s_clause 0x1
	flat_load_dword v109, v[6:7] offset:16
	flat_load_dword v110, v[8:9] offset:16
	s_waitcnt vmcnt(6) lgkmcnt(6)
	ds_write2st64_b32 v93, v11, v12 offset1:4
	s_waitcnt vmcnt(4) lgkmcnt(5)
	ds_write2st64_b32 v93, v15, v13 offset0:16 offset1:20
	s_waitcnt vmcnt(0) lgkmcnt(0)
	s_barrier
	buffer_gl0_inv
	ds_read_b128 v[14:17], v92
	ds_read_b128 v[10:13], v92 offset:512
	ds_read_b128 v[6:9], v92 offset:1024
	;; [unrolled: 1-line block ×19, first 2 shown]
	ds_write2st64_b32 v93, v107, v108 offset0:8 offset1:12
	ds_write2st64_b32 v93, v109, v110 offset0:24 offset1:28
	s_waitcnt lgkmcnt(0)
	s_barrier
	buffer_gl0_inv
	v_add_f32_e32 v94, v15, v79
	v_add_f32_e32 v95, v14, v78
	v_min3_f32 v125, v95, v94, 0x7f7fffff
	v_add_f32_e32 v94, v11, v79
	v_add_f32_e32 v95, v10, v78
	v_min3_f32 v126, v95, v94, 0x7f7fffff
	v_add_f32_e32 v94, v7, v79
	v_add_f32_e32 v95, v6, v78
	;; [unrolled: 1-line block ×5, first 2 shown]
	v_min3_f32 v127, v95, v94, 0x7f7fffff
	v_min3_f32 v128, v78, v79, 0x7f7fffff
	v_add_f32_e32 v78, v15, v75
	v_add_f32_e32 v79, v14, v74
	v_min3_f32 v124, v79, v78, 0x7f7fffff
	v_add_f32_e32 v78, v11, v75
	v_add_f32_e32 v79, v10, v74
	v_min3_f32 v123, v79, v78, 0x7f7fffff
	v_add_f32_e32 v78, v7, v75
	v_add_f32_e32 v79, v6, v74
	v_add_f32_e32 v75, v3, v75
	v_add_f32_e32 v74, v2, v74
	v_min3_f32 v122, v79, v78, 0x7f7fffff
	v_min3_f32 v121, v74, v75, 0x7f7fffff
	v_add_f32_e32 v74, v15, v71
	v_add_f32_e32 v75, v14, v70
	v_min3_f32 v120, v75, v74, 0x7f7fffff
	v_add_f32_e32 v74, v11, v71
	v_add_f32_e32 v75, v10, v70
	v_min3_f32 v119, v75, v74, 0x7f7fffff
	v_add_f32_e32 v74, v7, v71
	v_add_f32_e32 v75, v6, v70
	v_add_f32_e32 v71, v3, v71
	v_add_f32_e32 v70, v2, v70
	;; [unrolled: 12-line block ×13, first 2 shown]
	v_add_f32_e32 v6, v6, v18
	v_min3_f32 v34, v31, v30, 0x7f7fffff
	v_min3_f32 v31, v26, v27, 0x7f7fffff
	v_add_f32_e32 v26, v15, v23
	v_add_f32_e32 v27, v14, v22
	v_add_f32_e32 v15, v15, v19
	v_add_f32_e32 v14, v14, v18
	v_min3_f32 v30, v27, v26, 0x7f7fffff
	v_add_f32_e32 v26, v11, v23
	v_add_f32_e32 v27, v10, v22
	;; [unrolled: 1-line block ×4, first 2 shown]
	v_min3_f32 v14, v14, v15, 0x7f7fffff
	v_add_f32_e32 v11, v11, v19
	v_min3_f32 v27, v27, v26, 0x7f7fffff
	v_add_f32_e32 v26, v7, v23
	v_add_f32_e32 v23, v3, v23
	;; [unrolled: 1-line block ×5, first 2 shown]
	v_min3_f32 v26, v129, v26, 0x7f7fffff
	v_min3_f32 v22, v22, v23, 0x7f7fffff
	v_min3_f32 v6, v6, v7, 0x7f7fffff
	v_min3_f32 v2, v2, v3, 0x7f7fffff
	v_add_f32_e32 v3, v17, v81
	v_add_f32_e32 v7, v16, v80
	v_min3_f32 v10, v10, v11, 0x7f7fffff
	v_min3_f32 v171, v7, v3, v125
	v_add_f32_e32 v3, v13, v81
	v_add_f32_e32 v7, v12, v80
	v_min3_f32 v168, v7, v3, v126
	v_add_f32_e32 v3, v9, v81
	v_add_f32_e32 v7, v8, v80
	;; [unrolled: 3-line block ×59, first 2 shown]
	v_add_f32_e32 v4, v4, v20
	v_min3_f32 v96, v7, v3, v22
	v_add_f32_e32 v3, v17, v21
	v_add_f32_e32 v7, v16, v20
	v_min3_f32 v97, v7, v3, v14
	v_add_f32_e32 v3, v13, v21
	;; [unrolled: 3-line block ×4, first 2 shown]
	v_min3_f32 v143, v4, v3, v2
	s_cbranch_scc1 .LBB10_11
; %bb.9:
	v_add_co_u32 v114, vcc_lo, s18, v88
	v_add_co_ci_u32_e64 v115, null, s19, v89, vcc_lo
	v_add_co_u32 v116, vcc_lo, s18, v86
	v_add_co_ci_u32_e64 v117, null, s19, v87, vcc_lo
	;; [unrolled: 2-line block ×3, first 2 shown]
	v_add_co_u32 v120, vcc_lo, s16, v82
	v_add_nc_u32_e32 v107, 0x1000, v93
	v_or_b32_e32 v108, 0x1000, v90
	v_add_nc_u32_e32 v109, 0x800, v93
	v_add_nc_u32_e32 v110, 0x1800, v93
	v_lshl_add_u32 v112, v0, 4, 0x800
	v_lshl_add_u32 v113, v1, 4, 0x1800
	v_add_co_ci_u32_e64 v121, null, s17, v83, vcc_lo
	s_add_i32 s8, s14, -8
	s_mov_b32 s9, 0
.LBB10_10:                              ; =>This Inner Loop Header: Depth=1
	v_add_co_u32 v82, vcc_lo, v120, v91
	v_add_co_ci_u32_e64 v83, null, 0, v121, vcc_lo
	v_add_co_u32 v84, vcc_lo, v118, v91
	v_add_co_ci_u32_e64 v85, null, 0, v119, vcc_lo
	;; [unrolled: 2-line block ×4, first 2 shown]
	flat_load_dword v172, v[82:83] offset:32
	flat_load_dword v173, v[84:85] offset:32
	flat_load_dword v174, v[86:87] offset:32
	flat_load_dword v175, v[88:89] offset:32
	ds_read_b128 v[14:17], v112
	ds_read_b128 v[10:13], v112 offset:512
	ds_read_b128 v[6:9], v112 offset:1024
	;; [unrolled: 1-line block ×3, first 2 shown]
	ds_read_b128 v[78:81], v113
	ds_read_b128 v[74:77], v113 offset:128
	ds_read_b128 v[70:73], v113 offset:256
	;; [unrolled: 1-line block ×15, first 2 shown]
	v_add_co_u32 v114, vcc_lo, v114, 32
	v_add_co_ci_u32_e64 v115, null, 0, v115, vcc_lo
	s_waitcnt lgkmcnt(15)
	v_add_f32_e32 v176, v15, v79
	v_add_f32_e32 v177, v14, v78
	v_add_co_u32 v116, vcc_lo, v116, 32
	v_add_co_ci_u32_e64 v117, null, 0, v117, vcc_lo
	v_min3_f32 v177, v177, v176, v171
	v_add_f32_e32 v171, v11, v79
	v_add_f32_e32 v176, v10, v78
	v_add_co_u32 v118, vcc_lo, v118, 32
	v_add_co_ci_u32_e64 v119, null, 0, v119, vcc_lo
	v_min3_f32 v178, v176, v171, v168
	v_add_f32_e32 v168, v7, v79
	v_add_f32_e32 v171, v6, v78
	;; [unrolled: 1-line block ×4, first 2 shown]
	v_add_co_u32 v120, vcc_lo, v120, 32
	v_min3_f32 v179, v171, v168, v169
	v_add_co_ci_u32_e64 v121, null, 0, v121, vcc_lo
	v_min3_f32 v180, v78, v79, v163
	s_waitcnt lgkmcnt(14)
	v_add_f32_e32 v78, v15, v75
	v_add_f32_e32 v79, v14, v74
	s_add_i32 s9, s9, 8
	s_waitcnt vmcnt(2)
	ds_write2st64_b32 v93, v172, v173 offset1:4
	s_waitcnt vmcnt(0)
	ds_write2st64_b32 v107, v174, v175 offset1:4
	v_min3_f32 v176, v79, v78, v170
	v_add_f32_e32 v78, v11, v75
	v_add_f32_e32 v79, v10, v74
	s_waitcnt lgkmcnt(0)
	s_barrier
	buffer_gl0_inv
	flat_load_dword v82, v[82:83] offset:48
	flat_load_dword v83, v[84:85] offset:48
	;; [unrolled: 1-line block ×4, first 2 shown]
	v_min3_f32 v171, v79, v78, v165
	v_add_f32_e32 v78, v7, v75
	v_add_f32_e32 v79, v6, v74
	;; [unrolled: 1-line block ×4, first 2 shown]
	s_cmp_ge_i32 s9, s8
	v_min3_f32 v170, v79, v78, v166
	v_min3_f32 v169, v74, v75, v160
	v_add_f32_e32 v74, v15, v71
	v_add_f32_e32 v75, v14, v70
	v_min3_f32 v168, v75, v74, v167
	v_add_f32_e32 v74, v11, v71
	v_add_f32_e32 v75, v10, v70
	v_min3_f32 v167, v75, v74, v161
	v_add_f32_e32 v74, v7, v71
	v_add_f32_e32 v75, v6, v70
	v_add_f32_e32 v71, v3, v71
	v_add_f32_e32 v70, v2, v70
	v_min3_f32 v166, v75, v74, v162
	v_min3_f32 v165, v70, v71, v156
	v_add_f32_e32 v70, v15, v67
	v_add_f32_e32 v71, v14, v66
	v_min3_f32 v163, v71, v70, v164
	v_add_f32_e32 v70, v11, v67
	v_add_f32_e32 v71, v10, v66
	v_min3_f32 v162, v71, v70, v157
	v_add_f32_e32 v70, v7, v67
	v_add_f32_e32 v71, v6, v66
	v_add_f32_e32 v67, v3, v67
	v_add_f32_e32 v66, v2, v66
	;; [unrolled: 12-line block ×12, first 2 shown]
	v_min3_f32 v34, v31, v30, v103
	v_min3_f32 v31, v26, v27, v100
	v_add_f32_e32 v26, v15, v23
	v_add_f32_e32 v27, v14, v22
	;; [unrolled: 1-line block ×4, first 2 shown]
	v_min3_f32 v30, v27, v26, v102
	v_add_f32_e32 v26, v11, v23
	v_add_f32_e32 v27, v10, v22
	;; [unrolled: 1-line block ×4, first 2 shown]
	v_min3_f32 v14, v14, v15, v97
	v_min3_f32 v27, v27, v26, v98
	v_add_f32_e32 v26, v7, v23
	v_add_f32_e32 v98, v6, v22
	;; [unrolled: 1-line block ×8, first 2 shown]
	v_min3_f32 v26, v98, v26, v99
	v_min3_f32 v22, v22, v23, v96
	;; [unrolled: 1-line block ×3, first 2 shown]
	v_add_f32_e32 v7, v16, v80
	v_min3_f32 v2, v2, v3, v143
	v_add_f32_e32 v3, v17, v81
	v_min3_f32 v10, v10, v11, v94
	v_min3_f32 v98, v7, v3, v177
	v_add_f32_e32 v3, v13, v81
	v_add_f32_e32 v7, v12, v80
	v_min3_f32 v96, v7, v3, v178
	v_add_f32_e32 v3, v9, v81
	v_add_f32_e32 v7, v8, v80
	;; [unrolled: 3-line block ×59, first 2 shown]
	v_add_f32_e32 v4, v4, v20
	v_min3_f32 v182, v7, v3, v22
	v_add_f32_e32 v3, v17, v21
	v_add_f32_e32 v7, v16, v20
	v_min3_f32 v183, v7, v3, v14
	v_add_f32_e32 v3, v13, v21
	;; [unrolled: 3-line block ×4, first 2 shown]
	v_min3_f32 v186, v4, v3, v2
	ds_read_b128 v[18:21], v92
	ds_read_b128 v[10:13], v92 offset:512
	ds_read_b128 v[6:9], v92 offset:1024
	;; [unrolled: 1-line block ×3, first 2 shown]
	ds_read_b128 v[78:81], v108
	ds_read_b128 v[74:77], v108 offset:128
	ds_read_b128 v[70:73], v108 offset:256
	;; [unrolled: 1-line block ×15, first 2 shown]
	s_waitcnt vmcnt(2) lgkmcnt(22)
	ds_write2st64_b32 v109, v82, v83 offset1:4
	s_waitcnt vmcnt(0) lgkmcnt(21)
	ds_write2st64_b32 v110, v84, v85 offset1:4
	s_waitcnt lgkmcnt(0)
	s_barrier
	buffer_gl0_inv
	v_add_f32_e32 v86, v19, v79
	v_add_f32_e32 v87, v18, v78
	v_min3_f32 v148, v87, v86, v98
	v_add_f32_e32 v86, v11, v79
	v_add_f32_e32 v87, v10, v78
	v_min3_f32 v151, v87, v86, v96
	v_add_f32_e32 v86, v7, v79
	v_add_f32_e32 v87, v6, v78
	v_add_f32_e32 v79, v3, v79
	v_add_f32_e32 v78, v2, v78
	v_min3_f32 v153, v87, v86, v95
	v_min3_f32 v158, v78, v79, v94
	v_add_f32_e32 v78, v19, v75
	v_add_f32_e32 v79, v18, v74
	v_min3_f32 v140, v79, v78, v99
	v_add_f32_e32 v78, v11, v75
	v_add_f32_e32 v79, v10, v74
	v_min3_f32 v139, v79, v78, v100
	v_add_f32_e32 v78, v7, v75
	v_add_f32_e32 v79, v6, v74
	v_add_f32_e32 v75, v3, v75
	v_add_f32_e32 v74, v2, v74
	v_min3_f32 v137, v79, v78, v101
	v_min3_f32 v135, v74, v75, v102
	;; [unrolled: 12-line block ×4, first 2 shown]
	v_add_f32_e32 v66, v19, v63
	v_add_f32_e32 v67, v18, v62
	v_min3_f32 v98, v67, v66, v143
	v_add_f32_e32 v66, v11, v63
	v_add_f32_e32 v67, v10, v62
	v_min3_f32 v96, v67, v66, v145
	v_add_f32_e32 v66, v7, v63
	v_add_f32_e32 v67, v6, v62
	;; [unrolled: 1-line block ×4, first 2 shown]
	v_min3_f32 v94, v67, v66, v150
	v_add_f32_e32 v67, v6, v50
	v_min3_f32 v88, v62, v63, v155
	v_add_f32_e32 v62, v19, v59
	v_add_f32_e32 v63, v18, v58
	v_min3_f32 v86, v63, v62, v154
	v_add_f32_e32 v62, v11, v59
	;; [unrolled: 3-line block ×3, first 2 shown]
	v_add_f32_e32 v63, v6, v58
	v_add_f32_e32 v59, v3, v59
	;; [unrolled: 1-line block ×3, first 2 shown]
	v_min3_f32 v78, v63, v62, v159
	v_add_f32_e32 v63, v10, v50
	v_min3_f32 v74, v58, v59, v160
	v_add_f32_e32 v58, v19, v55
	v_add_f32_e32 v59, v18, v54
	v_min3_f32 v66, v59, v58, v163
	v_add_f32_e32 v58, v11, v55
	;; [unrolled: 3-line block ×3, first 2 shown]
	v_add_f32_e32 v59, v6, v54
	v_add_f32_e32 v55, v3, v55
	v_add_f32_e32 v54, v2, v54
	v_min3_f32 v59, v59, v58, v167
	v_min3_f32 v58, v54, v55, v168
	v_add_f32_e32 v54, v19, v51
	v_add_f32_e32 v55, v18, v50
	v_add_f32_e32 v50, v2, v50
	v_min3_f32 v55, v55, v54, v171
	v_add_f32_e32 v54, v11, v51
	v_min3_f32 v54, v63, v54, v177
	v_add_f32_e32 v63, v7, v51
	v_add_f32_e32 v51, v3, v51
	v_min3_f32 v122, v67, v63, v97
	v_min3_f32 v111, v50, v51, v103
	v_add_f32_e32 v50, v19, v47
	v_add_f32_e32 v51, v18, v46
	v_min3_f32 v106, v51, v50, v104
	v_add_f32_e32 v50, v11, v47
	v_add_f32_e32 v51, v10, v46
	v_min3_f32 v105, v51, v50, v105
	v_add_f32_e32 v50, v7, v47
	v_add_f32_e32 v51, v6, v46
	v_add_f32_e32 v47, v3, v47
	v_add_f32_e32 v46, v2, v46
	v_min3_f32 v104, v51, v50, v127
	v_add_f32_e32 v127, v6, v22
	v_min3_f32 v103, v46, v47, v128
	v_add_f32_e32 v46, v19, v43
	v_add_f32_e32 v47, v18, v42
	v_min3_f32 v97, v47, v46, v129
	v_add_f32_e32 v46, v11, v43
	;; [unrolled: 3-line block ×3, first 2 shown]
	v_add_f32_e32 v47, v6, v42
	v_add_f32_e32 v43, v3, v43
	v_add_f32_e32 v42, v2, v42
	v_min3_f32 v89, v47, v46, v132
	v_min3_f32 v87, v42, v43, v134
	v_add_f32_e32 v42, v19, v39
	v_add_f32_e32 v43, v18, v38
	v_min3_f32 v75, v43, v42, v141
	v_add_f32_e32 v42, v11, v39
	v_add_f32_e32 v43, v10, v38
	v_min3_f32 v71, v43, v42, v142
	v_add_f32_e32 v42, v7, v39
	v_add_f32_e32 v43, v6, v38
	v_add_f32_e32 v39, v3, v39
	v_add_f32_e32 v38, v2, v38
	v_min3_f32 v70, v43, v42, v144
	v_min3_f32 v67, v38, v39, v146
	v_add_f32_e32 v38, v19, v35
	v_add_f32_e32 v39, v18, v34
	v_min3_f32 v63, v39, v38, v147
	v_add_f32_e32 v38, v11, v35
	v_add_f32_e32 v39, v10, v34
	v_min3_f32 v51, v39, v38, v149
	v_add_f32_e32 v38, v7, v35
	;; [unrolled: 12-line block ×4, first 2 shown]
	v_add_f32_e32 v31, v6, v26
	v_add_f32_e32 v27, v3, v27
	;; [unrolled: 1-line block ×4, first 2 shown]
	v_min3_f32 v34, v31, v30, v176
	v_min3_f32 v31, v26, v27, v178
	v_add_f32_e32 v26, v19, v23
	v_add_f32_e32 v27, v18, v22
	;; [unrolled: 1-line block ×4, first 2 shown]
	v_min3_f32 v30, v27, v26, v179
	v_add_f32_e32 v26, v11, v23
	v_add_f32_e32 v27, v10, v22
	;; [unrolled: 1-line block ×4, first 2 shown]
	v_min3_f32 v18, v18, v19, v183
	v_add_f32_e32 v11, v11, v15
	v_min3_f32 v27, v27, v26, v180
	v_add_f32_e32 v26, v7, v23
	v_add_f32_e32 v23, v3, v23
	;; [unrolled: 1-line block ×5, first 2 shown]
	v_min3_f32 v26, v127, v26, v181
	v_min3_f32 v22, v22, v23, v182
	v_min3_f32 v6, v6, v7, v185
	v_min3_f32 v2, v2, v3, v186
	v_add_f32_e32 v3, v21, v81
	v_add_f32_e32 v7, v20, v80
	v_min3_f32 v10, v10, v11, v184
	v_min3_f32 v171, v7, v3, v148
	v_add_f32_e32 v3, v13, v81
	v_add_f32_e32 v7, v12, v80
	v_min3_f32 v168, v7, v3, v151
	v_add_f32_e32 v3, v9, v81
	v_add_f32_e32 v7, v8, v80
	;; [unrolled: 3-line block ×59, first 2 shown]
	v_add_f32_e32 v4, v4, v16
	v_min3_f32 v96, v7, v3, v22
	v_add_f32_e32 v3, v21, v17
	v_add_f32_e32 v7, v20, v16
	v_min3_f32 v97, v7, v3, v18
	v_add_f32_e32 v3, v13, v17
	;; [unrolled: 3-line block ×4, first 2 shown]
	v_min3_f32 v143, v4, v3, v2
	s_cbranch_scc0 .LBB10_10
.LBB10_11:
	ds_read_b128 v[18:21], v92 offset:2048
	ds_read_b128 v[78:81], v90 offset:6144
	s_clause 0x2
	s_load_dwordx2 s[10:11], s[4:5], 0x70
	s_load_dword s8, s[4:5], 0x50
	s_load_dword s4, s[4:5], 0x68
	ds_read_b128 v[14:17], v92 offset:2560
	ds_read_b128 v[10:13], v92 offset:3072
	;; [unrolled: 1-line block ×14, first 2 shown]
	v_add_nc_u32_e32 v88, s7, v1
	ds_read_b128 v[30:33], v90 offset:7680
	ds_read_b128 v[26:29], v90 offset:7808
	v_add_nc_u32_e32 v84, s6, v0
	s_mov_b32 s5, -1
	v_add_nc_u32_e32 v0, 32, v84
	s_waitcnt lgkmcnt(0)
	v_add_f32_e32 v6, v19, v79
	v_add_f32_e32 v7, v18, v78
	v_mad_i64_i32 v[82:83], null, v88, s4, 0
	v_mad_i64_i32 v[86:87], null, v88, s8, 0
	v_min3_f32 v1, v7, v6, v171
	ds_read_b128 v[22:25], v90 offset:7936
	ds_read_b128 v[6:9], v90 offset:8064
	v_add_f32_e32 v85, v21, v81
	v_add_f32_e32 v89, v20, v80
	v_lshlrev_b64 v[82:83], 2, v[82:83]
	s_lshl_b64 s[10:11], s[10:11], 2
	v_lshlrev_b64 v[86:87], 2, v[86:87]
	s_add_u32 s2, s2, s10
	v_min3_f32 v93, v89, v85, v1
	v_ashrrev_i32_e32 v85, 31, v84
	s_addc_u32 s3, s3, s11
	v_add_co_u32 v89, vcc_lo, s2, v82
	v_add_co_ci_u32_e64 v90, null, s3, v83, vcc_lo
	v_add_co_u32 v91, vcc_lo, s12, v86
	v_lshlrev_b64 v[82:83], 2, v[84:85]
	v_ashrrev_i32_e32 v1, 31, v0
	v_add_co_ci_u32_e64 v92, null, s13, v87, vcc_lo
	v_max_f32_e32 v85, v93, v93
	s_mov_b32 vcc_lo, s0
	s_cbranch_vccz .LBB10_13
; %bb.12:
	v_add_co_u32 v86, vcc_lo, v89, v82
	v_min_f32_e32 v93, 0, v85
	v_add_co_ci_u32_e64 v87, null, v90, v83, vcc_lo
	s_mov_b32 s5, 0
	flat_store_dword v[86:87], v93
.LBB10_13:
	v_lshlrev_b64 v[0:1], 2, v[0:1]
	v_mov_b32_e32 v87, 0
	s_andn2_b32 vcc_lo, exec_lo, s5
	s_cbranch_vccnz .LBB10_15
; %bb.14:
	v_add_co_u32 v86, vcc_lo, v91, v82
	v_add_co_ci_u32_e64 v87, null, v92, v83, vcc_lo
	flat_load_dword v86, v[86:87]
	s_waitcnt vmcnt(0) lgkmcnt(0)
	v_mul_f32_e32 v93, s1, v86
	v_add_co_u32 v86, vcc_lo, v89, v82
	v_add_co_ci_u32_e64 v87, null, v90, v83, vcc_lo
	v_add_co_u32 v107, vcc_lo, v91, v0
	v_min_f32_e32 v85, v93, v85
	v_add_co_ci_u32_e64 v108, null, v92, v1, vcc_lo
	flat_store_dword v[86:87], v85
	flat_load_dword v85, v[107:108]
	s_waitcnt vmcnt(0) lgkmcnt(0)
	v_mul_f32_e32 v87, s1, v85
.LBB10_15:
	v_add_f32_e32 v85, v15, v79
	v_add_f32_e32 v86, v14, v78
	;; [unrolled: 1-line block ×6, first 2 shown]
	v_min3_f32 v85, v86, v85, v168
	v_add_f32_e32 v110, v12, v80
	v_min3_f32 v93, v107, v93, v169
	v_add_nc_u32_e32 v107, 64, v84
	v_min_f32_e32 v108, v109, v108
	v_add_f32_e32 v109, v13, v81
	v_add_nc_u32_e32 v86, 0x60, v84
	v_add_co_u32 v84, vcc_lo, v89, v0
	v_min3_f32 v112, v87, v108, v85
	v_add_co_ci_u32_e64 v85, null, v90, v1, vcc_lo
	v_ashrrev_i32_e32 v108, 31, v107
	v_min3_f32 v93, v110, v109, v93
	v_ashrrev_i32_e32 v87, 31, v86
	flat_store_dword v[84:85], v112
	s_mov_b32 s5, -1
	v_lshlrev_b64 v[84:85], 2, v[107:108]
	v_max_f32_e32 v93, v93, v93
	s_mov_b32 vcc_lo, s0
	s_cbranch_vccz .LBB10_17
; %bb.16:
	v_add_co_u32 v107, vcc_lo, v89, v84
	v_min_f32_e32 v109, 0, v93
	v_add_co_ci_u32_e64 v108, null, v90, v85, vcc_lo
	s_mov_b32 s5, 0
	flat_store_dword v[107:108], v109
.LBB10_17:
	v_lshlrev_b64 v[86:87], 2, v[86:87]
	v_mov_b32_e32 v107, 0
	s_andn2_b32 vcc_lo, exec_lo, s5
	s_cbranch_vccnz .LBB10_19
; %bb.18:
	v_add_co_u32 v107, vcc_lo, v91, v84
	v_add_co_ci_u32_e64 v108, null, v92, v85, vcc_lo
	flat_load_dword v107, v[107:108]
	s_waitcnt vmcnt(0) lgkmcnt(0)
	v_mul_f32_e32 v109, s1, v107
	v_add_co_u32 v107, vcc_lo, v89, v84
	v_add_co_ci_u32_e64 v108, null, v90, v85, vcc_lo
	v_add_co_u32 v91, vcc_lo, v91, v86
	v_min_f32_e32 v93, v109, v93
	v_add_co_ci_u32_e64 v92, null, v92, v87, vcc_lo
	flat_store_dword v[107:108], v93
	flat_load_dword v91, v[91:92]
	s_waitcnt vmcnt(0) lgkmcnt(0)
	v_mul_f32_e32 v107, s1, v91
.LBB10_19:
	v_add_f32_e32 v79, v3, v79
	v_add_f32_e32 v78, v2, v78
	;; [unrolled: 1-line block ×6, first 2 shown]
	v_min3_f32 v78, v78, v79, v163
	v_add_f32_e32 v93, v20, v76
	v_min_f32_e32 v79, v80, v81
	v_add_nc_u32_e32 v80, 8, v88
	v_min3_f32 v91, v92, v91, v170
	v_add_f32_e32 v92, v21, v77
	v_add_co_u32 v89, vcc_lo, v89, v86
	v_min3_f32 v107, v107, v79, v78
	v_mad_i64_i32 v[78:79], null, v80, s4, 0
	v_mad_i64_i32 v[80:81], null, v80, s8, 0
	v_add_co_ci_u32_e64 v90, null, v90, v87, vcc_lo
	v_min3_f32 v91, v93, v92, v91
	s_mov_b32 s5, -1
	v_lshlrev_b64 v[78:79], 2, v[78:79]
	flat_store_dword v[89:90], v107
	v_lshlrev_b64 v[80:81], 2, v[80:81]
	v_max_f32_e32 v89, v91, v91
	v_add_co_u32 v78, vcc_lo, s2, v78
	v_add_co_ci_u32_e64 v79, null, s3, v79, vcc_lo
	v_add_co_u32 v80, vcc_lo, s12, v80
	v_add_co_ci_u32_e64 v81, null, s13, v81, vcc_lo
	s_mov_b32 vcc_lo, s0
	s_cbranch_vccz .LBB10_21
; %bb.20:
	v_add_co_u32 v90, vcc_lo, v78, v82
	v_min_f32_e32 v92, 0, v89
	v_add_co_ci_u32_e64 v91, null, v79, v83, vcc_lo
	s_mov_b32 s5, 0
	flat_store_dword v[90:91], v92
.LBB10_21:
	v_mov_b32_e32 v90, 0
	s_andn2_b32 vcc_lo, exec_lo, s5
	s_cbranch_vccnz .LBB10_23
; %bb.22:
	v_add_co_u32 v90, vcc_lo, v80, v82
	v_add_co_ci_u32_e64 v91, null, v81, v83, vcc_lo
	flat_load_dword v90, v[90:91]
	s_waitcnt vmcnt(0) lgkmcnt(0)
	v_mul_f32_e32 v92, s1, v90
	v_add_co_u32 v90, vcc_lo, v78, v82
	v_add_co_ci_u32_e64 v91, null, v79, v83, vcc_lo
	v_min_f32_e32 v89, v92, v89
	v_add_co_u32 v92, vcc_lo, v80, v0
	v_add_co_ci_u32_e64 v93, null, v81, v1, vcc_lo
	flat_store_dword v[90:91], v89
	flat_load_dword v89, v[92:93]
	s_waitcnt vmcnt(0) lgkmcnt(0)
	v_mul_f32_e32 v90, s1, v89
.LBB10_23:
	v_add_f32_e32 v89, v15, v75
	v_add_f32_e32 v91, v14, v74
	;; [unrolled: 1-line block ×6, first 2 shown]
	v_min3_f32 v89, v91, v89, v165
	s_mov_b32 s5, -1
	v_min_f32_e32 v91, v93, v92
	v_add_f32_e32 v93, v13, v77
	v_min3_f32 v92, v108, v107, v166
	v_add_f32_e32 v107, v12, v76
	v_min3_f32 v91, v90, v91, v89
	v_add_co_u32 v89, vcc_lo, v78, v0
	v_add_co_ci_u32_e64 v90, null, v79, v1, vcc_lo
	v_min3_f32 v92, v107, v93, v92
	s_mov_b32 vcc_lo, s0
	flat_store_dword v[89:90], v91
	v_max_f32_e32 v89, v92, v92
	s_cbranch_vccz .LBB10_25
; %bb.24:
	v_add_co_u32 v90, vcc_lo, v78, v84
	v_min_f32_e32 v92, 0, v89
	v_add_co_ci_u32_e64 v91, null, v79, v85, vcc_lo
	s_mov_b32 s5, 0
	flat_store_dword v[90:91], v92
.LBB10_25:
	v_mov_b32_e32 v90, 0
	s_andn2_b32 vcc_lo, exec_lo, s5
	s_cbranch_vccnz .LBB10_27
; %bb.26:
	v_add_co_u32 v90, vcc_lo, v80, v84
	v_add_co_ci_u32_e64 v91, null, v81, v85, vcc_lo
	flat_load_dword v90, v[90:91]
	s_waitcnt vmcnt(0) lgkmcnt(0)
	v_mul_f32_e32 v92, s1, v90
	v_add_co_u32 v90, vcc_lo, v78, v84
	v_add_co_ci_u32_e64 v91, null, v79, v85, vcc_lo
	v_add_co_u32 v80, vcc_lo, v80, v86
	v_min_f32_e32 v89, v92, v89
	v_add_co_ci_u32_e64 v81, null, v81, v87, vcc_lo
	flat_store_dword v[90:91], v89
	flat_load_dword v80, v[80:81]
	s_waitcnt vmcnt(0) lgkmcnt(0)
	v_mul_f32_e32 v90, s1, v80
.LBB10_27:
	v_add_f32_e32 v75, v3, v75
	v_add_f32_e32 v74, v2, v74
	v_add_f32_e32 v77, v5, v77
	v_add_f32_e32 v76, v4, v76
	v_add_f32_e32 v80, v19, v71
	v_add_f32_e32 v81, v18, v70
	v_min3_f32 v74, v74, v75, v160
	v_add_f32_e32 v89, v20, v72
	v_min_f32_e32 v75, v76, v77
	v_add_nc_u32_e32 v76, 16, v88
	v_min3_f32 v80, v81, v80, v167
	v_add_f32_e32 v81, v21, v73
	v_add_co_u32 v78, vcc_lo, v78, v86
	v_min3_f32 v90, v90, v75, v74
	v_mad_i64_i32 v[74:75], null, v76, s4, 0
	v_mad_i64_i32 v[76:77], null, v76, s8, 0
	v_add_co_ci_u32_e64 v79, null, v79, v87, vcc_lo
	v_min3_f32 v80, v89, v81, v80
	s_mov_b32 s5, -1
	v_lshlrev_b64 v[74:75], 2, v[74:75]
	flat_store_dword v[78:79], v90
	v_lshlrev_b64 v[76:77], 2, v[76:77]
	v_max_f32_e32 v78, v80, v80
	v_add_co_u32 v74, vcc_lo, s2, v74
	v_add_co_ci_u32_e64 v75, null, s3, v75, vcc_lo
	v_add_co_u32 v76, vcc_lo, s12, v76
	v_add_co_ci_u32_e64 v77, null, s13, v77, vcc_lo
	s_mov_b32 vcc_lo, s0
	s_cbranch_vccz .LBB10_29
; %bb.28:
	v_add_co_u32 v79, vcc_lo, v74, v82
	v_min_f32_e32 v81, 0, v78
	v_add_co_ci_u32_e64 v80, null, v75, v83, vcc_lo
	s_mov_b32 s5, 0
	flat_store_dword v[79:80], v81
.LBB10_29:
	v_mov_b32_e32 v79, 0
	s_andn2_b32 vcc_lo, exec_lo, s5
	s_cbranch_vccnz .LBB10_31
; %bb.30:
	v_add_co_u32 v79, vcc_lo, v76, v82
	v_add_co_ci_u32_e64 v80, null, v77, v83, vcc_lo
	flat_load_dword v79, v[79:80]
	s_waitcnt vmcnt(0) lgkmcnt(0)
	v_mul_f32_e32 v81, s1, v79
	v_add_co_u32 v79, vcc_lo, v74, v82
	v_add_co_ci_u32_e64 v80, null, v75, v83, vcc_lo
	v_add_co_u32 v89, vcc_lo, v76, v0
	v_min_f32_e32 v78, v81, v78
	v_add_co_ci_u32_e64 v90, null, v77, v1, vcc_lo
	flat_store_dword v[79:80], v78
	flat_load_dword v78, v[89:90]
	s_waitcnt vmcnt(0) lgkmcnt(0)
	v_mul_f32_e32 v79, s1, v78
.LBB10_31:
	v_add_f32_e32 v78, v15, v71
	v_add_f32_e32 v80, v14, v70
	;; [unrolled: 1-line block ×6, first 2 shown]
	v_min3_f32 v78, v80, v78, v161
	s_mov_b32 s5, -1
	v_min_f32_e32 v80, v89, v81
	v_add_f32_e32 v89, v13, v73
	v_min3_f32 v81, v91, v90, v162
	v_add_f32_e32 v90, v12, v72
	v_min3_f32 v80, v79, v80, v78
	v_add_co_u32 v78, vcc_lo, v74, v0
	v_add_co_ci_u32_e64 v79, null, v75, v1, vcc_lo
	v_min3_f32 v81, v90, v89, v81
	s_mov_b32 vcc_lo, s0
	flat_store_dword v[78:79], v80
	v_max_f32_e32 v78, v81, v81
	s_cbranch_vccz .LBB10_33
; %bb.32:
	v_add_co_u32 v79, vcc_lo, v74, v84
	v_min_f32_e32 v81, 0, v78
	v_add_co_ci_u32_e64 v80, null, v75, v85, vcc_lo
	s_mov_b32 s5, 0
	flat_store_dword v[79:80], v81
.LBB10_33:
	v_mov_b32_e32 v79, 0
	s_andn2_b32 vcc_lo, exec_lo, s5
	s_cbranch_vccnz .LBB10_35
; %bb.34:
	v_add_co_u32 v79, vcc_lo, v76, v84
	v_add_co_ci_u32_e64 v80, null, v77, v85, vcc_lo
	flat_load_dword v79, v[79:80]
	s_waitcnt vmcnt(0) lgkmcnt(0)
	v_mul_f32_e32 v81, s1, v79
	v_add_co_u32 v79, vcc_lo, v74, v84
	v_add_co_ci_u32_e64 v80, null, v75, v85, vcc_lo
	v_add_co_u32 v76, vcc_lo, v76, v86
	v_min_f32_e32 v78, v81, v78
	v_add_co_ci_u32_e64 v77, null, v77, v87, vcc_lo
	flat_store_dword v[79:80], v78
	flat_load_dword v76, v[76:77]
	s_waitcnt vmcnt(0) lgkmcnt(0)
	v_mul_f32_e32 v79, s1, v76
.LBB10_35:
	v_add_f32_e32 v71, v3, v71
	v_add_f32_e32 v70, v2, v70
	;; [unrolled: 1-line block ×6, first 2 shown]
	v_min3_f32 v70, v70, v71, v156
	v_add_f32_e32 v78, v20, v68
	v_min_f32_e32 v71, v72, v73
	v_add_nc_u32_e32 v72, 24, v88
	v_min3_f32 v76, v77, v76, v164
	v_add_f32_e32 v77, v21, v69
	v_add_co_u32 v74, vcc_lo, v74, v86
	v_min3_f32 v79, v79, v71, v70
	v_mad_i64_i32 v[70:71], null, v72, s4, 0
	v_mad_i64_i32 v[72:73], null, v72, s8, 0
	v_add_co_ci_u32_e64 v75, null, v75, v87, vcc_lo
	v_min3_f32 v76, v78, v77, v76
	s_mov_b32 s5, -1
	v_lshlrev_b64 v[70:71], 2, v[70:71]
	flat_store_dword v[74:75], v79
	v_lshlrev_b64 v[72:73], 2, v[72:73]
	v_max_f32_e32 v74, v76, v76
	v_add_co_u32 v70, vcc_lo, s2, v70
	v_add_co_ci_u32_e64 v71, null, s3, v71, vcc_lo
	v_add_co_u32 v72, vcc_lo, s12, v72
	v_add_co_ci_u32_e64 v73, null, s13, v73, vcc_lo
	s_mov_b32 vcc_lo, s0
	s_cbranch_vccz .LBB10_37
; %bb.36:
	v_add_co_u32 v75, vcc_lo, v70, v82
	v_min_f32_e32 v77, 0, v74
	v_add_co_ci_u32_e64 v76, null, v71, v83, vcc_lo
	s_mov_b32 s5, 0
	flat_store_dword v[75:76], v77
.LBB10_37:
	v_mov_b32_e32 v75, 0
	s_andn2_b32 vcc_lo, exec_lo, s5
	s_cbranch_vccnz .LBB10_39
; %bb.38:
	v_add_co_u32 v75, vcc_lo, v72, v82
	v_add_co_ci_u32_e64 v76, null, v73, v83, vcc_lo
	flat_load_dword v75, v[75:76]
	s_waitcnt vmcnt(0) lgkmcnt(0)
	v_mul_f32_e32 v77, s1, v75
	v_add_co_u32 v75, vcc_lo, v70, v82
	v_add_co_ci_u32_e64 v76, null, v71, v83, vcc_lo
	v_min_f32_e32 v74, v77, v74
	v_add_co_u32 v77, vcc_lo, v72, v0
	v_add_co_ci_u32_e64 v78, null, v73, v1, vcc_lo
	flat_store_dword v[75:76], v74
	flat_load_dword v74, v[77:78]
	s_waitcnt vmcnt(0) lgkmcnt(0)
	v_mul_f32_e32 v75, s1, v74
.LBB10_39:
	v_add_f32_e32 v74, v15, v67
	v_add_f32_e32 v76, v14, v66
	;; [unrolled: 1-line block ×6, first 2 shown]
	v_min3_f32 v74, v76, v74, v157
	s_mov_b32 s5, -1
	v_min_f32_e32 v76, v78, v77
	v_add_f32_e32 v78, v13, v69
	v_min3_f32 v77, v80, v79, v158
	v_add_f32_e32 v79, v12, v68
	v_min3_f32 v76, v75, v76, v74
	v_add_co_u32 v74, vcc_lo, v70, v0
	v_add_co_ci_u32_e64 v75, null, v71, v1, vcc_lo
	v_min3_f32 v77, v79, v78, v77
	s_mov_b32 vcc_lo, s0
	flat_store_dword v[74:75], v76
	v_max_f32_e32 v74, v77, v77
	s_cbranch_vccz .LBB10_41
; %bb.40:
	v_add_co_u32 v75, vcc_lo, v70, v84
	v_min_f32_e32 v77, 0, v74
	v_add_co_ci_u32_e64 v76, null, v71, v85, vcc_lo
	s_mov_b32 s5, 0
	flat_store_dword v[75:76], v77
.LBB10_41:
	v_mov_b32_e32 v75, 0
	s_andn2_b32 vcc_lo, exec_lo, s5
	s_cbranch_vccnz .LBB10_43
; %bb.42:
	v_add_co_u32 v75, vcc_lo, v72, v84
	v_add_co_ci_u32_e64 v76, null, v73, v85, vcc_lo
	flat_load_dword v75, v[75:76]
	s_waitcnt vmcnt(0) lgkmcnt(0)
	v_mul_f32_e32 v77, s1, v75
	v_add_co_u32 v75, vcc_lo, v70, v84
	v_add_co_ci_u32_e64 v76, null, v71, v85, vcc_lo
	v_add_co_u32 v72, vcc_lo, v72, v86
	v_min_f32_e32 v74, v77, v74
	v_add_co_ci_u32_e64 v73, null, v73, v87, vcc_lo
	flat_store_dword v[75:76], v74
	flat_load_dword v72, v[72:73]
	s_waitcnt vmcnt(0) lgkmcnt(0)
	v_mul_f32_e32 v75, s1, v72
.LBB10_43:
	v_add_f32_e32 v67, v3, v67
	v_add_f32_e32 v66, v2, v66
	;; [unrolled: 1-line block ×6, first 2 shown]
	v_min3_f32 v66, v66, v67, v155
	v_add_f32_e32 v74, v20, v64
	v_min_f32_e32 v67, v68, v69
	v_add_nc_u32_e32 v68, 32, v88
	v_min3_f32 v72, v73, v72, v159
	v_add_f32_e32 v73, v21, v65
	v_add_co_u32 v70, vcc_lo, v70, v86
	v_min3_f32 v75, v75, v67, v66
	v_mad_i64_i32 v[66:67], null, v68, s4, 0
	v_mad_i64_i32 v[68:69], null, v68, s8, 0
	v_add_co_ci_u32_e64 v71, null, v71, v87, vcc_lo
	v_min3_f32 v72, v74, v73, v72
	s_mov_b32 s5, -1
	v_lshlrev_b64 v[66:67], 2, v[66:67]
	flat_store_dword v[70:71], v75
	v_lshlrev_b64 v[68:69], 2, v[68:69]
	v_max_f32_e32 v70, v72, v72
	v_add_co_u32 v66, vcc_lo, s2, v66
	v_add_co_ci_u32_e64 v67, null, s3, v67, vcc_lo
	v_add_co_u32 v68, vcc_lo, s12, v68
	v_add_co_ci_u32_e64 v69, null, s13, v69, vcc_lo
	s_mov_b32 vcc_lo, s0
	s_cbranch_vccz .LBB10_45
; %bb.44:
	v_add_co_u32 v71, vcc_lo, v66, v82
	v_min_f32_e32 v73, 0, v70
	v_add_co_ci_u32_e64 v72, null, v67, v83, vcc_lo
	s_mov_b32 s5, 0
	flat_store_dword v[71:72], v73
.LBB10_45:
	v_mov_b32_e32 v71, 0
	s_andn2_b32 vcc_lo, exec_lo, s5
	s_cbranch_vccnz .LBB10_47
; %bb.46:
	v_add_co_u32 v71, vcc_lo, v68, v82
	v_add_co_ci_u32_e64 v72, null, v69, v83, vcc_lo
	flat_load_dword v71, v[71:72]
	s_waitcnt vmcnt(0) lgkmcnt(0)
	v_mul_f32_e32 v73, s1, v71
	v_add_co_u32 v71, vcc_lo, v66, v82
	v_add_co_ci_u32_e64 v72, null, v67, v83, vcc_lo
	v_min_f32_e32 v70, v73, v70
	v_add_co_u32 v73, vcc_lo, v68, v0
	v_add_co_ci_u32_e64 v74, null, v69, v1, vcc_lo
	flat_store_dword v[71:72], v70
	flat_load_dword v70, v[73:74]
	s_waitcnt vmcnt(0) lgkmcnt(0)
	v_mul_f32_e32 v71, s1, v70
.LBB10_47:
	v_add_f32_e32 v70, v15, v63
	v_add_f32_e32 v72, v14, v62
	;; [unrolled: 1-line block ×6, first 2 shown]
	v_min3_f32 v70, v72, v70, v153
	s_mov_b32 s5, -1
	v_min_f32_e32 v72, v74, v73
	v_add_f32_e32 v74, v13, v65
	v_min3_f32 v73, v76, v75, v154
	v_add_f32_e32 v75, v12, v64
	v_min3_f32 v72, v71, v72, v70
	v_add_co_u32 v70, vcc_lo, v66, v0
	v_add_co_ci_u32_e64 v71, null, v67, v1, vcc_lo
	v_min3_f32 v73, v75, v74, v73
	s_mov_b32 vcc_lo, s0
	flat_store_dword v[70:71], v72
	v_max_f32_e32 v70, v73, v73
	s_cbranch_vccz .LBB10_49
; %bb.48:
	v_add_co_u32 v71, vcc_lo, v66, v84
	v_min_f32_e32 v73, 0, v70
	v_add_co_ci_u32_e64 v72, null, v67, v85, vcc_lo
	s_mov_b32 s5, 0
	flat_store_dword v[71:72], v73
.LBB10_49:
	v_mov_b32_e32 v71, 0
	s_andn2_b32 vcc_lo, exec_lo, s5
	s_cbranch_vccnz .LBB10_51
; %bb.50:
	v_add_co_u32 v71, vcc_lo, v68, v84
	v_add_co_ci_u32_e64 v72, null, v69, v85, vcc_lo
	flat_load_dword v71, v[71:72]
	s_waitcnt vmcnt(0) lgkmcnt(0)
	v_mul_f32_e32 v73, s1, v71
	v_add_co_u32 v71, vcc_lo, v66, v84
	v_add_co_ci_u32_e64 v72, null, v67, v85, vcc_lo
	v_add_co_u32 v68, vcc_lo, v68, v86
	v_min_f32_e32 v70, v73, v70
	v_add_co_ci_u32_e64 v69, null, v69, v87, vcc_lo
	flat_store_dword v[71:72], v70
	flat_load_dword v68, v[68:69]
	s_waitcnt vmcnt(0) lgkmcnt(0)
	v_mul_f32_e32 v71, s1, v68
.LBB10_51:
	v_add_f32_e32 v63, v3, v63
	v_add_f32_e32 v62, v2, v62
	;; [unrolled: 1-line block ×6, first 2 shown]
	v_min3_f32 v62, v62, v63, v151
	v_add_f32_e32 v70, v20, v60
	v_min_f32_e32 v63, v64, v65
	v_add_nc_u32_e32 v64, 40, v88
	v_min3_f32 v68, v69, v68, v152
	v_add_f32_e32 v69, v21, v61
	v_add_co_u32 v66, vcc_lo, v66, v86
	v_min3_f32 v71, v71, v63, v62
	v_mad_i64_i32 v[62:63], null, v64, s4, 0
	v_mad_i64_i32 v[64:65], null, v64, s8, 0
	v_add_co_ci_u32_e64 v67, null, v67, v87, vcc_lo
	v_min3_f32 v68, v70, v69, v68
	s_mov_b32 s5, -1
	v_lshlrev_b64 v[62:63], 2, v[62:63]
	flat_store_dword v[66:67], v71
	v_lshlrev_b64 v[64:65], 2, v[64:65]
	v_max_f32_e32 v66, v68, v68
	v_add_co_u32 v62, vcc_lo, s2, v62
	v_add_co_ci_u32_e64 v63, null, s3, v63, vcc_lo
	v_add_co_u32 v64, vcc_lo, s12, v64
	v_add_co_ci_u32_e64 v65, null, s13, v65, vcc_lo
	s_mov_b32 vcc_lo, s0
	s_cbranch_vccz .LBB10_53
; %bb.52:
	v_add_co_u32 v67, vcc_lo, v62, v82
	v_min_f32_e32 v69, 0, v66
	v_add_co_ci_u32_e64 v68, null, v63, v83, vcc_lo
	s_mov_b32 s5, 0
	flat_store_dword v[67:68], v69
.LBB10_53:
	v_mov_b32_e32 v67, 0
	s_andn2_b32 vcc_lo, exec_lo, s5
	s_cbranch_vccnz .LBB10_55
; %bb.54:
	v_add_co_u32 v67, vcc_lo, v64, v82
	v_add_co_ci_u32_e64 v68, null, v65, v83, vcc_lo
	flat_load_dword v67, v[67:68]
	s_waitcnt vmcnt(0) lgkmcnt(0)
	v_mul_f32_e32 v69, s1, v67
	v_add_co_u32 v67, vcc_lo, v62, v82
	v_add_co_ci_u32_e64 v68, null, v63, v83, vcc_lo
	v_min_f32_e32 v66, v69, v66
	v_add_co_u32 v69, vcc_lo, v64, v0
	v_add_co_ci_u32_e64 v70, null, v65, v1, vcc_lo
	flat_store_dword v[67:68], v66
	flat_load_dword v66, v[69:70]
	s_waitcnt vmcnt(0) lgkmcnt(0)
	v_mul_f32_e32 v67, s1, v66
.LBB10_55:
	v_add_f32_e32 v66, v15, v59
	v_add_f32_e32 v68, v14, v58
	;; [unrolled: 1-line block ×6, first 2 shown]
	v_min3_f32 v66, v68, v66, v148
	s_mov_b32 s5, -1
	v_min_f32_e32 v68, v70, v69
	v_add_f32_e32 v70, v13, v61
	v_min3_f32 v69, v72, v71, v149
	v_add_f32_e32 v71, v12, v60
	v_min3_f32 v68, v67, v68, v66
	v_add_co_u32 v66, vcc_lo, v62, v0
	v_add_co_ci_u32_e64 v67, null, v63, v1, vcc_lo
	v_min3_f32 v69, v71, v70, v69
	s_mov_b32 vcc_lo, s0
	flat_store_dword v[66:67], v68
	v_max_f32_e32 v66, v69, v69
	s_cbranch_vccz .LBB10_57
; %bb.56:
	v_add_co_u32 v67, vcc_lo, v62, v84
	v_min_f32_e32 v69, 0, v66
	v_add_co_ci_u32_e64 v68, null, v63, v85, vcc_lo
	s_mov_b32 s5, 0
	flat_store_dword v[67:68], v69
.LBB10_57:
	v_mov_b32_e32 v67, 0
	s_andn2_b32 vcc_lo, exec_lo, s5
	s_cbranch_vccnz .LBB10_59
; %bb.58:
	v_add_co_u32 v67, vcc_lo, v64, v84
	v_add_co_ci_u32_e64 v68, null, v65, v85, vcc_lo
	flat_load_dword v67, v[67:68]
	s_waitcnt vmcnt(0) lgkmcnt(0)
	v_mul_f32_e32 v69, s1, v67
	v_add_co_u32 v67, vcc_lo, v62, v84
	v_add_co_ci_u32_e64 v68, null, v63, v85, vcc_lo
	v_add_co_u32 v64, vcc_lo, v64, v86
	v_min_f32_e32 v66, v69, v66
	v_add_co_ci_u32_e64 v65, null, v65, v87, vcc_lo
	flat_store_dword v[67:68], v66
	flat_load_dword v64, v[64:65]
	s_waitcnt vmcnt(0) lgkmcnt(0)
	v_mul_f32_e32 v67, s1, v64
.LBB10_59:
	v_add_f32_e32 v59, v3, v59
	v_add_f32_e32 v58, v2, v58
	;; [unrolled: 1-line block ×6, first 2 shown]
	v_min3_f32 v58, v58, v59, v147
	v_add_f32_e32 v66, v20, v56
	v_min_f32_e32 v59, v60, v61
	v_add_nc_u32_e32 v60, 48, v88
	v_min3_f32 v64, v65, v64, v150
	v_add_f32_e32 v65, v21, v57
	v_add_co_u32 v62, vcc_lo, v62, v86
	v_min3_f32 v67, v67, v59, v58
	v_mad_i64_i32 v[58:59], null, v60, s4, 0
	v_mad_i64_i32 v[60:61], null, v60, s8, 0
	v_add_co_ci_u32_e64 v63, null, v63, v87, vcc_lo
	v_min3_f32 v64, v66, v65, v64
	s_mov_b32 s5, -1
	v_lshlrev_b64 v[58:59], 2, v[58:59]
	flat_store_dword v[62:63], v67
	v_lshlrev_b64 v[60:61], 2, v[60:61]
	v_max_f32_e32 v62, v64, v64
	v_add_co_u32 v58, vcc_lo, s2, v58
	v_add_co_ci_u32_e64 v59, null, s3, v59, vcc_lo
	v_add_co_u32 v60, vcc_lo, s12, v60
	v_add_co_ci_u32_e64 v61, null, s13, v61, vcc_lo
	s_mov_b32 vcc_lo, s0
	s_cbranch_vccz .LBB10_61
; %bb.60:
	v_add_co_u32 v63, vcc_lo, v58, v82
	v_min_f32_e32 v65, 0, v62
	v_add_co_ci_u32_e64 v64, null, v59, v83, vcc_lo
	s_mov_b32 s5, 0
	flat_store_dword v[63:64], v65
.LBB10_61:
	v_mov_b32_e32 v63, 0
	s_andn2_b32 vcc_lo, exec_lo, s5
	s_cbranch_vccnz .LBB10_63
; %bb.62:
	v_add_co_u32 v63, vcc_lo, v60, v82
	v_add_co_ci_u32_e64 v64, null, v61, v83, vcc_lo
	flat_load_dword v63, v[63:64]
	s_waitcnt vmcnt(0) lgkmcnt(0)
	v_mul_f32_e32 v65, s1, v63
	v_add_co_u32 v63, vcc_lo, v58, v82
	v_add_co_ci_u32_e64 v64, null, v59, v83, vcc_lo
	v_min_f32_e32 v62, v65, v62
	v_add_co_u32 v65, vcc_lo, v60, v0
	v_add_co_ci_u32_e64 v66, null, v61, v1, vcc_lo
	flat_store_dword v[63:64], v62
	flat_load_dword v62, v[65:66]
	s_waitcnt vmcnt(0) lgkmcnt(0)
	v_mul_f32_e32 v63, s1, v62
.LBB10_63:
	v_add_f32_e32 v62, v15, v55
	v_add_f32_e32 v64, v14, v54
	;; [unrolled: 1-line block ×6, first 2 shown]
	v_min3_f32 v62, v64, v62, v144
	s_mov_b32 s5, -1
	v_min_f32_e32 v64, v66, v65
	v_add_f32_e32 v66, v13, v57
	v_min3_f32 v65, v68, v67, v146
	v_add_f32_e32 v67, v12, v56
	v_min3_f32 v64, v63, v64, v62
	v_add_co_u32 v62, vcc_lo, v58, v0
	v_add_co_ci_u32_e64 v63, null, v59, v1, vcc_lo
	v_min3_f32 v65, v67, v66, v65
	s_mov_b32 vcc_lo, s0
	flat_store_dword v[62:63], v64
	v_max_f32_e32 v62, v65, v65
	s_cbranch_vccz .LBB10_65
; %bb.64:
	v_add_co_u32 v63, vcc_lo, v58, v84
	v_min_f32_e32 v65, 0, v62
	v_add_co_ci_u32_e64 v64, null, v59, v85, vcc_lo
	s_mov_b32 s5, 0
	flat_store_dword v[63:64], v65
.LBB10_65:
	v_mov_b32_e32 v63, 0
	s_andn2_b32 vcc_lo, exec_lo, s5
	s_cbranch_vccnz .LBB10_67
; %bb.66:
	v_add_co_u32 v63, vcc_lo, v60, v84
	v_add_co_ci_u32_e64 v64, null, v61, v85, vcc_lo
	flat_load_dword v63, v[63:64]
	s_waitcnt vmcnt(0) lgkmcnt(0)
	v_mul_f32_e32 v65, s1, v63
	v_add_co_u32 v63, vcc_lo, v58, v84
	v_add_co_ci_u32_e64 v64, null, v59, v85, vcc_lo
	v_add_co_u32 v60, vcc_lo, v60, v86
	v_min_f32_e32 v62, v65, v62
	v_add_co_ci_u32_e64 v61, null, v61, v87, vcc_lo
	flat_store_dword v[63:64], v62
	flat_load_dword v60, v[60:61]
	s_waitcnt vmcnt(0) lgkmcnt(0)
	v_mul_f32_e32 v63, s1, v60
.LBB10_67:
	v_add_f32_e32 v55, v3, v55
	v_add_f32_e32 v54, v2, v54
	v_add_f32_e32 v57, v5, v57
	v_add_f32_e32 v56, v4, v56
	v_add_f32_e32 v60, v19, v51
	v_add_f32_e32 v61, v18, v50
	v_min3_f32 v54, v54, v55, v142
	v_add_f32_e32 v62, v20, v52
	v_min_f32_e32 v55, v56, v57
	v_add_nc_u32_e32 v56, 56, v88
	v_min3_f32 v60, v61, v60, v145
	v_add_f32_e32 v61, v21, v53
	v_add_co_u32 v58, vcc_lo, v58, v86
	v_min3_f32 v63, v63, v55, v54
	v_mad_i64_i32 v[54:55], null, v56, s4, 0
	v_mad_i64_i32 v[56:57], null, v56, s8, 0
	v_add_co_ci_u32_e64 v59, null, v59, v87, vcc_lo
	v_min3_f32 v60, v62, v61, v60
	s_mov_b32 s5, -1
	v_lshlrev_b64 v[54:55], 2, v[54:55]
	flat_store_dword v[58:59], v63
	v_lshlrev_b64 v[56:57], 2, v[56:57]
	v_max_f32_e32 v58, v60, v60
	v_add_co_u32 v54, vcc_lo, s2, v54
	v_add_co_ci_u32_e64 v55, null, s3, v55, vcc_lo
	v_add_co_u32 v56, vcc_lo, s12, v56
	v_add_co_ci_u32_e64 v57, null, s13, v57, vcc_lo
	s_mov_b32 vcc_lo, s0
	s_cbranch_vccz .LBB10_69
; %bb.68:
	v_add_co_u32 v59, vcc_lo, v54, v82
	v_min_f32_e32 v61, 0, v58
	v_add_co_ci_u32_e64 v60, null, v55, v83, vcc_lo
	s_mov_b32 s5, 0
	flat_store_dword v[59:60], v61
.LBB10_69:
	v_mov_b32_e32 v59, 0
	s_andn2_b32 vcc_lo, exec_lo, s5
	s_cbranch_vccnz .LBB10_71
; %bb.70:
	v_add_co_u32 v59, vcc_lo, v56, v82
	v_add_co_ci_u32_e64 v60, null, v57, v83, vcc_lo
	flat_load_dword v59, v[59:60]
	s_waitcnt vmcnt(0) lgkmcnt(0)
	v_mul_f32_e32 v61, s1, v59
	v_add_co_u32 v59, vcc_lo, v54, v82
	v_add_co_ci_u32_e64 v60, null, v55, v83, vcc_lo
	v_min_f32_e32 v58, v61, v58
	v_add_co_u32 v61, vcc_lo, v56, v0
	v_add_co_ci_u32_e64 v62, null, v57, v1, vcc_lo
	flat_store_dword v[59:60], v58
	flat_load_dword v58, v[61:62]
	s_waitcnt vmcnt(0) lgkmcnt(0)
	v_mul_f32_e32 v59, s1, v58
.LBB10_71:
	v_add_f32_e32 v58, v15, v51
	v_add_f32_e32 v60, v14, v50
	;; [unrolled: 1-line block ×6, first 2 shown]
	v_min3_f32 v58, v60, v58, v139
	s_mov_b32 s5, -1
	v_min_f32_e32 v60, v62, v61
	v_add_f32_e32 v62, v13, v53
	v_min3_f32 v61, v64, v63, v141
	v_add_f32_e32 v63, v12, v52
	v_min3_f32 v60, v59, v60, v58
	v_add_co_u32 v58, vcc_lo, v54, v0
	v_add_co_ci_u32_e64 v59, null, v55, v1, vcc_lo
	v_min3_f32 v61, v63, v62, v61
	s_mov_b32 vcc_lo, s0
	flat_store_dword v[58:59], v60
	v_max_f32_e32 v58, v61, v61
	s_cbranch_vccz .LBB10_73
; %bb.72:
	v_add_co_u32 v59, vcc_lo, v54, v84
	v_min_f32_e32 v61, 0, v58
	v_add_co_ci_u32_e64 v60, null, v55, v85, vcc_lo
	s_mov_b32 s5, 0
	flat_store_dword v[59:60], v61
.LBB10_73:
	v_mov_b32_e32 v59, 0
	s_andn2_b32 vcc_lo, exec_lo, s5
	s_cbranch_vccnz .LBB10_75
; %bb.74:
	v_add_co_u32 v59, vcc_lo, v56, v84
	v_add_co_ci_u32_e64 v60, null, v57, v85, vcc_lo
	flat_load_dword v59, v[59:60]
	s_waitcnt vmcnt(0) lgkmcnt(0)
	v_mul_f32_e32 v61, s1, v59
	v_add_co_u32 v59, vcc_lo, v54, v84
	v_add_co_ci_u32_e64 v60, null, v55, v85, vcc_lo
	v_add_co_u32 v56, vcc_lo, v56, v86
	v_min_f32_e32 v58, v61, v58
	v_add_co_ci_u32_e64 v57, null, v57, v87, vcc_lo
	flat_store_dword v[59:60], v58
	flat_load_dword v56, v[56:57]
	s_waitcnt vmcnt(0) lgkmcnt(0)
	v_mul_f32_e32 v59, s1, v56
.LBB10_75:
	v_add_f32_e32 v51, v3, v51
	v_add_f32_e32 v50, v2, v50
	;; [unrolled: 1-line block ×6, first 2 shown]
	v_min3_f32 v50, v50, v51, v137
	v_add_f32_e32 v58, v20, v48
	v_min_f32_e32 v51, v52, v53
	v_add_nc_u32_e32 v52, 64, v88
	v_min3_f32 v56, v57, v56, v140
	v_add_f32_e32 v57, v21, v49
	v_add_co_u32 v54, vcc_lo, v54, v86
	v_min3_f32 v59, v59, v51, v50
	v_mad_i64_i32 v[50:51], null, v52, s4, 0
	v_mad_i64_i32 v[52:53], null, v52, s8, 0
	v_add_co_ci_u32_e64 v55, null, v55, v87, vcc_lo
	v_min3_f32 v56, v58, v57, v56
	s_mov_b32 s5, -1
	v_lshlrev_b64 v[50:51], 2, v[50:51]
	flat_store_dword v[54:55], v59
	v_lshlrev_b64 v[52:53], 2, v[52:53]
	v_max_f32_e32 v54, v56, v56
	v_add_co_u32 v50, vcc_lo, s2, v50
	v_add_co_ci_u32_e64 v51, null, s3, v51, vcc_lo
	v_add_co_u32 v52, vcc_lo, s12, v52
	v_add_co_ci_u32_e64 v53, null, s13, v53, vcc_lo
	s_mov_b32 vcc_lo, s0
	s_cbranch_vccz .LBB10_77
; %bb.76:
	v_add_co_u32 v55, vcc_lo, v50, v82
	v_min_f32_e32 v57, 0, v54
	v_add_co_ci_u32_e64 v56, null, v51, v83, vcc_lo
	s_mov_b32 s5, 0
	flat_store_dword v[55:56], v57
.LBB10_77:
	v_mov_b32_e32 v55, 0
	s_andn2_b32 vcc_lo, exec_lo, s5
	s_cbranch_vccnz .LBB10_79
; %bb.78:
	v_add_co_u32 v55, vcc_lo, v52, v82
	v_add_co_ci_u32_e64 v56, null, v53, v83, vcc_lo
	flat_load_dword v55, v[55:56]
	s_waitcnt vmcnt(0) lgkmcnt(0)
	v_mul_f32_e32 v57, s1, v55
	v_add_co_u32 v55, vcc_lo, v50, v82
	v_add_co_ci_u32_e64 v56, null, v51, v83, vcc_lo
	v_min_f32_e32 v54, v57, v54
	v_add_co_u32 v57, vcc_lo, v52, v0
	v_add_co_ci_u32_e64 v58, null, v53, v1, vcc_lo
	flat_store_dword v[55:56], v54
	flat_load_dword v54, v[57:58]
	s_waitcnt vmcnt(0) lgkmcnt(0)
	v_mul_f32_e32 v55, s1, v54
.LBB10_79:
	v_add_f32_e32 v54, v15, v47
	v_add_f32_e32 v56, v14, v46
	;; [unrolled: 1-line block ×6, first 2 shown]
	v_min3_f32 v54, v56, v54, v135
	s_mov_b32 s5, -1
	v_min_f32_e32 v56, v58, v57
	v_add_f32_e32 v58, v13, v49
	v_min3_f32 v57, v60, v59, v136
	v_add_f32_e32 v59, v12, v48
	v_min3_f32 v56, v55, v56, v54
	v_add_co_u32 v54, vcc_lo, v50, v0
	v_add_co_ci_u32_e64 v55, null, v51, v1, vcc_lo
	v_min3_f32 v57, v59, v58, v57
	s_mov_b32 vcc_lo, s0
	flat_store_dword v[54:55], v56
	v_max_f32_e32 v54, v57, v57
	s_cbranch_vccz .LBB10_81
; %bb.80:
	v_add_co_u32 v55, vcc_lo, v50, v84
	v_min_f32_e32 v57, 0, v54
	v_add_co_ci_u32_e64 v56, null, v51, v85, vcc_lo
	s_mov_b32 s5, 0
	flat_store_dword v[55:56], v57
.LBB10_81:
	v_mov_b32_e32 v55, 0
	s_andn2_b32 vcc_lo, exec_lo, s5
	s_cbranch_vccnz .LBB10_83
; %bb.82:
	v_add_co_u32 v55, vcc_lo, v52, v84
	v_add_co_ci_u32_e64 v56, null, v53, v85, vcc_lo
	flat_load_dword v55, v[55:56]
	s_waitcnt vmcnt(0) lgkmcnt(0)
	v_mul_f32_e32 v57, s1, v55
	v_add_co_u32 v55, vcc_lo, v50, v84
	v_add_co_ci_u32_e64 v56, null, v51, v85, vcc_lo
	v_add_co_u32 v52, vcc_lo, v52, v86
	v_min_f32_e32 v54, v57, v54
	v_add_co_ci_u32_e64 v53, null, v53, v87, vcc_lo
	flat_store_dword v[55:56], v54
	flat_load_dword v52, v[52:53]
	s_waitcnt vmcnt(0) lgkmcnt(0)
	v_mul_f32_e32 v55, s1, v52
.LBB10_83:
	v_add_f32_e32 v47, v3, v47
	v_add_f32_e32 v46, v2, v46
	;; [unrolled: 1-line block ×6, first 2 shown]
	v_min3_f32 v46, v46, v47, v131
	v_add_f32_e32 v54, v20, v44
	v_min_f32_e32 v47, v48, v49
	v_add_nc_u32_e32 v48, 0x48, v88
	v_min3_f32 v52, v53, v52, v138
	v_add_f32_e32 v53, v21, v45
	v_add_co_u32 v50, vcc_lo, v50, v86
	v_min3_f32 v55, v55, v47, v46
	v_mad_i64_i32 v[46:47], null, v48, s4, 0
	v_mad_i64_i32 v[48:49], null, v48, s8, 0
	v_add_co_ci_u32_e64 v51, null, v51, v87, vcc_lo
	v_min3_f32 v52, v54, v53, v52
	s_mov_b32 s5, -1
	v_lshlrev_b64 v[46:47], 2, v[46:47]
	flat_store_dword v[50:51], v55
	v_lshlrev_b64 v[48:49], 2, v[48:49]
	v_max_f32_e32 v50, v52, v52
	v_add_co_u32 v46, vcc_lo, s2, v46
	v_add_co_ci_u32_e64 v47, null, s3, v47, vcc_lo
	v_add_co_u32 v48, vcc_lo, s12, v48
	v_add_co_ci_u32_e64 v49, null, s13, v49, vcc_lo
	s_mov_b32 vcc_lo, s0
	s_cbranch_vccz .LBB10_85
; %bb.84:
	v_add_co_u32 v51, vcc_lo, v46, v82
	v_min_f32_e32 v53, 0, v50
	v_add_co_ci_u32_e64 v52, null, v47, v83, vcc_lo
	s_mov_b32 s5, 0
	flat_store_dword v[51:52], v53
.LBB10_85:
	v_mov_b32_e32 v51, 0
	s_andn2_b32 vcc_lo, exec_lo, s5
	s_cbranch_vccnz .LBB10_87
; %bb.86:
	v_add_co_u32 v51, vcc_lo, v48, v82
	v_add_co_ci_u32_e64 v52, null, v49, v83, vcc_lo
	flat_load_dword v51, v[51:52]
	s_waitcnt vmcnt(0) lgkmcnt(0)
	v_mul_f32_e32 v53, s1, v51
	v_add_co_u32 v51, vcc_lo, v46, v82
	v_add_co_ci_u32_e64 v52, null, v47, v83, vcc_lo
	v_min_f32_e32 v50, v53, v50
	v_add_co_u32 v53, vcc_lo, v48, v0
	v_add_co_ci_u32_e64 v54, null, v49, v1, vcc_lo
	flat_store_dword v[51:52], v50
	flat_load_dword v50, v[53:54]
	s_waitcnt vmcnt(0) lgkmcnt(0)
	v_mul_f32_e32 v51, s1, v50
.LBB10_87:
	v_add_f32_e32 v50, v15, v43
	v_add_f32_e32 v52, v14, v42
	;; [unrolled: 1-line block ×6, first 2 shown]
	v_min3_f32 v50, v52, v50, v132
	s_mov_b32 s5, -1
	v_min_f32_e32 v52, v54, v53
	v_add_f32_e32 v54, v13, v45
	v_min3_f32 v53, v56, v55, v134
	v_add_f32_e32 v55, v12, v44
	v_min3_f32 v52, v51, v52, v50
	v_add_co_u32 v50, vcc_lo, v46, v0
	v_add_co_ci_u32_e64 v51, null, v47, v1, vcc_lo
	v_min3_f32 v53, v55, v54, v53
	s_mov_b32 vcc_lo, s0
	flat_store_dword v[50:51], v52
	v_max_f32_e32 v50, v53, v53
	s_cbranch_vccz .LBB10_89
; %bb.88:
	v_add_co_u32 v51, vcc_lo, v46, v84
	v_min_f32_e32 v53, 0, v50
	v_add_co_ci_u32_e64 v52, null, v47, v85, vcc_lo
	s_mov_b32 s5, 0
	flat_store_dword v[51:52], v53
.LBB10_89:
	v_mov_b32_e32 v51, 0
	s_andn2_b32 vcc_lo, exec_lo, s5
	s_cbranch_vccnz .LBB10_91
; %bb.90:
	v_add_co_u32 v51, vcc_lo, v48, v84
	v_add_co_ci_u32_e64 v52, null, v49, v85, vcc_lo
	flat_load_dword v51, v[51:52]
	s_waitcnt vmcnt(0) lgkmcnt(0)
	v_mul_f32_e32 v53, s1, v51
	v_add_co_u32 v51, vcc_lo, v46, v84
	v_add_co_ci_u32_e64 v52, null, v47, v85, vcc_lo
	v_add_co_u32 v48, vcc_lo, v48, v86
	v_min_f32_e32 v50, v53, v50
	v_add_co_ci_u32_e64 v49, null, v49, v87, vcc_lo
	flat_store_dword v[51:52], v50
	flat_load_dword v48, v[48:49]
	s_waitcnt vmcnt(0) lgkmcnt(0)
	v_mul_f32_e32 v51, s1, v48
.LBB10_91:
	v_add_f32_e32 v43, v3, v43
	v_add_f32_e32 v42, v2, v42
	;; [unrolled: 1-line block ×6, first 2 shown]
	v_min3_f32 v42, v42, v43, v130
	v_add_f32_e32 v50, v20, v40
	v_min_f32_e32 v43, v44, v45
	v_add_nc_u32_e32 v44, 0x50, v88
	v_min3_f32 v48, v49, v48, v133
	v_add_f32_e32 v49, v21, v41
	v_add_co_u32 v46, vcc_lo, v46, v86
	v_min3_f32 v51, v51, v43, v42
	v_mad_i64_i32 v[42:43], null, v44, s4, 0
	v_mad_i64_i32 v[44:45], null, v44, s8, 0
	v_add_co_ci_u32_e64 v47, null, v47, v87, vcc_lo
	v_min3_f32 v48, v50, v49, v48
	s_mov_b32 s5, -1
	v_lshlrev_b64 v[42:43], 2, v[42:43]
	flat_store_dword v[46:47], v51
	v_lshlrev_b64 v[44:45], 2, v[44:45]
	v_max_f32_e32 v46, v48, v48
	v_add_co_u32 v42, vcc_lo, s2, v42
	v_add_co_ci_u32_e64 v43, null, s3, v43, vcc_lo
	v_add_co_u32 v44, vcc_lo, s12, v44
	v_add_co_ci_u32_e64 v45, null, s13, v45, vcc_lo
	s_mov_b32 vcc_lo, s0
	s_cbranch_vccz .LBB10_93
; %bb.92:
	v_add_co_u32 v47, vcc_lo, v42, v82
	v_min_f32_e32 v49, 0, v46
	v_add_co_ci_u32_e64 v48, null, v43, v83, vcc_lo
	s_mov_b32 s5, 0
	flat_store_dword v[47:48], v49
.LBB10_93:
	v_mov_b32_e32 v47, 0
	s_andn2_b32 vcc_lo, exec_lo, s5
	s_cbranch_vccnz .LBB10_95
; %bb.94:
	v_add_co_u32 v47, vcc_lo, v44, v82
	v_add_co_ci_u32_e64 v48, null, v45, v83, vcc_lo
	flat_load_dword v47, v[47:48]
	s_waitcnt vmcnt(0) lgkmcnt(0)
	v_mul_f32_e32 v49, s1, v47
	v_add_co_u32 v47, vcc_lo, v42, v82
	v_add_co_ci_u32_e64 v48, null, v43, v83, vcc_lo
	v_min_f32_e32 v46, v49, v46
	v_add_co_u32 v49, vcc_lo, v44, v0
	v_add_co_ci_u32_e64 v50, null, v45, v1, vcc_lo
	flat_store_dword v[47:48], v46
	flat_load_dword v46, v[49:50]
	s_waitcnt vmcnt(0) lgkmcnt(0)
	v_mul_f32_e32 v47, s1, v46
.LBB10_95:
	v_add_f32_e32 v46, v15, v39
	v_add_f32_e32 v48, v14, v38
	;; [unrolled: 1-line block ×6, first 2 shown]
	v_min3_f32 v46, v48, v46, v128
	s_mov_b32 s5, -1
	v_min_f32_e32 v48, v50, v49
	v_add_f32_e32 v50, v13, v41
	v_min3_f32 v49, v52, v51, v129
	v_add_f32_e32 v51, v12, v40
	v_min3_f32 v48, v47, v48, v46
	v_add_co_u32 v46, vcc_lo, v42, v0
	v_add_co_ci_u32_e64 v47, null, v43, v1, vcc_lo
	v_min3_f32 v49, v51, v50, v49
	s_mov_b32 vcc_lo, s0
	flat_store_dword v[46:47], v48
	v_max_f32_e32 v46, v49, v49
	s_cbranch_vccz .LBB10_97
; %bb.96:
	v_add_co_u32 v47, vcc_lo, v42, v84
	v_min_f32_e32 v49, 0, v46
	v_add_co_ci_u32_e64 v48, null, v43, v85, vcc_lo
	s_mov_b32 s5, 0
	flat_store_dword v[47:48], v49
.LBB10_97:
	v_mov_b32_e32 v47, 0
	s_andn2_b32 vcc_lo, exec_lo, s5
	s_cbranch_vccnz .LBB10_99
; %bb.98:
	v_add_co_u32 v47, vcc_lo, v44, v84
	v_add_co_ci_u32_e64 v48, null, v45, v85, vcc_lo
	flat_load_dword v47, v[47:48]
	s_waitcnt vmcnt(0) lgkmcnt(0)
	v_mul_f32_e32 v49, s1, v47
	v_add_co_u32 v47, vcc_lo, v42, v84
	v_add_co_ci_u32_e64 v48, null, v43, v85, vcc_lo
	v_add_co_u32 v44, vcc_lo, v44, v86
	v_min_f32_e32 v46, v49, v46
	v_add_co_ci_u32_e64 v45, null, v45, v87, vcc_lo
	flat_store_dword v[47:48], v46
	flat_load_dword v44, v[44:45]
	s_waitcnt vmcnt(0) lgkmcnt(0)
	v_mul_f32_e32 v47, s1, v44
.LBB10_99:
	v_add_f32_e32 v39, v3, v39
	v_add_f32_e32 v38, v2, v38
	;; [unrolled: 1-line block ×6, first 2 shown]
	v_min3_f32 v38, v38, v39, v126
	v_add_f32_e32 v46, v20, v36
	v_min_f32_e32 v39, v40, v41
	v_add_nc_u32_e32 v40, 0x58, v88
	v_min3_f32 v44, v45, v44, v127
	v_add_f32_e32 v45, v21, v37
	v_add_co_u32 v42, vcc_lo, v42, v86
	v_min3_f32 v47, v47, v39, v38
	v_mad_i64_i32 v[38:39], null, v40, s4, 0
	v_mad_i64_i32 v[40:41], null, v40, s8, 0
	v_add_co_ci_u32_e64 v43, null, v43, v87, vcc_lo
	v_min3_f32 v44, v46, v45, v44
	s_mov_b32 s5, -1
	v_lshlrev_b64 v[38:39], 2, v[38:39]
	flat_store_dword v[42:43], v47
	v_lshlrev_b64 v[40:41], 2, v[40:41]
	v_max_f32_e32 v42, v44, v44
	v_add_co_u32 v38, vcc_lo, s2, v38
	v_add_co_ci_u32_e64 v39, null, s3, v39, vcc_lo
	v_add_co_u32 v40, vcc_lo, s12, v40
	v_add_co_ci_u32_e64 v41, null, s13, v41, vcc_lo
	s_mov_b32 vcc_lo, s0
	s_cbranch_vccz .LBB10_101
; %bb.100:
	v_add_co_u32 v43, vcc_lo, v38, v82
	v_min_f32_e32 v45, 0, v42
	v_add_co_ci_u32_e64 v44, null, v39, v83, vcc_lo
	s_mov_b32 s5, 0
	flat_store_dword v[43:44], v45
.LBB10_101:
	v_mov_b32_e32 v43, 0
	s_andn2_b32 vcc_lo, exec_lo, s5
	s_cbranch_vccnz .LBB10_103
; %bb.102:
	v_add_co_u32 v43, vcc_lo, v40, v82
	v_add_co_ci_u32_e64 v44, null, v41, v83, vcc_lo
	flat_load_dword v43, v[43:44]
	s_waitcnt vmcnt(0) lgkmcnt(0)
	v_mul_f32_e32 v45, s1, v43
	v_add_co_u32 v43, vcc_lo, v38, v82
	v_add_co_ci_u32_e64 v44, null, v39, v83, vcc_lo
	v_min_f32_e32 v42, v45, v42
	v_add_co_u32 v45, vcc_lo, v40, v0
	v_add_co_ci_u32_e64 v46, null, v41, v1, vcc_lo
	flat_store_dword v[43:44], v42
	flat_load_dword v42, v[45:46]
	s_waitcnt vmcnt(0) lgkmcnt(0)
	v_mul_f32_e32 v43, s1, v42
.LBB10_103:
	v_add_f32_e32 v42, v15, v35
	v_add_f32_e32 v44, v14, v34
	;; [unrolled: 1-line block ×6, first 2 shown]
	v_min3_f32 v42, v44, v42, v123
	s_mov_b32 s5, -1
	v_min_f32_e32 v44, v46, v45
	v_add_f32_e32 v46, v13, v37
	v_min3_f32 v45, v48, v47, v125
	v_add_f32_e32 v47, v12, v36
	v_min3_f32 v44, v43, v44, v42
	v_add_co_u32 v42, vcc_lo, v38, v0
	v_add_co_ci_u32_e64 v43, null, v39, v1, vcc_lo
	v_min3_f32 v45, v47, v46, v45
	s_mov_b32 vcc_lo, s0
	flat_store_dword v[42:43], v44
	v_max_f32_e32 v42, v45, v45
	s_cbranch_vccz .LBB10_105
; %bb.104:
	v_add_co_u32 v43, vcc_lo, v38, v84
	v_min_f32_e32 v45, 0, v42
	v_add_co_ci_u32_e64 v44, null, v39, v85, vcc_lo
	s_mov_b32 s5, 0
	flat_store_dword v[43:44], v45
.LBB10_105:
	v_mov_b32_e32 v43, 0
	s_andn2_b32 vcc_lo, exec_lo, s5
	s_cbranch_vccnz .LBB10_107
; %bb.106:
	v_add_co_u32 v43, vcc_lo, v40, v84
	v_add_co_ci_u32_e64 v44, null, v41, v85, vcc_lo
	flat_load_dword v43, v[43:44]
	s_waitcnt vmcnt(0) lgkmcnt(0)
	v_mul_f32_e32 v45, s1, v43
	v_add_co_u32 v43, vcc_lo, v38, v84
	v_add_co_ci_u32_e64 v44, null, v39, v85, vcc_lo
	v_add_co_u32 v40, vcc_lo, v40, v86
	v_min_f32_e32 v42, v45, v42
	v_add_co_ci_u32_e64 v41, null, v41, v87, vcc_lo
	flat_store_dword v[43:44], v42
	flat_load_dword v40, v[40:41]
	s_waitcnt vmcnt(0) lgkmcnt(0)
	v_mul_f32_e32 v43, s1, v40
.LBB10_107:
	v_add_f32_e32 v35, v3, v35
	v_add_f32_e32 v34, v2, v34
	v_add_f32_e32 v37, v5, v37
	v_add_f32_e32 v36, v4, v36
	v_add_f32_e32 v40, v19, v31
	v_add_f32_e32 v41, v18, v30
	v_min3_f32 v34, v34, v35, v122
	v_add_f32_e32 v42, v20, v32
	v_min_f32_e32 v35, v36, v37
	v_add_nc_u32_e32 v36, 0x60, v88
	v_min3_f32 v40, v41, v40, v124
	v_add_f32_e32 v41, v21, v33
	v_add_co_u32 v38, vcc_lo, v38, v86
	v_min3_f32 v43, v43, v35, v34
	v_mad_i64_i32 v[34:35], null, v36, s4, 0
	v_mad_i64_i32 v[36:37], null, v36, s8, 0
	v_add_co_ci_u32_e64 v39, null, v39, v87, vcc_lo
	v_min3_f32 v40, v42, v41, v40
	s_mov_b32 s5, -1
	v_lshlrev_b64 v[34:35], 2, v[34:35]
	flat_store_dword v[38:39], v43
	v_lshlrev_b64 v[36:37], 2, v[36:37]
	v_max_f32_e32 v38, v40, v40
	v_add_co_u32 v34, vcc_lo, s2, v34
	v_add_co_ci_u32_e64 v35, null, s3, v35, vcc_lo
	v_add_co_u32 v36, vcc_lo, s12, v36
	v_add_co_ci_u32_e64 v37, null, s13, v37, vcc_lo
	s_mov_b32 vcc_lo, s0
	s_cbranch_vccz .LBB10_109
; %bb.108:
	v_add_co_u32 v39, vcc_lo, v34, v82
	v_min_f32_e32 v41, 0, v38
	v_add_co_ci_u32_e64 v40, null, v35, v83, vcc_lo
	s_mov_b32 s5, 0
	flat_store_dword v[39:40], v41
.LBB10_109:
	v_mov_b32_e32 v39, 0
	s_andn2_b32 vcc_lo, exec_lo, s5
	s_cbranch_vccnz .LBB10_111
; %bb.110:
	v_add_co_u32 v39, vcc_lo, v36, v82
	v_add_co_ci_u32_e64 v40, null, v37, v83, vcc_lo
	flat_load_dword v39, v[39:40]
	s_waitcnt vmcnt(0) lgkmcnt(0)
	v_mul_f32_e32 v41, s1, v39
	v_add_co_u32 v39, vcc_lo, v34, v82
	v_add_co_ci_u32_e64 v40, null, v35, v83, vcc_lo
	v_min_f32_e32 v38, v41, v38
	v_add_co_u32 v41, vcc_lo, v36, v0
	v_add_co_ci_u32_e64 v42, null, v37, v1, vcc_lo
	flat_store_dword v[39:40], v38
	flat_load_dword v38, v[41:42]
	s_waitcnt vmcnt(0) lgkmcnt(0)
	v_mul_f32_e32 v39, s1, v38
.LBB10_111:
	v_add_f32_e32 v38, v15, v31
	v_add_f32_e32 v40, v14, v30
	;; [unrolled: 1-line block ×6, first 2 shown]
	v_min3_f32 v38, v40, v38, v106
	s_mov_b32 s5, -1
	v_min_f32_e32 v40, v42, v41
	v_add_f32_e32 v42, v13, v33
	v_min3_f32 v41, v44, v43, v111
	v_add_f32_e32 v43, v12, v32
	v_min3_f32 v40, v39, v40, v38
	v_add_co_u32 v38, vcc_lo, v34, v0
	v_add_co_ci_u32_e64 v39, null, v35, v1, vcc_lo
	v_min3_f32 v41, v43, v42, v41
	s_mov_b32 vcc_lo, s0
	flat_store_dword v[38:39], v40
	v_max_f32_e32 v38, v41, v41
	s_cbranch_vccz .LBB10_113
; %bb.112:
	v_add_co_u32 v39, vcc_lo, v34, v84
	v_min_f32_e32 v41, 0, v38
	v_add_co_ci_u32_e64 v40, null, v35, v85, vcc_lo
	s_mov_b32 s5, 0
	flat_store_dword v[39:40], v41
.LBB10_113:
	v_mov_b32_e32 v39, 0
	s_andn2_b32 vcc_lo, exec_lo, s5
	s_cbranch_vccnz .LBB10_115
; %bb.114:
	v_add_co_u32 v39, vcc_lo, v36, v84
	v_add_co_ci_u32_e64 v40, null, v37, v85, vcc_lo
	flat_load_dword v39, v[39:40]
	s_waitcnt vmcnt(0) lgkmcnt(0)
	v_mul_f32_e32 v41, s1, v39
	v_add_co_u32 v39, vcc_lo, v34, v84
	v_add_co_ci_u32_e64 v40, null, v35, v85, vcc_lo
	v_add_co_u32 v36, vcc_lo, v36, v86
	v_min_f32_e32 v38, v41, v38
	v_add_co_ci_u32_e64 v37, null, v37, v87, vcc_lo
	flat_store_dword v[39:40], v38
	flat_load_dword v36, v[36:37]
	s_waitcnt vmcnt(0) lgkmcnt(0)
	v_mul_f32_e32 v39, s1, v36
.LBB10_115:
	v_add_f32_e32 v31, v3, v31
	v_add_f32_e32 v30, v2, v30
	v_add_f32_e32 v33, v5, v33
	v_add_f32_e32 v32, v4, v32
	v_add_f32_e32 v36, v19, v27
	v_add_f32_e32 v37, v18, v26
	v_min3_f32 v30, v30, v31, v104
	v_add_f32_e32 v38, v20, v28
	v_min_f32_e32 v31, v32, v33
	v_add_nc_u32_e32 v32, 0x68, v88
	v_min3_f32 v36, v37, v36, v105
	v_add_f32_e32 v37, v21, v29
	v_add_co_u32 v34, vcc_lo, v34, v86
	v_min3_f32 v39, v39, v31, v30
	v_mad_i64_i32 v[30:31], null, v32, s4, 0
	v_mad_i64_i32 v[32:33], null, v32, s8, 0
	v_add_co_ci_u32_e64 v35, null, v35, v87, vcc_lo
	v_min3_f32 v36, v38, v37, v36
	s_mov_b32 s5, -1
	v_lshlrev_b64 v[30:31], 2, v[30:31]
	flat_store_dword v[34:35], v39
	v_lshlrev_b64 v[32:33], 2, v[32:33]
	v_max_f32_e32 v34, v36, v36
	v_add_co_u32 v30, vcc_lo, s2, v30
	v_add_co_ci_u32_e64 v31, null, s3, v31, vcc_lo
	v_add_co_u32 v32, vcc_lo, s12, v32
	v_add_co_ci_u32_e64 v33, null, s13, v33, vcc_lo
	s_mov_b32 vcc_lo, s0
	s_cbranch_vccz .LBB10_117
; %bb.116:
	v_add_co_u32 v35, vcc_lo, v30, v82
	v_min_f32_e32 v37, 0, v34
	v_add_co_ci_u32_e64 v36, null, v31, v83, vcc_lo
	s_mov_b32 s5, 0
	flat_store_dword v[35:36], v37
.LBB10_117:
	v_mov_b32_e32 v35, 0
	s_andn2_b32 vcc_lo, exec_lo, s5
	s_cbranch_vccnz .LBB10_119
; %bb.118:
	v_add_co_u32 v35, vcc_lo, v32, v82
	v_add_co_ci_u32_e64 v36, null, v33, v83, vcc_lo
	flat_load_dword v35, v[35:36]
	s_waitcnt vmcnt(0) lgkmcnt(0)
	v_mul_f32_e32 v37, s1, v35
	v_add_co_u32 v35, vcc_lo, v30, v82
	v_add_co_ci_u32_e64 v36, null, v31, v83, vcc_lo
	v_min_f32_e32 v34, v37, v34
	v_add_co_u32 v37, vcc_lo, v32, v0
	v_add_co_ci_u32_e64 v38, null, v33, v1, vcc_lo
	flat_store_dword v[35:36], v34
	flat_load_dword v34, v[37:38]
	s_waitcnt vmcnt(0) lgkmcnt(0)
	v_mul_f32_e32 v35, s1, v34
.LBB10_119:
	v_add_f32_e32 v34, v15, v27
	v_add_f32_e32 v36, v14, v26
	;; [unrolled: 1-line block ×6, first 2 shown]
	v_min3_f32 v34, v36, v34, v101
	s_mov_b32 s5, -1
	v_min_f32_e32 v36, v38, v37
	v_add_f32_e32 v38, v13, v29
	v_min3_f32 v37, v40, v39, v103
	v_add_f32_e32 v39, v12, v28
	v_min3_f32 v36, v35, v36, v34
	v_add_co_u32 v34, vcc_lo, v30, v0
	v_add_co_ci_u32_e64 v35, null, v31, v1, vcc_lo
	v_min3_f32 v37, v39, v38, v37
	s_mov_b32 vcc_lo, s0
	flat_store_dword v[34:35], v36
	v_max_f32_e32 v34, v37, v37
	s_cbranch_vccz .LBB10_121
; %bb.120:
	v_add_co_u32 v35, vcc_lo, v30, v84
	v_min_f32_e32 v37, 0, v34
	v_add_co_ci_u32_e64 v36, null, v31, v85, vcc_lo
	s_mov_b32 s5, 0
	flat_store_dword v[35:36], v37
.LBB10_121:
	v_mov_b32_e32 v35, 0
	s_andn2_b32 vcc_lo, exec_lo, s5
	s_cbranch_vccnz .LBB10_123
; %bb.122:
	v_add_co_u32 v35, vcc_lo, v32, v84
	v_add_co_ci_u32_e64 v36, null, v33, v85, vcc_lo
	flat_load_dword v35, v[35:36]
	s_waitcnt vmcnt(0) lgkmcnt(0)
	v_mul_f32_e32 v37, s1, v35
	v_add_co_u32 v35, vcc_lo, v30, v84
	v_add_co_ci_u32_e64 v36, null, v31, v85, vcc_lo
	v_add_co_u32 v32, vcc_lo, v32, v86
	v_min_f32_e32 v34, v37, v34
	v_add_co_ci_u32_e64 v33, null, v33, v87, vcc_lo
	flat_store_dword v[35:36], v34
	flat_load_dword v32, v[32:33]
	s_waitcnt vmcnt(0) lgkmcnt(0)
	v_mul_f32_e32 v35, s1, v32
.LBB10_123:
	v_add_f32_e32 v27, v3, v27
	v_add_f32_e32 v26, v2, v26
	;; [unrolled: 1-line block ×4, first 2 shown]
	s_waitcnt lgkmcnt(28)
	v_add_f32_e32 v32, v19, v23
	v_add_f32_e32 v33, v18, v22
	v_min3_f32 v26, v26, v27, v100
	v_add_f32_e32 v34, v20, v24
	v_min_f32_e32 v27, v28, v29
	v_add_nc_u32_e32 v28, 0x70, v88
	v_min3_f32 v32, v33, v32, v102
	v_add_f32_e32 v33, v21, v25
	v_add_co_u32 v30, vcc_lo, v30, v86
	v_min3_f32 v35, v35, v27, v26
	v_mad_i64_i32 v[26:27], null, v28, s4, 0
	v_mad_i64_i32 v[28:29], null, v28, s8, 0
	v_add_co_ci_u32_e64 v31, null, v31, v87, vcc_lo
	v_min3_f32 v32, v34, v33, v32
	s_mov_b32 s5, -1
	v_lshlrev_b64 v[26:27], 2, v[26:27]
	flat_store_dword v[30:31], v35
	v_lshlrev_b64 v[28:29], 2, v[28:29]
	v_max_f32_e32 v30, v32, v32
	v_add_co_u32 v26, vcc_lo, s2, v26
	v_add_co_ci_u32_e64 v27, null, s3, v27, vcc_lo
	v_add_co_u32 v28, vcc_lo, s12, v28
	v_add_co_ci_u32_e64 v29, null, s13, v29, vcc_lo
	s_mov_b32 vcc_lo, s0
	s_cbranch_vccz .LBB10_125
; %bb.124:
	v_add_co_u32 v31, vcc_lo, v26, v82
	v_min_f32_e32 v33, 0, v30
	v_add_co_ci_u32_e64 v32, null, v27, v83, vcc_lo
	s_mov_b32 s5, 0
	flat_store_dword v[31:32], v33
.LBB10_125:
	v_mov_b32_e32 v31, 0
	s_andn2_b32 vcc_lo, exec_lo, s5
	s_cbranch_vccnz .LBB10_127
; %bb.126:
	v_add_co_u32 v31, vcc_lo, v28, v82
	v_add_co_ci_u32_e64 v32, null, v29, v83, vcc_lo
	flat_load_dword v31, v[31:32]
	s_waitcnt vmcnt(0) lgkmcnt(0)
	v_mul_f32_e32 v33, s1, v31
	v_add_co_u32 v31, vcc_lo, v26, v82
	v_add_co_ci_u32_e64 v32, null, v27, v83, vcc_lo
	v_min_f32_e32 v30, v33, v30
	v_add_co_u32 v33, vcc_lo, v28, v0
	v_add_co_ci_u32_e64 v34, null, v29, v1, vcc_lo
	flat_store_dword v[31:32], v30
	flat_load_dword v30, v[33:34]
	s_waitcnt vmcnt(0) lgkmcnt(0)
	v_mul_f32_e32 v31, s1, v30
.LBB10_127:
	v_add_f32_e32 v30, v15, v23
	v_add_f32_e32 v32, v14, v22
	;; [unrolled: 1-line block ×6, first 2 shown]
	v_min3_f32 v30, v32, v30, v98
	s_mov_b32 s5, -1
	v_min_f32_e32 v32, v34, v33
	v_add_f32_e32 v34, v13, v25
	v_min3_f32 v33, v36, v35, v99
	v_add_f32_e32 v35, v12, v24
	v_min3_f32 v32, v31, v32, v30
	v_add_co_u32 v30, vcc_lo, v26, v0
	v_add_co_ci_u32_e64 v31, null, v27, v1, vcc_lo
	v_min3_f32 v33, v35, v34, v33
	s_mov_b32 vcc_lo, s0
	flat_store_dword v[30:31], v32
	v_max_f32_e32 v30, v33, v33
	s_cbranch_vccz .LBB10_129
; %bb.128:
	v_add_co_u32 v31, vcc_lo, v26, v84
	v_min_f32_e32 v33, 0, v30
	v_add_co_ci_u32_e64 v32, null, v27, v85, vcc_lo
	s_mov_b32 s5, 0
	flat_store_dword v[31:32], v33
.LBB10_129:
	v_mov_b32_e32 v31, 0
	s_andn2_b32 vcc_lo, exec_lo, s5
	s_cbranch_vccnz .LBB10_131
; %bb.130:
	v_add_co_u32 v31, vcc_lo, v28, v84
	v_add_co_ci_u32_e64 v32, null, v29, v85, vcc_lo
	flat_load_dword v31, v[31:32]
	s_waitcnt vmcnt(0) lgkmcnt(0)
	v_mul_f32_e32 v33, s1, v31
	v_add_co_u32 v31, vcc_lo, v26, v84
	v_add_co_ci_u32_e64 v32, null, v27, v85, vcc_lo
	v_add_co_u32 v28, vcc_lo, v28, v86
	v_min_f32_e32 v30, v33, v30
	v_add_co_ci_u32_e64 v29, null, v29, v87, vcc_lo
	flat_store_dword v[31:32], v30
	flat_load_dword v28, v[28:29]
	s_waitcnt vmcnt(0) lgkmcnt(0)
	v_mul_f32_e32 v31, s1, v28
.LBB10_131:
	v_add_f32_e32 v23, v3, v23
	v_add_f32_e32 v22, v2, v22
	;; [unrolled: 1-line block ×4, first 2 shown]
	s_waitcnt lgkmcnt(29)
	v_add_f32_e32 v19, v19, v7
	v_add_f32_e32 v18, v18, v6
	v_min3_f32 v22, v22, v23, v96
	v_add_f32_e32 v28, v21, v9
	v_min_f32_e32 v23, v24, v25
	v_add_nc_u32_e32 v25, 0x78, v88
	v_min3_f32 v24, v18, v19, v97
	v_add_f32_e32 v29, v20, v8
	v_min3_f32 v30, v31, v23, v22
	v_mad_i64_i32 v[18:19], null, v25, s4, 0
	v_mad_i64_i32 v[20:21], null, v25, s8, 0
	v_add_co_u32 v22, vcc_lo, v26, v86
	v_add_co_ci_u32_e64 v23, null, v27, v87, vcc_lo
	v_lshlrev_b64 v[18:19], 2, v[18:19]
	v_min3_f32 v24, v29, v28, v24
	v_lshlrev_b64 v[20:21], 2, v[20:21]
	flat_store_dword v[22:23], v30
	v_add_co_u32 v18, vcc_lo, s2, v18
	v_add_co_ci_u32_e64 v19, null, s3, v19, vcc_lo
	v_add_co_u32 v20, vcc_lo, s12, v20
	v_add_co_ci_u32_e64 v21, null, s13, v21, vcc_lo
	v_max_f32_e32 v22, v24, v24
	s_mov_b32 s2, -1
	s_mov_b32 vcc_lo, s0
	s_cbranch_vccz .LBB10_133
; %bb.132:
	v_add_co_u32 v23, vcc_lo, v18, v82
	v_min_f32_e32 v25, 0, v22
	v_add_co_ci_u32_e64 v24, null, v19, v83, vcc_lo
	s_mov_b32 s2, 0
	flat_store_dword v[23:24], v25
.LBB10_133:
	v_mov_b32_e32 v23, 0
	s_andn2_b32 vcc_lo, exec_lo, s2
	s_cbranch_vccnz .LBB10_135
; %bb.134:
	v_add_co_u32 v23, vcc_lo, v20, v82
	v_add_co_ci_u32_e64 v24, null, v21, v83, vcc_lo
	flat_load_dword v23, v[23:24]
	s_waitcnt vmcnt(0) lgkmcnt(0)
	v_mul_f32_e32 v25, s1, v23
	v_add_co_u32 v23, vcc_lo, v18, v82
	v_add_co_ci_u32_e64 v24, null, v19, v83, vcc_lo
	v_min_f32_e32 v22, v25, v22
	v_add_co_u32 v25, vcc_lo, v20, v0
	v_add_co_ci_u32_e64 v26, null, v21, v1, vcc_lo
	flat_store_dword v[23:24], v22
	flat_load_dword v22, v[25:26]
	s_waitcnt vmcnt(0) lgkmcnt(0)
	v_mul_f32_e32 v23, s1, v22
.LBB10_135:
	v_add_f32_e32 v15, v15, v7
	v_add_f32_e32 v14, v14, v6
	;; [unrolled: 1-line block ×6, first 2 shown]
	v_min3_f32 v14, v14, v15, v94
	v_add_f32_e32 v12, v12, v8
	v_min_f32_e32 v15, v16, v17
	v_add_co_u32 v0, vcc_lo, v18, v0
	v_min3_f32 v10, v10, v11, v95
	v_add_f32_e32 v11, v13, v9
	v_min3_f32 v13, v23, v15, v14
	v_add_co_ci_u32_e64 v1, null, v19, v1, vcc_lo
	s_mov_b32 s2, -1
	v_min3_f32 v10, v12, v11, v10
	s_mov_b32 vcc_lo, s0
	flat_store_dword v[0:1], v13
	v_max_f32_e32 v0, v10, v10
	s_cbranch_vccz .LBB10_137
; %bb.136:
	v_add_co_u32 v10, vcc_lo, v18, v84
	v_min_f32_e32 v1, 0, v0
	v_add_co_ci_u32_e64 v11, null, v19, v85, vcc_lo
	s_mov_b32 s2, 0
	flat_store_dword v[10:11], v1
.LBB10_137:
	v_mov_b32_e32 v1, 0
	s_andn2_b32 vcc_lo, exec_lo, s2
	s_cbranch_vccnz .LBB10_139
; %bb.138:
	v_add_co_u32 v10, vcc_lo, v20, v84
	v_add_co_ci_u32_e64 v11, null, v21, v85, vcc_lo
	flat_load_dword v1, v[10:11]
	v_add_co_u32 v10, vcc_lo, v18, v84
	v_add_co_ci_u32_e64 v11, null, v19, v85, vcc_lo
	s_waitcnt vmcnt(0) lgkmcnt(0)
	v_mul_f32_e32 v1, s1, v1
	v_min_f32_e32 v12, v1, v0
	v_add_co_u32 v0, vcc_lo, v20, v86
	v_add_co_ci_u32_e64 v1, null, v21, v87, vcc_lo
	flat_store_dword v[10:11], v12
	flat_load_dword v0, v[0:1]
	s_waitcnt vmcnt(0) lgkmcnt(0)
	v_mul_f32_e32 v1, s1, v0
.LBB10_139:
	v_add_f32_e32 v0, v5, v9
	v_add_f32_e32 v4, v4, v8
	;; [unrolled: 1-line block ×4, first 2 shown]
	v_min_f32_e32 v0, v4, v0
	v_min3_f32 v2, v2, v3, v143
	v_min3_f32 v2, v1, v0, v2
	v_add_co_u32 v0, vcc_lo, v18, v86
	v_add_co_ci_u32_e64 v1, null, v19, v87, vcc_lo
	flat_store_dword v[0:1], v2
	s_endpgm
	.section	.rodata,"a",@progbits
	.p2align	6, 0x0
	.amdhsa_kernel _ZN12_GLOBAL__N_120geam_min_plus_kernelIf15HIP_vector_typeIfLj2EEfLi32ELi8ELi128ELi128ELi4ELi4ELi64ELi4ELi64ELc84ELc78ELb1ELb0ELb1EfKPKfKPfEEviiiT16_PT17_ilSA_ilS8_SA_ilPT18_ili26rocblas_geam_ex_operation_
		.amdhsa_group_segment_fixed_size 8192
		.amdhsa_private_segment_fixed_size 0
		.amdhsa_kernarg_size 128
		.amdhsa_user_sgpr_count 6
		.amdhsa_user_sgpr_private_segment_buffer 1
		.amdhsa_user_sgpr_dispatch_ptr 0
		.amdhsa_user_sgpr_queue_ptr 0
		.amdhsa_user_sgpr_kernarg_segment_ptr 1
		.amdhsa_user_sgpr_dispatch_id 0
		.amdhsa_user_sgpr_flat_scratch_init 0
		.amdhsa_user_sgpr_private_segment_size 0
		.amdhsa_wavefront_size32 1
		.amdhsa_uses_dynamic_stack 0
		.amdhsa_system_sgpr_private_segment_wavefront_offset 0
		.amdhsa_system_sgpr_workgroup_id_x 1
		.amdhsa_system_sgpr_workgroup_id_y 0
		.amdhsa_system_sgpr_workgroup_id_z 1
		.amdhsa_system_sgpr_workgroup_info 0
		.amdhsa_system_vgpr_workitem_id 1
		.amdhsa_next_free_vgpr 187
		.amdhsa_next_free_sgpr 22
		.amdhsa_reserve_vcc 1
		.amdhsa_reserve_flat_scratch 1
		.amdhsa_float_round_mode_32 0
		.amdhsa_float_round_mode_16_64 0
		.amdhsa_float_denorm_mode_32 3
		.amdhsa_float_denorm_mode_16_64 3
		.amdhsa_dx10_clamp 1
		.amdhsa_ieee_mode 1
		.amdhsa_fp16_overflow 0
		.amdhsa_workgroup_processor_mode 1
		.amdhsa_memory_ordered 1
		.amdhsa_forward_progress 1
		.amdhsa_shared_vgpr_count 0
		.amdhsa_exception_fp_ieee_invalid_op 0
		.amdhsa_exception_fp_denorm_src 0
		.amdhsa_exception_fp_ieee_div_zero 0
		.amdhsa_exception_fp_ieee_overflow 0
		.amdhsa_exception_fp_ieee_underflow 0
		.amdhsa_exception_fp_ieee_inexact 0
		.amdhsa_exception_int_div_zero 0
	.end_amdhsa_kernel
	.section	.text._ZN12_GLOBAL__N_120geam_min_plus_kernelIf15HIP_vector_typeIfLj2EEfLi32ELi8ELi128ELi128ELi4ELi4ELi64ELi4ELi64ELc84ELc78ELb1ELb0ELb1EfKPKfKPfEEviiiT16_PT17_ilSA_ilS8_SA_ilPT18_ili26rocblas_geam_ex_operation_,"axG",@progbits,_ZN12_GLOBAL__N_120geam_min_plus_kernelIf15HIP_vector_typeIfLj2EEfLi32ELi8ELi128ELi128ELi4ELi4ELi64ELi4ELi64ELc84ELc78ELb1ELb0ELb1EfKPKfKPfEEviiiT16_PT17_ilSA_ilS8_SA_ilPT18_ili26rocblas_geam_ex_operation_,comdat
.Lfunc_end10:
	.size	_ZN12_GLOBAL__N_120geam_min_plus_kernelIf15HIP_vector_typeIfLj2EEfLi32ELi8ELi128ELi128ELi4ELi4ELi64ELi4ELi64ELc84ELc78ELb1ELb0ELb1EfKPKfKPfEEviiiT16_PT17_ilSA_ilS8_SA_ilPT18_ili26rocblas_geam_ex_operation_, .Lfunc_end10-_ZN12_GLOBAL__N_120geam_min_plus_kernelIf15HIP_vector_typeIfLj2EEfLi32ELi8ELi128ELi128ELi4ELi4ELi64ELi4ELi64ELc84ELc78ELb1ELb0ELb1EfKPKfKPfEEviiiT16_PT17_ilSA_ilS8_SA_ilPT18_ili26rocblas_geam_ex_operation_
                                        ; -- End function
	.set _ZN12_GLOBAL__N_120geam_min_plus_kernelIf15HIP_vector_typeIfLj2EEfLi32ELi8ELi128ELi128ELi4ELi4ELi64ELi4ELi64ELc84ELc78ELb1ELb0ELb1EfKPKfKPfEEviiiT16_PT17_ilSA_ilS8_SA_ilPT18_ili26rocblas_geam_ex_operation_.num_vgpr, 187
	.set _ZN12_GLOBAL__N_120geam_min_plus_kernelIf15HIP_vector_typeIfLj2EEfLi32ELi8ELi128ELi128ELi4ELi4ELi64ELi4ELi64ELc84ELc78ELb1ELb0ELb1EfKPKfKPfEEviiiT16_PT17_ilSA_ilS8_SA_ilPT18_ili26rocblas_geam_ex_operation_.num_agpr, 0
	.set _ZN12_GLOBAL__N_120geam_min_plus_kernelIf15HIP_vector_typeIfLj2EEfLi32ELi8ELi128ELi128ELi4ELi4ELi64ELi4ELi64ELc84ELc78ELb1ELb0ELb1EfKPKfKPfEEviiiT16_PT17_ilSA_ilS8_SA_ilPT18_ili26rocblas_geam_ex_operation_.numbered_sgpr, 22
	.set _ZN12_GLOBAL__N_120geam_min_plus_kernelIf15HIP_vector_typeIfLj2EEfLi32ELi8ELi128ELi128ELi4ELi4ELi64ELi4ELi64ELc84ELc78ELb1ELb0ELb1EfKPKfKPfEEviiiT16_PT17_ilSA_ilS8_SA_ilPT18_ili26rocblas_geam_ex_operation_.num_named_barrier, 0
	.set _ZN12_GLOBAL__N_120geam_min_plus_kernelIf15HIP_vector_typeIfLj2EEfLi32ELi8ELi128ELi128ELi4ELi4ELi64ELi4ELi64ELc84ELc78ELb1ELb0ELb1EfKPKfKPfEEviiiT16_PT17_ilSA_ilS8_SA_ilPT18_ili26rocblas_geam_ex_operation_.private_seg_size, 0
	.set _ZN12_GLOBAL__N_120geam_min_plus_kernelIf15HIP_vector_typeIfLj2EEfLi32ELi8ELi128ELi128ELi4ELi4ELi64ELi4ELi64ELc84ELc78ELb1ELb0ELb1EfKPKfKPfEEviiiT16_PT17_ilSA_ilS8_SA_ilPT18_ili26rocblas_geam_ex_operation_.uses_vcc, 1
	.set _ZN12_GLOBAL__N_120geam_min_plus_kernelIf15HIP_vector_typeIfLj2EEfLi32ELi8ELi128ELi128ELi4ELi4ELi64ELi4ELi64ELc84ELc78ELb1ELb0ELb1EfKPKfKPfEEviiiT16_PT17_ilSA_ilS8_SA_ilPT18_ili26rocblas_geam_ex_operation_.uses_flat_scratch, 1
	.set _ZN12_GLOBAL__N_120geam_min_plus_kernelIf15HIP_vector_typeIfLj2EEfLi32ELi8ELi128ELi128ELi4ELi4ELi64ELi4ELi64ELc84ELc78ELb1ELb0ELb1EfKPKfKPfEEviiiT16_PT17_ilSA_ilS8_SA_ilPT18_ili26rocblas_geam_ex_operation_.has_dyn_sized_stack, 0
	.set _ZN12_GLOBAL__N_120geam_min_plus_kernelIf15HIP_vector_typeIfLj2EEfLi32ELi8ELi128ELi128ELi4ELi4ELi64ELi4ELi64ELc84ELc78ELb1ELb0ELb1EfKPKfKPfEEviiiT16_PT17_ilSA_ilS8_SA_ilPT18_ili26rocblas_geam_ex_operation_.has_recursion, 0
	.set _ZN12_GLOBAL__N_120geam_min_plus_kernelIf15HIP_vector_typeIfLj2EEfLi32ELi8ELi128ELi128ELi4ELi4ELi64ELi4ELi64ELc84ELc78ELb1ELb0ELb1EfKPKfKPfEEviiiT16_PT17_ilSA_ilS8_SA_ilPT18_ili26rocblas_geam_ex_operation_.has_indirect_call, 0
	.section	.AMDGPU.csdata,"",@progbits
; Kernel info:
; codeLenInByte = 17352
; TotalNumSgprs: 24
; NumVgprs: 187
; ScratchSize: 0
; MemoryBound: 0
; FloatMode: 240
; IeeeMode: 1
; LDSByteSize: 8192 bytes/workgroup (compile time only)
; SGPRBlocks: 0
; VGPRBlocks: 23
; NumSGPRsForWavesPerEU: 24
; NumVGPRsForWavesPerEU: 187
; Occupancy: 5
; WaveLimiterHint : 1
; COMPUTE_PGM_RSRC2:SCRATCH_EN: 0
; COMPUTE_PGM_RSRC2:USER_SGPR: 6
; COMPUTE_PGM_RSRC2:TRAP_HANDLER: 0
; COMPUTE_PGM_RSRC2:TGID_X_EN: 1
; COMPUTE_PGM_RSRC2:TGID_Y_EN: 0
; COMPUTE_PGM_RSRC2:TGID_Z_EN: 1
; COMPUTE_PGM_RSRC2:TIDIG_COMP_CNT: 1
	.section	.text._ZN12_GLOBAL__N_120geam_min_plus_kernelIf15HIP_vector_typeIfLj2EEfLi32ELi8ELi128ELi128ELi4ELi4ELi64ELi4ELi64ELc84ELc78ELb0ELb0ELb1EfKPKfKPfEEviiiT16_PT17_ilSA_ilS8_SA_ilPT18_ili26rocblas_geam_ex_operation_,"axG",@progbits,_ZN12_GLOBAL__N_120geam_min_plus_kernelIf15HIP_vector_typeIfLj2EEfLi32ELi8ELi128ELi128ELi4ELi4ELi64ELi4ELi64ELc84ELc78ELb0ELb0ELb1EfKPKfKPfEEviiiT16_PT17_ilSA_ilS8_SA_ilPT18_ili26rocblas_geam_ex_operation_,comdat
	.globl	_ZN12_GLOBAL__N_120geam_min_plus_kernelIf15HIP_vector_typeIfLj2EEfLi32ELi8ELi128ELi128ELi4ELi4ELi64ELi4ELi64ELc84ELc78ELb0ELb0ELb1EfKPKfKPfEEviiiT16_PT17_ilSA_ilS8_SA_ilPT18_ili26rocblas_geam_ex_operation_ ; -- Begin function _ZN12_GLOBAL__N_120geam_min_plus_kernelIf15HIP_vector_typeIfLj2EEfLi32ELi8ELi128ELi128ELi4ELi4ELi64ELi4ELi64ELc84ELc78ELb0ELb0ELb1EfKPKfKPfEEviiiT16_PT17_ilSA_ilS8_SA_ilPT18_ili26rocblas_geam_ex_operation_
	.p2align	8
	.type	_ZN12_GLOBAL__N_120geam_min_plus_kernelIf15HIP_vector_typeIfLj2EEfLi32ELi8ELi128ELi128ELi4ELi4ELi64ELi4ELi64ELc84ELc78ELb0ELb0ELb1EfKPKfKPfEEviiiT16_PT17_ilSA_ilS8_SA_ilPT18_ili26rocblas_geam_ex_operation_,@function
_ZN12_GLOBAL__N_120geam_min_plus_kernelIf15HIP_vector_typeIfLj2EEfLi32ELi8ELi128ELi128ELi4ELi4ELi64ELi4ELi64ELc84ELc78ELb0ELb0ELb1EfKPKfKPfEEviiiT16_PT17_ilSA_ilS8_SA_ilPT18_ili26rocblas_geam_ex_operation_: ; @_ZN12_GLOBAL__N_120geam_min_plus_kernelIf15HIP_vector_typeIfLj2EEfLi32ELi8ELi128ELi128ELi4ELi4ELi64ELi4ELi64ELc84ELc78ELb0ELb0ELb1EfKPKfKPfEEviiiT16_PT17_ilSA_ilS8_SA_ilPT18_ili26rocblas_geam_ex_operation_
; %bb.0:
	s_clause 0x1
	s_load_dwordx2 s[14:15], s[4:5], 0x8
	s_load_dwordx4 s[8:11], s[4:5], 0x20
	s_mov_b32 s2, s7
	s_mov_b32 s3, 0
	s_waitcnt lgkmcnt(0)
	v_cmp_eq_f32_e64 s0, s15, 0
	s_and_b32 s1, exec_lo, s0
	s_mov_b32 vcc_lo, s1
	s_cbranch_vccnz .LBB11_3
; %bb.1:
	s_load_dwordx2 s[12:13], s[4:5], 0x10
	s_lshl_b64 s[16:17], s[2:3], 3
	s_waitcnt lgkmcnt(0)
	s_add_u32 s12, s12, s16
	s_addc_u32 s13, s13, s17
	s_lshl_b64 s[8:9], s[8:9], 2
	s_load_dwordx2 s[12:13], s[12:13], 0x0
	s_waitcnt lgkmcnt(0)
	s_add_u32 s16, s12, s8
	s_addc_u32 s17, s13, s9
	s_andn2_b32 vcc_lo, exec_lo, s0
	s_cbranch_vccnz .LBB11_4
.LBB11_2:
	s_mov_b32 s21, 0
	s_mov_b32 s20, s2
	;; [unrolled: 1-line block ×3, first 2 shown]
	s_mov_b64 s[12:13], 0
	s_andn2_b32 vcc_lo, exec_lo, s0
	s_mov_b64 s[18:19], 0
	s_cbranch_vccz .LBB11_5
	s_branch .LBB11_6
.LBB11_3:
	s_mov_b64 s[16:17], 0
	s_andn2_b32 vcc_lo, exec_lo, s0
	s_cbranch_vccz .LBB11_2
.LBB11_4:
	s_mov_b64 s[20:21], s[2:3]
	s_mov_b64 s[12:13], 0
	;; [unrolled: 1-line block ×3, first 2 shown]
.LBB11_5:
	s_lshl_b64 s[2:3], s[2:3], 3
	s_load_dwordx2 s[8:9], s[4:5], 0x38
	s_add_u32 s2, s10, s2
	s_addc_u32 s3, s11, s3
	s_load_dwordx2 s[2:3], s[2:3], 0x0
	s_waitcnt lgkmcnt(0)
	s_lshl_b64 s[8:9], s[8:9], 2
	s_add_u32 s18, s2, s8
	s_addc_u32 s19, s3, s9
.LBB11_6:
	s_clause 0x1
	s_load_dword s3, s[4:5], 0x40
	s_load_dwordx4 s[8:11], s[4:5], 0x58
	v_cmp_neq_f32_e64 s7, s15, 0
	s_waitcnt lgkmcnt(0)
	v_cmp_eq_f32_e64 s0, s3, 0
	s_and_b32 s0, exec_lo, s0
	s_mov_b32 vcc_lo, s0
	s_cbranch_vccnz .LBB11_8
; %bb.7:
	s_load_dwordx2 s[12:13], s[4:5], 0x48
	s_lshl_b64 s[22:23], s[20:21], 3
	s_waitcnt lgkmcnt(0)
	s_add_u32 s12, s12, s22
	s_addc_u32 s13, s13, s23
	s_lshl_b64 s[8:9], s[8:9], 2
	s_load_dwordx2 s[12:13], s[12:13], 0x0
	s_waitcnt lgkmcnt(0)
	s_add_u32 s12, s12, s8
	s_addc_u32 s13, s13, s9
.LBB11_8:
	s_load_dword s2, s[4:5], 0x0
	s_lshl_b64 s[8:9], s[20:21], 3
	s_load_dword s20, s[4:5], 0x18
	s_add_u32 s8, s10, s8
	s_addc_u32 s9, s11, s9
	v_lshl_add_u32 v3, v1, 5, v0
	v_cndmask_b32_e64 v5, 0, 1, s7
	v_mov_b32_e32 v4, 0
	v_lshrrev_b32_e32 v3, 2, v3
	s_waitcnt lgkmcnt(0)
	s_add_i32 s2, s2, -1
	s_ashr_i32 s10, s2, 31
	s_lshr_b32 s10, s10, 25
	s_add_i32 s2, s2, s10
	s_ashr_i32 s2, s2, 7
	s_add_i32 s10, s2, 1
	s_not_b32 s2, s2
	v_cvt_f32_u32_e32 v2, s10
	v_rcp_iflag_f32_e32 v2, v2
	v_mul_f32_e32 v2, 0x4f7ffffe, v2
	v_cvt_u32_f32_e32 v2, v2
	v_readfirstlane_b32 s11, v2
	v_and_b32_e32 v2, 3, v0
	s_mul_i32 s2, s2, s11
	v_lshlrev_b32_e32 v84, 2, v2
	s_mul_hi_u32 s2, s11, s2
	s_add_i32 s11, s11, s2
	s_mul_hi_u32 s2, s6, s11
	s_mul_i32 s11, s2, s10
	s_add_i32 s21, s2, 1
	s_sub_i32 s11, s6, s11
	s_sub_i32 s22, s11, s10
	s_cmp_ge_u32 s11, s10
	s_cselect_b32 s2, s21, s2
	s_cselect_b32 s11, s22, s11
	s_add_i32 s21, s2, 1
	s_cmp_ge_u32 s11, s10
	s_cselect_b32 s11, s21, s2
	s_andn2_b32 vcc_lo, exec_lo, s7
	s_mul_i32 s2, s11, s10
	s_sub_i32 s2, s6, s2
	s_lshl_b32 s10, s2, 7
	v_cmp_ne_u32_e64 s2, 1, v5
	v_add_co_u32 v5, s6, s16, v84
	v_add_nc_u32_e32 v82, s10, v3
	v_add_co_ci_u32_e64 v6, null, s17, 0, s6
	s_mov_b32 s6, -1
	s_cbranch_vccnz .LBB11_10
; %bb.9:
	v_mad_i64_i32 v[7:8], null, v82, s20, 0
	v_lshlrev_b64 v[7:8], 2, v[7:8]
	v_add_co_u32 v7, vcc_lo, v5, v7
	v_add_co_ci_u32_e64 v8, null, v6, v8, vcc_lo
	flat_load_dword v4, v[7:8]
	s_waitcnt vmcnt(0) lgkmcnt(0)
	v_mul_f32_e32 v4, s15, v4
.LBB11_10:
	s_load_dword s21, s[4:5], 0x30
	s_lshl_b32 s11, s11, 7
	s_mov_b32 vcc_lo, s1
                                        ; implicit-def: $vgpr7
	s_cbranch_vccz .LBB11_12
; %bb.11:
	v_mov_b32_e32 v7, 0
	s_mov_b32 s6, 0
.LBB11_12:
	v_add_nc_u32_e32 v137, s11, v3
	v_mov_b32_e32 v153, 0
	v_add_nc_u32_e32 v83, 64, v82
	v_mov_b32_e32 v8, 0
	v_mov_b32_e32 v9, 0
	v_add_nc_u32_e32 v152, 64, v137
	s_andn2_b32 vcc_lo, exec_lo, s6
	s_cbranch_vccnz .LBB11_14
; %bb.13:
	v_mad_i64_i32 v[7:8], null, v83, s20, 0
	s_waitcnt lgkmcnt(0)
	v_mad_i64_i32 v[9:10], null, v137, s21, 0
	v_mad_i64_i32 v[11:12], null, v152, s21, 0
	v_add_co_u32 v13, s6, s18, v84
	v_lshlrev_b64 v[7:8], 2, v[7:8]
	v_add_co_ci_u32_e64 v14, null, s19, 0, s6
	v_lshlrev_b64 v[9:10], 2, v[9:10]
	v_lshlrev_b64 v[11:12], 2, v[11:12]
	v_add_co_u32 v7, vcc_lo, v5, v7
	v_add_co_ci_u32_e64 v8, null, v6, v8, vcc_lo
	v_add_co_u32 v9, vcc_lo, v13, v9
	v_add_co_ci_u32_e64 v10, null, v14, v10, vcc_lo
	;; [unrolled: 2-line block ×3, first 2 shown]
	flat_load_dword v7, v[7:8]
	s_clause 0x1
	flat_load_dword v8, v[9:10]
	flat_load_dword v10, v[11:12]
	s_waitcnt vmcnt(2) lgkmcnt(2)
	v_mul_f32_e32 v7, s15, v7
	s_waitcnt vmcnt(1) lgkmcnt(1)
	v_mul_f32_e32 v9, s15, v8
	;; [unrolled: 2-line block ×3, first 2 shown]
.LBB11_14:
	s_and_b32 vcc_lo, exec_lo, s2
	s_cbranch_vccnz .LBB11_16
; %bb.15:
	v_mad_i64_i32 v[10:11], null, v82, s20, 0
	v_lshlrev_b64 v[10:11], 2, v[10:11]
	v_add_co_u32 v10, vcc_lo, v5, v10
	v_add_co_ci_u32_e64 v11, null, v6, v11, vcc_lo
	flat_load_dword v10, v[10:11] offset:16
	s_waitcnt vmcnt(0) lgkmcnt(0)
	v_mul_f32_e32 v153, s15, v10
.LBB11_16:
	v_mov_b32_e32 v155, 0
	s_mov_b32 vcc_lo, s1
	s_cbranch_vccz .LBB11_18
; %bb.17:
	v_mov_b32_e32 v156, 0
	v_mov_b32_e32 v157, 0
	s_cbranch_execz .LBB11_19
	s_branch .LBB11_20
.LBB11_18:
                                        ; implicit-def: $vgpr156
	v_mov_b32_e32 v157, 0
.LBB11_19:
	v_mad_i64_i32 v[10:11], null, v83, s20, 0
	s_waitcnt lgkmcnt(0)
	v_mad_i64_i32 v[12:13], null, v137, s21, 0
	v_mad_i64_i32 v[14:15], null, v152, s21, 0
	v_add_co_u32 v16, s6, s18, v84
	v_lshlrev_b64 v[10:11], 2, v[10:11]
	v_add_co_ci_u32_e64 v17, null, s19, 0, s6
	v_lshlrev_b64 v[12:13], 2, v[12:13]
	v_add_co_u32 v5, vcc_lo, v5, v10
	v_add_co_ci_u32_e64 v6, null, v6, v11, vcc_lo
	v_lshlrev_b64 v[10:11], 2, v[14:15]
	v_add_co_u32 v12, vcc_lo, v16, v12
	v_add_co_ci_u32_e64 v13, null, v17, v13, vcc_lo
	v_add_co_u32 v10, vcc_lo, v16, v10
	v_add_co_ci_u32_e64 v11, null, v17, v11, vcc_lo
	flat_load_dword v5, v[5:6] offset:16
	s_clause 0x1
	flat_load_dword v6, v[12:13] offset:16
	flat_load_dword v10, v[10:11] offset:16
	s_waitcnt vmcnt(2) lgkmcnt(2)
	v_mul_f32_e32 v156, s15, v5
	s_waitcnt vmcnt(1) lgkmcnt(1)
	v_mul_f32_e32 v157, s15, v6
	;; [unrolled: 2-line block ×3, first 2 shown]
.LBB11_20:
	v_lshlrev_b32_e32 v3, 4, v3
	v_lshlrev_b32_e32 v86, 4, v0
	;; [unrolled: 1-line block ×3, first 2 shown]
	s_load_dwordx2 s[6:7], s[8:9], 0x0
	s_cmp_lt_i32 s14, 9
	v_lshl_or_b32 v87, v2, 2, v3
	ds_write2st64_b32 v87, v4, v7 offset1:4
	ds_write2st64_b32 v87, v9, v8 offset0:16 offset1:20
	s_waitcnt lgkmcnt(0)
	s_barrier
	buffer_gl0_inv
	ds_read_b128 v[14:17], v86
	ds_read_b128 v[10:13], v86 offset:512
	ds_read_b128 v[6:9], v86 offset:1024
	;; [unrolled: 1-line block ×19, first 2 shown]
	ds_write2st64_b32 v87, v153, v156 offset0:8 offset1:12
	ds_write2st64_b32 v87, v157, v155 offset0:24 offset1:28
	s_waitcnt lgkmcnt(0)
	s_barrier
	buffer_gl0_inv
	v_add_f32_e32 v88, v15, v79
	v_add_f32_e32 v89, v14, v78
	v_min3_f32 v115, v89, v88, 0x7f7fffff
	v_add_f32_e32 v88, v11, v79
	v_add_f32_e32 v89, v10, v78
	v_min3_f32 v116, v89, v88, 0x7f7fffff
	v_add_f32_e32 v88, v7, v79
	v_add_f32_e32 v89, v6, v78
	;; [unrolled: 1-line block ×5, first 2 shown]
	v_min3_f32 v117, v89, v88, 0x7f7fffff
	v_min3_f32 v118, v78, v79, 0x7f7fffff
	v_add_f32_e32 v78, v15, v75
	v_add_f32_e32 v79, v14, v74
	v_min3_f32 v114, v79, v78, 0x7f7fffff
	v_add_f32_e32 v78, v11, v75
	v_add_f32_e32 v79, v10, v74
	v_min3_f32 v113, v79, v78, 0x7f7fffff
	v_add_f32_e32 v78, v7, v75
	v_add_f32_e32 v79, v6, v74
	v_add_f32_e32 v75, v3, v75
	v_add_f32_e32 v74, v2, v74
	v_min3_f32 v112, v79, v78, 0x7f7fffff
	v_min3_f32 v111, v74, v75, 0x7f7fffff
	v_add_f32_e32 v74, v15, v71
	v_add_f32_e32 v75, v14, v70
	v_min3_f32 v110, v75, v74, 0x7f7fffff
	v_add_f32_e32 v74, v11, v71
	v_add_f32_e32 v75, v10, v70
	v_min3_f32 v109, v75, v74, 0x7f7fffff
	v_add_f32_e32 v74, v7, v71
	v_add_f32_e32 v75, v6, v70
	v_add_f32_e32 v71, v3, v71
	v_add_f32_e32 v70, v2, v70
	;; [unrolled: 12-line block ×13, first 2 shown]
	v_add_f32_e32 v6, v6, v18
	v_min3_f32 v34, v31, v30, 0x7f7fffff
	v_min3_f32 v31, v26, v27, 0x7f7fffff
	v_add_f32_e32 v26, v15, v23
	v_add_f32_e32 v27, v14, v22
	;; [unrolled: 1-line block ×4, first 2 shown]
	v_min3_f32 v30, v27, v26, 0x7f7fffff
	v_add_f32_e32 v26, v11, v23
	v_add_f32_e32 v27, v10, v22
	;; [unrolled: 1-line block ×4, first 2 shown]
	v_min3_f32 v14, v14, v15, 0x7f7fffff
	v_add_f32_e32 v11, v11, v19
	v_min3_f32 v27, v27, v26, 0x7f7fffff
	v_add_f32_e32 v26, v7, v23
	v_add_f32_e32 v23, v3, v23
	;; [unrolled: 1-line block ×5, first 2 shown]
	v_min3_f32 v26, v119, v26, 0x7f7fffff
	v_min3_f32 v22, v22, v23, 0x7f7fffff
	;; [unrolled: 1-line block ×4, first 2 shown]
	v_add_f32_e32 v3, v17, v81
	v_add_f32_e32 v7, v16, v80
	v_min3_f32 v10, v10, v11, 0x7f7fffff
	v_min3_f32 v154, v7, v3, v115
	v_add_f32_e32 v3, v13, v81
	v_add_f32_e32 v7, v12, v80
	v_min3_f32 v150, v7, v3, v116
	v_add_f32_e32 v3, v9, v81
	v_add_f32_e32 v7, v8, v80
	v_min3_f32 v151, v7, v3, v117
	v_add_f32_e32 v3, v5, v81
	v_add_f32_e32 v7, v4, v80
	v_min3_f32 v148, v7, v3, v118
	v_add_f32_e32 v3, v17, v77
	v_add_f32_e32 v7, v16, v76
	v_min3_f32 v149, v7, v3, v114
	v_add_f32_e32 v3, v13, v77
	v_add_f32_e32 v7, v12, v76
	v_min3_f32 v146, v7, v3, v113
	v_add_f32_e32 v3, v9, v77
	v_add_f32_e32 v7, v8, v76
	v_min3_f32 v147, v7, v3, v112
	v_add_f32_e32 v3, v5, v77
	v_add_f32_e32 v7, v4, v76
	v_min3_f32 v144, v7, v3, v111
	v_add_f32_e32 v3, v17, v73
	v_add_f32_e32 v7, v16, v72
	v_min3_f32 v145, v7, v3, v110
	v_add_f32_e32 v3, v13, v73
	v_add_f32_e32 v7, v12, v72
	v_min3_f32 v143, v7, v3, v109
	v_add_f32_e32 v3, v9, v73
	v_add_f32_e32 v7, v8, v72
	v_min3_f32 v142, v7, v3, v108
	v_add_f32_e32 v3, v5, v73
	v_add_f32_e32 v7, v4, v72
	v_min3_f32 v140, v7, v3, v107
	v_add_f32_e32 v3, v17, v69
	v_add_f32_e32 v7, v16, v68
	v_min3_f32 v141, v7, v3, v106
	v_add_f32_e32 v3, v13, v69
	v_add_f32_e32 v7, v12, v68
	v_min3_f32 v138, v7, v3, v105
	v_add_f32_e32 v3, v9, v69
	v_add_f32_e32 v7, v8, v68
	v_min3_f32 v139, v7, v3, v104
	v_add_f32_e32 v3, v5, v69
	v_add_f32_e32 v7, v4, v68
	v_min3_f32 v135, v7, v3, v103
	v_add_f32_e32 v3, v17, v65
	v_add_f32_e32 v7, v16, v64
	v_min3_f32 v136, v7, v3, v102
	v_add_f32_e32 v3, v13, v65
	v_add_f32_e32 v7, v12, v64
	v_min3_f32 v133, v7, v3, v101
	v_add_f32_e32 v3, v9, v65
	v_add_f32_e32 v7, v8, v64
	v_min3_f32 v134, v7, v3, v100
	v_add_f32_e32 v3, v5, v65
	v_add_f32_e32 v7, v4, v64
	v_min3_f32 v131, v7, v3, v99
	v_add_f32_e32 v3, v17, v61
	v_add_f32_e32 v7, v16, v60
	v_min3_f32 v132, v7, v3, v98
	v_add_f32_e32 v3, v13, v61
	v_add_f32_e32 v7, v12, v60
	v_min3_f32 v129, v7, v3, v97
	v_add_f32_e32 v3, v9, v61
	v_add_f32_e32 v7, v8, v60
	v_min3_f32 v130, v7, v3, v96
	v_add_f32_e32 v3, v5, v61
	v_add_f32_e32 v7, v4, v60
	v_min3_f32 v127, v7, v3, v95
	v_add_f32_e32 v3, v17, v57
	v_add_f32_e32 v7, v16, v56
	v_min3_f32 v128, v7, v3, v94
	v_add_f32_e32 v3, v13, v57
	v_add_f32_e32 v7, v12, v56
	v_min3_f32 v125, v7, v3, v93
	v_add_f32_e32 v3, v9, v57
	v_add_f32_e32 v7, v8, v56
	v_min3_f32 v126, v7, v3, v92
	v_add_f32_e32 v3, v5, v57
	v_add_f32_e32 v7, v4, v56
	v_min3_f32 v123, v7, v3, v91
	v_add_f32_e32 v3, v17, v53
	v_add_f32_e32 v7, v16, v52
	v_min3_f32 v124, v7, v3, v90
	v_add_f32_e32 v3, v13, v53
	v_add_f32_e32 v7, v12, v52
	v_min3_f32 v122, v7, v3, v89
	v_add_f32_e32 v3, v9, v53
	v_add_f32_e32 v7, v8, v52
	v_min3_f32 v121, v7, v3, v88
	v_add_f32_e32 v3, v5, v53
	v_add_f32_e32 v7, v4, v52
	v_min3_f32 v119, v7, v3, v79
	v_add_f32_e32 v3, v17, v49
	v_add_f32_e32 v7, v16, v48
	v_min3_f32 v120, v7, v3, v78
	v_add_f32_e32 v3, v13, v49
	v_add_f32_e32 v7, v12, v48
	v_min3_f32 v117, v7, v3, v75
	v_add_f32_e32 v3, v9, v49
	v_add_f32_e32 v7, v8, v48
	v_min3_f32 v118, v7, v3, v74
	v_add_f32_e32 v3, v5, v49
	v_add_f32_e32 v7, v4, v48
	v_min3_f32 v115, v7, v3, v71
	v_add_f32_e32 v3, v17, v45
	v_add_f32_e32 v7, v16, v44
	v_min3_f32 v116, v7, v3, v70
	v_add_f32_e32 v3, v13, v45
	v_add_f32_e32 v7, v12, v44
	v_min3_f32 v113, v7, v3, v67
	v_add_f32_e32 v3, v9, v45
	v_add_f32_e32 v7, v8, v44
	v_min3_f32 v114, v7, v3, v66
	v_add_f32_e32 v3, v5, v45
	v_add_f32_e32 v7, v4, v44
	v_min3_f32 v111, v7, v3, v63
	v_add_f32_e32 v3, v17, v41
	v_add_f32_e32 v7, v16, v40
	v_min3_f32 v112, v7, v3, v62
	v_add_f32_e32 v3, v13, v41
	v_add_f32_e32 v7, v12, v40
	v_min3_f32 v109, v7, v3, v59
	v_add_f32_e32 v3, v9, v41
	v_add_f32_e32 v7, v8, v40
	v_min3_f32 v110, v7, v3, v58
	v_add_f32_e32 v3, v5, v41
	v_add_f32_e32 v7, v4, v40
	v_min3_f32 v107, v7, v3, v55
	v_add_f32_e32 v3, v17, v37
	v_add_f32_e32 v7, v16, v36
	v_min3_f32 v108, v7, v3, v54
	v_add_f32_e32 v3, v13, v37
	v_add_f32_e32 v7, v12, v36
	v_min3_f32 v105, v7, v3, v51
	v_add_f32_e32 v3, v9, v37
	v_add_f32_e32 v7, v8, v36
	v_min3_f32 v106, v7, v3, v50
	v_add_f32_e32 v3, v5, v37
	v_add_f32_e32 v7, v4, v36
	v_min3_f32 v103, v7, v3, v47
	v_add_f32_e32 v3, v17, v33
	v_add_f32_e32 v7, v16, v32
	v_min3_f32 v104, v7, v3, v46
	v_add_f32_e32 v3, v13, v33
	v_add_f32_e32 v7, v12, v32
	v_min3_f32 v102, v7, v3, v43
	v_add_f32_e32 v3, v9, v33
	v_add_f32_e32 v7, v8, v32
	v_min3_f32 v101, v7, v3, v42
	v_add_f32_e32 v3, v5, v33
	v_add_f32_e32 v7, v4, v32
	v_min3_f32 v98, v7, v3, v39
	v_add_f32_e32 v3, v17, v29
	v_add_f32_e32 v7, v16, v28
	v_min3_f32 v100, v7, v3, v38
	v_add_f32_e32 v3, v13, v29
	v_add_f32_e32 v7, v12, v28
	v_min3_f32 v96, v7, v3, v35
	v_add_f32_e32 v3, v9, v29
	v_add_f32_e32 v7, v8, v28
	v_min3_f32 v97, v7, v3, v34
	v_add_f32_e32 v3, v5, v29
	v_add_f32_e32 v7, v4, v28
	v_min3_f32 v94, v7, v3, v31
	v_add_f32_e32 v3, v17, v25
	v_add_f32_e32 v7, v16, v24
	v_min3_f32 v95, v7, v3, v30
	v_add_f32_e32 v3, v13, v25
	v_add_f32_e32 v7, v12, v24
	v_min3_f32 v92, v7, v3, v27
	v_add_f32_e32 v3, v9, v25
	v_add_f32_e32 v7, v8, v24
	v_min3_f32 v93, v7, v3, v26
	v_add_f32_e32 v3, v5, v25
	v_add_f32_e32 v7, v4, v24
	v_add_f32_e32 v4, v4, v20
	v_min3_f32 v91, v7, v3, v22
	v_add_f32_e32 v3, v17, v21
	v_add_f32_e32 v7, v16, v20
	v_min3_f32 v90, v7, v3, v14
	v_add_f32_e32 v3, v13, v21
	;; [unrolled: 3-line block ×4, first 2 shown]
	v_min3_f32 v99, v4, v3, v2
	s_cbranch_scc1 .LBB11_35
; %bb.21:
	v_mad_i64_i32 v[2:3], null, s21, v152, 0
	v_mad_i64_i32 v[4:5], null, s21, v137, 0
	;; [unrolled: 1-line block ×4, first 2 shown]
	v_lshlrev_b64 v[2:3], 2, v[2:3]
	v_add_nc_u32_e32 v153, 0x1000, v87
	v_lshlrev_b64 v[4:5], 2, v[4:5]
	v_or_b32_e32 v155, 0x1000, v85
	v_add_nc_u32_e32 v152, 0x800, v87
	v_add_nc_u32_e32 v137, 0x1800, v87
	v_add_co_u32 v159, vcc_lo, s18, v2
	v_add_co_ci_u32_e64 v160, null, s19, v3, vcc_lo
	v_lshlrev_b64 v[2:3], 2, v[6:7]
	v_add_co_u32 v161, vcc_lo, s18, v4
	v_add_co_ci_u32_e64 v162, null, s19, v5, vcc_lo
	v_lshlrev_b64 v[4:5], 2, v[8:9]
	v_add_co_u32 v163, vcc_lo, s16, v2
	v_add_co_ci_u32_e64 v164, null, s17, v3, vcc_lo
	v_lshl_add_u32 v156, v0, 4, 0x800
	v_add_co_u32 v165, vcc_lo, s16, v4
	v_lshl_add_u32 v157, v1, 4, 0x1800
	v_mov_b32_e32 v158, 0
	v_add_co_ci_u32_e64 v166, null, s17, v5, vcc_lo
	s_add_i32 s8, s14, -8
	s_mov_b32 s9, 0
	s_branch .LBB11_23
.LBB11_22:                              ;   in Loop: Header=BB11_23 Depth=1
	v_add_f32_e32 v169, v15, v79
	v_add_f32_e32 v170, v14, v78
	;; [unrolled: 1-line block ×10, first 2 shown]
	v_min3_f32 v154, v170, v169, v154
	v_min3_f32 v150, v172, v171, v150
	;; [unrolled: 1-line block ×3, first 2 shown]
	v_add_f32_e32 v148, v11, v75
	v_min3_f32 v79, v176, v175, v149
	v_add_f32_e32 v149, v10, v74
	v_add_f32_e32 v169, v7, v75
	;; [unrolled: 1-line block ×7, first 2 shown]
	v_min3_f32 v151, v174, v173, v151
	v_add_f32_e32 v173, v11, v71
	v_add_f32_e32 v174, v10, v70
	v_min3_f32 v146, v149, v148, v146
	v_min3_f32 v74, v74, v75, v144
	;; [unrolled: 1-line block ×3, first 2 shown]
	v_add_f32_e32 v144, v7, v71
	v_add_f32_e32 v145, v6, v70
	;; [unrolled: 1-line block ×6, first 2 shown]
	v_min3_f32 v147, v170, v169, v147
	v_add_f32_e32 v169, v11, v67
	v_add_f32_e32 v170, v10, v66
	;; [unrolled: 1-line block ×4, first 2 shown]
	v_min3_f32 v142, v145, v144, v142
	v_min3_f32 v70, v70, v71, v140
	v_min3_f32 v71, v149, v148, v141
	v_add_f32_e32 v67, v3, v67
	v_add_f32_e32 v66, v2, v66
	;; [unrolled: 1-line block ×10, first 2 shown]
	v_min3_f32 v66, v66, v67, v135
	v_min3_f32 v67, v141, v140, v136
	;; [unrolled: 1-line block ×3, first 2 shown]
	v_add_f32_e32 v135, v11, v59
	v_min3_f32 v62, v62, v63, v131
	v_add_f32_e32 v63, v15, v59
	v_add_f32_e32 v131, v14, v58
	v_add_f32_e32 v136, v10, v58
	v_add_f32_e32 v140, v7, v59
	v_add_f32_e32 v141, v6, v58
	v_add_f32_e32 v59, v3, v59
	v_add_f32_e32 v58, v2, v58
	v_add_f32_e32 v144, v15, v55
	v_add_f32_e32 v145, v14, v54
	v_min3_f32 v63, v131, v63, v132
	v_min3_f32 v129, v136, v135, v129
	;; [unrolled: 1-line block ×3, first 2 shown]
	v_add_f32_e32 v127, v11, v55
	v_min3_f32 v59, v145, v144, v128
	v_add_f32_e32 v128, v10, v54
	v_add_f32_e32 v131, v7, v55
	;; [unrolled: 1-line block ×7, first 2 shown]
	v_min3_f32 v130, v141, v140, v130
	v_add_f32_e32 v140, v11, v51
	v_add_f32_e32 v141, v10, v50
	v_min3_f32 v125, v128, v127, v125
	v_min3_f32 v54, v54, v55, v123
	;; [unrolled: 1-line block ×3, first 2 shown]
	v_add_f32_e32 v123, v7, v51
	v_add_f32_e32 v124, v6, v50
	v_add_f32_e32 v51, v3, v51
	v_add_f32_e32 v50, v2, v50
	v_add_f32_e32 v127, v15, v47
	v_add_f32_e32 v128, v14, v46
	v_min3_f32 v126, v132, v131, v126
	v_add_f32_e32 v131, v11, v47
	v_add_f32_e32 v132, v10, v46
	;; [unrolled: 1-line block ×4, first 2 shown]
	v_min3_f32 v121, v124, v123, v121
	v_min3_f32 v50, v50, v51, v119
	;; [unrolled: 1-line block ×3, first 2 shown]
	v_add_f32_e32 v47, v3, v47
	v_add_f32_e32 v46, v2, v46
	;; [unrolled: 1-line block ×10, first 2 shown]
	v_min3_f32 v46, v46, v47, v115
	v_min3_f32 v47, v120, v119, v116
	;; [unrolled: 1-line block ×3, first 2 shown]
	v_add_f32_e32 v115, v11, v39
	v_min3_f32 v42, v42, v43, v111
	v_add_f32_e32 v43, v15, v39
	v_add_f32_e32 v111, v14, v38
	;; [unrolled: 1-line block ×9, first 2 shown]
	v_min3_f32 v43, v111, v43, v112
	v_min3_f32 v109, v116, v115, v109
	;; [unrolled: 1-line block ×3, first 2 shown]
	v_add_f32_e32 v107, v11, v35
	v_min3_f32 v39, v124, v123, v108
	v_add_f32_e32 v108, v10, v34
	v_add_f32_e32 v111, v7, v35
	;; [unrolled: 1-line block ×7, first 2 shown]
	v_min3_f32 v110, v120, v119, v110
	v_add_f32_e32 v119, v11, v31
	v_add_f32_e32 v120, v10, v30
	v_min3_f32 v105, v108, v107, v105
	v_min3_f32 v34, v34, v35, v103
	v_min3_f32 v35, v116, v115, v104
	v_add_f32_e32 v103, v7, v31
	v_add_f32_e32 v104, v6, v30
	v_add_f32_e32 v31, v3, v31
	v_add_f32_e32 v30, v2, v30
	v_add_f32_e32 v107, v15, v27
	v_add_f32_e32 v108, v14, v26
	v_min3_f32 v106, v112, v111, v106
	v_add_f32_e32 v111, v11, v27
	v_add_f32_e32 v112, v10, v26
	;; [unrolled: 1-line block ×4, first 2 shown]
	v_min3_f32 v101, v104, v103, v101
	v_min3_f32 v30, v30, v31, v98
	;; [unrolled: 1-line block ×3, first 2 shown]
	v_add_f32_e32 v27, v3, v27
	v_add_f32_e32 v26, v2, v26
	;; [unrolled: 1-line block ×20, first 2 shown]
	v_min3_f32 v22, v22, v23, v91
	v_min3_f32 v10, v10, v11, v88
	;; [unrolled: 1-line block ×3, first 2 shown]
	v_add_f32_e32 v2, v13, v81
	v_min3_f32 v88, v19, v18, v154
	v_add_f32_e32 v3, v12, v80
	v_add_f32_e32 v11, v5, v81
	;; [unrolled: 1-line block ×3, first 2 shown]
	v_min3_f32 v26, v26, v27, v94
	v_min3_f32 v14, v14, v15, v90
	;; [unrolled: 1-line block ×3, first 2 shown]
	v_add_f32_e32 v6, v9, v81
	v_add_f32_e32 v7, v8, v80
	;; [unrolled: 1-line block ×4, first 2 shown]
	v_min3_f32 v90, v3, v2, v150
	v_min3_f32 v94, v18, v11, v78
	v_add_f32_e32 v2, v9, v77
	v_add_f32_e32 v3, v8, v76
	;; [unrolled: 1-line block ×4, first 2 shown]
	v_min3_f32 v143, v174, v173, v143
	v_min3_f32 v138, v170, v169, v138
	;; [unrolled: 1-line block ×3, first 2 shown]
	v_add_f32_e32 v89, v12, v76
	v_min3_f32 v91, v7, v6, v151
	v_min3_f32 v95, v80, v19, v79
	v_add_f32_e32 v6, v5, v77
	v_add_f32_e32 v7, v4, v76
	;; [unrolled: 1-line block ×4, first 2 shown]
	v_min3_f32 v98, v3, v2, v147
	v_min3_f32 v100, v18, v11, v75
	v_add_f32_e32 v2, v5, v73
	v_add_f32_e32 v3, v4, v72
	;; [unrolled: 1-line block ×4, first 2 shown]
	v_min3_f32 v139, v172, v171, v139
	v_min3_f32 v134, v149, v148, v134
	;; [unrolled: 1-line block ×5, first 2 shown]
	v_add_f32_e32 v78, v8, v72
	v_min3_f32 v99, v7, v6, v74
	v_min3_f32 v103, v76, v19, v143
	v_add_f32_e32 v6, v17, v69
	v_add_f32_e32 v7, v16, v68
	;; [unrolled: 1-line block ×4, first 2 shown]
	v_min3_f32 v107, v3, v2, v70
	v_min3_f32 v111, v18, v11, v138
	v_add_f32_e32 v2, v17, v65
	v_add_f32_e32 v3, v16, v64
	;; [unrolled: 1-line block ×4, first 2 shown]
	v_min3_f32 v102, v120, v119, v102
	v_min3_f32 v97, v116, v115, v97
	v_add_f32_e32 v69, v5, v69
	v_add_f32_e32 v68, v4, v68
	v_min3_f32 v108, v7, v6, v71
	v_min3_f32 v112, v72, v19, v139
	v_add_f32_e32 v6, v13, v65
	v_add_f32_e32 v7, v12, v64
	;; [unrolled: 1-line block ×4, first 2 shown]
	v_min3_f32 v116, v3, v2, v67
	v_min3_f32 v120, v18, v11, v134
	v_add_f32_e32 v2, v13, v61
	v_add_f32_e32 v3, v12, v60
	;; [unrolled: 1-line block ×4, first 2 shown]
	v_min3_f32 v114, v128, v127, v114
	v_min3_f32 v115, v68, v69, v66
	v_add_f32_e32 v66, v16, v60
	v_min3_f32 v119, v7, v6, v133
	v_min3_f32 v123, v64, v19, v62
	v_add_f32_e32 v6, v9, v61
	v_add_f32_e32 v7, v8, v60
	;; [unrolled: 1-line block ×4, first 2 shown]
	v_min3_f32 v127, v3, v2, v129
	v_min3_f32 v129, v18, v11, v58
	v_add_f32_e32 v2, v9, v57
	v_add_f32_e32 v3, v8, v56
	;; [unrolled: 1-line block ×4, first 2 shown]
	v_min3_f32 v122, v141, v140, v122
	v_min3_f32 v117, v132, v131, v117
	v_add_f32_e32 v62, v12, v56
	v_min3_f32 v128, v7, v6, v130
	v_min3_f32 v130, v60, v19, v59
	v_add_f32_e32 v6, v5, v57
	v_add_f32_e32 v7, v4, v56
	;; [unrolled: 1-line block ×4, first 2 shown]
	v_min3_f32 v126, v3, v2, v126
	v_min3_f32 v132, v18, v11, v55
	v_add_f32_e32 v2, v5, v53
	v_add_f32_e32 v3, v4, v52
	;; [unrolled: 1-line block ×4, first 2 shown]
	v_min3_f32 v118, v136, v135, v118
	v_add_f32_e32 v58, v8, v52
	v_min3_f32 v131, v7, v6, v54
	v_min3_f32 v122, v56, v19, v122
	v_add_f32_e32 v6, v17, v49
	v_add_f32_e32 v7, v16, v48
	;; [unrolled: 1-line block ×4, first 2 shown]
	v_min3_f32 v133, v3, v2, v50
	v_min3_f32 v117, v18, v11, v117
	v_add_f32_e32 v2, v17, v45
	v_add_f32_e32 v3, v16, v44
	;; [unrolled: 1-line block ×6, first 2 shown]
	v_min3_f32 v134, v7, v6, v51
	v_min3_f32 v118, v52, v19, v118
	v_add_f32_e32 v6, v13, v45
	v_add_f32_e32 v7, v12, v44
	;; [unrolled: 1-line block ×4, first 2 shown]
	v_min3_f32 v136, v3, v2, v47
	v_min3_f32 v114, v18, v11, v114
	v_add_f32_e32 v2, v13, v41
	v_add_f32_e32 v3, v12, v40
	;; [unrolled: 1-line block ×4, first 2 shown]
	v_min3_f32 v135, v48, v49, v46
	v_add_f32_e32 v46, v16, v40
	v_min3_f32 v113, v7, v6, v113
	v_min3_f32 v138, v44, v19, v42
	v_add_f32_e32 v6, v9, v41
	v_add_f32_e32 v7, v8, v40
	;; [unrolled: 1-line block ×4, first 2 shown]
	v_min3_f32 v109, v3, v2, v109
	v_min3_f32 v140, v18, v11, v38
	v_add_f32_e32 v2, v9, v37
	v_add_f32_e32 v3, v8, v36
	;; [unrolled: 1-line block ×7, first 2 shown]
	v_min3_f32 v110, v7, v6, v110
	v_min3_f32 v141, v40, v19, v39
	v_add_f32_e32 v6, v5, v37
	v_add_f32_e32 v7, v4, v36
	;; [unrolled: 1-line block ×4, first 2 shown]
	v_min3_f32 v106, v3, v2, v106
	v_min3_f32 v143, v18, v11, v35
	v_add_f32_e32 v2, v5, v33
	v_add_f32_e32 v3, v4, v32
	;; [unrolled: 1-line block ×4, first 2 shown]
	v_min3_f32 v104, v78, v77, v142
	v_add_f32_e32 v65, v17, v61
	v_add_f32_e32 v45, v17, v41
	;; [unrolled: 1-line block ×3, first 2 shown]
	v_min3_f32 v142, v7, v6, v34
	v_min3_f32 v102, v36, v19, v102
	v_add_f32_e32 v6, v17, v29
	v_add_f32_e32 v7, v16, v28
	;; [unrolled: 1-line block ×4, first 2 shown]
	v_min3_f32 v144, v3, v2, v30
	v_min3_f32 v96, v18, v11, v96
	v_add_f32_e32 v2, v17, v25
	v_add_f32_e32 v3, v16, v24
	v_add_f32_e32 v11, v9, v25
	v_add_f32_e32 v18, v8, v24
	v_add_f32_e32 v17, v17, v21
	v_add_f32_e32 v16, v16, v20
	v_min3_f32 v145, v7, v6, v31
	v_min3_f32 v97, v32, v19, v97
	v_add_f32_e32 v6, v13, v25
	v_add_f32_e32 v7, v12, v24
	;; [unrolled: 1-line block ×4, first 2 shown]
	v_min3_f32 v93, v18, v11, v93
	v_min3_f32 v149, v16, v17, v14
	v_add_f32_e32 v11, v13, v21
	v_add_f32_e32 v12, v12, v20
	;; [unrolled: 1-line block ×10, first 2 shown]
	v_min3_f32 v147, v3, v2, v27
	v_min3_f32 v92, v7, v6, v92
	;; [unrolled: 1-line block ×3, first 2 shown]
	v_add_f32_e32 v18, v5, v21
	v_add_f32_e32 v19, v4, v20
	ds_read_b128 v[2:5], v86
	ds_read_b128 v[6:9], v155
	v_min3_f32 v150, v12, v11, v10
	ds_read_b128 v[10:13], v86 offset:512
	v_min3_f32 v151, v16, v14, v15
	ds_read_b128 v[14:17], v86 offset:1024
	v_min3_f32 v89, v89, v81, v146
	v_min3_f32 v124, v66, v65, v63
	;; [unrolled: 1-line block ×9, first 2 shown]
	ds_read_b128 v[18:21], v86 offset:1536
	ds_read_b128 v[22:25], v155 offset:128
	;; [unrolled: 1-line block ×16, first 2 shown]
	v_add_co_u32 v159, vcc_lo, v159, 32
	v_add_co_ci_u32_e64 v160, null, 0, v160, vcc_lo
	s_waitcnt lgkmcnt(18)
	v_add_f32_e32 v169, v3, v7
	v_add_f32_e32 v170, v2, v6
	s_waitcnt lgkmcnt(17)
	v_add_f32_e32 v171, v11, v7
	v_add_f32_e32 v172, v10, v6
	;; [unrolled: 3-line block ×3, first 2 shown]
	v_min3_f32 v88, v170, v169, v88
	s_waitcnt lgkmcnt(15)
	v_add_f32_e32 v7, v19, v7
	v_min3_f32 v90, v172, v171, v90
	v_add_f32_e32 v6, v18, v6
	v_min3_f32 v91, v174, v173, v91
	s_waitcnt lgkmcnt(14)
	v_add_f32_e32 v169, v3, v23
	v_add_f32_e32 v170, v2, v22
	;; [unrolled: 1-line block ×8, first 2 shown]
	v_min3_f32 v6, v6, v7, v94
	v_min3_f32 v7, v170, v169, v95
	;; [unrolled: 1-line block ×5, first 2 shown]
	s_waitcnt lgkmcnt(13)
	v_add_f32_e32 v23, v3, v27
	v_add_f32_e32 v95, v2, v26
	;; [unrolled: 1-line block ×8, first 2 shown]
	s_waitcnt lgkmcnt(12)
	v_add_f32_e32 v171, v3, v31
	v_add_f32_e32 v172, v2, v30
	v_min3_f32 v23, v95, v23, v100
	v_min3_f32 v95, v99, v98, v103
	;; [unrolled: 1-line block ×5, first 2 shown]
	v_add_f32_e32 v99, v11, v31
	v_add_f32_e32 v100, v10, v30
	;; [unrolled: 1-line block ×6, first 2 shown]
	s_waitcnt lgkmcnt(11)
	v_add_f32_e32 v107, v3, v35
	v_add_f32_e32 v108, v2, v34
	;; [unrolled: 1-line block ×4, first 2 shown]
	v_min3_f32 v99, v100, v99, v111
	v_min3_f32 v100, v104, v103, v112
	;; [unrolled: 1-line block ×5, first 2 shown]
	v_add_f32_e32 v104, v15, v35
	v_add_f32_e32 v107, v14, v34
	;; [unrolled: 1-line block ×4, first 2 shown]
	s_waitcnt lgkmcnt(10)
	v_add_f32_e32 v108, v3, v39
	v_add_f32_e32 v111, v2, v38
	;; [unrolled: 1-line block ×6, first 2 shown]
	v_min3_f32 v104, v107, v104, v120
	v_min3_f32 v34, v34, v35, v123
	;; [unrolled: 1-line block ×5, first 2 shown]
	v_add_f32_e32 v39, v19, v39
	v_add_f32_e32 v38, v18, v38
	s_waitcnt lgkmcnt(9)
	v_add_f32_e32 v111, v3, v43
	v_add_f32_e32 v112, v2, v42
	;; [unrolled: 1-line block ×8, first 2 shown]
	v_min3_f32 v38, v38, v39, v129
	v_min3_f32 v39, v112, v111, v130
	;; [unrolled: 1-line block ×5, first 2 shown]
	s_waitcnt lgkmcnt(8)
	v_add_f32_e32 v43, v3, v47
	v_add_f32_e32 v115, v2, v46
	;; [unrolled: 1-line block ×8, first 2 shown]
	s_waitcnt lgkmcnt(7)
	v_add_f32_e32 v124, v3, v51
	v_add_f32_e32 v125, v2, v50
	v_min3_f32 v43, v115, v43, v132
	v_min3_f32 v115, v119, v116, v122
	;; [unrolled: 1-line block ×5, first 2 shown]
	v_add_f32_e32 v119, v11, v51
	v_add_f32_e32 v120, v10, v50
	;; [unrolled: 1-line block ×6, first 2 shown]
	s_waitcnt lgkmcnt(6)
	v_add_f32_e32 v123, v3, v55
	v_add_f32_e32 v124, v2, v54
	;; [unrolled: 1-line block ×4, first 2 shown]
	v_min3_f32 v117, v120, v119, v117
	v_min3_f32 v118, v122, v121, v118
	;; [unrolled: 1-line block ×4, first 2 shown]
	v_add_f32_e32 v119, v15, v55
	v_add_f32_e32 v120, v14, v54
	;; [unrolled: 1-line block ×4, first 2 shown]
	s_waitcnt lgkmcnt(5)
	v_add_f32_e32 v121, v3, v59
	v_add_f32_e32 v122, v2, v58
	;; [unrolled: 1-line block ×4, first 2 shown]
	v_min3_f32 v113, v126, v125, v113
	v_add_f32_e32 v125, v15, v59
	v_add_f32_e32 v126, v14, v58
	v_min3_f32 v114, v120, v119, v114
	v_min3_f32 v54, v54, v55, v138
	;; [unrolled: 1-line block ×4, first 2 shown]
	v_add_f32_e32 v59, v19, v59
	v_add_f32_e32 v58, v18, v58
	s_waitcnt lgkmcnt(4)
	v_add_f32_e32 v119, v3, v63
	v_add_f32_e32 v120, v2, v62
	;; [unrolled: 1-line block ×8, first 2 shown]
	v_min3_f32 v58, v58, v59, v140
	v_min3_f32 v59, v120, v119, v141
	v_min3_f32 v105, v122, v121, v105
	s_waitcnt lgkmcnt(3)
	v_add_f32_e32 v119, v2, v66
	v_min3_f32 v62, v62, v63, v142
	v_add_f32_e32 v63, v3, v67
	v_add_f32_e32 v120, v11, v67
	;; [unrolled: 1-line block ×3, first 2 shown]
	v_min3_f32 v110, v126, v125, v110
	v_min3_f32 v106, v124, v123, v106
	v_add_f32_e32 v122, v15, v67
	v_add_f32_e32 v123, v14, v66
	;; [unrolled: 1-line block ×4, first 2 shown]
	s_waitcnt lgkmcnt(2)
	v_add_f32_e32 v124, v3, v71
	v_add_f32_e32 v125, v2, v70
	v_min3_f32 v63, v119, v63, v143
	v_min3_f32 v102, v121, v120, v102
	v_add_f32_e32 v119, v11, v71
	v_add_f32_e32 v120, v10, v70
	v_min3_f32 v101, v123, v122, v101
	v_min3_f32 v66, v66, v67, v144
	;; [unrolled: 1-line block ×3, first 2 shown]
	v_add_f32_e32 v121, v15, v71
	v_add_f32_e32 v122, v14, v70
	s_waitcnt lgkmcnt(1)
	v_add_f32_e32 v123, v3, v75
	v_add_f32_e32 v124, v2, v74
	;; [unrolled: 1-line block ×4, first 2 shown]
	v_min3_f32 v96, v120, v119, v96
	v_add_f32_e32 v119, v15, v75
	v_add_f32_e32 v120, v14, v74
	;; [unrolled: 1-line block ×4, first 2 shown]
	s_waitcnt lgkmcnt(0)
	v_add_f32_e32 v3, v3, v79
	v_add_f32_e32 v2, v2, v78
	;; [unrolled: 1-line block ×8, first 2 shown]
	v_min3_f32 v74, v74, v75, v148
	v_min3_f32 v2, v2, v3, v149
	;; [unrolled: 1-line block ×4, first 2 shown]
	v_add_f32_e32 v11, v19, v79
	v_add_f32_e32 v14, v18, v78
	;; [unrolled: 1-line block ×10, first 2 shown]
	v_min3_f32 v11, v14, v11, v154
	v_min3_f32 v154, v18, v15, v88
	v_add_f32_e32 v14, v12, v24
	v_add_f32_e32 v15, v17, v25
	v_min3_f32 v148, v8, v9, v6
	v_add_f32_e32 v6, v5, v25
	v_add_f32_e32 v8, v4, v24
	;; [unrolled: 1-line block ×4, first 2 shown]
	v_min3_f32 v70, v70, v71, v146
	v_min3_f32 v71, v124, v123, v147
	;; [unrolled: 1-line block ×3, first 2 shown]
	v_add_f32_e32 v19, v21, v25
	v_add_f32_e32 v24, v20, v24
	v_add_f32_e32 v25, v5, v29
	v_add_f32_e32 v75, v4, v28
	v_min3_f32 v149, v8, v6, v7
	v_min3_f32 v146, v14, v9, v89
	v_min3_f32 v147, v18, v15, v94
	v_add_f32_e32 v6, v13, v29
	v_add_f32_e32 v7, v12, v28
	v_add_f32_e32 v8, v17, v29
	v_add_f32_e32 v9, v16, v28
	v_add_f32_e32 v14, v21, v29
	v_add_f32_e32 v15, v20, v28
	v_min3_f32 v144, v24, v19, v22
	v_min3_f32 v145, v75, v25, v23
	v_add_f32_e32 v18, v5, v33
	v_add_f32_e32 v19, v4, v32
	v_add_f32_e32 v22, v13, v33
	v_add_f32_e32 v23, v12, v32
	v_min3_f32 v143, v7, v6, v95
	v_min3_f32 v142, v9, v8, v98
	v_min3_f32 v140, v15, v14, v26
	v_add_f32_e32 v6, v17, v33
	v_add_f32_e32 v7, v16, v32
	v_add_f32_e32 v8, v21, v33
	v_add_f32_e32 v9, v20, v32
	v_add_f32_e32 v14, v5, v37
	v_add_f32_e32 v15, v4, v36
	v_min3_f32 v141, v19, v18, v27
	v_min3_f32 v138, v23, v22, v99
	;; [unrolled: 15-line block ×4, first 2 shown]
	v_min3_f32 v127, v23, v22, v38
	v_add_f32_e32 v18, v21, v45
	v_add_f32_e32 v19, v20, v44
	;; [unrolled: 1-line block ×4, first 2 shown]
	v_min3_f32 v128, v7, v6, v39
	v_min3_f32 v125, v9, v8, v111
	;; [unrolled: 1-line block ×3, first 2 shown]
	v_add_f32_e32 v6, v13, v49
	v_add_f32_e32 v7, v12, v48
	;; [unrolled: 1-line block ×6, first 2 shown]
	v_min3_f32 v97, v122, v121, v97
	v_min3_f32 v93, v120, v119, v93
	;; [unrolled: 1-line block ×4, first 2 shown]
	v_add_f32_e32 v18, v5, v53
	v_add_f32_e32 v19, v4, v52
	v_add_f32_e32 v22, v13, v53
	v_add_f32_e32 v23, v12, v52
	v_min3_f32 v122, v7, v6, v115
	v_min3_f32 v121, v9, v8, v116
	v_min3_f32 v119, v15, v14, v46
	v_add_f32_e32 v6, v17, v53
	v_add_f32_e32 v7, v16, v52
	v_add_f32_e32 v8, v21, v53
	v_add_f32_e32 v9, v20, v52
	v_add_f32_e32 v14, v5, v57
	v_add_f32_e32 v15, v4, v56
	v_min3_f32 v120, v19, v18, v47
	v_min3_f32 v117, v23, v22, v117
	v_add_f32_e32 v18, v13, v57
	v_add_f32_e32 v19, v12, v56
	v_add_f32_e32 v22, v17, v57
	v_add_f32_e32 v23, v16, v56
	v_min3_f32 v118, v7, v6, v118
	v_min3_f32 v115, v9, v8, v50
	v_min3_f32 v116, v15, v14, v51
	v_add_f32_e32 v6, v21, v57
	v_add_f32_e32 v7, v20, v56
	v_add_f32_e32 v8, v5, v61
	v_add_f32_e32 v9, v4, v60
	v_add_f32_e32 v14, v13, v61
	v_add_f32_e32 v15, v12, v60
	v_min3_f32 v113, v19, v18, v113
	v_min3_f32 v114, v23, v22, v114
	;; [unrolled: 15-line block ×4, first 2 shown]
	v_add_f32_e32 v18, v5, v73
	v_add_f32_e32 v19, v4, v72
	;; [unrolled: 1-line block ×4, first 2 shown]
	v_min3_f32 v102, v7, v6, v102
	v_min3_f32 v101, v9, v8, v101
	;; [unrolled: 1-line block ×3, first 2 shown]
	v_add_f32_e32 v6, v17, v73
	v_add_f32_e32 v7, v16, v72
	;; [unrolled: 1-line block ×6, first 2 shown]
	v_add_co_u32 v161, vcc_lo, v161, 32
	v_min3_f32 v100, v19, v18, v67
	v_min3_f32 v96, v23, v22, v96
	v_add_f32_e32 v18, v13, v77
	v_add_f32_e32 v19, v12, v76
	;; [unrolled: 1-line block ×4, first 2 shown]
	v_min3_f32 v97, v7, v6, v97
	v_min3_f32 v94, v9, v8, v70
	;; [unrolled: 1-line block ×3, first 2 shown]
	v_add_f32_e32 v6, v21, v77
	v_add_f32_e32 v7, v20, v76
	;; [unrolled: 1-line block ×10, first 2 shown]
	v_add_co_ci_u32_e64 v162, null, 0, v162, vcc_lo
	v_add_co_u32 v163, vcc_lo, v163, 32
	v_add_co_ci_u32_e64 v164, null, 0, v164, vcc_lo
	v_add_co_u32 v165, vcc_lo, v165, 32
	v_min3_f32 v151, v79, v78, v91
	v_min3_f32 v92, v19, v18, v92
	;; [unrolled: 1-line block ×8, first 2 shown]
	v_add_co_ci_u32_e64 v166, null, 0, v166, vcc_lo
	s_add_i32 s9, s9, 8
	ds_write2st64_b32 v152, v167, v83 offset1:4
	ds_write2st64_b32 v137, v82, v168 offset1:4
	s_cmp_ge_i32 s9, s8
	s_waitcnt lgkmcnt(0)
	s_barrier
	buffer_gl0_inv
	s_cbranch_scc1 .LBB11_35
.LBB11_23:                              ; =>This Inner Loop Header: Depth=1
	v_mov_b32_e32 v168, 0
	s_and_b32 vcc_lo, exec_lo, s2
	s_cbranch_vccnz .LBB11_25
; %bb.24:                               ;   in Loop: Header=BB11_23 Depth=1
	v_add_co_u32 v2, vcc_lo, v165, v84
	v_add_co_ci_u32_e64 v3, null, 0, v166, vcc_lo
	flat_load_dword v2, v[2:3] offset:32
	s_waitcnt vmcnt(0) lgkmcnt(0)
	v_mul_f32_e32 v168, s15, v2
.LBB11_25:                              ;   in Loop: Header=BB11_23 Depth=1
	s_mov_b32 s14, -1
	s_mov_b32 vcc_lo, s1
                                        ; implicit-def: $vgpr82_vgpr83
                                        ; implicit-def: $vgpr83
	s_cbranch_vccz .LBB11_27
; %bb.26:                               ;   in Loop: Header=BB11_23 Depth=1
	v_mov_b32_e32 v83, v158
	v_mov_b32_e32 v82, 0
	s_mov_b32 s14, 0
.LBB11_27:                              ;   in Loop: Header=BB11_23 Depth=1
	v_mov_b32_e32 v167, 0
	v_mov_b32_e32 v169, 0
	s_andn2_b32 vcc_lo, exec_lo, s14
	s_cbranch_vccnz .LBB11_29
; %bb.28:                               ;   in Loop: Header=BB11_23 Depth=1
	v_add_co_u32 v2, vcc_lo, v163, v84
	v_add_co_ci_u32_e64 v3, null, 0, v164, vcc_lo
	v_add_co_u32 v4, vcc_lo, v161, v84
	v_add_co_ci_u32_e64 v5, null, 0, v162, vcc_lo
	;; [unrolled: 2-line block ×3, first 2 shown]
	flat_load_dword v2, v[2:3] offset:32
	flat_load_dword v3, v[4:5] offset:32
	;; [unrolled: 1-line block ×3, first 2 shown]
	s_waitcnt vmcnt(2) lgkmcnt(2)
	v_mul_f32_e32 v83, s15, v2
	s_waitcnt vmcnt(1) lgkmcnt(1)
	v_mul_f32_e32 v82, s15, v3
	;; [unrolled: 2-line block ×3, first 2 shown]
.LBB11_29:                              ;   in Loop: Header=BB11_23 Depth=1
	ds_read_b128 v[14:17], v156
	ds_read_b128 v[10:13], v156 offset:512
	ds_read_b128 v[6:9], v156 offset:1024
	;; [unrolled: 1-line block ×3, first 2 shown]
	ds_read_b128 v[78:81], v157
	ds_read_b128 v[74:77], v157 offset:128
	ds_read_b128 v[70:73], v157 offset:256
	;; [unrolled: 1-line block ×15, first 2 shown]
	s_and_b32 vcc_lo, exec_lo, s2
	ds_write2st64_b32 v87, v168, v83 offset1:4
	ds_write2st64_b32 v153, v82, v169 offset1:4
	s_waitcnt lgkmcnt(0)
	s_barrier
	buffer_gl0_inv
	s_cbranch_vccnz .LBB11_31
; %bb.30:                               ;   in Loop: Header=BB11_23 Depth=1
	v_add_co_u32 v82, vcc_lo, v165, v84
	v_add_co_ci_u32_e64 v83, null, 0, v166, vcc_lo
	flat_load_dword v82, v[82:83] offset:48
	s_waitcnt vmcnt(0) lgkmcnt(0)
	v_mul_f32_e32 v167, s15, v82
.LBB11_31:                              ;   in Loop: Header=BB11_23 Depth=1
	s_mov_b32 s14, -1
	s_mov_b32 vcc_lo, s1
                                        ; implicit-def: $vgpr82_vgpr83
                                        ; implicit-def: $vgpr83
	s_cbranch_vccz .LBB11_33
; %bb.32:                               ;   in Loop: Header=BB11_23 Depth=1
	v_mov_b32_e32 v83, v158
	v_mov_b32_e32 v82, 0
	s_mov_b32 s14, 0
.LBB11_33:                              ;   in Loop: Header=BB11_23 Depth=1
	v_mov_b32_e32 v168, 0
	s_andn2_b32 vcc_lo, exec_lo, s14
	s_cbranch_vccnz .LBB11_22
; %bb.34:                               ;   in Loop: Header=BB11_23 Depth=1
	v_add_co_u32 v82, vcc_lo, v163, v84
	v_add_co_ci_u32_e64 v83, null, 0, v164, vcc_lo
	v_add_co_u32 v168, vcc_lo, v161, v84
	v_add_co_ci_u32_e64 v169, null, 0, v162, vcc_lo
	;; [unrolled: 2-line block ×3, first 2 shown]
	flat_load_dword v82, v[82:83] offset:48
	flat_load_dword v168, v[168:169] offset:48
	;; [unrolled: 1-line block ×3, first 2 shown]
	s_waitcnt vmcnt(2) lgkmcnt(2)
	v_mul_f32_e32 v83, s15, v82
	s_waitcnt vmcnt(1) lgkmcnt(1)
	v_mul_f32_e32 v82, s15, v168
	;; [unrolled: 2-line block ×3, first 2 shown]
	s_branch .LBB11_22
.LBB11_35:
	ds_read_b128 v[18:21], v86 offset:2048
	ds_read_b128 v[78:81], v85 offset:6144
	s_clause 0x2
	s_load_dword s1, s[4:5], 0x50
	s_load_dword s2, s[4:5], 0x68
	s_load_dwordx2 s[8:9], s[4:5], 0x70
	ds_read_b128 v[14:17], v86 offset:2560
	ds_read_b128 v[10:13], v86 offset:3072
	;; [unrolled: 1-line block ×14, first 2 shown]
	v_add_nc_u32_e32 v137, s11, v1
	ds_read_b128 v[30:33], v85 offset:7680
	ds_read_b128 v[26:29], v85 offset:7808
	v_add_nc_u32_e32 v84, s10, v0
	v_add_nc_u32_e32 v0, 32, v84
	s_waitcnt lgkmcnt(0)
	v_mad_i64_i32 v[86:87], null, v137, s1, 0
	v_add_f32_e32 v6, v19, v79
	v_add_f32_e32 v7, v18, v78
	v_mad_i64_i32 v[82:83], null, v137, s2, 0
	v_add_f32_e32 v152, v21, v81
	v_add_f32_e32 v153, v20, v80
	v_min3_f32 v1, v7, v6, v154
	ds_read_b128 v[22:25], v85 offset:7936
	ds_read_b128 v[6:9], v85 offset:8064
	s_lshl_b64 s[4:5], s[8:9], 2
	v_lshlrev_b64 v[86:87], 2, v[86:87]
	v_lshlrev_b64 v[82:83], 2, v[82:83]
	s_add_u32 s4, s6, s4
	v_ashrrev_i32_e32 v85, 31, v84
	v_min3_f32 v156, v153, v152, v1
	s_addc_u32 s5, s7, s5
	v_ashrrev_i32_e32 v1, 31, v0
	v_add_co_u32 v152, vcc_lo, s4, v82
	v_add_co_ci_u32_e64 v153, null, s5, v83, vcc_lo
	v_add_co_u32 v154, vcc_lo, s12, v86
	v_lshlrev_b64 v[82:83], 2, v[84:85]
	v_add_co_ci_u32_e64 v155, null, s13, v87, vcc_lo
	v_max_f32_e32 v85, v156, v156
	s_mov_b32 s6, -1
	s_mov_b32 vcc_lo, s0
	s_cbranch_vccz .LBB11_37
; %bb.36:
	v_add_co_u32 v86, vcc_lo, v152, v82
	v_min_f32_e32 v156, 0, v85
	v_add_co_ci_u32_e64 v87, null, v153, v83, vcc_lo
	s_mov_b32 s6, 0
	flat_store_dword v[86:87], v156
.LBB11_37:
	v_lshlrev_b64 v[0:1], 2, v[0:1]
	v_mov_b32_e32 v87, 0
	s_andn2_b32 vcc_lo, exec_lo, s6
	s_cbranch_vccnz .LBB11_39
; %bb.38:
	v_add_co_u32 v86, vcc_lo, v154, v82
	v_add_co_ci_u32_e64 v87, null, v155, v83, vcc_lo
	flat_load_dword v86, v[86:87]
	s_waitcnt vmcnt(0) lgkmcnt(0)
	v_mul_f32_e32 v156, s3, v86
	v_add_co_u32 v86, vcc_lo, v152, v82
	v_add_co_ci_u32_e64 v87, null, v153, v83, vcc_lo
	v_min_f32_e32 v85, v156, v85
	v_add_co_u32 v156, vcc_lo, v154, v0
	v_add_co_ci_u32_e64 v157, null, v155, v1, vcc_lo
	flat_store_dword v[86:87], v85
	flat_load_dword v85, v[156:157]
	s_waitcnt vmcnt(0) lgkmcnt(0)
	v_mul_f32_e32 v87, s3, v85
.LBB11_39:
	v_add_f32_e32 v85, v15, v79
	v_add_f32_e32 v86, v14, v78
	v_add_f32_e32 v156, v11, v79
	v_add_f32_e32 v157, v10, v78
	v_add_f32_e32 v158, v17, v81
	v_add_f32_e32 v159, v16, v80
	v_min3_f32 v85, v86, v85, v150
	v_add_nc_u32_e32 v150, 64, v84
	v_min3_f32 v156, v157, v156, v151
	v_add_f32_e32 v157, v13, v81
	v_min_f32_e32 v151, v159, v158
	v_add_f32_e32 v158, v12, v80
	v_add_nc_u32_e32 v86, 0x60, v84
	v_add_co_u32 v84, vcc_lo, v152, v0
	v_min3_f32 v159, v87, v151, v85
	v_add_co_ci_u32_e64 v85, null, v153, v1, vcc_lo
	v_ashrrev_i32_e32 v151, 31, v150
	v_min3_f32 v156, v158, v157, v156
	v_ashrrev_i32_e32 v87, 31, v86
	flat_store_dword v[84:85], v159
	s_mov_b32 s6, -1
	v_lshlrev_b64 v[84:85], 2, v[150:151]
	v_max_f32_e32 v150, v156, v156
	s_mov_b32 vcc_lo, s0
	s_cbranch_vccz .LBB11_41
; %bb.40:
	v_add_co_u32 v156, vcc_lo, v152, v84
	v_min_f32_e32 v151, 0, v150
	v_add_co_ci_u32_e64 v157, null, v153, v85, vcc_lo
	s_mov_b32 s6, 0
	flat_store_dword v[156:157], v151
.LBB11_41:
	v_lshlrev_b64 v[86:87], 2, v[86:87]
	v_mov_b32_e32 v151, 0
	s_andn2_b32 vcc_lo, exec_lo, s6
	s_cbranch_vccnz .LBB11_43
; %bb.42:
	v_add_co_u32 v156, vcc_lo, v154, v84
	v_add_co_ci_u32_e64 v157, null, v155, v85, vcc_lo
	flat_load_dword v151, v[156:157]
	v_add_co_u32 v156, vcc_lo, v152, v84
	v_add_co_ci_u32_e64 v157, null, v153, v85, vcc_lo
	s_waitcnt vmcnt(0) lgkmcnt(0)
	v_mul_f32_e32 v151, s3, v151
	v_min_f32_e32 v158, v151, v150
	v_add_co_u32 v150, vcc_lo, v154, v86
	v_add_co_ci_u32_e64 v151, null, v155, v87, vcc_lo
	flat_store_dword v[156:157], v158
	flat_load_dword v150, v[150:151]
	s_waitcnt vmcnt(0) lgkmcnt(0)
	v_mul_f32_e32 v151, s3, v150
.LBB11_43:
	v_add_f32_e32 v79, v3, v79
	v_add_f32_e32 v78, v2, v78
	;; [unrolled: 1-line block ×6, first 2 shown]
	v_min3_f32 v78, v78, v79, v148
	v_add_f32_e32 v155, v20, v76
	v_min_f32_e32 v79, v80, v81
	v_add_nc_u32_e32 v80, 8, v137
	v_min3_f32 v150, v154, v150, v149
	v_add_f32_e32 v154, v21, v77
	v_add_co_u32 v148, vcc_lo, v152, v86
	v_min3_f32 v151, v151, v79, v78
	v_mad_i64_i32 v[78:79], null, v80, s2, 0
	v_mad_i64_i32 v[80:81], null, v80, s1, 0
	v_add_co_ci_u32_e64 v149, null, v153, v87, vcc_lo
	v_min3_f32 v150, v155, v154, v150
	s_mov_b32 s6, -1
	v_lshlrev_b64 v[78:79], 2, v[78:79]
	flat_store_dword v[148:149], v151
	v_lshlrev_b64 v[80:81], 2, v[80:81]
	v_max_f32_e32 v148, v150, v150
	v_add_co_u32 v78, vcc_lo, s4, v78
	v_add_co_ci_u32_e64 v79, null, s5, v79, vcc_lo
	v_add_co_u32 v80, vcc_lo, s12, v80
	v_add_co_ci_u32_e64 v81, null, s13, v81, vcc_lo
	s_mov_b32 vcc_lo, s0
	s_cbranch_vccz .LBB11_45
; %bb.44:
	v_add_co_u32 v149, vcc_lo, v78, v82
	v_min_f32_e32 v151, 0, v148
	v_add_co_ci_u32_e64 v150, null, v79, v83, vcc_lo
	s_mov_b32 s6, 0
	flat_store_dword v[149:150], v151
.LBB11_45:
	v_mov_b32_e32 v149, 0
	s_andn2_b32 vcc_lo, exec_lo, s6
	s_cbranch_vccnz .LBB11_47
; %bb.46:
	v_add_co_u32 v149, vcc_lo, v80, v82
	v_add_co_ci_u32_e64 v150, null, v81, v83, vcc_lo
	flat_load_dword v149, v[149:150]
	s_waitcnt vmcnt(0) lgkmcnt(0)
	v_mul_f32_e32 v151, s3, v149
	v_add_co_u32 v149, vcc_lo, v78, v82
	v_add_co_ci_u32_e64 v150, null, v79, v83, vcc_lo
	v_min_f32_e32 v148, v151, v148
	v_add_co_u32 v151, vcc_lo, v80, v0
	v_add_co_ci_u32_e64 v152, null, v81, v1, vcc_lo
	flat_store_dword v[149:150], v148
	flat_load_dword v148, v[151:152]
	s_waitcnt vmcnt(0) lgkmcnt(0)
	v_mul_f32_e32 v149, s3, v148
.LBB11_47:
	v_add_f32_e32 v148, v15, v75
	v_add_f32_e32 v150, v14, v74
	;; [unrolled: 1-line block ×6, first 2 shown]
	v_min3_f32 v146, v150, v148, v146
	s_mov_b32 s6, -1
	v_min_f32_e32 v148, v152, v151
	v_add_f32_e32 v151, v13, v77
	v_min3_f32 v150, v154, v153, v147
	v_add_f32_e32 v152, v12, v76
	v_min3_f32 v148, v149, v148, v146
	v_add_co_u32 v146, vcc_lo, v78, v0
	v_add_co_ci_u32_e64 v147, null, v79, v1, vcc_lo
	v_min3_f32 v149, v152, v151, v150
	s_mov_b32 vcc_lo, s0
	flat_store_dword v[146:147], v148
	v_max_f32_e32 v146, v149, v149
	s_cbranch_vccz .LBB11_49
; %bb.48:
	v_add_co_u32 v147, vcc_lo, v78, v84
	v_min_f32_e32 v149, 0, v146
	v_add_co_ci_u32_e64 v148, null, v79, v85, vcc_lo
	s_mov_b32 s6, 0
	flat_store_dword v[147:148], v149
.LBB11_49:
	v_mov_b32_e32 v147, 0
	s_andn2_b32 vcc_lo, exec_lo, s6
	s_cbranch_vccnz .LBB11_51
; %bb.50:
	v_add_co_u32 v147, vcc_lo, v80, v84
	v_add_co_ci_u32_e64 v148, null, v81, v85, vcc_lo
	flat_load_dword v147, v[147:148]
	s_waitcnt vmcnt(0) lgkmcnt(0)
	v_mul_f32_e32 v149, s3, v147
	v_add_co_u32 v147, vcc_lo, v78, v84
	v_add_co_ci_u32_e64 v148, null, v79, v85, vcc_lo
	v_add_co_u32 v80, vcc_lo, v80, v86
	v_min_f32_e32 v146, v149, v146
	v_add_co_ci_u32_e64 v81, null, v81, v87, vcc_lo
	flat_store_dword v[147:148], v146
	flat_load_dword v80, v[80:81]
	s_waitcnt vmcnt(0) lgkmcnt(0)
	v_mul_f32_e32 v147, s3, v80
.LBB11_51:
	v_add_f32_e32 v75, v3, v75
	v_add_f32_e32 v74, v2, v74
	;; [unrolled: 1-line block ×6, first 2 shown]
	v_min3_f32 v74, v74, v75, v144
	v_add_f32_e32 v144, v20, v72
	v_min_f32_e32 v75, v76, v77
	v_add_nc_u32_e32 v76, 16, v137
	v_min3_f32 v80, v81, v80, v145
	v_add_f32_e32 v81, v21, v73
	v_add_co_u32 v78, vcc_lo, v78, v86
	v_min3_f32 v145, v147, v75, v74
	v_mad_i64_i32 v[74:75], null, v76, s2, 0
	v_mad_i64_i32 v[76:77], null, v76, s1, 0
	v_add_co_ci_u32_e64 v79, null, v79, v87, vcc_lo
	v_min3_f32 v80, v144, v81, v80
	s_mov_b32 s6, -1
	v_lshlrev_b64 v[74:75], 2, v[74:75]
	flat_store_dword v[78:79], v145
	v_lshlrev_b64 v[76:77], 2, v[76:77]
	v_max_f32_e32 v78, v80, v80
	v_add_co_u32 v74, vcc_lo, s4, v74
	v_add_co_ci_u32_e64 v75, null, s5, v75, vcc_lo
	v_add_co_u32 v76, vcc_lo, s12, v76
	v_add_co_ci_u32_e64 v77, null, s13, v77, vcc_lo
	s_mov_b32 vcc_lo, s0
	s_cbranch_vccz .LBB11_53
; %bb.52:
	v_add_co_u32 v79, vcc_lo, v74, v82
	v_min_f32_e32 v81, 0, v78
	v_add_co_ci_u32_e64 v80, null, v75, v83, vcc_lo
	s_mov_b32 s6, 0
	flat_store_dword v[79:80], v81
.LBB11_53:
	v_mov_b32_e32 v79, 0
	s_andn2_b32 vcc_lo, exec_lo, s6
	s_cbranch_vccnz .LBB11_55
; %bb.54:
	v_add_co_u32 v79, vcc_lo, v76, v82
	v_add_co_ci_u32_e64 v80, null, v77, v83, vcc_lo
	flat_load_dword v79, v[79:80]
	s_waitcnt vmcnt(0) lgkmcnt(0)
	v_mul_f32_e32 v81, s3, v79
	v_add_co_u32 v79, vcc_lo, v74, v82
	v_add_co_ci_u32_e64 v80, null, v75, v83, vcc_lo
	v_add_co_u32 v144, vcc_lo, v76, v0
	v_min_f32_e32 v78, v81, v78
	v_add_co_ci_u32_e64 v145, null, v77, v1, vcc_lo
	flat_store_dword v[79:80], v78
	flat_load_dword v78, v[144:145]
	s_waitcnt vmcnt(0) lgkmcnt(0)
	v_mul_f32_e32 v79, s3, v78
.LBB11_55:
	v_add_f32_e32 v78, v15, v71
	v_add_f32_e32 v80, v14, v70
	;; [unrolled: 1-line block ×6, first 2 shown]
	v_min3_f32 v78, v80, v78, v143
	v_add_f32_e32 v143, v12, v72
	v_min_f32_e32 v80, v144, v81
	s_mov_b32 s6, -1
	v_min3_f32 v81, v146, v145, v142
	v_add_f32_e32 v142, v13, v73
	v_min3_f32 v80, v79, v80, v78
	v_add_co_u32 v78, vcc_lo, v74, v0
	v_add_co_ci_u32_e64 v79, null, v75, v1, vcc_lo
	v_min3_f32 v81, v143, v142, v81
	s_mov_b32 vcc_lo, s0
	flat_store_dword v[78:79], v80
	v_max_f32_e32 v78, v81, v81
	s_cbranch_vccz .LBB11_57
; %bb.56:
	v_add_co_u32 v79, vcc_lo, v74, v84
	v_min_f32_e32 v81, 0, v78
	v_add_co_ci_u32_e64 v80, null, v75, v85, vcc_lo
	s_mov_b32 s6, 0
	flat_store_dword v[79:80], v81
.LBB11_57:
	v_mov_b32_e32 v79, 0
	s_andn2_b32 vcc_lo, exec_lo, s6
	s_cbranch_vccnz .LBB11_59
; %bb.58:
	v_add_co_u32 v79, vcc_lo, v76, v84
	v_add_co_ci_u32_e64 v80, null, v77, v85, vcc_lo
	flat_load_dword v79, v[79:80]
	s_waitcnt vmcnt(0) lgkmcnt(0)
	v_mul_f32_e32 v81, s3, v79
	v_add_co_u32 v79, vcc_lo, v74, v84
	v_add_co_ci_u32_e64 v80, null, v75, v85, vcc_lo
	v_add_co_u32 v76, vcc_lo, v76, v86
	v_min_f32_e32 v78, v81, v78
	v_add_co_ci_u32_e64 v77, null, v77, v87, vcc_lo
	flat_store_dword v[79:80], v78
	flat_load_dword v76, v[76:77]
	s_waitcnt vmcnt(0) lgkmcnt(0)
	v_mul_f32_e32 v79, s3, v76
.LBB11_59:
	v_add_f32_e32 v71, v3, v71
	v_add_f32_e32 v70, v2, v70
	v_add_f32_e32 v73, v5, v73
	v_add_f32_e32 v72, v4, v72
	v_add_f32_e32 v76, v19, v67
	v_add_f32_e32 v77, v18, v66
	v_min3_f32 v70, v70, v71, v140
	v_add_f32_e32 v78, v20, v68
	v_min_f32_e32 v71, v72, v73
	v_add_nc_u32_e32 v72, 24, v137
	v_min3_f32 v76, v77, v76, v141
	v_add_f32_e32 v77, v21, v69
	v_add_co_u32 v74, vcc_lo, v74, v86
	v_min3_f32 v79, v79, v71, v70
	v_mad_i64_i32 v[70:71], null, v72, s2, 0
	v_mad_i64_i32 v[72:73], null, v72, s1, 0
	v_add_co_ci_u32_e64 v75, null, v75, v87, vcc_lo
	v_min3_f32 v76, v78, v77, v76
	s_mov_b32 s6, -1
	v_lshlrev_b64 v[70:71], 2, v[70:71]
	flat_store_dword v[74:75], v79
	v_lshlrev_b64 v[72:73], 2, v[72:73]
	v_max_f32_e32 v74, v76, v76
	v_add_co_u32 v70, vcc_lo, s4, v70
	v_add_co_ci_u32_e64 v71, null, s5, v71, vcc_lo
	v_add_co_u32 v72, vcc_lo, s12, v72
	v_add_co_ci_u32_e64 v73, null, s13, v73, vcc_lo
	s_mov_b32 vcc_lo, s0
	s_cbranch_vccz .LBB11_61
; %bb.60:
	v_add_co_u32 v75, vcc_lo, v70, v82
	v_min_f32_e32 v77, 0, v74
	v_add_co_ci_u32_e64 v76, null, v71, v83, vcc_lo
	s_mov_b32 s6, 0
	flat_store_dword v[75:76], v77
.LBB11_61:
	v_mov_b32_e32 v75, 0
	s_andn2_b32 vcc_lo, exec_lo, s6
	s_cbranch_vccnz .LBB11_63
; %bb.62:
	v_add_co_u32 v75, vcc_lo, v72, v82
	v_add_co_ci_u32_e64 v76, null, v73, v83, vcc_lo
	flat_load_dword v75, v[75:76]
	s_waitcnt vmcnt(0) lgkmcnt(0)
	v_mul_f32_e32 v77, s3, v75
	v_add_co_u32 v75, vcc_lo, v70, v82
	v_add_co_ci_u32_e64 v76, null, v71, v83, vcc_lo
	v_min_f32_e32 v74, v77, v74
	v_add_co_u32 v77, vcc_lo, v72, v0
	v_add_co_ci_u32_e64 v78, null, v73, v1, vcc_lo
	flat_store_dword v[75:76], v74
	flat_load_dword v74, v[77:78]
	s_waitcnt vmcnt(0) lgkmcnt(0)
	v_mul_f32_e32 v75, s3, v74
.LBB11_63:
	v_add_f32_e32 v74, v15, v67
	v_add_f32_e32 v76, v14, v66
	v_add_f32_e32 v77, v17, v69
	v_add_f32_e32 v78, v16, v68
	v_add_f32_e32 v79, v11, v67
	v_add_f32_e32 v80, v10, v66
	v_min3_f32 v74, v76, v74, v138
	s_mov_b32 s6, -1
	v_min_f32_e32 v76, v78, v77
	v_add_f32_e32 v78, v13, v69
	v_min3_f32 v77, v80, v79, v139
	v_add_f32_e32 v79, v12, v68
	v_min3_f32 v76, v75, v76, v74
	v_add_co_u32 v74, vcc_lo, v70, v0
	v_add_co_ci_u32_e64 v75, null, v71, v1, vcc_lo
	v_min3_f32 v77, v79, v78, v77
	s_mov_b32 vcc_lo, s0
	flat_store_dword v[74:75], v76
	v_max_f32_e32 v74, v77, v77
	s_cbranch_vccz .LBB11_65
; %bb.64:
	v_add_co_u32 v75, vcc_lo, v70, v84
	v_min_f32_e32 v77, 0, v74
	v_add_co_ci_u32_e64 v76, null, v71, v85, vcc_lo
	s_mov_b32 s6, 0
	flat_store_dword v[75:76], v77
.LBB11_65:
	v_mov_b32_e32 v75, 0
	s_andn2_b32 vcc_lo, exec_lo, s6
	s_cbranch_vccnz .LBB11_67
; %bb.66:
	v_add_co_u32 v75, vcc_lo, v72, v84
	v_add_co_ci_u32_e64 v76, null, v73, v85, vcc_lo
	flat_load_dword v75, v[75:76]
	s_waitcnt vmcnt(0) lgkmcnt(0)
	v_mul_f32_e32 v77, s3, v75
	v_add_co_u32 v75, vcc_lo, v70, v84
	v_add_co_ci_u32_e64 v76, null, v71, v85, vcc_lo
	v_add_co_u32 v72, vcc_lo, v72, v86
	v_min_f32_e32 v74, v77, v74
	v_add_co_ci_u32_e64 v73, null, v73, v87, vcc_lo
	flat_store_dword v[75:76], v74
	flat_load_dword v72, v[72:73]
	s_waitcnt vmcnt(0) lgkmcnt(0)
	v_mul_f32_e32 v75, s3, v72
.LBB11_67:
	v_add_f32_e32 v67, v3, v67
	v_add_f32_e32 v66, v2, v66
	;; [unrolled: 1-line block ×6, first 2 shown]
	v_min3_f32 v66, v66, v67, v135
	v_add_f32_e32 v74, v20, v64
	v_min_f32_e32 v67, v68, v69
	v_add_nc_u32_e32 v68, 32, v137
	v_min3_f32 v72, v73, v72, v136
	v_add_f32_e32 v73, v21, v65
	v_add_co_u32 v70, vcc_lo, v70, v86
	v_min3_f32 v75, v75, v67, v66
	v_mad_i64_i32 v[66:67], null, v68, s2, 0
	v_mad_i64_i32 v[68:69], null, v68, s1, 0
	v_add_co_ci_u32_e64 v71, null, v71, v87, vcc_lo
	v_min3_f32 v72, v74, v73, v72
	s_mov_b32 s6, -1
	v_lshlrev_b64 v[66:67], 2, v[66:67]
	flat_store_dword v[70:71], v75
	v_lshlrev_b64 v[68:69], 2, v[68:69]
	v_max_f32_e32 v70, v72, v72
	v_add_co_u32 v66, vcc_lo, s4, v66
	v_add_co_ci_u32_e64 v67, null, s5, v67, vcc_lo
	v_add_co_u32 v68, vcc_lo, s12, v68
	v_add_co_ci_u32_e64 v69, null, s13, v69, vcc_lo
	s_mov_b32 vcc_lo, s0
	s_cbranch_vccz .LBB11_69
; %bb.68:
	v_add_co_u32 v71, vcc_lo, v66, v82
	v_min_f32_e32 v73, 0, v70
	v_add_co_ci_u32_e64 v72, null, v67, v83, vcc_lo
	s_mov_b32 s6, 0
	flat_store_dword v[71:72], v73
.LBB11_69:
	v_mov_b32_e32 v71, 0
	s_andn2_b32 vcc_lo, exec_lo, s6
	s_cbranch_vccnz .LBB11_71
; %bb.70:
	v_add_co_u32 v71, vcc_lo, v68, v82
	v_add_co_ci_u32_e64 v72, null, v69, v83, vcc_lo
	flat_load_dword v71, v[71:72]
	s_waitcnt vmcnt(0) lgkmcnt(0)
	v_mul_f32_e32 v73, s3, v71
	v_add_co_u32 v71, vcc_lo, v66, v82
	v_add_co_ci_u32_e64 v72, null, v67, v83, vcc_lo
	v_min_f32_e32 v70, v73, v70
	v_add_co_u32 v73, vcc_lo, v68, v0
	v_add_co_ci_u32_e64 v74, null, v69, v1, vcc_lo
	flat_store_dword v[71:72], v70
	flat_load_dword v70, v[73:74]
	s_waitcnt vmcnt(0) lgkmcnt(0)
	v_mul_f32_e32 v71, s3, v70
.LBB11_71:
	v_add_f32_e32 v70, v15, v63
	v_add_f32_e32 v72, v14, v62
	;; [unrolled: 1-line block ×6, first 2 shown]
	v_min3_f32 v70, v72, v70, v133
	s_mov_b32 s6, -1
	v_min_f32_e32 v72, v74, v73
	v_add_f32_e32 v74, v13, v65
	v_min3_f32 v73, v76, v75, v134
	v_add_f32_e32 v75, v12, v64
	v_min3_f32 v72, v71, v72, v70
	v_add_co_u32 v70, vcc_lo, v66, v0
	v_add_co_ci_u32_e64 v71, null, v67, v1, vcc_lo
	v_min3_f32 v73, v75, v74, v73
	s_mov_b32 vcc_lo, s0
	flat_store_dword v[70:71], v72
	v_max_f32_e32 v70, v73, v73
	s_cbranch_vccz .LBB11_73
; %bb.72:
	v_add_co_u32 v71, vcc_lo, v66, v84
	v_min_f32_e32 v73, 0, v70
	v_add_co_ci_u32_e64 v72, null, v67, v85, vcc_lo
	s_mov_b32 s6, 0
	flat_store_dword v[71:72], v73
.LBB11_73:
	v_mov_b32_e32 v71, 0
	s_andn2_b32 vcc_lo, exec_lo, s6
	s_cbranch_vccnz .LBB11_75
; %bb.74:
	v_add_co_u32 v71, vcc_lo, v68, v84
	v_add_co_ci_u32_e64 v72, null, v69, v85, vcc_lo
	flat_load_dword v71, v[71:72]
	s_waitcnt vmcnt(0) lgkmcnt(0)
	v_mul_f32_e32 v73, s3, v71
	v_add_co_u32 v71, vcc_lo, v66, v84
	v_add_co_ci_u32_e64 v72, null, v67, v85, vcc_lo
	v_add_co_u32 v68, vcc_lo, v68, v86
	v_min_f32_e32 v70, v73, v70
	v_add_co_ci_u32_e64 v69, null, v69, v87, vcc_lo
	flat_store_dword v[71:72], v70
	flat_load_dword v68, v[68:69]
	s_waitcnt vmcnt(0) lgkmcnt(0)
	v_mul_f32_e32 v71, s3, v68
.LBB11_75:
	v_add_f32_e32 v63, v3, v63
	v_add_f32_e32 v62, v2, v62
	;; [unrolled: 1-line block ×6, first 2 shown]
	v_min3_f32 v62, v62, v63, v131
	v_add_f32_e32 v70, v20, v60
	v_min_f32_e32 v63, v64, v65
	v_add_nc_u32_e32 v64, 40, v137
	v_min3_f32 v68, v69, v68, v132
	v_add_f32_e32 v69, v21, v61
	v_add_co_u32 v66, vcc_lo, v66, v86
	v_min3_f32 v71, v71, v63, v62
	v_mad_i64_i32 v[62:63], null, v64, s2, 0
	v_mad_i64_i32 v[64:65], null, v64, s1, 0
	v_add_co_ci_u32_e64 v67, null, v67, v87, vcc_lo
	v_min3_f32 v68, v70, v69, v68
	s_mov_b32 s6, -1
	v_lshlrev_b64 v[62:63], 2, v[62:63]
	flat_store_dword v[66:67], v71
	v_lshlrev_b64 v[64:65], 2, v[64:65]
	v_max_f32_e32 v66, v68, v68
	v_add_co_u32 v62, vcc_lo, s4, v62
	v_add_co_ci_u32_e64 v63, null, s5, v63, vcc_lo
	v_add_co_u32 v64, vcc_lo, s12, v64
	v_add_co_ci_u32_e64 v65, null, s13, v65, vcc_lo
	s_mov_b32 vcc_lo, s0
	s_cbranch_vccz .LBB11_77
; %bb.76:
	v_add_co_u32 v67, vcc_lo, v62, v82
	v_min_f32_e32 v69, 0, v66
	v_add_co_ci_u32_e64 v68, null, v63, v83, vcc_lo
	s_mov_b32 s6, 0
	flat_store_dword v[67:68], v69
.LBB11_77:
	v_mov_b32_e32 v67, 0
	s_andn2_b32 vcc_lo, exec_lo, s6
	s_cbranch_vccnz .LBB11_79
; %bb.78:
	v_add_co_u32 v67, vcc_lo, v64, v82
	v_add_co_ci_u32_e64 v68, null, v65, v83, vcc_lo
	flat_load_dword v67, v[67:68]
	s_waitcnt vmcnt(0) lgkmcnt(0)
	v_mul_f32_e32 v69, s3, v67
	v_add_co_u32 v67, vcc_lo, v62, v82
	v_add_co_ci_u32_e64 v68, null, v63, v83, vcc_lo
	v_min_f32_e32 v66, v69, v66
	v_add_co_u32 v69, vcc_lo, v64, v0
	v_add_co_ci_u32_e64 v70, null, v65, v1, vcc_lo
	flat_store_dword v[67:68], v66
	flat_load_dword v66, v[69:70]
	s_waitcnt vmcnt(0) lgkmcnt(0)
	v_mul_f32_e32 v67, s3, v66
.LBB11_79:
	v_add_f32_e32 v66, v15, v59
	v_add_f32_e32 v68, v14, v58
	;; [unrolled: 1-line block ×6, first 2 shown]
	v_min3_f32 v66, v68, v66, v129
	s_mov_b32 s6, -1
	v_min_f32_e32 v68, v70, v69
	v_add_f32_e32 v70, v13, v61
	v_min3_f32 v69, v72, v71, v130
	v_add_f32_e32 v71, v12, v60
	v_min3_f32 v68, v67, v68, v66
	v_add_co_u32 v66, vcc_lo, v62, v0
	v_add_co_ci_u32_e64 v67, null, v63, v1, vcc_lo
	v_min3_f32 v69, v71, v70, v69
	s_mov_b32 vcc_lo, s0
	flat_store_dword v[66:67], v68
	v_max_f32_e32 v66, v69, v69
	s_cbranch_vccz .LBB11_81
; %bb.80:
	v_add_co_u32 v67, vcc_lo, v62, v84
	v_min_f32_e32 v69, 0, v66
	v_add_co_ci_u32_e64 v68, null, v63, v85, vcc_lo
	s_mov_b32 s6, 0
	flat_store_dword v[67:68], v69
.LBB11_81:
	v_mov_b32_e32 v67, 0
	s_andn2_b32 vcc_lo, exec_lo, s6
	s_cbranch_vccnz .LBB11_83
; %bb.82:
	v_add_co_u32 v67, vcc_lo, v64, v84
	v_add_co_ci_u32_e64 v68, null, v65, v85, vcc_lo
	flat_load_dword v67, v[67:68]
	s_waitcnt vmcnt(0) lgkmcnt(0)
	v_mul_f32_e32 v69, s3, v67
	v_add_co_u32 v67, vcc_lo, v62, v84
	v_add_co_ci_u32_e64 v68, null, v63, v85, vcc_lo
	v_add_co_u32 v64, vcc_lo, v64, v86
	v_min_f32_e32 v66, v69, v66
	v_add_co_ci_u32_e64 v65, null, v65, v87, vcc_lo
	flat_store_dword v[67:68], v66
	flat_load_dword v64, v[64:65]
	s_waitcnt vmcnt(0) lgkmcnt(0)
	v_mul_f32_e32 v67, s3, v64
.LBB11_83:
	v_add_f32_e32 v59, v3, v59
	v_add_f32_e32 v58, v2, v58
	;; [unrolled: 1-line block ×6, first 2 shown]
	v_min3_f32 v58, v58, v59, v127
	v_add_f32_e32 v66, v20, v56
	v_min_f32_e32 v59, v60, v61
	v_add_nc_u32_e32 v60, 48, v137
	v_min3_f32 v64, v65, v64, v128
	v_add_f32_e32 v65, v21, v57
	v_add_co_u32 v62, vcc_lo, v62, v86
	v_min3_f32 v67, v67, v59, v58
	v_mad_i64_i32 v[58:59], null, v60, s2, 0
	v_mad_i64_i32 v[60:61], null, v60, s1, 0
	v_add_co_ci_u32_e64 v63, null, v63, v87, vcc_lo
	v_min3_f32 v64, v66, v65, v64
	s_mov_b32 s6, -1
	v_lshlrev_b64 v[58:59], 2, v[58:59]
	flat_store_dword v[62:63], v67
	v_lshlrev_b64 v[60:61], 2, v[60:61]
	v_max_f32_e32 v62, v64, v64
	v_add_co_u32 v58, vcc_lo, s4, v58
	v_add_co_ci_u32_e64 v59, null, s5, v59, vcc_lo
	v_add_co_u32 v60, vcc_lo, s12, v60
	v_add_co_ci_u32_e64 v61, null, s13, v61, vcc_lo
	s_mov_b32 vcc_lo, s0
	s_cbranch_vccz .LBB11_85
; %bb.84:
	v_add_co_u32 v63, vcc_lo, v58, v82
	v_min_f32_e32 v65, 0, v62
	v_add_co_ci_u32_e64 v64, null, v59, v83, vcc_lo
	s_mov_b32 s6, 0
	flat_store_dword v[63:64], v65
.LBB11_85:
	v_mov_b32_e32 v63, 0
	s_andn2_b32 vcc_lo, exec_lo, s6
	s_cbranch_vccnz .LBB11_87
; %bb.86:
	v_add_co_u32 v63, vcc_lo, v60, v82
	v_add_co_ci_u32_e64 v64, null, v61, v83, vcc_lo
	flat_load_dword v63, v[63:64]
	s_waitcnt vmcnt(0) lgkmcnt(0)
	v_mul_f32_e32 v65, s3, v63
	v_add_co_u32 v63, vcc_lo, v58, v82
	v_add_co_ci_u32_e64 v64, null, v59, v83, vcc_lo
	v_min_f32_e32 v62, v65, v62
	v_add_co_u32 v65, vcc_lo, v60, v0
	v_add_co_ci_u32_e64 v66, null, v61, v1, vcc_lo
	flat_store_dword v[63:64], v62
	flat_load_dword v62, v[65:66]
	s_waitcnt vmcnt(0) lgkmcnt(0)
	v_mul_f32_e32 v63, s3, v62
.LBB11_87:
	v_add_f32_e32 v62, v15, v55
	v_add_f32_e32 v64, v14, v54
	;; [unrolled: 1-line block ×6, first 2 shown]
	v_min3_f32 v62, v64, v62, v125
	s_mov_b32 s6, -1
	v_min_f32_e32 v64, v66, v65
	v_add_f32_e32 v66, v13, v57
	v_min3_f32 v65, v68, v67, v126
	v_add_f32_e32 v67, v12, v56
	v_min3_f32 v64, v63, v64, v62
	v_add_co_u32 v62, vcc_lo, v58, v0
	v_add_co_ci_u32_e64 v63, null, v59, v1, vcc_lo
	v_min3_f32 v65, v67, v66, v65
	s_mov_b32 vcc_lo, s0
	flat_store_dword v[62:63], v64
	v_max_f32_e32 v62, v65, v65
	s_cbranch_vccz .LBB11_89
; %bb.88:
	v_add_co_u32 v63, vcc_lo, v58, v84
	v_min_f32_e32 v65, 0, v62
	v_add_co_ci_u32_e64 v64, null, v59, v85, vcc_lo
	s_mov_b32 s6, 0
	flat_store_dword v[63:64], v65
.LBB11_89:
	v_mov_b32_e32 v63, 0
	s_andn2_b32 vcc_lo, exec_lo, s6
	s_cbranch_vccnz .LBB11_91
; %bb.90:
	v_add_co_u32 v63, vcc_lo, v60, v84
	v_add_co_ci_u32_e64 v64, null, v61, v85, vcc_lo
	flat_load_dword v63, v[63:64]
	s_waitcnt vmcnt(0) lgkmcnt(0)
	v_mul_f32_e32 v65, s3, v63
	v_add_co_u32 v63, vcc_lo, v58, v84
	v_add_co_ci_u32_e64 v64, null, v59, v85, vcc_lo
	v_add_co_u32 v60, vcc_lo, v60, v86
	v_min_f32_e32 v62, v65, v62
	v_add_co_ci_u32_e64 v61, null, v61, v87, vcc_lo
	flat_store_dword v[63:64], v62
	flat_load_dword v60, v[60:61]
	s_waitcnt vmcnt(0) lgkmcnt(0)
	v_mul_f32_e32 v63, s3, v60
.LBB11_91:
	v_add_f32_e32 v55, v3, v55
	v_add_f32_e32 v54, v2, v54
	;; [unrolled: 1-line block ×6, first 2 shown]
	v_min3_f32 v54, v54, v55, v123
	v_add_f32_e32 v62, v20, v52
	v_min_f32_e32 v55, v56, v57
	v_add_nc_u32_e32 v56, 56, v137
	v_min3_f32 v60, v61, v60, v124
	v_add_f32_e32 v61, v21, v53
	v_add_co_u32 v58, vcc_lo, v58, v86
	v_min3_f32 v63, v63, v55, v54
	v_mad_i64_i32 v[54:55], null, v56, s2, 0
	v_mad_i64_i32 v[56:57], null, v56, s1, 0
	v_add_co_ci_u32_e64 v59, null, v59, v87, vcc_lo
	v_min3_f32 v60, v62, v61, v60
	s_mov_b32 s6, -1
	v_lshlrev_b64 v[54:55], 2, v[54:55]
	flat_store_dword v[58:59], v63
	v_lshlrev_b64 v[56:57], 2, v[56:57]
	v_max_f32_e32 v58, v60, v60
	v_add_co_u32 v54, vcc_lo, s4, v54
	v_add_co_ci_u32_e64 v55, null, s5, v55, vcc_lo
	v_add_co_u32 v56, vcc_lo, s12, v56
	v_add_co_ci_u32_e64 v57, null, s13, v57, vcc_lo
	s_mov_b32 vcc_lo, s0
	s_cbranch_vccz .LBB11_93
; %bb.92:
	v_add_co_u32 v59, vcc_lo, v54, v82
	v_min_f32_e32 v61, 0, v58
	v_add_co_ci_u32_e64 v60, null, v55, v83, vcc_lo
	s_mov_b32 s6, 0
	flat_store_dword v[59:60], v61
.LBB11_93:
	v_mov_b32_e32 v59, 0
	s_andn2_b32 vcc_lo, exec_lo, s6
	s_cbranch_vccnz .LBB11_95
; %bb.94:
	v_add_co_u32 v59, vcc_lo, v56, v82
	v_add_co_ci_u32_e64 v60, null, v57, v83, vcc_lo
	flat_load_dword v59, v[59:60]
	s_waitcnt vmcnt(0) lgkmcnt(0)
	v_mul_f32_e32 v61, s3, v59
	v_add_co_u32 v59, vcc_lo, v54, v82
	v_add_co_ci_u32_e64 v60, null, v55, v83, vcc_lo
	v_min_f32_e32 v58, v61, v58
	v_add_co_u32 v61, vcc_lo, v56, v0
	v_add_co_ci_u32_e64 v62, null, v57, v1, vcc_lo
	flat_store_dword v[59:60], v58
	flat_load_dword v58, v[61:62]
	s_waitcnt vmcnt(0) lgkmcnt(0)
	v_mul_f32_e32 v59, s3, v58
.LBB11_95:
	v_add_f32_e32 v58, v15, v51
	v_add_f32_e32 v60, v14, v50
	;; [unrolled: 1-line block ×6, first 2 shown]
	v_min3_f32 v58, v60, v58, v122
	s_mov_b32 s6, -1
	v_min_f32_e32 v60, v62, v61
	v_add_f32_e32 v62, v13, v53
	v_min3_f32 v61, v64, v63, v121
	v_add_f32_e32 v63, v12, v52
	v_min3_f32 v60, v59, v60, v58
	v_add_co_u32 v58, vcc_lo, v54, v0
	v_add_co_ci_u32_e64 v59, null, v55, v1, vcc_lo
	v_min3_f32 v61, v63, v62, v61
	s_mov_b32 vcc_lo, s0
	flat_store_dword v[58:59], v60
	v_max_f32_e32 v58, v61, v61
	s_cbranch_vccz .LBB11_97
; %bb.96:
	v_add_co_u32 v59, vcc_lo, v54, v84
	v_min_f32_e32 v61, 0, v58
	v_add_co_ci_u32_e64 v60, null, v55, v85, vcc_lo
	s_mov_b32 s6, 0
	flat_store_dword v[59:60], v61
.LBB11_97:
	v_mov_b32_e32 v59, 0
	s_andn2_b32 vcc_lo, exec_lo, s6
	s_cbranch_vccnz .LBB11_99
; %bb.98:
	v_add_co_u32 v59, vcc_lo, v56, v84
	v_add_co_ci_u32_e64 v60, null, v57, v85, vcc_lo
	flat_load_dword v59, v[59:60]
	s_waitcnt vmcnt(0) lgkmcnt(0)
	v_mul_f32_e32 v61, s3, v59
	v_add_co_u32 v59, vcc_lo, v54, v84
	v_add_co_ci_u32_e64 v60, null, v55, v85, vcc_lo
	v_add_co_u32 v56, vcc_lo, v56, v86
	v_min_f32_e32 v58, v61, v58
	v_add_co_ci_u32_e64 v57, null, v57, v87, vcc_lo
	flat_store_dword v[59:60], v58
	flat_load_dword v56, v[56:57]
	s_waitcnt vmcnt(0) lgkmcnt(0)
	v_mul_f32_e32 v59, s3, v56
.LBB11_99:
	v_add_f32_e32 v51, v3, v51
	v_add_f32_e32 v50, v2, v50
	;; [unrolled: 1-line block ×6, first 2 shown]
	v_min3_f32 v50, v50, v51, v119
	v_add_f32_e32 v58, v20, v48
	v_min_f32_e32 v51, v52, v53
	v_add_nc_u32_e32 v52, 64, v137
	v_min3_f32 v56, v57, v56, v120
	v_add_f32_e32 v57, v21, v49
	v_add_co_u32 v54, vcc_lo, v54, v86
	v_min3_f32 v59, v59, v51, v50
	v_mad_i64_i32 v[50:51], null, v52, s2, 0
	v_mad_i64_i32 v[52:53], null, v52, s1, 0
	v_add_co_ci_u32_e64 v55, null, v55, v87, vcc_lo
	v_min3_f32 v56, v58, v57, v56
	s_mov_b32 s6, -1
	v_lshlrev_b64 v[50:51], 2, v[50:51]
	flat_store_dword v[54:55], v59
	v_lshlrev_b64 v[52:53], 2, v[52:53]
	v_max_f32_e32 v54, v56, v56
	v_add_co_u32 v50, vcc_lo, s4, v50
	v_add_co_ci_u32_e64 v51, null, s5, v51, vcc_lo
	v_add_co_u32 v52, vcc_lo, s12, v52
	v_add_co_ci_u32_e64 v53, null, s13, v53, vcc_lo
	s_mov_b32 vcc_lo, s0
	s_cbranch_vccz .LBB11_101
; %bb.100:
	v_add_co_u32 v55, vcc_lo, v50, v82
	v_min_f32_e32 v57, 0, v54
	v_add_co_ci_u32_e64 v56, null, v51, v83, vcc_lo
	s_mov_b32 s6, 0
	flat_store_dword v[55:56], v57
.LBB11_101:
	v_mov_b32_e32 v55, 0
	s_andn2_b32 vcc_lo, exec_lo, s6
	s_cbranch_vccnz .LBB11_103
; %bb.102:
	v_add_co_u32 v55, vcc_lo, v52, v82
	v_add_co_ci_u32_e64 v56, null, v53, v83, vcc_lo
	flat_load_dword v55, v[55:56]
	s_waitcnt vmcnt(0) lgkmcnt(0)
	v_mul_f32_e32 v57, s3, v55
	v_add_co_u32 v55, vcc_lo, v50, v82
	v_add_co_ci_u32_e64 v56, null, v51, v83, vcc_lo
	v_min_f32_e32 v54, v57, v54
	v_add_co_u32 v57, vcc_lo, v52, v0
	v_add_co_ci_u32_e64 v58, null, v53, v1, vcc_lo
	flat_store_dword v[55:56], v54
	flat_load_dword v54, v[57:58]
	s_waitcnt vmcnt(0) lgkmcnt(0)
	v_mul_f32_e32 v55, s3, v54
.LBB11_103:
	v_add_f32_e32 v54, v15, v47
	v_add_f32_e32 v56, v14, v46
	;; [unrolled: 1-line block ×6, first 2 shown]
	v_min3_f32 v54, v56, v54, v117
	s_mov_b32 s6, -1
	v_min_f32_e32 v56, v58, v57
	v_add_f32_e32 v58, v13, v49
	v_min3_f32 v57, v60, v59, v118
	v_add_f32_e32 v59, v12, v48
	v_min3_f32 v56, v55, v56, v54
	v_add_co_u32 v54, vcc_lo, v50, v0
	v_add_co_ci_u32_e64 v55, null, v51, v1, vcc_lo
	v_min3_f32 v57, v59, v58, v57
	s_mov_b32 vcc_lo, s0
	flat_store_dword v[54:55], v56
	v_max_f32_e32 v54, v57, v57
	s_cbranch_vccz .LBB11_105
; %bb.104:
	v_add_co_u32 v55, vcc_lo, v50, v84
	v_min_f32_e32 v57, 0, v54
	v_add_co_ci_u32_e64 v56, null, v51, v85, vcc_lo
	s_mov_b32 s6, 0
	flat_store_dword v[55:56], v57
.LBB11_105:
	v_mov_b32_e32 v55, 0
	s_andn2_b32 vcc_lo, exec_lo, s6
	s_cbranch_vccnz .LBB11_107
; %bb.106:
	v_add_co_u32 v55, vcc_lo, v52, v84
	v_add_co_ci_u32_e64 v56, null, v53, v85, vcc_lo
	flat_load_dword v55, v[55:56]
	s_waitcnt vmcnt(0) lgkmcnt(0)
	v_mul_f32_e32 v57, s3, v55
	v_add_co_u32 v55, vcc_lo, v50, v84
	v_add_co_ci_u32_e64 v56, null, v51, v85, vcc_lo
	v_add_co_u32 v52, vcc_lo, v52, v86
	v_min_f32_e32 v54, v57, v54
	v_add_co_ci_u32_e64 v53, null, v53, v87, vcc_lo
	flat_store_dword v[55:56], v54
	flat_load_dword v52, v[52:53]
	s_waitcnt vmcnt(0) lgkmcnt(0)
	v_mul_f32_e32 v55, s3, v52
.LBB11_107:
	v_add_f32_e32 v47, v3, v47
	v_add_f32_e32 v46, v2, v46
	v_add_f32_e32 v49, v5, v49
	v_add_f32_e32 v48, v4, v48
	v_add_f32_e32 v52, v19, v43
	v_add_f32_e32 v53, v18, v42
	v_min3_f32 v46, v46, v47, v115
	v_add_f32_e32 v54, v20, v44
	v_min_f32_e32 v47, v48, v49
	v_add_nc_u32_e32 v48, 0x48, v137
	v_min3_f32 v52, v53, v52, v116
	v_add_f32_e32 v53, v21, v45
	v_add_co_u32 v50, vcc_lo, v50, v86
	v_min3_f32 v55, v55, v47, v46
	v_mad_i64_i32 v[46:47], null, v48, s2, 0
	v_mad_i64_i32 v[48:49], null, v48, s1, 0
	v_add_co_ci_u32_e64 v51, null, v51, v87, vcc_lo
	v_min3_f32 v52, v54, v53, v52
	s_mov_b32 s6, -1
	v_lshlrev_b64 v[46:47], 2, v[46:47]
	flat_store_dword v[50:51], v55
	v_lshlrev_b64 v[48:49], 2, v[48:49]
	v_max_f32_e32 v50, v52, v52
	v_add_co_u32 v46, vcc_lo, s4, v46
	v_add_co_ci_u32_e64 v47, null, s5, v47, vcc_lo
	v_add_co_u32 v48, vcc_lo, s12, v48
	v_add_co_ci_u32_e64 v49, null, s13, v49, vcc_lo
	s_mov_b32 vcc_lo, s0
	s_cbranch_vccz .LBB11_109
; %bb.108:
	v_add_co_u32 v51, vcc_lo, v46, v82
	v_min_f32_e32 v53, 0, v50
	v_add_co_ci_u32_e64 v52, null, v47, v83, vcc_lo
	s_mov_b32 s6, 0
	flat_store_dword v[51:52], v53
.LBB11_109:
	v_mov_b32_e32 v51, 0
	s_andn2_b32 vcc_lo, exec_lo, s6
	s_cbranch_vccnz .LBB11_111
; %bb.110:
	v_add_co_u32 v51, vcc_lo, v48, v82
	v_add_co_ci_u32_e64 v52, null, v49, v83, vcc_lo
	flat_load_dword v51, v[51:52]
	s_waitcnt vmcnt(0) lgkmcnt(0)
	v_mul_f32_e32 v53, s3, v51
	v_add_co_u32 v51, vcc_lo, v46, v82
	v_add_co_ci_u32_e64 v52, null, v47, v83, vcc_lo
	v_min_f32_e32 v50, v53, v50
	v_add_co_u32 v53, vcc_lo, v48, v0
	v_add_co_ci_u32_e64 v54, null, v49, v1, vcc_lo
	flat_store_dword v[51:52], v50
	flat_load_dword v50, v[53:54]
	s_waitcnt vmcnt(0) lgkmcnt(0)
	v_mul_f32_e32 v51, s3, v50
.LBB11_111:
	v_add_f32_e32 v50, v15, v43
	v_add_f32_e32 v52, v14, v42
	;; [unrolled: 1-line block ×6, first 2 shown]
	v_min3_f32 v50, v52, v50, v113
	s_mov_b32 s6, -1
	v_min_f32_e32 v52, v54, v53
	v_add_f32_e32 v54, v13, v45
	v_min3_f32 v53, v56, v55, v114
	v_add_f32_e32 v55, v12, v44
	v_min3_f32 v52, v51, v52, v50
	v_add_co_u32 v50, vcc_lo, v46, v0
	v_add_co_ci_u32_e64 v51, null, v47, v1, vcc_lo
	v_min3_f32 v53, v55, v54, v53
	s_mov_b32 vcc_lo, s0
	flat_store_dword v[50:51], v52
	v_max_f32_e32 v50, v53, v53
	s_cbranch_vccz .LBB11_113
; %bb.112:
	v_add_co_u32 v51, vcc_lo, v46, v84
	v_min_f32_e32 v53, 0, v50
	v_add_co_ci_u32_e64 v52, null, v47, v85, vcc_lo
	s_mov_b32 s6, 0
	flat_store_dword v[51:52], v53
.LBB11_113:
	v_mov_b32_e32 v51, 0
	s_andn2_b32 vcc_lo, exec_lo, s6
	s_cbranch_vccnz .LBB11_115
; %bb.114:
	v_add_co_u32 v51, vcc_lo, v48, v84
	v_add_co_ci_u32_e64 v52, null, v49, v85, vcc_lo
	flat_load_dword v51, v[51:52]
	s_waitcnt vmcnt(0) lgkmcnt(0)
	v_mul_f32_e32 v53, s3, v51
	v_add_co_u32 v51, vcc_lo, v46, v84
	v_add_co_ci_u32_e64 v52, null, v47, v85, vcc_lo
	v_add_co_u32 v48, vcc_lo, v48, v86
	v_min_f32_e32 v50, v53, v50
	v_add_co_ci_u32_e64 v49, null, v49, v87, vcc_lo
	flat_store_dword v[51:52], v50
	flat_load_dword v48, v[48:49]
	s_waitcnt vmcnt(0) lgkmcnt(0)
	v_mul_f32_e32 v51, s3, v48
.LBB11_115:
	v_add_f32_e32 v43, v3, v43
	v_add_f32_e32 v42, v2, v42
	;; [unrolled: 1-line block ×6, first 2 shown]
	v_min3_f32 v42, v42, v43, v111
	v_add_f32_e32 v50, v20, v40
	v_min_f32_e32 v43, v44, v45
	v_add_nc_u32_e32 v44, 0x50, v137
	v_min3_f32 v48, v49, v48, v112
	v_add_f32_e32 v49, v21, v41
	v_add_co_u32 v46, vcc_lo, v46, v86
	v_min3_f32 v51, v51, v43, v42
	v_mad_i64_i32 v[42:43], null, v44, s2, 0
	v_mad_i64_i32 v[44:45], null, v44, s1, 0
	v_add_co_ci_u32_e64 v47, null, v47, v87, vcc_lo
	v_min3_f32 v48, v50, v49, v48
	s_mov_b32 s6, -1
	v_lshlrev_b64 v[42:43], 2, v[42:43]
	flat_store_dword v[46:47], v51
	v_lshlrev_b64 v[44:45], 2, v[44:45]
	v_max_f32_e32 v46, v48, v48
	v_add_co_u32 v42, vcc_lo, s4, v42
	v_add_co_ci_u32_e64 v43, null, s5, v43, vcc_lo
	v_add_co_u32 v44, vcc_lo, s12, v44
	v_add_co_ci_u32_e64 v45, null, s13, v45, vcc_lo
	s_mov_b32 vcc_lo, s0
	s_cbranch_vccz .LBB11_117
; %bb.116:
	v_add_co_u32 v47, vcc_lo, v42, v82
	v_min_f32_e32 v49, 0, v46
	v_add_co_ci_u32_e64 v48, null, v43, v83, vcc_lo
	s_mov_b32 s6, 0
	flat_store_dword v[47:48], v49
.LBB11_117:
	v_mov_b32_e32 v47, 0
	s_andn2_b32 vcc_lo, exec_lo, s6
	s_cbranch_vccnz .LBB11_119
; %bb.118:
	v_add_co_u32 v47, vcc_lo, v44, v82
	v_add_co_ci_u32_e64 v48, null, v45, v83, vcc_lo
	flat_load_dword v47, v[47:48]
	s_waitcnt vmcnt(0) lgkmcnt(0)
	v_mul_f32_e32 v49, s3, v47
	v_add_co_u32 v47, vcc_lo, v42, v82
	v_add_co_ci_u32_e64 v48, null, v43, v83, vcc_lo
	v_min_f32_e32 v46, v49, v46
	v_add_co_u32 v49, vcc_lo, v44, v0
	v_add_co_ci_u32_e64 v50, null, v45, v1, vcc_lo
	flat_store_dword v[47:48], v46
	flat_load_dword v46, v[49:50]
	s_waitcnt vmcnt(0) lgkmcnt(0)
	v_mul_f32_e32 v47, s3, v46
.LBB11_119:
	v_add_f32_e32 v46, v15, v39
	v_add_f32_e32 v48, v14, v38
	;; [unrolled: 1-line block ×6, first 2 shown]
	v_min3_f32 v46, v48, v46, v109
	s_mov_b32 s6, -1
	v_min_f32_e32 v48, v50, v49
	v_add_f32_e32 v50, v13, v41
	v_min3_f32 v49, v52, v51, v110
	v_add_f32_e32 v51, v12, v40
	v_min3_f32 v48, v47, v48, v46
	v_add_co_u32 v46, vcc_lo, v42, v0
	v_add_co_ci_u32_e64 v47, null, v43, v1, vcc_lo
	v_min3_f32 v49, v51, v50, v49
	s_mov_b32 vcc_lo, s0
	flat_store_dword v[46:47], v48
	v_max_f32_e32 v46, v49, v49
	s_cbranch_vccz .LBB11_121
; %bb.120:
	v_add_co_u32 v47, vcc_lo, v42, v84
	v_min_f32_e32 v49, 0, v46
	v_add_co_ci_u32_e64 v48, null, v43, v85, vcc_lo
	s_mov_b32 s6, 0
	flat_store_dword v[47:48], v49
.LBB11_121:
	v_mov_b32_e32 v47, 0
	s_andn2_b32 vcc_lo, exec_lo, s6
	s_cbranch_vccnz .LBB11_123
; %bb.122:
	v_add_co_u32 v47, vcc_lo, v44, v84
	v_add_co_ci_u32_e64 v48, null, v45, v85, vcc_lo
	flat_load_dword v47, v[47:48]
	s_waitcnt vmcnt(0) lgkmcnt(0)
	v_mul_f32_e32 v49, s3, v47
	v_add_co_u32 v47, vcc_lo, v42, v84
	v_add_co_ci_u32_e64 v48, null, v43, v85, vcc_lo
	v_add_co_u32 v44, vcc_lo, v44, v86
	v_min_f32_e32 v46, v49, v46
	v_add_co_ci_u32_e64 v45, null, v45, v87, vcc_lo
	flat_store_dword v[47:48], v46
	flat_load_dword v44, v[44:45]
	s_waitcnt vmcnt(0) lgkmcnt(0)
	v_mul_f32_e32 v47, s3, v44
.LBB11_123:
	v_add_f32_e32 v39, v3, v39
	v_add_f32_e32 v38, v2, v38
	;; [unrolled: 1-line block ×6, first 2 shown]
	v_min3_f32 v38, v38, v39, v107
	v_add_f32_e32 v46, v20, v36
	v_min_f32_e32 v39, v40, v41
	v_add_nc_u32_e32 v40, 0x58, v137
	v_min3_f32 v44, v45, v44, v108
	v_add_f32_e32 v45, v21, v37
	v_add_co_u32 v42, vcc_lo, v42, v86
	v_min3_f32 v47, v47, v39, v38
	v_mad_i64_i32 v[38:39], null, v40, s2, 0
	v_mad_i64_i32 v[40:41], null, v40, s1, 0
	v_add_co_ci_u32_e64 v43, null, v43, v87, vcc_lo
	v_min3_f32 v44, v46, v45, v44
	s_mov_b32 s6, -1
	v_lshlrev_b64 v[38:39], 2, v[38:39]
	flat_store_dword v[42:43], v47
	v_lshlrev_b64 v[40:41], 2, v[40:41]
	v_max_f32_e32 v42, v44, v44
	v_add_co_u32 v38, vcc_lo, s4, v38
	v_add_co_ci_u32_e64 v39, null, s5, v39, vcc_lo
	v_add_co_u32 v40, vcc_lo, s12, v40
	v_add_co_ci_u32_e64 v41, null, s13, v41, vcc_lo
	s_mov_b32 vcc_lo, s0
	s_cbranch_vccz .LBB11_125
; %bb.124:
	v_add_co_u32 v43, vcc_lo, v38, v82
	v_min_f32_e32 v45, 0, v42
	v_add_co_ci_u32_e64 v44, null, v39, v83, vcc_lo
	s_mov_b32 s6, 0
	flat_store_dword v[43:44], v45
.LBB11_125:
	v_mov_b32_e32 v43, 0
	s_andn2_b32 vcc_lo, exec_lo, s6
	s_cbranch_vccnz .LBB11_127
; %bb.126:
	v_add_co_u32 v43, vcc_lo, v40, v82
	v_add_co_ci_u32_e64 v44, null, v41, v83, vcc_lo
	flat_load_dword v43, v[43:44]
	s_waitcnt vmcnt(0) lgkmcnt(0)
	v_mul_f32_e32 v45, s3, v43
	v_add_co_u32 v43, vcc_lo, v38, v82
	v_add_co_ci_u32_e64 v44, null, v39, v83, vcc_lo
	v_min_f32_e32 v42, v45, v42
	v_add_co_u32 v45, vcc_lo, v40, v0
	v_add_co_ci_u32_e64 v46, null, v41, v1, vcc_lo
	flat_store_dword v[43:44], v42
	flat_load_dword v42, v[45:46]
	s_waitcnt vmcnt(0) lgkmcnt(0)
	v_mul_f32_e32 v43, s3, v42
.LBB11_127:
	v_add_f32_e32 v42, v15, v35
	v_add_f32_e32 v44, v14, v34
	;; [unrolled: 1-line block ×6, first 2 shown]
	v_min3_f32 v42, v44, v42, v105
	s_mov_b32 s6, -1
	v_min_f32_e32 v44, v46, v45
	v_add_f32_e32 v46, v13, v37
	v_min3_f32 v45, v48, v47, v106
	v_add_f32_e32 v47, v12, v36
	v_min3_f32 v44, v43, v44, v42
	v_add_co_u32 v42, vcc_lo, v38, v0
	v_add_co_ci_u32_e64 v43, null, v39, v1, vcc_lo
	v_min3_f32 v45, v47, v46, v45
	s_mov_b32 vcc_lo, s0
	flat_store_dword v[42:43], v44
	v_max_f32_e32 v42, v45, v45
	s_cbranch_vccz .LBB11_129
; %bb.128:
	v_add_co_u32 v43, vcc_lo, v38, v84
	v_min_f32_e32 v45, 0, v42
	v_add_co_ci_u32_e64 v44, null, v39, v85, vcc_lo
	s_mov_b32 s6, 0
	flat_store_dword v[43:44], v45
.LBB11_129:
	v_mov_b32_e32 v43, 0
	s_andn2_b32 vcc_lo, exec_lo, s6
	s_cbranch_vccnz .LBB11_131
; %bb.130:
	v_add_co_u32 v43, vcc_lo, v40, v84
	v_add_co_ci_u32_e64 v44, null, v41, v85, vcc_lo
	flat_load_dword v43, v[43:44]
	s_waitcnt vmcnt(0) lgkmcnt(0)
	v_mul_f32_e32 v45, s3, v43
	v_add_co_u32 v43, vcc_lo, v38, v84
	v_add_co_ci_u32_e64 v44, null, v39, v85, vcc_lo
	v_add_co_u32 v40, vcc_lo, v40, v86
	v_min_f32_e32 v42, v45, v42
	v_add_co_ci_u32_e64 v41, null, v41, v87, vcc_lo
	flat_store_dword v[43:44], v42
	flat_load_dword v40, v[40:41]
	s_waitcnt vmcnt(0) lgkmcnt(0)
	v_mul_f32_e32 v43, s3, v40
.LBB11_131:
	v_add_f32_e32 v35, v3, v35
	v_add_f32_e32 v34, v2, v34
	;; [unrolled: 1-line block ×6, first 2 shown]
	v_min3_f32 v34, v34, v35, v103
	v_add_f32_e32 v42, v20, v32
	v_min_f32_e32 v35, v36, v37
	v_add_nc_u32_e32 v36, 0x60, v137
	v_min3_f32 v40, v41, v40, v104
	v_add_f32_e32 v41, v21, v33
	v_add_co_u32 v38, vcc_lo, v38, v86
	v_min3_f32 v43, v43, v35, v34
	v_mad_i64_i32 v[34:35], null, v36, s2, 0
	v_mad_i64_i32 v[36:37], null, v36, s1, 0
	v_add_co_ci_u32_e64 v39, null, v39, v87, vcc_lo
	v_min3_f32 v40, v42, v41, v40
	s_mov_b32 s6, -1
	v_lshlrev_b64 v[34:35], 2, v[34:35]
	flat_store_dword v[38:39], v43
	v_lshlrev_b64 v[36:37], 2, v[36:37]
	v_max_f32_e32 v38, v40, v40
	v_add_co_u32 v34, vcc_lo, s4, v34
	v_add_co_ci_u32_e64 v35, null, s5, v35, vcc_lo
	v_add_co_u32 v36, vcc_lo, s12, v36
	v_add_co_ci_u32_e64 v37, null, s13, v37, vcc_lo
	s_mov_b32 vcc_lo, s0
	s_cbranch_vccz .LBB11_133
; %bb.132:
	v_add_co_u32 v39, vcc_lo, v34, v82
	v_min_f32_e32 v41, 0, v38
	v_add_co_ci_u32_e64 v40, null, v35, v83, vcc_lo
	s_mov_b32 s6, 0
	flat_store_dword v[39:40], v41
.LBB11_133:
	v_mov_b32_e32 v39, 0
	s_andn2_b32 vcc_lo, exec_lo, s6
	s_cbranch_vccnz .LBB11_135
; %bb.134:
	v_add_co_u32 v39, vcc_lo, v36, v82
	v_add_co_ci_u32_e64 v40, null, v37, v83, vcc_lo
	flat_load_dword v39, v[39:40]
	s_waitcnt vmcnt(0) lgkmcnt(0)
	v_mul_f32_e32 v41, s3, v39
	v_add_co_u32 v39, vcc_lo, v34, v82
	v_add_co_ci_u32_e64 v40, null, v35, v83, vcc_lo
	v_min_f32_e32 v38, v41, v38
	v_add_co_u32 v41, vcc_lo, v36, v0
	v_add_co_ci_u32_e64 v42, null, v37, v1, vcc_lo
	flat_store_dword v[39:40], v38
	flat_load_dword v38, v[41:42]
	s_waitcnt vmcnt(0) lgkmcnt(0)
	v_mul_f32_e32 v39, s3, v38
.LBB11_135:
	v_add_f32_e32 v38, v15, v31
	v_add_f32_e32 v40, v14, v30
	;; [unrolled: 1-line block ×6, first 2 shown]
	v_min3_f32 v38, v40, v38, v102
	s_mov_b32 s6, -1
	v_min_f32_e32 v40, v42, v41
	v_add_f32_e32 v42, v13, v33
	v_min3_f32 v41, v44, v43, v101
	v_add_f32_e32 v43, v12, v32
	v_min3_f32 v40, v39, v40, v38
	v_add_co_u32 v38, vcc_lo, v34, v0
	v_add_co_ci_u32_e64 v39, null, v35, v1, vcc_lo
	v_min3_f32 v41, v43, v42, v41
	s_mov_b32 vcc_lo, s0
	flat_store_dword v[38:39], v40
	v_max_f32_e32 v38, v41, v41
	s_cbranch_vccz .LBB11_137
; %bb.136:
	v_add_co_u32 v39, vcc_lo, v34, v84
	v_min_f32_e32 v41, 0, v38
	v_add_co_ci_u32_e64 v40, null, v35, v85, vcc_lo
	s_mov_b32 s6, 0
	flat_store_dword v[39:40], v41
.LBB11_137:
	v_mov_b32_e32 v39, 0
	s_andn2_b32 vcc_lo, exec_lo, s6
	s_cbranch_vccnz .LBB11_139
; %bb.138:
	v_add_co_u32 v39, vcc_lo, v36, v84
	v_add_co_ci_u32_e64 v40, null, v37, v85, vcc_lo
	flat_load_dword v39, v[39:40]
	s_waitcnt vmcnt(0) lgkmcnt(0)
	v_mul_f32_e32 v41, s3, v39
	v_add_co_u32 v39, vcc_lo, v34, v84
	v_add_co_ci_u32_e64 v40, null, v35, v85, vcc_lo
	v_add_co_u32 v36, vcc_lo, v36, v86
	v_min_f32_e32 v38, v41, v38
	v_add_co_ci_u32_e64 v37, null, v37, v87, vcc_lo
	flat_store_dword v[39:40], v38
	flat_load_dword v36, v[36:37]
	s_waitcnt vmcnt(0) lgkmcnt(0)
	v_mul_f32_e32 v39, s3, v36
.LBB11_139:
	v_add_f32_e32 v31, v3, v31
	v_add_f32_e32 v30, v2, v30
	;; [unrolled: 1-line block ×6, first 2 shown]
	v_min3_f32 v30, v30, v31, v98
	v_add_f32_e32 v38, v20, v28
	v_min_f32_e32 v31, v32, v33
	v_add_nc_u32_e32 v32, 0x68, v137
	v_min3_f32 v36, v37, v36, v100
	v_add_f32_e32 v37, v21, v29
	v_add_co_u32 v34, vcc_lo, v34, v86
	v_min3_f32 v39, v39, v31, v30
	v_mad_i64_i32 v[30:31], null, v32, s2, 0
	v_mad_i64_i32 v[32:33], null, v32, s1, 0
	v_add_co_ci_u32_e64 v35, null, v35, v87, vcc_lo
	v_min3_f32 v36, v38, v37, v36
	s_mov_b32 s6, -1
	v_lshlrev_b64 v[30:31], 2, v[30:31]
	flat_store_dword v[34:35], v39
	v_lshlrev_b64 v[32:33], 2, v[32:33]
	v_max_f32_e32 v34, v36, v36
	v_add_co_u32 v30, vcc_lo, s4, v30
	v_add_co_ci_u32_e64 v31, null, s5, v31, vcc_lo
	v_add_co_u32 v32, vcc_lo, s12, v32
	v_add_co_ci_u32_e64 v33, null, s13, v33, vcc_lo
	s_mov_b32 vcc_lo, s0
	s_cbranch_vccz .LBB11_141
; %bb.140:
	v_add_co_u32 v35, vcc_lo, v30, v82
	v_min_f32_e32 v37, 0, v34
	v_add_co_ci_u32_e64 v36, null, v31, v83, vcc_lo
	s_mov_b32 s6, 0
	flat_store_dword v[35:36], v37
.LBB11_141:
	v_mov_b32_e32 v35, 0
	s_andn2_b32 vcc_lo, exec_lo, s6
	s_cbranch_vccnz .LBB11_143
; %bb.142:
	v_add_co_u32 v35, vcc_lo, v32, v82
	v_add_co_ci_u32_e64 v36, null, v33, v83, vcc_lo
	flat_load_dword v35, v[35:36]
	s_waitcnt vmcnt(0) lgkmcnt(0)
	v_mul_f32_e32 v37, s3, v35
	v_add_co_u32 v35, vcc_lo, v30, v82
	v_add_co_ci_u32_e64 v36, null, v31, v83, vcc_lo
	v_min_f32_e32 v34, v37, v34
	v_add_co_u32 v37, vcc_lo, v32, v0
	v_add_co_ci_u32_e64 v38, null, v33, v1, vcc_lo
	flat_store_dword v[35:36], v34
	flat_load_dword v34, v[37:38]
	s_waitcnt vmcnt(0) lgkmcnt(0)
	v_mul_f32_e32 v35, s3, v34
.LBB11_143:
	v_add_f32_e32 v34, v15, v27
	v_add_f32_e32 v36, v14, v26
	;; [unrolled: 1-line block ×6, first 2 shown]
	v_min3_f32 v34, v36, v34, v96
	s_mov_b32 s6, -1
	v_min_f32_e32 v36, v38, v37
	v_add_f32_e32 v38, v13, v29
	v_min3_f32 v37, v40, v39, v97
	v_add_f32_e32 v39, v12, v28
	v_min3_f32 v36, v35, v36, v34
	v_add_co_u32 v34, vcc_lo, v30, v0
	v_add_co_ci_u32_e64 v35, null, v31, v1, vcc_lo
	v_min3_f32 v37, v39, v38, v37
	s_mov_b32 vcc_lo, s0
	flat_store_dword v[34:35], v36
	v_max_f32_e32 v34, v37, v37
	s_cbranch_vccz .LBB11_145
; %bb.144:
	v_add_co_u32 v35, vcc_lo, v30, v84
	v_min_f32_e32 v37, 0, v34
	v_add_co_ci_u32_e64 v36, null, v31, v85, vcc_lo
	s_mov_b32 s6, 0
	flat_store_dword v[35:36], v37
.LBB11_145:
	v_mov_b32_e32 v35, 0
	s_andn2_b32 vcc_lo, exec_lo, s6
	s_cbranch_vccnz .LBB11_147
; %bb.146:
	v_add_co_u32 v35, vcc_lo, v32, v84
	v_add_co_ci_u32_e64 v36, null, v33, v85, vcc_lo
	flat_load_dword v35, v[35:36]
	s_waitcnt vmcnt(0) lgkmcnt(0)
	v_mul_f32_e32 v37, s3, v35
	v_add_co_u32 v35, vcc_lo, v30, v84
	v_add_co_ci_u32_e64 v36, null, v31, v85, vcc_lo
	v_add_co_u32 v32, vcc_lo, v32, v86
	v_min_f32_e32 v34, v37, v34
	v_add_co_ci_u32_e64 v33, null, v33, v87, vcc_lo
	flat_store_dword v[35:36], v34
	flat_load_dword v32, v[32:33]
	s_waitcnt vmcnt(0) lgkmcnt(0)
	v_mul_f32_e32 v35, s3, v32
.LBB11_147:
	v_add_f32_e32 v27, v3, v27
	v_add_f32_e32 v26, v2, v26
	;; [unrolled: 1-line block ×4, first 2 shown]
	s_waitcnt lgkmcnt(28)
	v_add_f32_e32 v32, v19, v23
	v_add_f32_e32 v33, v18, v22
	v_min3_f32 v26, v26, v27, v94
	v_add_f32_e32 v34, v20, v24
	v_min_f32_e32 v27, v28, v29
	v_add_nc_u32_e32 v28, 0x70, v137
	v_min3_f32 v32, v33, v32, v95
	v_add_f32_e32 v33, v21, v25
	v_add_co_u32 v30, vcc_lo, v30, v86
	v_min3_f32 v35, v35, v27, v26
	v_mad_i64_i32 v[26:27], null, v28, s2, 0
	v_mad_i64_i32 v[28:29], null, v28, s1, 0
	v_add_co_ci_u32_e64 v31, null, v31, v87, vcc_lo
	v_min3_f32 v32, v34, v33, v32
	s_mov_b32 s6, -1
	v_lshlrev_b64 v[26:27], 2, v[26:27]
	flat_store_dword v[30:31], v35
	v_lshlrev_b64 v[28:29], 2, v[28:29]
	v_max_f32_e32 v30, v32, v32
	v_add_co_u32 v26, vcc_lo, s4, v26
	v_add_co_ci_u32_e64 v27, null, s5, v27, vcc_lo
	v_add_co_u32 v28, vcc_lo, s12, v28
	v_add_co_ci_u32_e64 v29, null, s13, v29, vcc_lo
	s_mov_b32 vcc_lo, s0
	s_cbranch_vccz .LBB11_149
; %bb.148:
	v_add_co_u32 v31, vcc_lo, v26, v82
	v_min_f32_e32 v33, 0, v30
	v_add_co_ci_u32_e64 v32, null, v27, v83, vcc_lo
	s_mov_b32 s6, 0
	flat_store_dword v[31:32], v33
.LBB11_149:
	v_mov_b32_e32 v31, 0
	s_andn2_b32 vcc_lo, exec_lo, s6
	s_cbranch_vccnz .LBB11_151
; %bb.150:
	v_add_co_u32 v31, vcc_lo, v28, v82
	v_add_co_ci_u32_e64 v32, null, v29, v83, vcc_lo
	flat_load_dword v31, v[31:32]
	s_waitcnt vmcnt(0) lgkmcnt(0)
	v_mul_f32_e32 v33, s3, v31
	v_add_co_u32 v31, vcc_lo, v26, v82
	v_add_co_ci_u32_e64 v32, null, v27, v83, vcc_lo
	v_min_f32_e32 v30, v33, v30
	v_add_co_u32 v33, vcc_lo, v28, v0
	v_add_co_ci_u32_e64 v34, null, v29, v1, vcc_lo
	flat_store_dword v[31:32], v30
	flat_load_dword v30, v[33:34]
	s_waitcnt vmcnt(0) lgkmcnt(0)
	v_mul_f32_e32 v31, s3, v30
.LBB11_151:
	v_add_f32_e32 v30, v15, v23
	v_add_f32_e32 v32, v14, v22
	;; [unrolled: 1-line block ×6, first 2 shown]
	v_min3_f32 v30, v32, v30, v92
	s_mov_b32 s6, -1
	v_min_f32_e32 v32, v34, v33
	v_add_f32_e32 v34, v13, v25
	v_min3_f32 v33, v36, v35, v93
	v_add_f32_e32 v35, v12, v24
	v_min3_f32 v32, v31, v32, v30
	v_add_co_u32 v30, vcc_lo, v26, v0
	v_add_co_ci_u32_e64 v31, null, v27, v1, vcc_lo
	v_min3_f32 v33, v35, v34, v33
	s_mov_b32 vcc_lo, s0
	flat_store_dword v[30:31], v32
	v_max_f32_e32 v30, v33, v33
	s_cbranch_vccz .LBB11_153
; %bb.152:
	v_add_co_u32 v31, vcc_lo, v26, v84
	v_min_f32_e32 v33, 0, v30
	v_add_co_ci_u32_e64 v32, null, v27, v85, vcc_lo
	s_mov_b32 s6, 0
	flat_store_dword v[31:32], v33
.LBB11_153:
	v_mov_b32_e32 v31, 0
	s_andn2_b32 vcc_lo, exec_lo, s6
	s_cbranch_vccnz .LBB11_155
; %bb.154:
	v_add_co_u32 v31, vcc_lo, v28, v84
	v_add_co_ci_u32_e64 v32, null, v29, v85, vcc_lo
	flat_load_dword v31, v[31:32]
	s_waitcnt vmcnt(0) lgkmcnt(0)
	v_mul_f32_e32 v33, s3, v31
	v_add_co_u32 v31, vcc_lo, v26, v84
	v_add_co_ci_u32_e64 v32, null, v27, v85, vcc_lo
	v_add_co_u32 v28, vcc_lo, v28, v86
	v_min_f32_e32 v30, v33, v30
	v_add_co_ci_u32_e64 v29, null, v29, v87, vcc_lo
	flat_store_dword v[31:32], v30
	flat_load_dword v28, v[28:29]
	s_waitcnt vmcnt(0) lgkmcnt(0)
	v_mul_f32_e32 v31, s3, v28
.LBB11_155:
	v_add_f32_e32 v23, v3, v23
	v_add_f32_e32 v22, v2, v22
	;; [unrolled: 1-line block ×4, first 2 shown]
	s_waitcnt lgkmcnt(29)
	v_add_f32_e32 v19, v19, v7
	v_add_f32_e32 v18, v18, v6
	v_min3_f32 v22, v22, v23, v91
	v_add_f32_e32 v28, v21, v9
	v_min_f32_e32 v23, v24, v25
	v_add_nc_u32_e32 v25, 0x78, v137
	v_min3_f32 v24, v18, v19, v90
	v_add_f32_e32 v29, v20, v8
	v_min3_f32 v30, v31, v23, v22
	v_mad_i64_i32 v[18:19], null, v25, s2, 0
	v_mad_i64_i32 v[20:21], null, v25, s1, 0
	v_add_co_u32 v22, vcc_lo, v26, v86
	v_add_co_ci_u32_e64 v23, null, v27, v87, vcc_lo
	v_lshlrev_b64 v[18:19], 2, v[18:19]
	v_min3_f32 v24, v29, v28, v24
	v_lshlrev_b64 v[20:21], 2, v[20:21]
	flat_store_dword v[22:23], v30
	s_mov_b32 s1, -1
	v_add_co_u32 v18, vcc_lo, s4, v18
	v_add_co_ci_u32_e64 v19, null, s5, v19, vcc_lo
	v_add_co_u32 v20, vcc_lo, s12, v20
	v_add_co_ci_u32_e64 v21, null, s13, v21, vcc_lo
	v_max_f32_e32 v22, v24, v24
	s_mov_b32 vcc_lo, s0
	s_cbranch_vccz .LBB11_157
; %bb.156:
	v_add_co_u32 v23, vcc_lo, v18, v82
	v_min_f32_e32 v25, 0, v22
	v_add_co_ci_u32_e64 v24, null, v19, v83, vcc_lo
	s_mov_b32 s1, 0
	flat_store_dword v[23:24], v25
.LBB11_157:
	v_mov_b32_e32 v23, 0
	s_andn2_b32 vcc_lo, exec_lo, s1
	s_cbranch_vccnz .LBB11_159
; %bb.158:
	v_add_co_u32 v23, vcc_lo, v20, v82
	v_add_co_ci_u32_e64 v24, null, v21, v83, vcc_lo
	flat_load_dword v23, v[23:24]
	s_waitcnt vmcnt(0) lgkmcnt(0)
	v_mul_f32_e32 v25, s3, v23
	v_add_co_u32 v23, vcc_lo, v18, v82
	v_add_co_ci_u32_e64 v24, null, v19, v83, vcc_lo
	v_min_f32_e32 v22, v25, v22
	v_add_co_u32 v25, vcc_lo, v20, v0
	v_add_co_ci_u32_e64 v26, null, v21, v1, vcc_lo
	flat_store_dword v[23:24], v22
	flat_load_dword v22, v[25:26]
	s_waitcnt vmcnt(0) lgkmcnt(0)
	v_mul_f32_e32 v23, s3, v22
.LBB11_159:
	v_add_f32_e32 v15, v15, v7
	v_add_f32_e32 v14, v14, v6
	;; [unrolled: 1-line block ×6, first 2 shown]
	v_min3_f32 v14, v14, v15, v88
	v_add_f32_e32 v12, v12, v8
	v_min_f32_e32 v15, v16, v17
	v_add_co_u32 v0, vcc_lo, v18, v0
	v_min3_f32 v10, v10, v11, v89
	v_add_f32_e32 v11, v13, v9
	v_min3_f32 v13, v23, v15, v14
	v_add_co_ci_u32_e64 v1, null, v19, v1, vcc_lo
	s_mov_b32 s1, -1
	v_min3_f32 v10, v12, v11, v10
	s_mov_b32 vcc_lo, s0
	flat_store_dword v[0:1], v13
	v_max_f32_e32 v0, v10, v10
	s_cbranch_vccz .LBB11_161
; %bb.160:
	v_add_co_u32 v10, vcc_lo, v18, v84
	v_min_f32_e32 v1, 0, v0
	v_add_co_ci_u32_e64 v11, null, v19, v85, vcc_lo
	s_mov_b32 s1, 0
	flat_store_dword v[10:11], v1
.LBB11_161:
	v_mov_b32_e32 v1, 0
	s_andn2_b32 vcc_lo, exec_lo, s1
	s_cbranch_vccnz .LBB11_163
; %bb.162:
	v_add_co_u32 v10, vcc_lo, v20, v84
	v_add_co_ci_u32_e64 v11, null, v21, v85, vcc_lo
	flat_load_dword v1, v[10:11]
	v_add_co_u32 v10, vcc_lo, v18, v84
	v_add_co_ci_u32_e64 v11, null, v19, v85, vcc_lo
	s_waitcnt vmcnt(0) lgkmcnt(0)
	v_mul_f32_e32 v1, s3, v1
	v_min_f32_e32 v12, v1, v0
	v_add_co_u32 v0, vcc_lo, v20, v86
	v_add_co_ci_u32_e64 v1, null, v21, v87, vcc_lo
	flat_store_dword v[10:11], v12
	flat_load_dword v0, v[0:1]
	s_waitcnt vmcnt(0) lgkmcnt(0)
	v_mul_f32_e32 v1, s3, v0
.LBB11_163:
	v_add_f32_e32 v0, v5, v9
	v_add_f32_e32 v4, v4, v8
	;; [unrolled: 1-line block ×4, first 2 shown]
	v_min_f32_e32 v0, v4, v0
	v_min3_f32 v2, v2, v3, v99
	v_min3_f32 v2, v1, v0, v2
	v_add_co_u32 v0, vcc_lo, v18, v86
	v_add_co_ci_u32_e64 v1, null, v19, v87, vcc_lo
	flat_store_dword v[0:1], v2
	s_endpgm
	.section	.rodata,"a",@progbits
	.p2align	6, 0x0
	.amdhsa_kernel _ZN12_GLOBAL__N_120geam_min_plus_kernelIf15HIP_vector_typeIfLj2EEfLi32ELi8ELi128ELi128ELi4ELi4ELi64ELi4ELi64ELc84ELc78ELb0ELb0ELb1EfKPKfKPfEEviiiT16_PT17_ilSA_ilS8_SA_ilPT18_ili26rocblas_geam_ex_operation_
		.amdhsa_group_segment_fixed_size 8192
		.amdhsa_private_segment_fixed_size 0
		.amdhsa_kernarg_size 128
		.amdhsa_user_sgpr_count 6
		.amdhsa_user_sgpr_private_segment_buffer 1
		.amdhsa_user_sgpr_dispatch_ptr 0
		.amdhsa_user_sgpr_queue_ptr 0
		.amdhsa_user_sgpr_kernarg_segment_ptr 1
		.amdhsa_user_sgpr_dispatch_id 0
		.amdhsa_user_sgpr_flat_scratch_init 0
		.amdhsa_user_sgpr_private_segment_size 0
		.amdhsa_wavefront_size32 1
		.amdhsa_uses_dynamic_stack 0
		.amdhsa_system_sgpr_private_segment_wavefront_offset 0
		.amdhsa_system_sgpr_workgroup_id_x 1
		.amdhsa_system_sgpr_workgroup_id_y 0
		.amdhsa_system_sgpr_workgroup_id_z 1
		.amdhsa_system_sgpr_workgroup_info 0
		.amdhsa_system_vgpr_workitem_id 1
		.amdhsa_next_free_vgpr 177
		.amdhsa_next_free_sgpr 24
		.amdhsa_reserve_vcc 1
		.amdhsa_reserve_flat_scratch 1
		.amdhsa_float_round_mode_32 0
		.amdhsa_float_round_mode_16_64 0
		.amdhsa_float_denorm_mode_32 3
		.amdhsa_float_denorm_mode_16_64 3
		.amdhsa_dx10_clamp 1
		.amdhsa_ieee_mode 1
		.amdhsa_fp16_overflow 0
		.amdhsa_workgroup_processor_mode 1
		.amdhsa_memory_ordered 1
		.amdhsa_forward_progress 1
		.amdhsa_shared_vgpr_count 0
		.amdhsa_exception_fp_ieee_invalid_op 0
		.amdhsa_exception_fp_denorm_src 0
		.amdhsa_exception_fp_ieee_div_zero 0
		.amdhsa_exception_fp_ieee_overflow 0
		.amdhsa_exception_fp_ieee_underflow 0
		.amdhsa_exception_fp_ieee_inexact 0
		.amdhsa_exception_int_div_zero 0
	.end_amdhsa_kernel
	.section	.text._ZN12_GLOBAL__N_120geam_min_plus_kernelIf15HIP_vector_typeIfLj2EEfLi32ELi8ELi128ELi128ELi4ELi4ELi64ELi4ELi64ELc84ELc78ELb0ELb0ELb1EfKPKfKPfEEviiiT16_PT17_ilSA_ilS8_SA_ilPT18_ili26rocblas_geam_ex_operation_,"axG",@progbits,_ZN12_GLOBAL__N_120geam_min_plus_kernelIf15HIP_vector_typeIfLj2EEfLi32ELi8ELi128ELi128ELi4ELi4ELi64ELi4ELi64ELc84ELc78ELb0ELb0ELb1EfKPKfKPfEEviiiT16_PT17_ilSA_ilS8_SA_ilPT18_ili26rocblas_geam_ex_operation_,comdat
.Lfunc_end11:
	.size	_ZN12_GLOBAL__N_120geam_min_plus_kernelIf15HIP_vector_typeIfLj2EEfLi32ELi8ELi128ELi128ELi4ELi4ELi64ELi4ELi64ELc84ELc78ELb0ELb0ELb1EfKPKfKPfEEviiiT16_PT17_ilSA_ilS8_SA_ilPT18_ili26rocblas_geam_ex_operation_, .Lfunc_end11-_ZN12_GLOBAL__N_120geam_min_plus_kernelIf15HIP_vector_typeIfLj2EEfLi32ELi8ELi128ELi128ELi4ELi4ELi64ELi4ELi64ELc84ELc78ELb0ELb0ELb1EfKPKfKPfEEviiiT16_PT17_ilSA_ilS8_SA_ilPT18_ili26rocblas_geam_ex_operation_
                                        ; -- End function
	.set _ZN12_GLOBAL__N_120geam_min_plus_kernelIf15HIP_vector_typeIfLj2EEfLi32ELi8ELi128ELi128ELi4ELi4ELi64ELi4ELi64ELc84ELc78ELb0ELb0ELb1EfKPKfKPfEEviiiT16_PT17_ilSA_ilS8_SA_ilPT18_ili26rocblas_geam_ex_operation_.num_vgpr, 177
	.set _ZN12_GLOBAL__N_120geam_min_plus_kernelIf15HIP_vector_typeIfLj2EEfLi32ELi8ELi128ELi128ELi4ELi4ELi64ELi4ELi64ELc84ELc78ELb0ELb0ELb1EfKPKfKPfEEviiiT16_PT17_ilSA_ilS8_SA_ilPT18_ili26rocblas_geam_ex_operation_.num_agpr, 0
	.set _ZN12_GLOBAL__N_120geam_min_plus_kernelIf15HIP_vector_typeIfLj2EEfLi32ELi8ELi128ELi128ELi4ELi4ELi64ELi4ELi64ELc84ELc78ELb0ELb0ELb1EfKPKfKPfEEviiiT16_PT17_ilSA_ilS8_SA_ilPT18_ili26rocblas_geam_ex_operation_.numbered_sgpr, 24
	.set _ZN12_GLOBAL__N_120geam_min_plus_kernelIf15HIP_vector_typeIfLj2EEfLi32ELi8ELi128ELi128ELi4ELi4ELi64ELi4ELi64ELc84ELc78ELb0ELb0ELb1EfKPKfKPfEEviiiT16_PT17_ilSA_ilS8_SA_ilPT18_ili26rocblas_geam_ex_operation_.num_named_barrier, 0
	.set _ZN12_GLOBAL__N_120geam_min_plus_kernelIf15HIP_vector_typeIfLj2EEfLi32ELi8ELi128ELi128ELi4ELi4ELi64ELi4ELi64ELc84ELc78ELb0ELb0ELb1EfKPKfKPfEEviiiT16_PT17_ilSA_ilS8_SA_ilPT18_ili26rocblas_geam_ex_operation_.private_seg_size, 0
	.set _ZN12_GLOBAL__N_120geam_min_plus_kernelIf15HIP_vector_typeIfLj2EEfLi32ELi8ELi128ELi128ELi4ELi4ELi64ELi4ELi64ELc84ELc78ELb0ELb0ELb1EfKPKfKPfEEviiiT16_PT17_ilSA_ilS8_SA_ilPT18_ili26rocblas_geam_ex_operation_.uses_vcc, 1
	.set _ZN12_GLOBAL__N_120geam_min_plus_kernelIf15HIP_vector_typeIfLj2EEfLi32ELi8ELi128ELi128ELi4ELi4ELi64ELi4ELi64ELc84ELc78ELb0ELb0ELb1EfKPKfKPfEEviiiT16_PT17_ilSA_ilS8_SA_ilPT18_ili26rocblas_geam_ex_operation_.uses_flat_scratch, 1
	.set _ZN12_GLOBAL__N_120geam_min_plus_kernelIf15HIP_vector_typeIfLj2EEfLi32ELi8ELi128ELi128ELi4ELi4ELi64ELi4ELi64ELc84ELc78ELb0ELb0ELb1EfKPKfKPfEEviiiT16_PT17_ilSA_ilS8_SA_ilPT18_ili26rocblas_geam_ex_operation_.has_dyn_sized_stack, 0
	.set _ZN12_GLOBAL__N_120geam_min_plus_kernelIf15HIP_vector_typeIfLj2EEfLi32ELi8ELi128ELi128ELi4ELi4ELi64ELi4ELi64ELc84ELc78ELb0ELb0ELb1EfKPKfKPfEEviiiT16_PT17_ilSA_ilS8_SA_ilPT18_ili26rocblas_geam_ex_operation_.has_recursion, 0
	.set _ZN12_GLOBAL__N_120geam_min_plus_kernelIf15HIP_vector_typeIfLj2EEfLi32ELi8ELi128ELi128ELi4ELi4ELi64ELi4ELi64ELc84ELc78ELb0ELb0ELb1EfKPKfKPfEEviiiT16_PT17_ilSA_ilS8_SA_ilPT18_ili26rocblas_geam_ex_operation_.has_indirect_call, 0
	.section	.AMDGPU.csdata,"",@progbits
; Kernel info:
; codeLenInByte = 18024
; TotalNumSgprs: 26
; NumVgprs: 177
; ScratchSize: 0
; MemoryBound: 0
; FloatMode: 240
; IeeeMode: 1
; LDSByteSize: 8192 bytes/workgroup (compile time only)
; SGPRBlocks: 0
; VGPRBlocks: 22
; NumSGPRsForWavesPerEU: 26
; NumVGPRsForWavesPerEU: 177
; Occupancy: 5
; WaveLimiterHint : 1
; COMPUTE_PGM_RSRC2:SCRATCH_EN: 0
; COMPUTE_PGM_RSRC2:USER_SGPR: 6
; COMPUTE_PGM_RSRC2:TRAP_HANDLER: 0
; COMPUTE_PGM_RSRC2:TGID_X_EN: 1
; COMPUTE_PGM_RSRC2:TGID_Y_EN: 0
; COMPUTE_PGM_RSRC2:TGID_Z_EN: 1
; COMPUTE_PGM_RSRC2:TIDIG_COMP_CNT: 1
	.section	.text._ZN12_GLOBAL__N_120geam_min_plus_kernelIf15HIP_vector_typeIfLj2EEfLi32ELi8ELi128ELi128ELi4ELi4ELi64ELi4ELi64ELc84ELc78ELb0ELb1ELb1EPKfKS4_KPfEEviiiT16_PT17_ilSA_ilS8_SA_ilPT18_ili26rocblas_geam_ex_operation_,"axG",@progbits,_ZN12_GLOBAL__N_120geam_min_plus_kernelIf15HIP_vector_typeIfLj2EEfLi32ELi8ELi128ELi128ELi4ELi4ELi64ELi4ELi64ELc84ELc78ELb0ELb1ELb1EPKfKS4_KPfEEviiiT16_PT17_ilSA_ilS8_SA_ilPT18_ili26rocblas_geam_ex_operation_,comdat
	.globl	_ZN12_GLOBAL__N_120geam_min_plus_kernelIf15HIP_vector_typeIfLj2EEfLi32ELi8ELi128ELi128ELi4ELi4ELi64ELi4ELi64ELc84ELc78ELb0ELb1ELb1EPKfKS4_KPfEEviiiT16_PT17_ilSA_ilS8_SA_ilPT18_ili26rocblas_geam_ex_operation_ ; -- Begin function _ZN12_GLOBAL__N_120geam_min_plus_kernelIf15HIP_vector_typeIfLj2EEfLi32ELi8ELi128ELi128ELi4ELi4ELi64ELi4ELi64ELc84ELc78ELb0ELb1ELb1EPKfKS4_KPfEEviiiT16_PT17_ilSA_ilS8_SA_ilPT18_ili26rocblas_geam_ex_operation_
	.p2align	8
	.type	_ZN12_GLOBAL__N_120geam_min_plus_kernelIf15HIP_vector_typeIfLj2EEfLi32ELi8ELi128ELi128ELi4ELi4ELi64ELi4ELi64ELc84ELc78ELb0ELb1ELb1EPKfKS4_KPfEEviiiT16_PT17_ilSA_ilS8_SA_ilPT18_ili26rocblas_geam_ex_operation_,@function
_ZN12_GLOBAL__N_120geam_min_plus_kernelIf15HIP_vector_typeIfLj2EEfLi32ELi8ELi128ELi128ELi4ELi4ELi64ELi4ELi64ELc84ELc78ELb0ELb1ELb1EPKfKS4_KPfEEviiiT16_PT17_ilSA_ilS8_SA_ilPT18_ili26rocblas_geam_ex_operation_: ; @_ZN12_GLOBAL__N_120geam_min_plus_kernelIf15HIP_vector_typeIfLj2EEfLi32ELi8ELi128ELi128ELi4ELi4ELi64ELi4ELi64ELc84ELc78ELb0ELb1ELb1EPKfKS4_KPfEEviiiT16_PT17_ilSA_ilS8_SA_ilPT18_ili26rocblas_geam_ex_operation_
; %bb.0:
	s_clause 0x1
	s_load_dwordx4 s[12:15], s[4:5], 0x10
	s_load_dwordx4 s[0:3], s[4:5], 0x28
	s_mov_b32 s20, s7
	s_mov_b32 s21, 0
	s_mov_b64 s[18:19], 0
	s_lshl_b64 s[16:17], s[20:21], 2
	s_waitcnt lgkmcnt(0)
	s_add_u32 s8, s12, s16
	s_addc_u32 s9, s13, s17
	s_load_dword s23, s[8:9], 0x0
	s_clause 0x1
	s_load_dwordx4 s[8:11], s[4:5], 0x40
	s_load_dwordx2 s[12:13], s[4:5], 0x50
	s_waitcnt lgkmcnt(0)
	v_cmp_eq_f32_e64 s7, s23, 0
	v_cmp_neq_f32_e64 s22, s23, 0
	s_add_u32 s10, s10, s16
	s_addc_u32 s11, s11, s17
	s_mov_b64 s[16:17], 0
	s_and_b32 vcc_lo, exec_lo, s7
	s_cbranch_vccnz .LBB12_2
; %bb.1:
	s_lshl_b64 s[18:19], s[20:21], 3
	s_add_u32 s14, s14, s18
	s_addc_u32 s15, s15, s19
	s_lshl_b64 s[0:1], s[0:1], 2
	s_load_dwordx2 s[14:15], s[14:15], 0x0
	s_waitcnt lgkmcnt(0)
	s_add_u32 s18, s14, s0
	s_addc_u32 s19, s15, s1
.LBB12_2:
	s_load_dword s7, s[10:11], 0x0
	s_andn2_b32 vcc_lo, exec_lo, s22
	s_cbranch_vccnz .LBB12_4
; %bb.3:
	s_lshl_b64 s[0:1], s[20:21], 3
	s_add_u32 s0, s2, s0
	s_addc_u32 s1, s3, s1
	s_lshl_b64 s[2:3], s[8:9], 2
	s_load_dwordx2 s[0:1], s[0:1], 0x0
	s_waitcnt lgkmcnt(0)
	s_add_u32 s16, s0, s2
	s_addc_u32 s17, s1, s3
.LBB12_4:
	s_load_dwordx4 s[0:3], s[4:5], 0x60
	s_waitcnt lgkmcnt(0)
	v_cmp_eq_f32_e64 s8, s7, 0
	v_cmp_neq_f32_e64 s22, s7, 0
	s_and_b32 vcc_lo, exec_lo, s8
	s_cbranch_vccnz .LBB12_6
; %bb.5:
	s_lshl_b64 s[8:9], s[20:21], 3
	s_add_u32 s8, s12, s8
	s_addc_u32 s9, s13, s9
	s_lshl_b64 s[0:1], s[0:1], 2
	s_load_dwordx2 s[8:9], s[8:9], 0x0
	s_waitcnt lgkmcnt(0)
	s_add_u32 s12, s8, s0
	s_addc_u32 s13, s9, s1
	s_branch .LBB12_7
.LBB12_6:
	s_mov_b64 s[12:13], 0
.LBB12_7:
	s_clause 0x1
	s_load_dwordx4 s[8:11], s[4:5], 0x0
	s_load_dword s25, s[4:5], 0x20
	s_lshl_b64 s[0:1], s[20:21], 3
	v_and_b32_e32 v114, 3, v0
	s_add_u32 s14, s2, s0
	s_addc_u32 s15, s3, s1
	v_lshl_add_u32 v3, v1, 5, v0
	v_cmp_eq_f32_e64 s24, s23, 0
	v_lshrrev_b32_e32 v4, 2, v3
	s_waitcnt lgkmcnt(0)
	s_add_i32 s0, s8, -1
	s_ashr_i32 s1, s0, 31
	s_lshr_b32 s1, s1, 25
	s_add_i32 s0, s0, s1
	s_ashr_i32 s0, s0, 7
	s_add_i32 s1, s0, 1
	s_not_b32 s0, s0
	v_cvt_f32_u32_e32 v2, s1
	v_rcp_iflag_f32_e32 v2, v2
	v_mul_f32_e32 v2, 0x4f7ffffe, v2
	v_cvt_u32_f32_e32 v2, v2
	v_readfirstlane_b32 s2, v2
	s_mul_i32 s0, s0, s2
	s_mul_hi_u32 s0, s2, s0
	s_add_i32 s2, s2, s0
	s_mul_hi_u32 s0, s6, s2
	s_mul_i32 s2, s0, s1
	s_add_i32 s3, s0, 1
	s_sub_i32 s2, s6, s2
	s_sub_i32 s11, s2, s1
	s_cmp_ge_u32 s2, s1
	s_cselect_b32 s0, s3, s0
	s_cselect_b32 s2, s11, s2
	s_add_i32 s3, s0, 1
	s_cmp_ge_u32 s2, s1
	s_cselect_b32 s2, s3, s0
	s_add_i32 s21, s10, -1
	s_mul_i32 s0, s2, s1
	v_min_i32_e32 v2, s21, v114
	s_sub_i32 s0, s6, s0
	v_cmp_le_i32_e64 s3, s10, v114
	s_lshl_b32 s11, s0, 7
	v_ashrrev_i32_e32 v3, 31, v2
	v_add_nc_u32_e32 v82, s11, v4
	v_lshlrev_b64 v[2:3], 2, v[2:3]
	v_cmp_le_i32_e32 vcc_lo, s8, v82
	v_add_co_u32 v7, s0, s18, v2
	v_add_co_ci_u32_e64 v8, null, s19, v3, s0
	s_or_b32 s0, s3, vcc_lo
	v_cndmask_b32_e64 v5, 0, 0x7f7fffff, s0
	s_nor_b32 s0, s24, s0
	s_and_saveexec_b32 s1, s0
	s_cbranch_execz .LBB12_9
; %bb.8:
	v_mad_i64_i32 v[5:6], null, v82, s25, 0
	v_lshlrev_b64 v[5:6], 2, v[5:6]
	v_add_co_u32 v5, s0, v7, v5
	v_add_co_ci_u32_e64 v6, null, v8, v6, s0
	flat_load_dword v5, v[5:6]
	s_waitcnt vmcnt(0) lgkmcnt(0)
	v_mul_f32_e32 v5, s23, v5
.LBB12_9:
	s_or_b32 exec_lo, exec_lo, s1
	v_add_nc_u32_e32 v83, 64, v82
	v_cmp_le_i32_e64 s0, s8, v83
	s_or_b32 s1, s3, s0
	v_cndmask_b32_e64 v6, 0, 0x7f7fffff, s1
	s_nor_b32 s1, s24, s1
	s_and_saveexec_b32 s6, s1
	s_cbranch_execz .LBB12_11
; %bb.10:
	v_mad_i64_i32 v[9:10], null, v83, s25, 0
	v_lshlrev_b64 v[9:10], 2, v[9:10]
	v_add_co_u32 v6, s1, v7, v9
	v_add_co_ci_u32_e64 v7, null, v8, v10, s1
	flat_load_dword v6, v[6:7]
	s_waitcnt vmcnt(0) lgkmcnt(0)
	v_mul_f32_e32 v6, s23, v6
.LBB12_11:
	s_or_b32 exec_lo, exec_lo, s6
	s_load_dword s26, s[4:5], 0x38
	s_lshl_b32 s20, s2, 7
	v_add_co_u32 v2, s2, s16, v2
	v_add_nc_u32_e32 v84, s20, v4
	v_add_co_ci_u32_e64 v3, null, s17, v3, s2
	v_cmp_le_i32_e64 s1, s9, v84
	s_or_b32 s2, s3, s1
	v_cndmask_b32_e64 v7, 0, 0x7f7fffff, s2
	s_nor_b32 s2, s24, s2
	s_and_saveexec_b32 s6, s2
	s_cbranch_execz .LBB12_13
; %bb.12:
	s_waitcnt lgkmcnt(0)
	v_mad_i64_i32 v[7:8], null, v84, s26, 0
	v_lshlrev_b64 v[7:8], 2, v[7:8]
	v_add_co_u32 v7, s2, v2, v7
	v_add_co_ci_u32_e64 v8, null, v3, v8, s2
	flat_load_dword v7, v[7:8]
	s_waitcnt vmcnt(0) lgkmcnt(0)
	v_mul_f32_e32 v7, s23, v7
.LBB12_13:
	s_or_b32 exec_lo, exec_lo, s6
	v_add_nc_u32_e32 v85, 64, v84
	v_cmp_le_i32_e64 s2, s9, v85
	s_or_b32 s3, s3, s2
	v_cndmask_b32_e64 v8, 0, 0x7f7fffff, s3
	s_nor_b32 s3, s24, s3
	s_and_saveexec_b32 s6, s3
	s_cbranch_execz .LBB12_15
; %bb.14:
	s_waitcnt lgkmcnt(0)
	v_mad_i64_i32 v[8:9], null, v85, s26, 0
	v_lshlrev_b64 v[8:9], 2, v[8:9]
	v_add_co_u32 v2, s3, v2, v8
	v_add_co_ci_u32_e64 v3, null, v3, v9, s3
	flat_load_dword v2, v[2:3]
	s_waitcnt vmcnt(0) lgkmcnt(0)
	v_mul_f32_e32 v8, s23, v2
.LBB12_15:
	s_or_b32 exec_lo, exec_lo, s6
	v_or_b32_e32 v9, 4, v114
	v_min_i32_e32 v2, s21, v9
	v_cmp_le_i32_e64 s3, s10, v9
	v_ashrrev_i32_e32 v3, 31, v2
	v_lshlrev_b64 v[2:3], 2, v[2:3]
	v_add_co_u32 v9, s6, s18, v2
	v_add_co_ci_u32_e64 v10, null, s19, v3, s6
	s_or_b32 s6, s3, vcc_lo
	v_cndmask_b32_e64 v86, 0, 0x7f7fffff, s6
	s_nor_b32 s6, s24, s6
	s_and_saveexec_b32 s27, s6
	s_cbranch_execz .LBB12_17
; %bb.16:
	v_mad_i64_i32 v[11:12], null, v82, s25, 0
	v_lshlrev_b64 v[11:12], 2, v[11:12]
	v_add_co_u32 v11, s6, v9, v11
	v_add_co_ci_u32_e64 v12, null, v10, v12, s6
	flat_load_dword v11, v[11:12]
	s_waitcnt vmcnt(0) lgkmcnt(0)
	v_mul_f32_e32 v86, s23, v11
.LBB12_17:
	s_or_b32 exec_lo, exec_lo, s27
	s_or_b32 s6, s3, s0
	v_cndmask_b32_e64 v87, 0, 0x7f7fffff, s6
	s_nor_b32 s6, s24, s6
	s_and_saveexec_b32 s27, s6
	s_cbranch_execz .LBB12_19
; %bb.18:
	v_mad_i64_i32 v[11:12], null, v83, s25, 0
	v_lshlrev_b64 v[11:12], 2, v[11:12]
	v_add_co_u32 v9, s6, v9, v11
	v_add_co_ci_u32_e64 v10, null, v10, v12, s6
	flat_load_dword v9, v[9:10]
	s_waitcnt vmcnt(0) lgkmcnt(0)
	v_mul_f32_e32 v87, s23, v9
.LBB12_19:
	s_or_b32 exec_lo, exec_lo, s27
	v_add_co_u32 v2, s6, s16, v2
	v_add_co_ci_u32_e64 v3, null, s17, v3, s6
	s_or_b32 s6, s3, s1
	v_cndmask_b32_e64 v88, 0, 0x7f7fffff, s6
	s_nor_b32 s6, s24, s6
	s_and_saveexec_b32 s27, s6
	s_cbranch_execz .LBB12_21
; %bb.20:
	s_waitcnt lgkmcnt(0)
	v_mad_i64_i32 v[9:10], null, v84, s26, 0
	v_lshlrev_b64 v[9:10], 2, v[9:10]
	v_add_co_u32 v9, s6, v2, v9
	v_add_co_ci_u32_e64 v10, null, v3, v10, s6
	flat_load_dword v9, v[9:10]
	s_waitcnt vmcnt(0) lgkmcnt(0)
	v_mul_f32_e32 v88, s23, v9
.LBB12_21:
	s_or_b32 exec_lo, exec_lo, s27
	s_or_b32 s3, s3, s2
	v_cndmask_b32_e64 v89, 0, 0x7f7fffff, s3
	s_nor_b32 s3, s24, s3
	s_and_saveexec_b32 s6, s3
	s_cbranch_execz .LBB12_23
; %bb.22:
	s_waitcnt lgkmcnt(0)
	v_mad_i64_i32 v[9:10], null, v85, s26, 0
	v_lshlrev_b64 v[9:10], 2, v[9:10]
	v_add_co_u32 v2, s3, v2, v9
	v_add_co_ci_u32_e64 v3, null, v3, v10, s3
	flat_load_dword v2, v[2:3]
	s_waitcnt vmcnt(0) lgkmcnt(0)
	v_mul_f32_e32 v89, s23, v2
.LBB12_23:
	s_or_b32 exec_lo, exec_lo, s6
	v_lshlrev_b32_e32 v2, 4, v4
	v_lshlrev_b32_e32 v118, 4, v0
	;; [unrolled: 1-line block ×3, first 2 shown]
	s_load_dwordx2 s[14:15], s[14:15], 0x0
	s_cmp_lt_i32 s10, 9
	v_lshl_or_b32 v124, v114, 2, v2
	ds_write2st64_b32 v124, v5, v6 offset1:4
	ds_write2st64_b32 v124, v7, v8 offset0:16 offset1:20
	s_waitcnt lgkmcnt(0)
	s_barrier
	buffer_gl0_inv
	ds_read_b128 v[14:17], v118
	ds_read_b128 v[10:13], v118 offset:512
	ds_read_b128 v[6:9], v118 offset:1024
	;; [unrolled: 1-line block ×19, first 2 shown]
	ds_write2st64_b32 v124, v86, v87 offset0:8 offset1:12
	ds_write2st64_b32 v124, v88, v89 offset0:24 offset1:28
	s_waitcnt lgkmcnt(0)
	s_barrier
	buffer_gl0_inv
	v_add_f32_e32 v90, v15, v79
	v_add_f32_e32 v91, v14, v78
	v_min3_f32 v120, v91, v90, 0x7f7fffff
	v_add_f32_e32 v90, v11, v79
	v_add_f32_e32 v91, v10, v78
	v_min3_f32 v121, v91, v90, 0x7f7fffff
	v_add_f32_e32 v90, v7, v79
	v_add_f32_e32 v91, v6, v78
	;; [unrolled: 1-line block ×5, first 2 shown]
	v_min3_f32 v122, v91, v90, 0x7f7fffff
	v_min3_f32 v123, v78, v79, 0x7f7fffff
	v_add_f32_e32 v78, v15, v75
	v_add_f32_e32 v79, v14, v74
	v_min3_f32 v119, v79, v78, 0x7f7fffff
	v_add_f32_e32 v78, v11, v75
	v_add_f32_e32 v79, v10, v74
	v_min3_f32 v117, v79, v78, 0x7f7fffff
	v_add_f32_e32 v78, v7, v75
	v_add_f32_e32 v79, v6, v74
	v_add_f32_e32 v75, v3, v75
	v_add_f32_e32 v74, v2, v74
	v_min3_f32 v115, v79, v78, 0x7f7fffff
	v_min3_f32 v113, v74, v75, 0x7f7fffff
	v_add_f32_e32 v74, v15, v71
	v_add_f32_e32 v75, v14, v70
	v_min3_f32 v112, v75, v74, 0x7f7fffff
	v_add_f32_e32 v74, v11, v71
	v_add_f32_e32 v75, v10, v70
	v_min3_f32 v111, v75, v74, 0x7f7fffff
	v_add_f32_e32 v74, v7, v71
	v_add_f32_e32 v75, v6, v70
	v_add_f32_e32 v71, v3, v71
	v_add_f32_e32 v70, v2, v70
	;; [unrolled: 12-line block ×13, first 2 shown]
	v_add_f32_e32 v6, v6, v18
	v_min3_f32 v34, v31, v30, 0x7f7fffff
	v_min3_f32 v31, v26, v27, 0x7f7fffff
	v_add_f32_e32 v26, v15, v23
	v_add_f32_e32 v27, v14, v22
	;; [unrolled: 1-line block ×4, first 2 shown]
	v_min3_f32 v30, v27, v26, 0x7f7fffff
	v_add_f32_e32 v26, v11, v23
	v_add_f32_e32 v27, v10, v22
	;; [unrolled: 1-line block ×4, first 2 shown]
	v_min3_f32 v14, v14, v15, 0x7f7fffff
	v_add_f32_e32 v11, v11, v19
	v_min3_f32 v27, v27, v26, 0x7f7fffff
	v_add_f32_e32 v26, v7, v23
	v_add_f32_e32 v23, v3, v23
	;; [unrolled: 1-line block ×5, first 2 shown]
	v_min3_f32 v26, v125, v26, 0x7f7fffff
	v_min3_f32 v22, v22, v23, 0x7f7fffff
	;; [unrolled: 1-line block ×4, first 2 shown]
	v_add_f32_e32 v3, v17, v81
	v_add_f32_e32 v7, v16, v80
	v_min3_f32 v10, v10, v11, 0x7f7fffff
	v_min3_f32 v159, v7, v3, v120
	v_add_f32_e32 v3, v13, v81
	v_add_f32_e32 v7, v12, v80
	v_min3_f32 v158, v7, v3, v121
	v_add_f32_e32 v3, v9, v81
	v_add_f32_e32 v7, v8, v80
	;; [unrolled: 3-line block ×59, first 2 shown]
	v_add_f32_e32 v4, v4, v20
	v_min3_f32 v95, v7, v3, v22
	v_add_f32_e32 v3, v17, v21
	v_add_f32_e32 v7, v16, v20
	v_min3_f32 v94, v7, v3, v14
	v_add_f32_e32 v3, v13, v21
	;; [unrolled: 3-line block ×4, first 2 shown]
	v_min3_f32 v102, v4, v3, v2
	s_cbranch_scc1 .LBB12_42
; %bb.24:
	v_mad_i64_i32 v[2:3], null, v82, s25, 0
	v_mad_i64_i32 v[4:5], null, v83, s25, 0
	;; [unrolled: 1-line block ×4, first 2 shown]
	v_lshlrev_b64 v[82:83], 2, v[2:3]
	v_add_nc_u32_e32 v160, 0x1000, v124
	v_lshlrev_b64 v[84:85], 2, v[4:5]
	v_or_b32_e32 v161, 0x1000, v116
	v_lshlrev_b64 v[86:87], 2, v[6:7]
	v_add_nc_u32_e32 v162, 0x800, v124
	v_lshlrev_b64 v[88:89], 2, v[8:9]
	v_add_nc_u32_e32 v163, 0x1800, v124
	v_lshl_add_u32 v164, v0, 4, 0x800
	v_lshl_add_u32 v165, v1, 4, 0x1800
	s_add_i32 s25, s10, -8
	s_mov_b32 s26, 0
	s_branch .LBB12_26
.LBB12_25:                              ;   in Loop: Header=BB12_26 Depth=1
	s_or_b32 exec_lo, exec_lo, s6
	v_add_f32_e32 v168, v15, v79
	v_add_f32_e32 v169, v14, v78
	;; [unrolled: 1-line block ×10, first 2 shown]
	v_min3_f32 v159, v169, v168, v159
	v_min3_f32 v158, v171, v170, v158
	v_min3_f32 v78, v78, v79, v156
	v_add_f32_e32 v156, v10, v74
	v_min3_f32 v79, v175, v174, v155
	v_add_f32_e32 v155, v11, v75
	v_add_f32_e32 v168, v7, v75
	v_add_f32_e32 v169, v6, v74
	v_add_f32_e32 v75, v3, v75
	v_add_f32_e32 v74, v2, v74
	v_add_f32_e32 v170, v15, v71
	v_add_f32_e32 v171, v14, v70
	v_min3_f32 v157, v173, v172, v157
	v_add_f32_e32 v172, v11, v71
	v_add_f32_e32 v173, v10, v70
	v_min3_f32 v154, v156, v155, v154
	v_min3_f32 v74, v74, v75, v152
	v_min3_f32 v75, v171, v170, v151
	v_add_f32_e32 v151, v7, v71
	v_add_f32_e32 v152, v6, v70
	;; [unrolled: 1-line block ×6, first 2 shown]
	v_min3_f32 v153, v169, v168, v153
	v_add_f32_e32 v168, v11, v67
	v_add_f32_e32 v169, v10, v66
	;; [unrolled: 1-line block ×4, first 2 shown]
	v_min3_f32 v149, v152, v151, v149
	v_min3_f32 v70, v70, v71, v148
	;; [unrolled: 1-line block ×3, first 2 shown]
	v_add_f32_e32 v67, v3, v67
	v_add_f32_e32 v66, v2, v66
	;; [unrolled: 1-line block ×10, first 2 shown]
	v_min3_f32 v66, v66, v67, v144
	v_min3_f32 v67, v148, v147, v143
	;; [unrolled: 1-line block ×3, first 2 shown]
	v_add_f32_e32 v143, v11, v59
	v_min3_f32 v62, v62, v63, v140
	v_add_f32_e32 v63, v15, v59
	v_add_f32_e32 v140, v14, v58
	;; [unrolled: 1-line block ×9, first 2 shown]
	v_min3_f32 v63, v140, v63, v139
	v_min3_f32 v138, v144, v143, v138
	;; [unrolled: 1-line block ×3, first 2 shown]
	v_add_f32_e32 v136, v10, v54
	v_min3_f32 v59, v152, v151, v135
	v_add_f32_e32 v135, v11, v55
	v_add_f32_e32 v139, v7, v55
	;; [unrolled: 1-line block ×7, first 2 shown]
	v_min3_f32 v137, v148, v147, v137
	v_add_f32_e32 v147, v11, v47
	v_add_f32_e32 v148, v10, v46
	v_min3_f32 v134, v136, v135, v134
	v_min3_f32 v54, v54, v55, v132
	;; [unrolled: 1-line block ×3, first 2 shown]
	v_add_f32_e32 v131, v7, v47
	v_add_f32_e32 v132, v6, v46
	;; [unrolled: 1-line block ×6, first 2 shown]
	v_min3_f32 v133, v140, v139, v133
	v_add_f32_e32 v139, v11, v51
	v_add_f32_e32 v140, v10, v50
	;; [unrolled: 1-line block ×4, first 2 shown]
	v_min3_f32 v129, v132, v131, v129
	v_min3_f32 v46, v46, v47, v128
	;; [unrolled: 1-line block ×3, first 2 shown]
	v_add_f32_e32 v51, v3, v51
	v_add_f32_e32 v50, v2, v50
	;; [unrolled: 1-line block ×10, first 2 shown]
	v_min3_f32 v50, v50, v51, v123
	v_min3_f32 v51, v128, v127, v122
	;; [unrolled: 1-line block ×3, first 2 shown]
	v_add_f32_e32 v122, v11, v39
	v_min3_f32 v42, v42, v43, v119
	v_add_f32_e32 v43, v15, v39
	v_add_f32_e32 v119, v14, v38
	;; [unrolled: 1-line block ×9, first 2 shown]
	v_min3_f32 v43, v119, v43, v117
	v_min3_f32 v115, v123, v122, v115
	;; [unrolled: 1-line block ×3, first 2 shown]
	v_add_f32_e32 v112, v10, v34
	v_min3_f32 v39, v132, v131, v111
	v_add_f32_e32 v111, v11, v35
	v_add_f32_e32 v117, v7, v35
	;; [unrolled: 1-line block ×7, first 2 shown]
	v_min3_f32 v113, v128, v127, v113
	v_add_f32_e32 v127, v11, v31
	v_add_f32_e32 v128, v10, v30
	v_min3_f32 v110, v112, v111, v110
	v_min3_f32 v34, v34, v35, v108
	;; [unrolled: 1-line block ×3, first 2 shown]
	v_add_f32_e32 v107, v7, v31
	v_add_f32_e32 v108, v6, v30
	v_add_f32_e32 v31, v3, v31
	v_add_f32_e32 v30, v2, v30
	v_add_f32_e32 v111, v15, v27
	v_add_f32_e32 v112, v14, v26
	v_min3_f32 v109, v119, v117, v109
	v_add_f32_e32 v117, v11, v27
	v_add_f32_e32 v119, v10, v26
	;; [unrolled: 1-line block ×4, first 2 shown]
	v_min3_f32 v105, v108, v107, v105
	v_min3_f32 v30, v30, v31, v104
	;; [unrolled: 1-line block ×3, first 2 shown]
	v_add_f32_e32 v27, v3, v27
	v_add_f32_e32 v26, v2, v26
	;; [unrolled: 1-line block ×20, first 2 shown]
	v_min3_f32 v22, v22, v23, v95
	v_min3_f32 v14, v14, v15, v94
	;; [unrolled: 1-line block ×6, first 2 shown]
	v_add_f32_e32 v2, v13, v81
	v_add_f32_e32 v3, v12, v80
	;; [unrolled: 1-line block ×6, first 2 shown]
	v_min3_f32 v26, v26, v27, v99
	v_min3_f32 v27, v104, v103, v98
	v_add_f32_e32 v19, v17, v77
	v_add_f32_e32 v80, v16, v76
	v_min3_f32 v94, v3, v2, v158
	v_min3_f32 v95, v7, v6, v157
	;; [unrolled: 1-line block ×3, first 2 shown]
	v_add_f32_e32 v2, v9, v77
	v_add_f32_e32 v3, v8, v76
	;; [unrolled: 1-line block ×6, first 2 shown]
	v_min3_f32 v150, v173, v172, v150
	v_min3_f32 v146, v169, v168, v146
	v_add_f32_e32 v93, v12, v76
	v_min3_f32 v99, v80, v19, v79
	v_add_f32_e32 v19, v13, v73
	v_add_f32_e32 v76, v12, v72
	v_min3_f32 v102, v3, v2, v153
	v_min3_f32 v103, v7, v6, v74
	;; [unrolled: 1-line block ×3, first 2 shown]
	v_add_f32_e32 v2, v5, v73
	v_add_f32_e32 v3, v4, v72
	;; [unrolled: 1-line block ×6, first 2 shown]
	v_min3_f32 v145, v171, v170, v145
	v_min3_f32 v141, v156, v155, v141
	;; [unrolled: 1-line block ×5, first 2 shown]
	v_add_f32_e32 v78, v8, v72
	v_min3_f32 v107, v76, v19, v150
	v_add_f32_e32 v19, v9, v69
	v_add_f32_e32 v72, v8, v68
	v_min3_f32 v111, v3, v2, v70
	v_min3_f32 v112, v7, v6, v71
	;; [unrolled: 1-line block ×3, first 2 shown]
	v_add_f32_e32 v2, v17, v65
	v_add_f32_e32 v3, v16, v64
	;; [unrolled: 1-line block ×6, first 2 shown]
	v_min3_f32 v106, v128, v127, v106
	v_min3_f32 v100, v123, v122, v100
	v_add_f32_e32 v69, v5, v69
	v_add_f32_e32 v68, v4, v68
	v_min3_f32 v119, v72, v19, v145
	v_add_f32_e32 v19, v5, v65
	v_add_f32_e32 v64, v4, v64
	v_min3_f32 v123, v3, v2, v67
	v_min3_f32 v127, v7, v6, v142
	;; [unrolled: 1-line block ×3, first 2 shown]
	v_add_f32_e32 v2, v13, v61
	v_add_f32_e32 v3, v12, v60
	;; [unrolled: 1-line block ×6, first 2 shown]
	v_min3_f32 v120, v136, v135, v120
	v_min3_f32 v122, v68, v69, v66
	v_add_f32_e32 v66, v16, v60
	v_min3_f32 v131, v64, v19, v62
	v_add_f32_e32 v19, v17, v57
	v_add_f32_e32 v60, v16, v56
	v_min3_f32 v135, v3, v2, v138
	v_min3_f32 v136, v7, v6, v137
	;; [unrolled: 1-line block ×3, first 2 shown]
	v_add_f32_e32 v2, v9, v57
	v_add_f32_e32 v3, v8, v56
	;; [unrolled: 1-line block ×4, first 2 shown]
	v_min3_f32 v130, v148, v147, v130
	v_min3_f32 v126, v140, v139, v126
	v_add_f32_e32 v62, v12, v56
	v_min3_f32 v138, v60, v19, v59
	v_add_f32_e32 v6, v5, v57
	v_add_f32_e32 v7, v4, v56
	;; [unrolled: 1-line block ×4, first 2 shown]
	v_min3_f32 v133, v3, v2, v133
	v_min3_f32 v140, v18, v11, v55
	v_add_f32_e32 v2, v5, v49
	v_add_f32_e32 v3, v4, v48
	;; [unrolled: 1-line block ×4, first 2 shown]
	v_min3_f32 v125, v144, v143, v125
	v_add_f32_e32 v58, v8, v48
	v_min3_f32 v139, v7, v6, v54
	v_min3_f32 v130, v56, v19, v130
	v_add_f32_e32 v6, v17, v53
	v_add_f32_e32 v7, v16, v52
	v_add_f32_e32 v19, v9, v53
	v_add_f32_e32 v48, v8, v52
	v_min3_f32 v141, v3, v2, v46
	v_min3_f32 v126, v18, v11, v126
	v_add_f32_e32 v2, v17, v45
	v_add_f32_e32 v3, v16, v44
	v_add_f32_e32 v11, v9, v45
	;; [unrolled: 6-line block ×4, first 2 shown]
	v_add_f32_e32 v18, v4, v40
	v_add_f32_e32 v46, v16, v40
	v_min3_f32 v121, v7, v6, v121
	v_min3_f32 v145, v44, v19, v42
	v_add_f32_e32 v6, v9, v41
	v_add_f32_e32 v7, v8, v40
	;; [unrolled: 1-line block ×4, first 2 shown]
	v_min3_f32 v115, v3, v2, v115
	v_min3_f32 v147, v18, v11, v38
	v_add_f32_e32 v2, v9, v37
	v_add_f32_e32 v3, v8, v36
	;; [unrolled: 1-line block ×7, first 2 shown]
	v_min3_f32 v113, v7, v6, v113
	v_min3_f32 v148, v40, v19, v39
	v_add_f32_e32 v6, v5, v37
	v_add_f32_e32 v7, v4, v36
	;; [unrolled: 1-line block ×4, first 2 shown]
	v_min3_f32 v109, v3, v2, v109
	v_min3_f32 v150, v18, v11, v35
	v_add_f32_e32 v2, v5, v33
	v_add_f32_e32 v3, v4, v32
	;; [unrolled: 1-line block ×4, first 2 shown]
	v_min3_f32 v108, v78, v77, v149
	v_add_f32_e32 v65, v17, v61
	v_add_f32_e32 v45, v17, v41
	;; [unrolled: 1-line block ×3, first 2 shown]
	v_min3_f32 v149, v7, v6, v34
	v_min3_f32 v106, v36, v19, v106
	v_add_f32_e32 v6, v17, v29
	v_add_f32_e32 v7, v16, v28
	;; [unrolled: 1-line block ×4, first 2 shown]
	v_min3_f32 v151, v3, v2, v30
	v_min3_f32 v101, v18, v11, v101
	v_add_f32_e32 v2, v17, v25
	v_add_f32_e32 v3, v16, v24
	v_add_f32_e32 v11, v9, v25
	v_add_f32_e32 v18, v8, v24
	v_add_f32_e32 v17, v17, v21
	v_add_f32_e32 v16, v16, v20
	v_min3_f32 v152, v7, v6, v31
	v_min3_f32 v100, v32, v19, v100
	v_add_f32_e32 v6, v13, v25
	v_add_f32_e32 v7, v12, v24
	;; [unrolled: 1-line block ×4, first 2 shown]
	v_min3_f32 v96, v18, v11, v96
	v_min3_f32 v156, v16, v17, v14
	v_add_f32_e32 v11, v13, v21
	v_add_f32_e32 v12, v12, v20
	;; [unrolled: 1-line block ×4, first 2 shown]
	v_min3_f32 v93, v93, v81, v154
	v_add_f32_e32 v61, v13, v57
	v_add_f32_e32 v57, v9, v49
	;; [unrolled: 1-line block ×8, first 2 shown]
	v_min3_f32 v154, v3, v2, v27
	v_min3_f32 v97, v7, v6, v97
	;; [unrolled: 1-line block ×3, first 2 shown]
	v_add_f32_e32 v18, v5, v21
	v_add_f32_e32 v19, v4, v20
	ds_read_b128 v[2:5], v118
	ds_read_b128 v[6:9], v161
	v_min3_f32 v157, v12, v11, v10
	ds_read_b128 v[10:13], v118 offset:512
	v_min3_f32 v158, v16, v14, v15
	ds_read_b128 v[14:17], v118 offset:1024
	v_min3_f32 v132, v66, v65, v63
	v_min3_f32 v134, v62, v61, v134
	;; [unrolled: 1-line block ×9, first 2 shown]
	ds_read_b128 v[18:21], v118 offset:1536
	ds_read_b128 v[22:25], v161 offset:128
	;; [unrolled: 1-line block ×16, first 2 shown]
	s_add_i32 s26, s26, 8
	ds_write2st64_b32 v162, v166, v167 offset1:4
	ds_write2st64_b32 v163, v90, v91 offset1:4
	s_cmp_ge_i32 s26, s25
	s_waitcnt lgkmcnt(0)
	v_add_f32_e32 v168, v3, v7
	v_add_f32_e32 v169, v2, v6
	;; [unrolled: 1-line block ×6, first 2 shown]
	v_min3_f32 v92, v169, v168, v92
	v_add_f32_e32 v7, v19, v7
	v_min3_f32 v94, v171, v170, v94
	v_add_f32_e32 v6, v18, v6
	;; [unrolled: 2-line block ×3, first 2 shown]
	v_add_f32_e32 v169, v2, v22
	v_add_f32_e32 v170, v11, v23
	v_add_f32_e32 v171, v10, v22
	v_add_f32_e32 v172, v15, v23
	v_add_f32_e32 v173, v14, v22
	v_add_f32_e32 v23, v19, v23
	v_add_f32_e32 v22, v18, v22
	v_min3_f32 v6, v6, v7, v98
	v_min3_f32 v7, v169, v168, v99
	v_min3_f32 v93, v171, v170, v93
	v_min3_f32 v98, v173, v172, v102
	v_min3_f32 v22, v22, v23, v103
	v_add_f32_e32 v23, v3, v27
	v_add_f32_e32 v99, v2, v26
	v_add_f32_e32 v102, v11, v27
	v_add_f32_e32 v103, v10, v26
	v_add_f32_e32 v168, v15, v27
	v_add_f32_e32 v169, v14, v26
	v_add_f32_e32 v27, v19, v27
	v_add_f32_e32 v26, v18, v26
	v_add_f32_e32 v170, v3, v31
	v_add_f32_e32 v171, v2, v30
	v_min3_f32 v23, v99, v23, v104
	v_min3_f32 v99, v103, v102, v107
	v_min3_f32 v102, v169, v168, v108
	v_min3_f32 v26, v26, v27, v111
	v_min3_f32 v27, v171, v170, v112
	v_add_f32_e32 v103, v11, v31
	v_add_f32_e32 v104, v10, v30
	v_add_f32_e32 v107, v15, v31
	v_add_f32_e32 v108, v14, v30
	v_add_f32_e32 v31, v19, v31
	v_add_f32_e32 v30, v18, v30
	v_add_f32_e32 v111, v3, v35
	v_add_f32_e32 v112, v2, v34
	v_add_f32_e32 v168, v11, v35
	v_add_f32_e32 v169, v10, v34
	v_min3_f32 v103, v104, v103, v117
	v_min3_f32 v104, v108, v107, v119
	v_min3_f32 v30, v30, v31, v122
	v_min3_f32 v31, v112, v111, v123
	v_min3_f32 v107, v169, v168, v127
	v_add_f32_e32 v108, v15, v35
	v_add_f32_e32 v111, v14, v34
	v_add_f32_e32 v35, v19, v35
	v_add_f32_e32 v34, v18, v34
	v_add_f32_e32 v112, v3, v39
	v_add_f32_e32 v117, v2, v38
	v_add_f32_e32 v119, v11, v39
	v_add_f32_e32 v122, v10, v38
	v_add_f32_e32 v123, v15, v39
	v_add_f32_e32 v127, v14, v38
	v_min3_f32 v108, v111, v108, v128
	v_min3_f32 v34, v34, v35, v131
	v_min3_f32 v35, v117, v112, v132
	v_min3_f32 v111, v122, v119, v135
	v_min3_f32 v112, v127, v123, v136
	v_add_f32_e32 v39, v19, v39
	v_add_f32_e32 v38, v18, v38
	v_add_f32_e32 v117, v3, v43
	v_add_f32_e32 v119, v2, v42
	v_add_f32_e32 v122, v11, v43
	v_add_f32_e32 v123, v10, v42
	v_add_f32_e32 v127, v15, v43
	v_add_f32_e32 v128, v14, v42
	v_add_f32_e32 v43, v19, v43
	v_add_f32_e32 v42, v18, v42
	v_min3_f32 v38, v38, v39, v137
	v_min3_f32 v39, v119, v117, v138
	v_min3_f32 v117, v123, v122, v134
	v_min3_f32 v119, v128, v127, v133
	v_min3_f32 v42, v42, v43, v139
	v_add_f32_e32 v43, v3, v47
	v_add_f32_e32 v122, v2, v46
	v_add_f32_e32 v123, v11, v47
	v_add_f32_e32 v127, v10, v46
	v_add_f32_e32 v128, v15, v47
	v_add_f32_e32 v131, v14, v46
	v_add_f32_e32 v47, v19, v47
	v_add_f32_e32 v46, v18, v46
	v_add_f32_e32 v132, v3, v51
	v_add_f32_e32 v133, v2, v50
	v_min3_f32 v43, v122, v43, v140
	v_min3_f32 v122, v127, v123, v130
	v_min3_f32 v123, v131, v128, v129
	v_min3_f32 v46, v46, v47, v141
	v_min3_f32 v47, v133, v132, v142
	v_add_f32_e32 v127, v11, v51
	v_add_f32_e32 v128, v10, v50
	v_add_f32_e32 v129, v15, v51
	v_add_f32_e32 v130, v14, v50
	v_add_f32_e32 v51, v19, v51
	v_add_f32_e32 v50, v18, v50
	v_add_f32_e32 v131, v3, v55
	v_add_f32_e32 v132, v2, v54
	v_add_f32_e32 v133, v11, v55
	v_add_f32_e32 v134, v10, v54
	v_min3_f32 v126, v128, v127, v126
	v_min3_f32 v125, v130, v129, v125
	;; [unrolled: 1-line block ×4, first 2 shown]
	v_add_f32_e32 v127, v15, v55
	v_add_f32_e32 v128, v14, v54
	;; [unrolled: 1-line block ×8, first 2 shown]
	v_min3_f32 v121, v134, v133, v121
	v_add_f32_e32 v133, v15, v59
	v_add_f32_e32 v134, v14, v58
	v_min3_f32 v120, v128, v127, v120
	v_min3_f32 v54, v54, v55, v145
	;; [unrolled: 1-line block ×4, first 2 shown]
	v_add_f32_e32 v59, v19, v59
	v_add_f32_e32 v58, v18, v58
	;; [unrolled: 1-line block ×10, first 2 shown]
	v_min3_f32 v58, v58, v59, v147
	v_min3_f32 v59, v128, v127, v148
	;; [unrolled: 1-line block ×3, first 2 shown]
	v_add_f32_e32 v127, v2, v66
	v_min3_f32 v62, v62, v63, v149
	v_add_f32_e32 v63, v3, v67
	v_add_f32_e32 v128, v11, v67
	;; [unrolled: 1-line block ×3, first 2 shown]
	v_min3_f32 v113, v134, v133, v113
	v_min3_f32 v109, v132, v131, v109
	v_add_f32_e32 v130, v15, v67
	v_add_f32_e32 v131, v14, v66
	v_add_f32_e32 v67, v19, v67
	v_add_f32_e32 v66, v18, v66
	v_add_f32_e32 v132, v3, v71
	v_add_f32_e32 v133, v2, v70
	v_min3_f32 v63, v127, v63, v150
	v_min3_f32 v106, v129, v128, v106
	v_add_f32_e32 v127, v11, v71
	v_add_f32_e32 v128, v10, v70
	v_min3_f32 v105, v131, v130, v105
	v_min3_f32 v66, v66, v67, v151
	;; [unrolled: 1-line block ×3, first 2 shown]
	v_add_f32_e32 v129, v15, v71
	v_add_f32_e32 v130, v14, v70
	;; [unrolled: 1-line block ×6, first 2 shown]
	v_min3_f32 v101, v128, v127, v101
	v_add_f32_e32 v127, v15, v75
	v_add_f32_e32 v128, v14, v74
	;; [unrolled: 1-line block ×12, first 2 shown]
	v_min3_f32 v74, v74, v75, v155
	v_min3_f32 v2, v2, v3, v156
	;; [unrolled: 1-line block ×4, first 2 shown]
	v_add_f32_e32 v11, v19, v79
	v_add_f32_e32 v14, v18, v78
	;; [unrolled: 1-line block ×10, first 2 shown]
	v_min3_f32 v11, v14, v11, v159
	v_min3_f32 v159, v18, v15, v92
	v_add_f32_e32 v14, v12, v24
	v_add_f32_e32 v15, v17, v25
	v_min3_f32 v156, v8, v9, v6
	v_add_f32_e32 v6, v5, v25
	v_add_f32_e32 v8, v4, v24
	;; [unrolled: 1-line block ×4, first 2 shown]
	v_min3_f32 v70, v70, v71, v153
	v_min3_f32 v71, v132, v131, v154
	;; [unrolled: 1-line block ×3, first 2 shown]
	v_add_f32_e32 v19, v21, v25
	v_add_f32_e32 v24, v20, v24
	v_add_f32_e32 v25, v5, v29
	v_add_f32_e32 v75, v4, v28
	v_min3_f32 v155, v8, v6, v7
	v_min3_f32 v154, v14, v9, v93
	v_min3_f32 v153, v18, v15, v98
	v_add_f32_e32 v6, v13, v29
	v_add_f32_e32 v7, v12, v28
	v_add_f32_e32 v8, v17, v29
	v_add_f32_e32 v9, v16, v28
	v_add_f32_e32 v14, v21, v29
	v_add_f32_e32 v15, v20, v28
	v_min3_f32 v152, v24, v19, v22
	v_min3_f32 v151, v75, v25, v23
	v_add_f32_e32 v18, v5, v33
	v_add_f32_e32 v19, v4, v32
	v_add_f32_e32 v22, v13, v33
	v_add_f32_e32 v23, v12, v32
	v_min3_f32 v150, v7, v6, v99
	v_min3_f32 v149, v9, v8, v102
	v_min3_f32 v148, v15, v14, v26
	v_add_f32_e32 v6, v17, v33
	v_add_f32_e32 v7, v16, v32
	v_add_f32_e32 v8, v21, v33
	v_add_f32_e32 v9, v20, v32
	v_add_f32_e32 v14, v5, v37
	v_add_f32_e32 v15, v4, v36
	v_min3_f32 v147, v19, v18, v27
	v_min3_f32 v146, v23, v22, v103
	;; [unrolled: 15-line block ×4, first 2 shown]
	v_min3_f32 v136, v23, v22, v38
	v_add_f32_e32 v18, v21, v45
	v_add_f32_e32 v19, v20, v44
	;; [unrolled: 1-line block ×4, first 2 shown]
	v_min3_f32 v135, v7, v6, v39
	v_min3_f32 v134, v9, v8, v117
	;; [unrolled: 1-line block ×3, first 2 shown]
	v_add_f32_e32 v6, v13, v49
	v_add_f32_e32 v7, v12, v48
	;; [unrolled: 1-line block ×6, first 2 shown]
	v_min3_f32 v100, v130, v129, v100
	v_min3_f32 v96, v128, v127, v96
	;; [unrolled: 1-line block ×4, first 2 shown]
	v_add_f32_e32 v18, v5, v53
	v_add_f32_e32 v19, v4, v52
	v_add_f32_e32 v22, v13, v53
	v_add_f32_e32 v23, v12, v52
	v_min3_f32 v130, v7, v6, v122
	v_min3_f32 v129, v9, v8, v123
	v_min3_f32 v128, v15, v14, v46
	v_add_f32_e32 v6, v17, v53
	v_add_f32_e32 v7, v16, v52
	v_add_f32_e32 v8, v21, v53
	v_add_f32_e32 v9, v20, v52
	v_add_f32_e32 v14, v5, v57
	v_add_f32_e32 v15, v4, v56
	v_min3_f32 v127, v19, v18, v47
	v_min3_f32 v126, v23, v22, v126
	v_add_f32_e32 v18, v13, v57
	v_add_f32_e32 v19, v12, v56
	v_add_f32_e32 v22, v17, v57
	v_add_f32_e32 v23, v16, v56
	v_min3_f32 v125, v7, v6, v125
	v_min3_f32 v123, v9, v8, v50
	v_min3_f32 v122, v15, v14, v51
	v_add_f32_e32 v6, v21, v57
	v_add_f32_e32 v7, v20, v56
	v_add_f32_e32 v8, v5, v61
	v_add_f32_e32 v9, v4, v60
	v_add_f32_e32 v14, v13, v61
	v_add_f32_e32 v15, v12, v60
	v_min3_f32 v121, v19, v18, v121
	v_min3_f32 v120, v23, v22, v120
	;; [unrolled: 15-line block ×5, first 2 shown]
	v_add_f32_e32 v18, v13, v77
	v_add_f32_e32 v19, v12, v76
	;; [unrolled: 1-line block ×4, first 2 shown]
	v_min3_f32 v100, v7, v6, v100
	v_min3_f32 v99, v9, v8, v70
	v_min3_f32 v98, v15, v14, v71
	v_add_f32_e32 v6, v21, v77
	v_add_f32_e32 v7, v20, v76
	;; [unrolled: 1-line block ×10, first 2 shown]
	v_min3_f32 v157, v79, v78, v95
	v_min3_f32 v97, v19, v18, v97
	;; [unrolled: 1-line block ×8, first 2 shown]
	s_barrier
	buffer_gl0_inv
	s_cbranch_scc1 .LBB12_42
.LBB12_26:                              ; =>This Inner Loop Header: Depth=1
	v_add_nc_u32_e32 v18, s26, v114
	v_add_nc_u32_e32 v4, 8, v18
	v_min_i32_e32 v2, s21, v4
	v_cmp_le_i32_e64 s3, s10, v4
	v_ashrrev_i32_e32 v3, 31, v2
	v_lshlrev_b64 v[2:3], 2, v[2:3]
	v_add_co_u32 v4, s6, s18, v2
	v_add_co_ci_u32_e64 v5, null, s19, v3, s6
	s_or_b32 s6, vcc_lo, s3
	v_cndmask_b32_e64 v166, 0, 0x7f7fffff, s6
	s_nor_b32 s6, s24, s6
	s_and_saveexec_b32 s27, s6
	s_cbranch_execz .LBB12_28
; %bb.27:                               ;   in Loop: Header=BB12_26 Depth=1
	v_add_co_u32 v6, s6, v4, v82
	v_add_co_ci_u32_e64 v7, null, v5, v83, s6
	flat_load_dword v6, v[6:7]
	s_waitcnt vmcnt(0) lgkmcnt(0)
	v_mul_f32_e32 v166, s23, v6
.LBB12_28:                              ;   in Loop: Header=BB12_26 Depth=1
	s_or_b32 exec_lo, exec_lo, s27
	s_or_b32 s6, s0, s3
	v_cndmask_b32_e64 v167, 0, 0x7f7fffff, s6
	s_nor_b32 s6, s24, s6
	s_and_saveexec_b32 s27, s6
	s_cbranch_execz .LBB12_30
; %bb.29:                               ;   in Loop: Header=BB12_26 Depth=1
	v_add_co_u32 v4, s6, v4, v84
	v_add_co_ci_u32_e64 v5, null, v5, v85, s6
	flat_load_dword v4, v[4:5]
	s_waitcnt vmcnt(0) lgkmcnt(0)
	v_mul_f32_e32 v167, s23, v4
.LBB12_30:                              ;   in Loop: Header=BB12_26 Depth=1
	s_or_b32 exec_lo, exec_lo, s27
	v_add_co_u32 v2, s6, s16, v2
	v_add_co_ci_u32_e64 v3, null, s17, v3, s6
	s_or_b32 s6, s1, s3
	v_cndmask_b32_e64 v168, 0, 0x7f7fffff, s6
	s_nor_b32 s6, s24, s6
	s_and_saveexec_b32 s27, s6
	s_cbranch_execz .LBB12_32
; %bb.31:                               ;   in Loop: Header=BB12_26 Depth=1
	v_add_co_u32 v4, s6, v2, v86
	v_add_co_ci_u32_e64 v5, null, v3, v87, s6
	flat_load_dword v4, v[4:5]
	s_waitcnt vmcnt(0) lgkmcnt(0)
	v_mul_f32_e32 v168, s23, v4
.LBB12_32:                              ;   in Loop: Header=BB12_26 Depth=1
	s_or_b32 exec_lo, exec_lo, s27
	s_or_b32 s3, s2, s3
	v_cndmask_b32_e64 v169, 0, 0x7f7fffff, s3
	s_nor_b32 s3, s24, s3
	s_and_saveexec_b32 s6, s3
	s_cbranch_execz .LBB12_34
; %bb.33:                               ;   in Loop: Header=BB12_26 Depth=1
	v_add_co_u32 v2, s3, v2, v88
	v_add_co_ci_u32_e64 v3, null, v3, v89, s3
	flat_load_dword v2, v[2:3]
	s_waitcnt vmcnt(0) lgkmcnt(0)
	v_mul_f32_e32 v169, s23, v2
.LBB12_34:                              ;   in Loop: Header=BB12_26 Depth=1
	s_or_b32 exec_lo, exec_lo, s6
	ds_read_b128 v[14:17], v164
	ds_read_b128 v[10:13], v164 offset:512
	ds_read_b128 v[6:9], v164 offset:1024
	;; [unrolled: 1-line block ×3, first 2 shown]
	ds_read_b128 v[78:81], v165
	ds_read_b128 v[74:77], v165 offset:128
	ds_read_b128 v[70:73], v165 offset:256
	;; [unrolled: 1-line block ×7, first 2 shown]
	v_add_nc_u32_e32 v170, 12, v18
	ds_read_b128 v[50:53], v165 offset:1024
	ds_read_b128 v[42:45], v165 offset:1152
	;; [unrolled: 1-line block ×8, first 2 shown]
	ds_write2st64_b32 v124, v166, v167 offset1:4
	ds_write2st64_b32 v160, v168, v169 offset1:4
	s_waitcnt lgkmcnt(0)
	v_min_i32_e32 v90, s21, v170
	v_cmp_le_i32_e64 s3, s10, v170
	s_barrier
	buffer_gl0_inv
	v_ashrrev_i32_e32 v91, 31, v90
	s_or_b32 s27, vcc_lo, s3
	v_cndmask_b32_e64 v166, 0, 0x7f7fffff, s27
	v_lshlrev_b64 v[90:91], 2, v[90:91]
	v_add_co_u32 v168, s6, s18, v90
	v_add_co_ci_u32_e64 v169, null, s19, v91, s6
	s_nor_b32 s6, s24, s27
	s_and_saveexec_b32 s27, s6
	s_cbranch_execz .LBB12_36
; %bb.35:                               ;   in Loop: Header=BB12_26 Depth=1
	v_add_co_u32 v166, s6, v168, v82
	v_add_co_ci_u32_e64 v167, null, v169, v83, s6
	flat_load_dword v166, v[166:167]
	s_waitcnt vmcnt(0) lgkmcnt(0)
	v_mul_f32_e32 v166, s23, v166
.LBB12_36:                              ;   in Loop: Header=BB12_26 Depth=1
	s_or_b32 exec_lo, exec_lo, s27
	s_or_b32 s6, s0, s3
	v_cndmask_b32_e64 v167, 0, 0x7f7fffff, s6
	s_nor_b32 s6, s24, s6
	s_and_saveexec_b32 s27, s6
	s_cbranch_execz .LBB12_38
; %bb.37:                               ;   in Loop: Header=BB12_26 Depth=1
	v_add_co_u32 v167, s6, v168, v84
	v_add_co_ci_u32_e64 v168, null, v169, v85, s6
	flat_load_dword v167, v[167:168]
	s_waitcnt vmcnt(0) lgkmcnt(0)
	v_mul_f32_e32 v167, s23, v167
.LBB12_38:                              ;   in Loop: Header=BB12_26 Depth=1
	s_or_b32 exec_lo, exec_lo, s27
	v_add_co_u32 v168, s6, s16, v90
	v_add_co_ci_u32_e64 v169, null, s17, v91, s6
	s_or_b32 s6, s1, s3
	v_cndmask_b32_e64 v90, 0, 0x7f7fffff, s6
	s_nor_b32 s6, s24, s6
	s_and_saveexec_b32 s27, s6
	s_cbranch_execz .LBB12_40
; %bb.39:                               ;   in Loop: Header=BB12_26 Depth=1
	v_add_co_u32 v90, s6, v168, v86
	v_add_co_ci_u32_e64 v91, null, v169, v87, s6
	flat_load_dword v90, v[90:91]
	s_waitcnt vmcnt(0) lgkmcnt(0)
	v_mul_f32_e32 v90, s23, v90
.LBB12_40:                              ;   in Loop: Header=BB12_26 Depth=1
	s_or_b32 exec_lo, exec_lo, s27
	s_or_b32 s3, s2, s3
	v_cndmask_b32_e64 v91, 0, 0x7f7fffff, s3
	s_nor_b32 s3, s24, s3
	s_and_saveexec_b32 s6, s3
	s_cbranch_execz .LBB12_25
; %bb.41:                               ;   in Loop: Header=BB12_26 Depth=1
	v_add_co_u32 v168, s3, v168, v88
	v_add_co_ci_u32_e64 v169, null, v169, v89, s3
	flat_load_dword v91, v[168:169]
	s_waitcnt vmcnt(0) lgkmcnt(0)
	v_mul_f32_e32 v91, s23, v91
	s_branch .LBB12_25
.LBB12_42:
	s_clause 0x2
	s_load_dwordx2 s[0:1], s[4:5], 0x78
	s_load_dword s6, s[4:5], 0x58
	s_load_dword s5, s[4:5], 0x70
	ds_read_b128 v[18:21], v118 offset:2048
	ds_read_b128 v[14:17], v118 offset:2560
	;; [unrolled: 1-line block ×14, first 2 shown]
	v_add_nc_u32_e32 v89, s20, v1
	ds_read_b128 v[38:41], v116 offset:7424
	ds_read_b128 v[34:37], v116 offset:7552
	;; [unrolled: 1-line block ×6, first 2 shown]
	v_add_nc_u32_e32 v0, s11, v0
	v_cmp_gt_i32_e64 s4, s9, v89
	v_cndmask_b32_e64 v88, 0, 1, s22
	v_ashrrev_i32_e32 v1, 31, v0
	s_waitcnt lgkmcnt(0)
	s_lshl_b64 s[0:1], s[0:1], 2
	v_mad_i64_i32 v[82:83], null, v89, s6, 0
	v_mad_i64_i32 v[84:85], null, v89, s5, 0
	s_add_u32 s10, s14, s0
	s_addc_u32 s11, s15, s1
	v_cmp_gt_i32_e64 s0, s8, v0
	v_lshlrev_b64 v[82:83], 2, v[82:83]
	v_lshlrev_b64 v[84:85], 2, v[84:85]
	s_and_b32 s2, s0, s4
	v_add_co_u32 v114, vcc_lo, s12, v82
	v_add_co_ci_u32_e64 v116, null, s13, v83, vcc_lo
	v_add_co_u32 v90, vcc_lo, s10, v84
	v_add_co_ci_u32_e64 v91, null, s11, v85, vcc_lo
	s_and_saveexec_b32 s1, s2
	s_cbranch_execz .LBB12_47
; %bb.43:
	s_andn2_b32 vcc_lo, exec_lo, s22
	s_cbranch_vccnz .LBB12_45
; %bb.44:
	v_lshlrev_b64 v[82:83], 2, v[0:1]
	v_add_co_u32 v82, vcc_lo, v114, v82
	v_add_co_ci_u32_e64 v83, null, v116, v83, vcc_lo
	flat_load_dword v82, v[82:83]
	s_waitcnt vmcnt(0) lgkmcnt(0)
	v_mul_f32_e32 v82, s7, v82
	s_branch .LBB12_46
.LBB12_45:
	v_mov_b32_e32 v82, 0
.LBB12_46:
	v_add_f32_e32 v83, v19, v79
	v_add_f32_e32 v84, v18, v78
	;; [unrolled: 1-line block ×4, first 2 shown]
	v_min3_f32 v87, v84, v83, v159
	v_lshlrev_b64 v[83:84], 2, v[0:1]
	v_min_f32_e32 v85, v86, v85
	v_min3_f32 v85, v82, v85, v87
	v_add_co_u32 v82, vcc_lo, v90, v83
	v_add_co_ci_u32_e64 v83, null, v91, v84, vcc_lo
	flat_store_dword v[82:83], v85
.LBB12_47:
	s_or_b32 exec_lo, exec_lo, s1
	v_add_nc_u32_e32 v82, 32, v0
	v_cmp_gt_i32_e64 s1, s8, v82
	v_ashrrev_i32_e32 v83, 31, v82
	s_and_b32 s3, s1, s4
	s_and_saveexec_b32 s2, s3
	s_cbranch_execz .LBB12_52
; %bb.48:
	v_cmp_ne_u32_e32 vcc_lo, 1, v88
	s_cbranch_vccnz .LBB12_50
; %bb.49:
	v_lshlrev_b64 v[84:85], 2, v[82:83]
	v_add_co_u32 v84, vcc_lo, v114, v84
	v_add_co_ci_u32_e64 v85, null, v116, v85, vcc_lo
	flat_load_dword v84, v[84:85]
	s_waitcnt vmcnt(0) lgkmcnt(0)
	v_mul_f32_e32 v84, s7, v84
	s_branch .LBB12_51
.LBB12_50:
	v_mov_b32_e32 v84, 0
.LBB12_51:
	v_add_f32_e32 v85, v15, v79
	v_add_f32_e32 v86, v14, v78
	;; [unrolled: 1-line block ×4, first 2 shown]
	v_min3_f32 v124, v86, v85, v158
	v_lshlrev_b64 v[85:86], 2, v[82:83]
	v_min_f32_e32 v87, v118, v87
	v_min3_f32 v87, v84, v87, v124
	v_add_co_u32 v84, vcc_lo, v90, v85
	v_add_co_ci_u32_e64 v85, null, v91, v86, vcc_lo
	flat_store_dword v[84:85], v87
.LBB12_52:
	s_or_b32 exec_lo, exec_lo, s2
	v_add_nc_u32_e32 v84, 64, v0
	v_cmp_gt_i32_e64 s2, s8, v84
	v_ashrrev_i32_e32 v85, 31, v84
	s_and_b32 s14, s2, s4
	s_and_saveexec_b32 s3, s14
	s_cbranch_execz .LBB12_57
; %bb.53:
	v_cmp_ne_u32_e32 vcc_lo, 1, v88
	s_cbranch_vccnz .LBB12_55
; %bb.54:
	v_lshlrev_b64 v[86:87], 2, v[84:85]
	v_add_co_u32 v86, vcc_lo, v114, v86
	v_add_co_ci_u32_e64 v87, null, v116, v87, vcc_lo
	flat_load_dword v86, v[86:87]
	s_waitcnt vmcnt(0) lgkmcnt(0)
	v_mul_f32_e32 v86, s7, v86
	s_branch .LBB12_56
.LBB12_55:
	v_mov_b32_e32 v86, 0
.LBB12_56:
	v_add_f32_e32 v87, v11, v79
	v_add_f32_e32 v118, v10, v78
	v_add_f32_e32 v124, v13, v81
	v_add_f32_e32 v158, v12, v80
	v_min3_f32 v87, v118, v87, v157
	v_min_f32_e32 v118, v158, v124
	v_lshlrev_b64 v[157:158], 2, v[84:85]
	v_min3_f32 v118, v86, v118, v87
	v_add_co_u32 v86, vcc_lo, v90, v157
	v_add_co_ci_u32_e64 v87, null, v91, v158, vcc_lo
	flat_store_dword v[86:87], v118
.LBB12_57:
	s_or_b32 exec_lo, exec_lo, s3
	v_add_nc_u32_e32 v86, 0x60, v0
	v_cmp_gt_i32_e64 s3, s8, v86
	v_ashrrev_i32_e32 v87, 31, v86
	s_and_b32 s8, s3, s4
	s_and_saveexec_b32 s4, s8
	s_cbranch_execz .LBB12_62
; %bb.58:
	v_cmp_ne_u32_e32 vcc_lo, 1, v88
	s_cbranch_vccnz .LBB12_60
; %bb.59:
	v_lshlrev_b64 v[157:158], 2, v[86:87]
	v_add_co_u32 v157, vcc_lo, v114, v157
	v_add_co_ci_u32_e64 v158, null, v116, v158, vcc_lo
	flat_load_dword v114, v[157:158]
	s_waitcnt vmcnt(0) lgkmcnt(0)
	v_mul_f32_e32 v114, s7, v114
	s_branch .LBB12_61
.LBB12_60:
	v_mov_b32_e32 v114, 0
.LBB12_61:
	v_add_f32_e32 v79, v3, v79
	v_add_f32_e32 v78, v2, v78
	;; [unrolled: 1-line block ×4, first 2 shown]
	v_min3_f32 v116, v78, v79, v156
	v_lshlrev_b64 v[78:79], 2, v[86:87]
	v_min_f32_e32 v80, v80, v81
	v_min3_f32 v80, v114, v80, v116
	v_add_co_u32 v78, vcc_lo, v90, v78
	v_add_co_ci_u32_e64 v79, null, v91, v79, vcc_lo
	flat_store_dword v[78:79], v80
.LBB12_62:
	s_or_b32 exec_lo, exec_lo, s4
	v_add_nc_u32_e32 v90, 8, v89
	v_mad_i64_i32 v[78:79], null, v90, s6, 0
	v_mad_i64_i32 v[80:81], null, v90, s5, 0
	v_cmp_gt_i32_e64 s4, s9, v90
	v_lshlrev_b64 v[78:79], 2, v[78:79]
	s_and_b32 s14, s0, s4
	v_lshlrev_b64 v[90:91], 2, v[80:81]
	v_add_co_u32 v80, vcc_lo, s12, v78
	v_add_co_ci_u32_e64 v81, null, s13, v79, vcc_lo
	v_add_co_u32 v78, vcc_lo, s10, v90
	v_add_co_ci_u32_e64 v79, null, s11, v91, vcc_lo
	s_and_saveexec_b32 s8, s14
	s_cbranch_execnz .LBB12_66
; %bb.63:
	s_or_b32 exec_lo, exec_lo, s8
	s_and_b32 s14, s1, s4
	s_and_saveexec_b32 s8, s14
	s_cbranch_execnz .LBB12_70
.LBB12_64:
	s_or_b32 exec_lo, exec_lo, s8
	s_and_b32 s14, s2, s4
	s_and_saveexec_b32 s8, s14
	s_cbranch_execnz .LBB12_74
.LBB12_65:
	s_or_b32 exec_lo, exec_lo, s8
	s_and_b32 s8, s3, s4
	s_and_saveexec_b32 s4, s8
	s_cbranch_execnz .LBB12_78
	s_branch .LBB12_82
.LBB12_66:
	v_cmp_ne_u32_e32 vcc_lo, 1, v88
	s_cbranch_vccnz .LBB12_68
; %bb.67:
	v_lshlrev_b64 v[90:91], 2, v[0:1]
	v_add_co_u32 v90, vcc_lo, v80, v90
	v_add_co_ci_u32_e64 v91, null, v81, v91, vcc_lo
	flat_load_dword v90, v[90:91]
	s_waitcnt vmcnt(0) lgkmcnt(0)
	v_mul_f32_e32 v90, s7, v90
	s_branch .LBB12_69
.LBB12_68:
	v_mov_b32_e32 v90, 0
.LBB12_69:
	v_add_f32_e32 v91, v19, v75
	v_add_f32_e32 v114, v18, v74
	;; [unrolled: 1-line block ×4, first 2 shown]
	v_min3_f32 v91, v114, v91, v155
	v_lshlrev_b64 v[155:156], 2, v[0:1]
	v_min_f32_e32 v114, v118, v116
	v_min3_f32 v114, v90, v114, v91
	v_add_co_u32 v90, vcc_lo, v78, v155
	v_add_co_ci_u32_e64 v91, null, v79, v156, vcc_lo
	flat_store_dword v[90:91], v114
	s_or_b32 exec_lo, exec_lo, s8
	s_and_b32 s14, s1, s4
	s_and_saveexec_b32 s8, s14
	s_cbranch_execz .LBB12_64
.LBB12_70:
	v_cmp_ne_u32_e32 vcc_lo, 1, v88
	s_cbranch_vccnz .LBB12_72
; %bb.71:
	v_lshlrev_b64 v[90:91], 2, v[82:83]
	v_add_co_u32 v90, vcc_lo, v80, v90
	v_add_co_ci_u32_e64 v91, null, v81, v91, vcc_lo
	flat_load_dword v90, v[90:91]
	s_waitcnt vmcnt(0) lgkmcnt(0)
	v_mul_f32_e32 v90, s7, v90
	s_branch .LBB12_73
.LBB12_72:
	v_mov_b32_e32 v90, 0
.LBB12_73:
	v_add_f32_e32 v91, v15, v75
	v_add_f32_e32 v114, v14, v74
	;; [unrolled: 1-line block ×4, first 2 shown]
	v_min3_f32 v91, v114, v91, v154
	v_lshlrev_b64 v[154:155], 2, v[82:83]
	v_min_f32_e32 v114, v118, v116
	v_min3_f32 v114, v90, v114, v91
	v_add_co_u32 v90, vcc_lo, v78, v154
	v_add_co_ci_u32_e64 v91, null, v79, v155, vcc_lo
	flat_store_dword v[90:91], v114
	s_or_b32 exec_lo, exec_lo, s8
	s_and_b32 s14, s2, s4
	s_and_saveexec_b32 s8, s14
	s_cbranch_execz .LBB12_65
.LBB12_74:
	v_cmp_ne_u32_e32 vcc_lo, 1, v88
	s_cbranch_vccnz .LBB12_76
; %bb.75:
	v_lshlrev_b64 v[90:91], 2, v[84:85]
	v_add_co_u32 v90, vcc_lo, v80, v90
	v_add_co_ci_u32_e64 v91, null, v81, v91, vcc_lo
	flat_load_dword v90, v[90:91]
	s_waitcnt vmcnt(0) lgkmcnt(0)
	v_mul_f32_e32 v90, s7, v90
	s_branch .LBB12_77
.LBB12_76:
	v_mov_b32_e32 v90, 0
.LBB12_77:
	v_add_f32_e32 v91, v11, v75
	v_add_f32_e32 v114, v10, v74
	;; [unrolled: 1-line block ×4, first 2 shown]
	v_min3_f32 v91, v114, v91, v153
	v_lshlrev_b64 v[153:154], 2, v[84:85]
	v_min_f32_e32 v114, v118, v116
	v_min3_f32 v114, v90, v114, v91
	v_add_co_u32 v90, vcc_lo, v78, v153
	v_add_co_ci_u32_e64 v91, null, v79, v154, vcc_lo
	flat_store_dword v[90:91], v114
	s_or_b32 exec_lo, exec_lo, s8
	s_and_b32 s8, s3, s4
	s_and_saveexec_b32 s4, s8
	s_cbranch_execz .LBB12_82
.LBB12_78:
	v_cmp_ne_u32_e32 vcc_lo, 1, v88
	s_cbranch_vccnz .LBB12_80
; %bb.79:
	v_lshlrev_b64 v[90:91], 2, v[86:87]
	v_add_co_u32 v80, vcc_lo, v80, v90
	v_add_co_ci_u32_e64 v81, null, v81, v91, vcc_lo
	flat_load_dword v80, v[80:81]
	s_waitcnt vmcnt(0) lgkmcnt(0)
	v_mul_f32_e32 v80, s7, v80
	s_branch .LBB12_81
.LBB12_80:
	v_mov_b32_e32 v80, 0
.LBB12_81:
	v_add_f32_e32 v75, v3, v75
	v_add_f32_e32 v74, v2, v74
	;; [unrolled: 1-line block ×4, first 2 shown]
	v_min3_f32 v81, v74, v75, v152
	v_lshlrev_b64 v[74:75], 2, v[86:87]
	v_min_f32_e32 v76, v76, v77
	v_min3_f32 v76, v80, v76, v81
	v_add_co_u32 v74, vcc_lo, v78, v74
	v_add_co_ci_u32_e64 v75, null, v79, v75, vcc_lo
	flat_store_dword v[74:75], v76
.LBB12_82:
	s_or_b32 exec_lo, exec_lo, s4
	v_add_nc_u32_e32 v78, 16, v89
	v_mad_i64_i32 v[74:75], null, v78, s6, 0
	v_mad_i64_i32 v[76:77], null, v78, s5, 0
	v_cmp_gt_i32_e64 s4, s9, v78
	v_lshlrev_b64 v[74:75], 2, v[74:75]
	s_and_b32 s14, s0, s4
	v_lshlrev_b64 v[78:79], 2, v[76:77]
	v_add_co_u32 v76, vcc_lo, s12, v74
	v_add_co_ci_u32_e64 v77, null, s13, v75, vcc_lo
	v_add_co_u32 v74, vcc_lo, s10, v78
	v_add_co_ci_u32_e64 v75, null, s11, v79, vcc_lo
	s_and_saveexec_b32 s8, s14
	s_cbranch_execnz .LBB12_86
; %bb.83:
	s_or_b32 exec_lo, exec_lo, s8
	s_and_b32 s14, s1, s4
	s_and_saveexec_b32 s8, s14
	s_cbranch_execnz .LBB12_90
.LBB12_84:
	s_or_b32 exec_lo, exec_lo, s8
	s_and_b32 s14, s2, s4
	s_and_saveexec_b32 s8, s14
	s_cbranch_execnz .LBB12_94
.LBB12_85:
	s_or_b32 exec_lo, exec_lo, s8
	s_and_b32 s8, s3, s4
	s_and_saveexec_b32 s4, s8
	s_cbranch_execnz .LBB12_98
	s_branch .LBB12_102
.LBB12_86:
	v_cmp_ne_u32_e32 vcc_lo, 1, v88
	s_cbranch_vccnz .LBB12_88
; %bb.87:
	v_lshlrev_b64 v[78:79], 2, v[0:1]
	v_add_co_u32 v78, vcc_lo, v76, v78
	v_add_co_ci_u32_e64 v79, null, v77, v79, vcc_lo
	flat_load_dword v78, v[78:79]
	s_waitcnt vmcnt(0) lgkmcnt(0)
	v_mul_f32_e32 v78, s7, v78
	s_branch .LBB12_89
.LBB12_88:
	v_mov_b32_e32 v78, 0
.LBB12_89:
	v_add_f32_e32 v79, v19, v71
	v_add_f32_e32 v80, v18, v70
	;; [unrolled: 1-line block ×4, first 2 shown]
	v_min3_f32 v91, v80, v79, v151
	v_lshlrev_b64 v[79:80], 2, v[0:1]
	v_min_f32_e32 v81, v90, v81
	v_min3_f32 v81, v78, v81, v91
	v_add_co_u32 v78, vcc_lo, v74, v79
	v_add_co_ci_u32_e64 v79, null, v75, v80, vcc_lo
	flat_store_dword v[78:79], v81
	s_or_b32 exec_lo, exec_lo, s8
	s_and_b32 s14, s1, s4
	s_and_saveexec_b32 s8, s14
	s_cbranch_execz .LBB12_84
.LBB12_90:
	v_cmp_ne_u32_e32 vcc_lo, 1, v88
	s_cbranch_vccnz .LBB12_92
; %bb.91:
	v_lshlrev_b64 v[78:79], 2, v[82:83]
	v_add_co_u32 v78, vcc_lo, v76, v78
	v_add_co_ci_u32_e64 v79, null, v77, v79, vcc_lo
	flat_load_dword v78, v[78:79]
	s_waitcnt vmcnt(0) lgkmcnt(0)
	v_mul_f32_e32 v78, s7, v78
	s_branch .LBB12_93
.LBB12_92:
	v_mov_b32_e32 v78, 0
.LBB12_93:
	v_add_f32_e32 v79, v15, v71
	v_add_f32_e32 v80, v14, v70
	;; [unrolled: 1-line block ×4, first 2 shown]
	v_min3_f32 v91, v80, v79, v150
	v_lshlrev_b64 v[79:80], 2, v[82:83]
	v_min_f32_e32 v81, v90, v81
	v_min3_f32 v81, v78, v81, v91
	v_add_co_u32 v78, vcc_lo, v74, v79
	v_add_co_ci_u32_e64 v79, null, v75, v80, vcc_lo
	flat_store_dword v[78:79], v81
	s_or_b32 exec_lo, exec_lo, s8
	s_and_b32 s14, s2, s4
	s_and_saveexec_b32 s8, s14
	s_cbranch_execz .LBB12_85
.LBB12_94:
	v_cmp_ne_u32_e32 vcc_lo, 1, v88
	s_cbranch_vccnz .LBB12_96
; %bb.95:
	v_lshlrev_b64 v[78:79], 2, v[84:85]
	v_add_co_u32 v78, vcc_lo, v76, v78
	v_add_co_ci_u32_e64 v79, null, v77, v79, vcc_lo
	flat_load_dword v78, v[78:79]
	s_waitcnt vmcnt(0) lgkmcnt(0)
	v_mul_f32_e32 v78, s7, v78
	s_branch .LBB12_97
.LBB12_96:
	v_mov_b32_e32 v78, 0
.LBB12_97:
	v_add_f32_e32 v79, v11, v71
	v_add_f32_e32 v80, v10, v70
	;; [unrolled: 1-line block ×4, first 2 shown]
	v_min3_f32 v91, v80, v79, v149
	v_lshlrev_b64 v[79:80], 2, v[84:85]
	v_min_f32_e32 v81, v90, v81
	v_min3_f32 v81, v78, v81, v91
	v_add_co_u32 v78, vcc_lo, v74, v79
	v_add_co_ci_u32_e64 v79, null, v75, v80, vcc_lo
	flat_store_dword v[78:79], v81
	s_or_b32 exec_lo, exec_lo, s8
	s_and_b32 s8, s3, s4
	s_and_saveexec_b32 s4, s8
	s_cbranch_execz .LBB12_102
.LBB12_98:
	v_cmp_ne_u32_e32 vcc_lo, 1, v88
	s_cbranch_vccnz .LBB12_100
; %bb.99:
	v_lshlrev_b64 v[78:79], 2, v[86:87]
	v_add_co_u32 v76, vcc_lo, v76, v78
	v_add_co_ci_u32_e64 v77, null, v77, v79, vcc_lo
	flat_load_dword v76, v[76:77]
	s_waitcnt vmcnt(0) lgkmcnt(0)
	v_mul_f32_e32 v76, s7, v76
	s_branch .LBB12_101
.LBB12_100:
	v_mov_b32_e32 v76, 0
.LBB12_101:
	v_add_f32_e32 v71, v3, v71
	v_add_f32_e32 v70, v2, v70
	;; [unrolled: 1-line block ×4, first 2 shown]
	v_min3_f32 v77, v70, v71, v148
	v_lshlrev_b64 v[70:71], 2, v[86:87]
	v_min_f32_e32 v72, v72, v73
	v_min3_f32 v72, v76, v72, v77
	v_add_co_u32 v70, vcc_lo, v74, v70
	v_add_co_ci_u32_e64 v71, null, v75, v71, vcc_lo
	flat_store_dword v[70:71], v72
.LBB12_102:
	s_or_b32 exec_lo, exec_lo, s4
	v_add_nc_u32_e32 v74, 24, v89
	v_mad_i64_i32 v[70:71], null, v74, s6, 0
	v_mad_i64_i32 v[72:73], null, v74, s5, 0
	v_cmp_gt_i32_e64 s4, s9, v74
	v_lshlrev_b64 v[70:71], 2, v[70:71]
	s_and_b32 s14, s0, s4
	v_lshlrev_b64 v[74:75], 2, v[72:73]
	v_add_co_u32 v72, vcc_lo, s12, v70
	v_add_co_ci_u32_e64 v73, null, s13, v71, vcc_lo
	v_add_co_u32 v70, vcc_lo, s10, v74
	v_add_co_ci_u32_e64 v71, null, s11, v75, vcc_lo
	s_and_saveexec_b32 s8, s14
	s_cbranch_execnz .LBB12_106
; %bb.103:
	s_or_b32 exec_lo, exec_lo, s8
	s_and_b32 s14, s1, s4
	s_and_saveexec_b32 s8, s14
	s_cbranch_execnz .LBB12_110
.LBB12_104:
	s_or_b32 exec_lo, exec_lo, s8
	s_and_b32 s14, s2, s4
	s_and_saveexec_b32 s8, s14
	s_cbranch_execnz .LBB12_114
.LBB12_105:
	s_or_b32 exec_lo, exec_lo, s8
	s_and_b32 s8, s3, s4
	s_and_saveexec_b32 s4, s8
	s_cbranch_execnz .LBB12_118
	s_branch .LBB12_122
.LBB12_106:
	v_cmp_ne_u32_e32 vcc_lo, 1, v88
	s_cbranch_vccnz .LBB12_108
; %bb.107:
	v_lshlrev_b64 v[74:75], 2, v[0:1]
	v_add_co_u32 v74, vcc_lo, v72, v74
	v_add_co_ci_u32_e64 v75, null, v73, v75, vcc_lo
	flat_load_dword v74, v[74:75]
	s_waitcnt vmcnt(0) lgkmcnt(0)
	v_mul_f32_e32 v74, s7, v74
	s_branch .LBB12_109
.LBB12_108:
	v_mov_b32_e32 v74, 0
.LBB12_109:
	v_add_f32_e32 v75, v19, v67
	v_add_f32_e32 v76, v18, v66
	;; [unrolled: 1-line block ×4, first 2 shown]
	v_min3_f32 v79, v76, v75, v147
	v_lshlrev_b64 v[75:76], 2, v[0:1]
	v_min_f32_e32 v77, v78, v77
	v_min3_f32 v77, v74, v77, v79
	v_add_co_u32 v74, vcc_lo, v70, v75
	v_add_co_ci_u32_e64 v75, null, v71, v76, vcc_lo
	flat_store_dword v[74:75], v77
	s_or_b32 exec_lo, exec_lo, s8
	s_and_b32 s14, s1, s4
	s_and_saveexec_b32 s8, s14
	s_cbranch_execz .LBB12_104
.LBB12_110:
	v_cmp_ne_u32_e32 vcc_lo, 1, v88
	s_cbranch_vccnz .LBB12_112
; %bb.111:
	v_lshlrev_b64 v[74:75], 2, v[82:83]
	v_add_co_u32 v74, vcc_lo, v72, v74
	v_add_co_ci_u32_e64 v75, null, v73, v75, vcc_lo
	flat_load_dword v74, v[74:75]
	s_waitcnt vmcnt(0) lgkmcnt(0)
	v_mul_f32_e32 v74, s7, v74
	s_branch .LBB12_113
.LBB12_112:
	v_mov_b32_e32 v74, 0
.LBB12_113:
	v_add_f32_e32 v75, v15, v67
	v_add_f32_e32 v76, v14, v66
	;; [unrolled: 1-line block ×4, first 2 shown]
	v_min3_f32 v79, v76, v75, v146
	v_lshlrev_b64 v[75:76], 2, v[82:83]
	v_min_f32_e32 v77, v78, v77
	v_min3_f32 v77, v74, v77, v79
	v_add_co_u32 v74, vcc_lo, v70, v75
	v_add_co_ci_u32_e64 v75, null, v71, v76, vcc_lo
	flat_store_dword v[74:75], v77
	s_or_b32 exec_lo, exec_lo, s8
	s_and_b32 s14, s2, s4
	s_and_saveexec_b32 s8, s14
	s_cbranch_execz .LBB12_105
.LBB12_114:
	v_cmp_ne_u32_e32 vcc_lo, 1, v88
	s_cbranch_vccnz .LBB12_116
; %bb.115:
	v_lshlrev_b64 v[74:75], 2, v[84:85]
	v_add_co_u32 v74, vcc_lo, v72, v74
	v_add_co_ci_u32_e64 v75, null, v73, v75, vcc_lo
	flat_load_dword v74, v[74:75]
	s_waitcnt vmcnt(0) lgkmcnt(0)
	v_mul_f32_e32 v74, s7, v74
	s_branch .LBB12_117
.LBB12_116:
	v_mov_b32_e32 v74, 0
.LBB12_117:
	v_add_f32_e32 v75, v11, v67
	v_add_f32_e32 v76, v10, v66
	;; [unrolled: 1-line block ×4, first 2 shown]
	v_min3_f32 v79, v76, v75, v145
	v_lshlrev_b64 v[75:76], 2, v[84:85]
	v_min_f32_e32 v77, v78, v77
	v_min3_f32 v77, v74, v77, v79
	v_add_co_u32 v74, vcc_lo, v70, v75
	v_add_co_ci_u32_e64 v75, null, v71, v76, vcc_lo
	flat_store_dword v[74:75], v77
	s_or_b32 exec_lo, exec_lo, s8
	s_and_b32 s8, s3, s4
	s_and_saveexec_b32 s4, s8
	s_cbranch_execz .LBB12_122
.LBB12_118:
	v_cmp_ne_u32_e32 vcc_lo, 1, v88
	s_cbranch_vccnz .LBB12_120
; %bb.119:
	v_lshlrev_b64 v[74:75], 2, v[86:87]
	v_add_co_u32 v72, vcc_lo, v72, v74
	v_add_co_ci_u32_e64 v73, null, v73, v75, vcc_lo
	flat_load_dword v72, v[72:73]
	s_waitcnt vmcnt(0) lgkmcnt(0)
	v_mul_f32_e32 v72, s7, v72
	s_branch .LBB12_121
.LBB12_120:
	v_mov_b32_e32 v72, 0
.LBB12_121:
	v_add_f32_e32 v67, v3, v67
	v_add_f32_e32 v66, v2, v66
	;; [unrolled: 1-line block ×4, first 2 shown]
	v_min3_f32 v73, v66, v67, v144
	v_lshlrev_b64 v[66:67], 2, v[86:87]
	v_min_f32_e32 v68, v68, v69
	v_min3_f32 v68, v72, v68, v73
	v_add_co_u32 v66, vcc_lo, v70, v66
	v_add_co_ci_u32_e64 v67, null, v71, v67, vcc_lo
	flat_store_dword v[66:67], v68
.LBB12_122:
	s_or_b32 exec_lo, exec_lo, s4
	v_add_nc_u32_e32 v70, 32, v89
	v_mad_i64_i32 v[66:67], null, v70, s6, 0
	v_mad_i64_i32 v[68:69], null, v70, s5, 0
	v_cmp_gt_i32_e64 s4, s9, v70
	v_lshlrev_b64 v[66:67], 2, v[66:67]
	s_and_b32 s14, s0, s4
	v_lshlrev_b64 v[70:71], 2, v[68:69]
	v_add_co_u32 v68, vcc_lo, s12, v66
	v_add_co_ci_u32_e64 v69, null, s13, v67, vcc_lo
	v_add_co_u32 v66, vcc_lo, s10, v70
	v_add_co_ci_u32_e64 v67, null, s11, v71, vcc_lo
	s_and_saveexec_b32 s8, s14
	s_cbranch_execnz .LBB12_126
; %bb.123:
	s_or_b32 exec_lo, exec_lo, s8
	s_and_b32 s14, s1, s4
	s_and_saveexec_b32 s8, s14
	s_cbranch_execnz .LBB12_130
.LBB12_124:
	s_or_b32 exec_lo, exec_lo, s8
	s_and_b32 s14, s2, s4
	s_and_saveexec_b32 s8, s14
	s_cbranch_execnz .LBB12_134
.LBB12_125:
	s_or_b32 exec_lo, exec_lo, s8
	s_and_b32 s8, s3, s4
	s_and_saveexec_b32 s4, s8
	s_cbranch_execnz .LBB12_138
	s_branch .LBB12_142
.LBB12_126:
	v_cmp_ne_u32_e32 vcc_lo, 1, v88
	s_cbranch_vccnz .LBB12_128
; %bb.127:
	v_lshlrev_b64 v[70:71], 2, v[0:1]
	v_add_co_u32 v70, vcc_lo, v68, v70
	v_add_co_ci_u32_e64 v71, null, v69, v71, vcc_lo
	flat_load_dword v70, v[70:71]
	s_waitcnt vmcnt(0) lgkmcnt(0)
	v_mul_f32_e32 v70, s7, v70
	s_branch .LBB12_129
.LBB12_128:
	v_mov_b32_e32 v70, 0
.LBB12_129:
	v_add_f32_e32 v71, v19, v63
	v_add_f32_e32 v72, v18, v62
	v_add_f32_e32 v73, v21, v65
	v_add_f32_e32 v74, v20, v64
	v_min3_f32 v75, v72, v71, v143
	v_lshlrev_b64 v[71:72], 2, v[0:1]
	v_min_f32_e32 v73, v74, v73
	v_min3_f32 v73, v70, v73, v75
	v_add_co_u32 v70, vcc_lo, v66, v71
	v_add_co_ci_u32_e64 v71, null, v67, v72, vcc_lo
	flat_store_dword v[70:71], v73
	s_or_b32 exec_lo, exec_lo, s8
	s_and_b32 s14, s1, s4
	s_and_saveexec_b32 s8, s14
	s_cbranch_execz .LBB12_124
.LBB12_130:
	v_cmp_ne_u32_e32 vcc_lo, 1, v88
	s_cbranch_vccnz .LBB12_132
; %bb.131:
	v_lshlrev_b64 v[70:71], 2, v[82:83]
	v_add_co_u32 v70, vcc_lo, v68, v70
	v_add_co_ci_u32_e64 v71, null, v69, v71, vcc_lo
	flat_load_dword v70, v[70:71]
	s_waitcnt vmcnt(0) lgkmcnt(0)
	v_mul_f32_e32 v70, s7, v70
	s_branch .LBB12_133
.LBB12_132:
	v_mov_b32_e32 v70, 0
.LBB12_133:
	v_add_f32_e32 v71, v15, v63
	v_add_f32_e32 v72, v14, v62
	v_add_f32_e32 v73, v17, v65
	v_add_f32_e32 v74, v16, v64
	v_min3_f32 v75, v72, v71, v142
	v_lshlrev_b64 v[71:72], 2, v[82:83]
	v_min_f32_e32 v73, v74, v73
	v_min3_f32 v73, v70, v73, v75
	v_add_co_u32 v70, vcc_lo, v66, v71
	v_add_co_ci_u32_e64 v71, null, v67, v72, vcc_lo
	flat_store_dword v[70:71], v73
	s_or_b32 exec_lo, exec_lo, s8
	s_and_b32 s14, s2, s4
	s_and_saveexec_b32 s8, s14
	s_cbranch_execz .LBB12_125
.LBB12_134:
	v_cmp_ne_u32_e32 vcc_lo, 1, v88
	s_cbranch_vccnz .LBB12_136
; %bb.135:
	v_lshlrev_b64 v[70:71], 2, v[84:85]
	v_add_co_u32 v70, vcc_lo, v68, v70
	v_add_co_ci_u32_e64 v71, null, v69, v71, vcc_lo
	flat_load_dword v70, v[70:71]
	s_waitcnt vmcnt(0) lgkmcnt(0)
	v_mul_f32_e32 v70, s7, v70
	s_branch .LBB12_137
.LBB12_136:
	v_mov_b32_e32 v70, 0
.LBB12_137:
	v_add_f32_e32 v71, v11, v63
	v_add_f32_e32 v72, v10, v62
	;; [unrolled: 1-line block ×4, first 2 shown]
	v_min3_f32 v75, v72, v71, v141
	v_lshlrev_b64 v[71:72], 2, v[84:85]
	v_min_f32_e32 v73, v74, v73
	v_min3_f32 v73, v70, v73, v75
	v_add_co_u32 v70, vcc_lo, v66, v71
	v_add_co_ci_u32_e64 v71, null, v67, v72, vcc_lo
	flat_store_dword v[70:71], v73
	s_or_b32 exec_lo, exec_lo, s8
	s_and_b32 s8, s3, s4
	s_and_saveexec_b32 s4, s8
	s_cbranch_execz .LBB12_142
.LBB12_138:
	v_cmp_ne_u32_e32 vcc_lo, 1, v88
	s_cbranch_vccnz .LBB12_140
; %bb.139:
	v_lshlrev_b64 v[70:71], 2, v[86:87]
	v_add_co_u32 v68, vcc_lo, v68, v70
	v_add_co_ci_u32_e64 v69, null, v69, v71, vcc_lo
	flat_load_dword v68, v[68:69]
	s_waitcnt vmcnt(0) lgkmcnt(0)
	v_mul_f32_e32 v68, s7, v68
	s_branch .LBB12_141
.LBB12_140:
	v_mov_b32_e32 v68, 0
.LBB12_141:
	v_add_f32_e32 v63, v3, v63
	v_add_f32_e32 v62, v2, v62
	;; [unrolled: 1-line block ×4, first 2 shown]
	v_min3_f32 v69, v62, v63, v140
	v_lshlrev_b64 v[62:63], 2, v[86:87]
	v_min_f32_e32 v64, v64, v65
	v_min3_f32 v64, v68, v64, v69
	v_add_co_u32 v62, vcc_lo, v66, v62
	v_add_co_ci_u32_e64 v63, null, v67, v63, vcc_lo
	flat_store_dword v[62:63], v64
.LBB12_142:
	s_or_b32 exec_lo, exec_lo, s4
	v_add_nc_u32_e32 v66, 40, v89
	v_mad_i64_i32 v[62:63], null, v66, s6, 0
	v_mad_i64_i32 v[64:65], null, v66, s5, 0
	v_cmp_gt_i32_e64 s4, s9, v66
	v_lshlrev_b64 v[62:63], 2, v[62:63]
	s_and_b32 s14, s0, s4
	v_lshlrev_b64 v[66:67], 2, v[64:65]
	v_add_co_u32 v64, vcc_lo, s12, v62
	v_add_co_ci_u32_e64 v65, null, s13, v63, vcc_lo
	v_add_co_u32 v62, vcc_lo, s10, v66
	v_add_co_ci_u32_e64 v63, null, s11, v67, vcc_lo
	s_and_saveexec_b32 s8, s14
	s_cbranch_execnz .LBB12_146
; %bb.143:
	s_or_b32 exec_lo, exec_lo, s8
	s_and_b32 s14, s1, s4
	s_and_saveexec_b32 s8, s14
	s_cbranch_execnz .LBB12_150
.LBB12_144:
	s_or_b32 exec_lo, exec_lo, s8
	s_and_b32 s14, s2, s4
	s_and_saveexec_b32 s8, s14
	s_cbranch_execnz .LBB12_154
.LBB12_145:
	s_or_b32 exec_lo, exec_lo, s8
	s_and_b32 s8, s3, s4
	s_and_saveexec_b32 s4, s8
	s_cbranch_execnz .LBB12_158
	s_branch .LBB12_162
.LBB12_146:
	v_cmp_ne_u32_e32 vcc_lo, 1, v88
	s_cbranch_vccnz .LBB12_148
; %bb.147:
	v_lshlrev_b64 v[66:67], 2, v[0:1]
	v_add_co_u32 v66, vcc_lo, v64, v66
	v_add_co_ci_u32_e64 v67, null, v65, v67, vcc_lo
	flat_load_dword v66, v[66:67]
	s_waitcnt vmcnt(0) lgkmcnt(0)
	v_mul_f32_e32 v66, s7, v66
	s_branch .LBB12_149
.LBB12_148:
	v_mov_b32_e32 v66, 0
.LBB12_149:
	v_add_f32_e32 v67, v19, v59
	v_add_f32_e32 v68, v18, v58
	;; [unrolled: 1-line block ×4, first 2 shown]
	v_min3_f32 v71, v68, v67, v139
	v_lshlrev_b64 v[67:68], 2, v[0:1]
	v_min_f32_e32 v69, v70, v69
	v_min3_f32 v69, v66, v69, v71
	v_add_co_u32 v66, vcc_lo, v62, v67
	v_add_co_ci_u32_e64 v67, null, v63, v68, vcc_lo
	flat_store_dword v[66:67], v69
	s_or_b32 exec_lo, exec_lo, s8
	s_and_b32 s14, s1, s4
	s_and_saveexec_b32 s8, s14
	s_cbranch_execz .LBB12_144
.LBB12_150:
	v_cmp_ne_u32_e32 vcc_lo, 1, v88
	s_cbranch_vccnz .LBB12_152
; %bb.151:
	v_lshlrev_b64 v[66:67], 2, v[82:83]
	v_add_co_u32 v66, vcc_lo, v64, v66
	v_add_co_ci_u32_e64 v67, null, v65, v67, vcc_lo
	flat_load_dword v66, v[66:67]
	s_waitcnt vmcnt(0) lgkmcnt(0)
	v_mul_f32_e32 v66, s7, v66
	s_branch .LBB12_153
.LBB12_152:
	v_mov_b32_e32 v66, 0
.LBB12_153:
	v_add_f32_e32 v67, v15, v59
	v_add_f32_e32 v68, v14, v58
	;; [unrolled: 1-line block ×4, first 2 shown]
	v_min3_f32 v71, v68, v67, v138
	v_lshlrev_b64 v[67:68], 2, v[82:83]
	v_min_f32_e32 v69, v70, v69
	v_min3_f32 v69, v66, v69, v71
	v_add_co_u32 v66, vcc_lo, v62, v67
	v_add_co_ci_u32_e64 v67, null, v63, v68, vcc_lo
	flat_store_dword v[66:67], v69
	s_or_b32 exec_lo, exec_lo, s8
	s_and_b32 s14, s2, s4
	s_and_saveexec_b32 s8, s14
	s_cbranch_execz .LBB12_145
.LBB12_154:
	v_cmp_ne_u32_e32 vcc_lo, 1, v88
	s_cbranch_vccnz .LBB12_156
; %bb.155:
	v_lshlrev_b64 v[66:67], 2, v[84:85]
	v_add_co_u32 v66, vcc_lo, v64, v66
	v_add_co_ci_u32_e64 v67, null, v65, v67, vcc_lo
	flat_load_dword v66, v[66:67]
	s_waitcnt vmcnt(0) lgkmcnt(0)
	v_mul_f32_e32 v66, s7, v66
	s_branch .LBB12_157
.LBB12_156:
	v_mov_b32_e32 v66, 0
.LBB12_157:
	v_add_f32_e32 v67, v11, v59
	v_add_f32_e32 v68, v10, v58
	;; [unrolled: 1-line block ×4, first 2 shown]
	v_min3_f32 v71, v68, v67, v137
	v_lshlrev_b64 v[67:68], 2, v[84:85]
	v_min_f32_e32 v69, v70, v69
	v_min3_f32 v69, v66, v69, v71
	v_add_co_u32 v66, vcc_lo, v62, v67
	v_add_co_ci_u32_e64 v67, null, v63, v68, vcc_lo
	flat_store_dword v[66:67], v69
	s_or_b32 exec_lo, exec_lo, s8
	s_and_b32 s8, s3, s4
	s_and_saveexec_b32 s4, s8
	s_cbranch_execz .LBB12_162
.LBB12_158:
	v_cmp_ne_u32_e32 vcc_lo, 1, v88
	s_cbranch_vccnz .LBB12_160
; %bb.159:
	v_lshlrev_b64 v[66:67], 2, v[86:87]
	v_add_co_u32 v64, vcc_lo, v64, v66
	v_add_co_ci_u32_e64 v65, null, v65, v67, vcc_lo
	flat_load_dword v64, v[64:65]
	s_waitcnt vmcnt(0) lgkmcnt(0)
	v_mul_f32_e32 v64, s7, v64
	s_branch .LBB12_161
.LBB12_160:
	v_mov_b32_e32 v64, 0
.LBB12_161:
	v_add_f32_e32 v59, v3, v59
	v_add_f32_e32 v58, v2, v58
	;; [unrolled: 1-line block ×4, first 2 shown]
	v_min3_f32 v65, v58, v59, v136
	v_lshlrev_b64 v[58:59], 2, v[86:87]
	v_min_f32_e32 v60, v60, v61
	v_min3_f32 v60, v64, v60, v65
	v_add_co_u32 v58, vcc_lo, v62, v58
	v_add_co_ci_u32_e64 v59, null, v63, v59, vcc_lo
	flat_store_dword v[58:59], v60
.LBB12_162:
	s_or_b32 exec_lo, exec_lo, s4
	v_add_nc_u32_e32 v62, 48, v89
	v_mad_i64_i32 v[58:59], null, v62, s6, 0
	v_mad_i64_i32 v[60:61], null, v62, s5, 0
	v_cmp_gt_i32_e64 s4, s9, v62
	v_lshlrev_b64 v[58:59], 2, v[58:59]
	s_and_b32 s14, s0, s4
	v_lshlrev_b64 v[62:63], 2, v[60:61]
	v_add_co_u32 v60, vcc_lo, s12, v58
	v_add_co_ci_u32_e64 v61, null, s13, v59, vcc_lo
	v_add_co_u32 v58, vcc_lo, s10, v62
	v_add_co_ci_u32_e64 v59, null, s11, v63, vcc_lo
	s_and_saveexec_b32 s8, s14
	s_cbranch_execnz .LBB12_166
; %bb.163:
	s_or_b32 exec_lo, exec_lo, s8
	s_and_b32 s14, s1, s4
	s_and_saveexec_b32 s8, s14
	s_cbranch_execnz .LBB12_170
.LBB12_164:
	s_or_b32 exec_lo, exec_lo, s8
	s_and_b32 s14, s2, s4
	s_and_saveexec_b32 s8, s14
	s_cbranch_execnz .LBB12_174
.LBB12_165:
	s_or_b32 exec_lo, exec_lo, s8
	s_and_b32 s8, s3, s4
	s_and_saveexec_b32 s4, s8
	s_cbranch_execnz .LBB12_178
	s_branch .LBB12_182
.LBB12_166:
	v_cmp_ne_u32_e32 vcc_lo, 1, v88
	s_cbranch_vccnz .LBB12_168
; %bb.167:
	v_lshlrev_b64 v[62:63], 2, v[0:1]
	v_add_co_u32 v62, vcc_lo, v60, v62
	v_add_co_ci_u32_e64 v63, null, v61, v63, vcc_lo
	flat_load_dword v62, v[62:63]
	s_waitcnt vmcnt(0) lgkmcnt(0)
	v_mul_f32_e32 v62, s7, v62
	s_branch .LBB12_169
.LBB12_168:
	v_mov_b32_e32 v62, 0
.LBB12_169:
	v_add_f32_e32 v63, v19, v55
	v_add_f32_e32 v64, v18, v54
	;; [unrolled: 1-line block ×4, first 2 shown]
	v_min3_f32 v67, v64, v63, v135
	v_lshlrev_b64 v[63:64], 2, v[0:1]
	v_min_f32_e32 v65, v66, v65
	v_min3_f32 v65, v62, v65, v67
	v_add_co_u32 v62, vcc_lo, v58, v63
	v_add_co_ci_u32_e64 v63, null, v59, v64, vcc_lo
	flat_store_dword v[62:63], v65
	s_or_b32 exec_lo, exec_lo, s8
	s_and_b32 s14, s1, s4
	s_and_saveexec_b32 s8, s14
	s_cbranch_execz .LBB12_164
.LBB12_170:
	v_cmp_ne_u32_e32 vcc_lo, 1, v88
	s_cbranch_vccnz .LBB12_172
; %bb.171:
	v_lshlrev_b64 v[62:63], 2, v[82:83]
	v_add_co_u32 v62, vcc_lo, v60, v62
	v_add_co_ci_u32_e64 v63, null, v61, v63, vcc_lo
	flat_load_dword v62, v[62:63]
	s_waitcnt vmcnt(0) lgkmcnt(0)
	v_mul_f32_e32 v62, s7, v62
	s_branch .LBB12_173
.LBB12_172:
	v_mov_b32_e32 v62, 0
.LBB12_173:
	v_add_f32_e32 v63, v15, v55
	v_add_f32_e32 v64, v14, v54
	v_add_f32_e32 v65, v17, v57
	v_add_f32_e32 v66, v16, v56
	v_min3_f32 v67, v64, v63, v134
	v_lshlrev_b64 v[63:64], 2, v[82:83]
	v_min_f32_e32 v65, v66, v65
	v_min3_f32 v65, v62, v65, v67
	v_add_co_u32 v62, vcc_lo, v58, v63
	v_add_co_ci_u32_e64 v63, null, v59, v64, vcc_lo
	flat_store_dword v[62:63], v65
	s_or_b32 exec_lo, exec_lo, s8
	s_and_b32 s14, s2, s4
	s_and_saveexec_b32 s8, s14
	s_cbranch_execz .LBB12_165
.LBB12_174:
	v_cmp_ne_u32_e32 vcc_lo, 1, v88
	s_cbranch_vccnz .LBB12_176
; %bb.175:
	v_lshlrev_b64 v[62:63], 2, v[84:85]
	v_add_co_u32 v62, vcc_lo, v60, v62
	v_add_co_ci_u32_e64 v63, null, v61, v63, vcc_lo
	flat_load_dword v62, v[62:63]
	s_waitcnt vmcnt(0) lgkmcnt(0)
	v_mul_f32_e32 v62, s7, v62
	s_branch .LBB12_177
.LBB12_176:
	v_mov_b32_e32 v62, 0
.LBB12_177:
	v_add_f32_e32 v63, v11, v55
	v_add_f32_e32 v64, v10, v54
	;; [unrolled: 1-line block ×4, first 2 shown]
	v_min3_f32 v67, v64, v63, v133
	v_lshlrev_b64 v[63:64], 2, v[84:85]
	v_min_f32_e32 v65, v66, v65
	v_min3_f32 v65, v62, v65, v67
	v_add_co_u32 v62, vcc_lo, v58, v63
	v_add_co_ci_u32_e64 v63, null, v59, v64, vcc_lo
	flat_store_dword v[62:63], v65
	s_or_b32 exec_lo, exec_lo, s8
	s_and_b32 s8, s3, s4
	s_and_saveexec_b32 s4, s8
	s_cbranch_execz .LBB12_182
.LBB12_178:
	v_cmp_ne_u32_e32 vcc_lo, 1, v88
	s_cbranch_vccnz .LBB12_180
; %bb.179:
	v_lshlrev_b64 v[62:63], 2, v[86:87]
	v_add_co_u32 v60, vcc_lo, v60, v62
	v_add_co_ci_u32_e64 v61, null, v61, v63, vcc_lo
	flat_load_dword v60, v[60:61]
	s_waitcnt vmcnt(0) lgkmcnt(0)
	v_mul_f32_e32 v60, s7, v60
	s_branch .LBB12_181
.LBB12_180:
	v_mov_b32_e32 v60, 0
.LBB12_181:
	v_add_f32_e32 v55, v3, v55
	v_add_f32_e32 v54, v2, v54
	;; [unrolled: 1-line block ×4, first 2 shown]
	v_min3_f32 v61, v54, v55, v132
	v_lshlrev_b64 v[54:55], 2, v[86:87]
	v_min_f32_e32 v56, v56, v57
	v_min3_f32 v56, v60, v56, v61
	v_add_co_u32 v54, vcc_lo, v58, v54
	v_add_co_ci_u32_e64 v55, null, v59, v55, vcc_lo
	flat_store_dword v[54:55], v56
.LBB12_182:
	s_or_b32 exec_lo, exec_lo, s4
	v_add_nc_u32_e32 v58, 56, v89
	v_mad_i64_i32 v[54:55], null, v58, s6, 0
	v_mad_i64_i32 v[56:57], null, v58, s5, 0
	v_cmp_gt_i32_e64 s4, s9, v58
	v_lshlrev_b64 v[54:55], 2, v[54:55]
	s_and_b32 s14, s0, s4
	v_lshlrev_b64 v[58:59], 2, v[56:57]
	v_add_co_u32 v56, vcc_lo, s12, v54
	v_add_co_ci_u32_e64 v57, null, s13, v55, vcc_lo
	v_add_co_u32 v54, vcc_lo, s10, v58
	v_add_co_ci_u32_e64 v55, null, s11, v59, vcc_lo
	s_and_saveexec_b32 s8, s14
	s_cbranch_execnz .LBB12_186
; %bb.183:
	s_or_b32 exec_lo, exec_lo, s8
	s_and_b32 s14, s1, s4
	s_and_saveexec_b32 s8, s14
	s_cbranch_execnz .LBB12_190
.LBB12_184:
	s_or_b32 exec_lo, exec_lo, s8
	s_and_b32 s14, s2, s4
	s_and_saveexec_b32 s8, s14
	s_cbranch_execnz .LBB12_194
.LBB12_185:
	s_or_b32 exec_lo, exec_lo, s8
	s_and_b32 s8, s3, s4
	s_and_saveexec_b32 s4, s8
	s_cbranch_execnz .LBB12_198
	s_branch .LBB12_202
.LBB12_186:
	v_cmp_ne_u32_e32 vcc_lo, 1, v88
	s_cbranch_vccnz .LBB12_188
; %bb.187:
	v_lshlrev_b64 v[58:59], 2, v[0:1]
	v_add_co_u32 v58, vcc_lo, v56, v58
	v_add_co_ci_u32_e64 v59, null, v57, v59, vcc_lo
	flat_load_dword v58, v[58:59]
	s_waitcnt vmcnt(0) lgkmcnt(0)
	v_mul_f32_e32 v58, s7, v58
	s_branch .LBB12_189
.LBB12_188:
	v_mov_b32_e32 v58, 0
.LBB12_189:
	v_add_f32_e32 v59, v19, v51
	v_add_f32_e32 v60, v18, v50
	;; [unrolled: 1-line block ×4, first 2 shown]
	v_min3_f32 v63, v60, v59, v131
	v_lshlrev_b64 v[59:60], 2, v[0:1]
	v_min_f32_e32 v61, v62, v61
	v_min3_f32 v61, v58, v61, v63
	v_add_co_u32 v58, vcc_lo, v54, v59
	v_add_co_ci_u32_e64 v59, null, v55, v60, vcc_lo
	flat_store_dword v[58:59], v61
	s_or_b32 exec_lo, exec_lo, s8
	s_and_b32 s14, s1, s4
	s_and_saveexec_b32 s8, s14
	s_cbranch_execz .LBB12_184
.LBB12_190:
	v_cmp_ne_u32_e32 vcc_lo, 1, v88
	s_cbranch_vccnz .LBB12_192
; %bb.191:
	v_lshlrev_b64 v[58:59], 2, v[82:83]
	v_add_co_u32 v58, vcc_lo, v56, v58
	v_add_co_ci_u32_e64 v59, null, v57, v59, vcc_lo
	flat_load_dword v58, v[58:59]
	s_waitcnt vmcnt(0) lgkmcnt(0)
	v_mul_f32_e32 v58, s7, v58
	s_branch .LBB12_193
.LBB12_192:
	v_mov_b32_e32 v58, 0
.LBB12_193:
	v_add_f32_e32 v59, v15, v51
	v_add_f32_e32 v60, v14, v50
	;; [unrolled: 1-line block ×4, first 2 shown]
	v_min3_f32 v63, v60, v59, v130
	v_lshlrev_b64 v[59:60], 2, v[82:83]
	v_min_f32_e32 v61, v62, v61
	v_min3_f32 v61, v58, v61, v63
	v_add_co_u32 v58, vcc_lo, v54, v59
	v_add_co_ci_u32_e64 v59, null, v55, v60, vcc_lo
	flat_store_dword v[58:59], v61
	s_or_b32 exec_lo, exec_lo, s8
	s_and_b32 s14, s2, s4
	s_and_saveexec_b32 s8, s14
	s_cbranch_execz .LBB12_185
.LBB12_194:
	v_cmp_ne_u32_e32 vcc_lo, 1, v88
	s_cbranch_vccnz .LBB12_196
; %bb.195:
	v_lshlrev_b64 v[58:59], 2, v[84:85]
	v_add_co_u32 v58, vcc_lo, v56, v58
	v_add_co_ci_u32_e64 v59, null, v57, v59, vcc_lo
	flat_load_dword v58, v[58:59]
	s_waitcnt vmcnt(0) lgkmcnt(0)
	v_mul_f32_e32 v58, s7, v58
	s_branch .LBB12_197
.LBB12_196:
	v_mov_b32_e32 v58, 0
.LBB12_197:
	v_add_f32_e32 v59, v11, v51
	v_add_f32_e32 v60, v10, v50
	;; [unrolled: 1-line block ×4, first 2 shown]
	v_min3_f32 v63, v60, v59, v129
	v_lshlrev_b64 v[59:60], 2, v[84:85]
	v_min_f32_e32 v61, v62, v61
	v_min3_f32 v61, v58, v61, v63
	v_add_co_u32 v58, vcc_lo, v54, v59
	v_add_co_ci_u32_e64 v59, null, v55, v60, vcc_lo
	flat_store_dword v[58:59], v61
	s_or_b32 exec_lo, exec_lo, s8
	s_and_b32 s8, s3, s4
	s_and_saveexec_b32 s4, s8
	s_cbranch_execz .LBB12_202
.LBB12_198:
	v_cmp_ne_u32_e32 vcc_lo, 1, v88
	s_cbranch_vccnz .LBB12_200
; %bb.199:
	v_lshlrev_b64 v[58:59], 2, v[86:87]
	v_add_co_u32 v56, vcc_lo, v56, v58
	v_add_co_ci_u32_e64 v57, null, v57, v59, vcc_lo
	flat_load_dword v56, v[56:57]
	s_waitcnt vmcnt(0) lgkmcnt(0)
	v_mul_f32_e32 v56, s7, v56
	s_branch .LBB12_201
.LBB12_200:
	v_mov_b32_e32 v56, 0
.LBB12_201:
	v_add_f32_e32 v51, v3, v51
	v_add_f32_e32 v50, v2, v50
	v_add_f32_e32 v53, v5, v53
	v_add_f32_e32 v52, v4, v52
	v_min3_f32 v57, v50, v51, v128
	v_lshlrev_b64 v[50:51], 2, v[86:87]
	v_min_f32_e32 v52, v52, v53
	v_min3_f32 v52, v56, v52, v57
	v_add_co_u32 v50, vcc_lo, v54, v50
	v_add_co_ci_u32_e64 v51, null, v55, v51, vcc_lo
	flat_store_dword v[50:51], v52
.LBB12_202:
	s_or_b32 exec_lo, exec_lo, s4
	v_add_nc_u32_e32 v54, 64, v89
	v_mad_i64_i32 v[50:51], null, v54, s6, 0
	v_mad_i64_i32 v[52:53], null, v54, s5, 0
	v_cmp_gt_i32_e64 s4, s9, v54
	v_lshlrev_b64 v[50:51], 2, v[50:51]
	s_and_b32 s14, s0, s4
	v_lshlrev_b64 v[54:55], 2, v[52:53]
	v_add_co_u32 v52, vcc_lo, s12, v50
	v_add_co_ci_u32_e64 v53, null, s13, v51, vcc_lo
	v_add_co_u32 v50, vcc_lo, s10, v54
	v_add_co_ci_u32_e64 v51, null, s11, v55, vcc_lo
	s_and_saveexec_b32 s8, s14
	s_cbranch_execnz .LBB12_206
; %bb.203:
	s_or_b32 exec_lo, exec_lo, s8
	s_and_b32 s14, s1, s4
	s_and_saveexec_b32 s8, s14
	s_cbranch_execnz .LBB12_210
.LBB12_204:
	s_or_b32 exec_lo, exec_lo, s8
	s_and_b32 s14, s2, s4
	s_and_saveexec_b32 s8, s14
	s_cbranch_execnz .LBB12_214
.LBB12_205:
	s_or_b32 exec_lo, exec_lo, s8
	s_and_b32 s8, s3, s4
	s_and_saveexec_b32 s4, s8
	s_cbranch_execnz .LBB12_218
	s_branch .LBB12_222
.LBB12_206:
	v_cmp_ne_u32_e32 vcc_lo, 1, v88
	s_cbranch_vccnz .LBB12_208
; %bb.207:
	v_lshlrev_b64 v[54:55], 2, v[0:1]
	v_add_co_u32 v54, vcc_lo, v52, v54
	v_add_co_ci_u32_e64 v55, null, v53, v55, vcc_lo
	flat_load_dword v54, v[54:55]
	s_waitcnt vmcnt(0) lgkmcnt(0)
	v_mul_f32_e32 v54, s7, v54
	s_branch .LBB12_209
.LBB12_208:
	v_mov_b32_e32 v54, 0
.LBB12_209:
	v_add_f32_e32 v55, v19, v47
	v_add_f32_e32 v56, v18, v46
	;; [unrolled: 1-line block ×4, first 2 shown]
	v_min3_f32 v59, v56, v55, v127
	v_lshlrev_b64 v[55:56], 2, v[0:1]
	v_min_f32_e32 v57, v58, v57
	v_min3_f32 v57, v54, v57, v59
	v_add_co_u32 v54, vcc_lo, v50, v55
	v_add_co_ci_u32_e64 v55, null, v51, v56, vcc_lo
	flat_store_dword v[54:55], v57
	s_or_b32 exec_lo, exec_lo, s8
	s_and_b32 s14, s1, s4
	s_and_saveexec_b32 s8, s14
	s_cbranch_execz .LBB12_204
.LBB12_210:
	v_cmp_ne_u32_e32 vcc_lo, 1, v88
	s_cbranch_vccnz .LBB12_212
; %bb.211:
	v_lshlrev_b64 v[54:55], 2, v[82:83]
	v_add_co_u32 v54, vcc_lo, v52, v54
	v_add_co_ci_u32_e64 v55, null, v53, v55, vcc_lo
	flat_load_dword v54, v[54:55]
	s_waitcnt vmcnt(0) lgkmcnt(0)
	v_mul_f32_e32 v54, s7, v54
	s_branch .LBB12_213
.LBB12_212:
	v_mov_b32_e32 v54, 0
.LBB12_213:
	v_add_f32_e32 v55, v15, v47
	v_add_f32_e32 v56, v14, v46
	;; [unrolled: 1-line block ×4, first 2 shown]
	v_min3_f32 v59, v56, v55, v126
	v_lshlrev_b64 v[55:56], 2, v[82:83]
	v_min_f32_e32 v57, v58, v57
	v_min3_f32 v57, v54, v57, v59
	v_add_co_u32 v54, vcc_lo, v50, v55
	v_add_co_ci_u32_e64 v55, null, v51, v56, vcc_lo
	flat_store_dword v[54:55], v57
	s_or_b32 exec_lo, exec_lo, s8
	s_and_b32 s14, s2, s4
	s_and_saveexec_b32 s8, s14
	s_cbranch_execz .LBB12_205
.LBB12_214:
	v_cmp_ne_u32_e32 vcc_lo, 1, v88
	s_cbranch_vccnz .LBB12_216
; %bb.215:
	v_lshlrev_b64 v[54:55], 2, v[84:85]
	v_add_co_u32 v54, vcc_lo, v52, v54
	v_add_co_ci_u32_e64 v55, null, v53, v55, vcc_lo
	flat_load_dword v54, v[54:55]
	s_waitcnt vmcnt(0) lgkmcnt(0)
	v_mul_f32_e32 v54, s7, v54
	s_branch .LBB12_217
.LBB12_216:
	v_mov_b32_e32 v54, 0
.LBB12_217:
	v_add_f32_e32 v55, v11, v47
	v_add_f32_e32 v56, v10, v46
	v_add_f32_e32 v57, v13, v49
	v_add_f32_e32 v58, v12, v48
	v_min3_f32 v59, v56, v55, v125
	v_lshlrev_b64 v[55:56], 2, v[84:85]
	v_min_f32_e32 v57, v58, v57
	v_min3_f32 v57, v54, v57, v59
	v_add_co_u32 v54, vcc_lo, v50, v55
	v_add_co_ci_u32_e64 v55, null, v51, v56, vcc_lo
	flat_store_dword v[54:55], v57
	s_or_b32 exec_lo, exec_lo, s8
	s_and_b32 s8, s3, s4
	s_and_saveexec_b32 s4, s8
	s_cbranch_execz .LBB12_222
.LBB12_218:
	v_cmp_ne_u32_e32 vcc_lo, 1, v88
	s_cbranch_vccnz .LBB12_220
; %bb.219:
	v_lshlrev_b64 v[54:55], 2, v[86:87]
	v_add_co_u32 v52, vcc_lo, v52, v54
	v_add_co_ci_u32_e64 v53, null, v53, v55, vcc_lo
	flat_load_dword v52, v[52:53]
	s_waitcnt vmcnt(0) lgkmcnt(0)
	v_mul_f32_e32 v52, s7, v52
	s_branch .LBB12_221
.LBB12_220:
	v_mov_b32_e32 v52, 0
.LBB12_221:
	v_add_f32_e32 v47, v3, v47
	v_add_f32_e32 v46, v2, v46
	;; [unrolled: 1-line block ×4, first 2 shown]
	v_min3_f32 v53, v46, v47, v123
	v_lshlrev_b64 v[46:47], 2, v[86:87]
	v_min_f32_e32 v48, v48, v49
	v_min3_f32 v48, v52, v48, v53
	v_add_co_u32 v46, vcc_lo, v50, v46
	v_add_co_ci_u32_e64 v47, null, v51, v47, vcc_lo
	flat_store_dword v[46:47], v48
.LBB12_222:
	s_or_b32 exec_lo, exec_lo, s4
	v_add_nc_u32_e32 v50, 0x48, v89
	v_mad_i64_i32 v[46:47], null, v50, s6, 0
	v_mad_i64_i32 v[48:49], null, v50, s5, 0
	v_cmp_gt_i32_e64 s4, s9, v50
	v_lshlrev_b64 v[46:47], 2, v[46:47]
	s_and_b32 s14, s0, s4
	v_lshlrev_b64 v[50:51], 2, v[48:49]
	v_add_co_u32 v48, vcc_lo, s12, v46
	v_add_co_ci_u32_e64 v49, null, s13, v47, vcc_lo
	v_add_co_u32 v46, vcc_lo, s10, v50
	v_add_co_ci_u32_e64 v47, null, s11, v51, vcc_lo
	s_and_saveexec_b32 s8, s14
	s_cbranch_execnz .LBB12_226
; %bb.223:
	s_or_b32 exec_lo, exec_lo, s8
	s_and_b32 s14, s1, s4
	s_and_saveexec_b32 s8, s14
	s_cbranch_execnz .LBB12_230
.LBB12_224:
	s_or_b32 exec_lo, exec_lo, s8
	s_and_b32 s14, s2, s4
	s_and_saveexec_b32 s8, s14
	s_cbranch_execnz .LBB12_234
.LBB12_225:
	s_or_b32 exec_lo, exec_lo, s8
	s_and_b32 s8, s3, s4
	s_and_saveexec_b32 s4, s8
	s_cbranch_execnz .LBB12_238
	s_branch .LBB12_242
.LBB12_226:
	v_cmp_ne_u32_e32 vcc_lo, 1, v88
	s_cbranch_vccnz .LBB12_228
; %bb.227:
	v_lshlrev_b64 v[50:51], 2, v[0:1]
	v_add_co_u32 v50, vcc_lo, v48, v50
	v_add_co_ci_u32_e64 v51, null, v49, v51, vcc_lo
	flat_load_dword v50, v[50:51]
	s_waitcnt vmcnt(0) lgkmcnt(0)
	v_mul_f32_e32 v50, s7, v50
	s_branch .LBB12_229
.LBB12_228:
	v_mov_b32_e32 v50, 0
.LBB12_229:
	v_add_f32_e32 v51, v19, v43
	v_add_f32_e32 v52, v18, v42
	;; [unrolled: 1-line block ×4, first 2 shown]
	v_min3_f32 v55, v52, v51, v122
	v_lshlrev_b64 v[51:52], 2, v[0:1]
	v_min_f32_e32 v53, v54, v53
	v_min3_f32 v53, v50, v53, v55
	v_add_co_u32 v50, vcc_lo, v46, v51
	v_add_co_ci_u32_e64 v51, null, v47, v52, vcc_lo
	flat_store_dword v[50:51], v53
	s_or_b32 exec_lo, exec_lo, s8
	s_and_b32 s14, s1, s4
	s_and_saveexec_b32 s8, s14
	s_cbranch_execz .LBB12_224
.LBB12_230:
	v_cmp_ne_u32_e32 vcc_lo, 1, v88
	s_cbranch_vccnz .LBB12_232
; %bb.231:
	v_lshlrev_b64 v[50:51], 2, v[82:83]
	v_add_co_u32 v50, vcc_lo, v48, v50
	v_add_co_ci_u32_e64 v51, null, v49, v51, vcc_lo
	flat_load_dword v50, v[50:51]
	s_waitcnt vmcnt(0) lgkmcnt(0)
	v_mul_f32_e32 v50, s7, v50
	s_branch .LBB12_233
.LBB12_232:
	v_mov_b32_e32 v50, 0
.LBB12_233:
	v_add_f32_e32 v51, v15, v43
	v_add_f32_e32 v52, v14, v42
	;; [unrolled: 1-line block ×4, first 2 shown]
	v_min3_f32 v55, v52, v51, v121
	v_lshlrev_b64 v[51:52], 2, v[82:83]
	v_min_f32_e32 v53, v54, v53
	v_min3_f32 v53, v50, v53, v55
	v_add_co_u32 v50, vcc_lo, v46, v51
	v_add_co_ci_u32_e64 v51, null, v47, v52, vcc_lo
	flat_store_dword v[50:51], v53
	s_or_b32 exec_lo, exec_lo, s8
	s_and_b32 s14, s2, s4
	s_and_saveexec_b32 s8, s14
	s_cbranch_execz .LBB12_225
.LBB12_234:
	v_cmp_ne_u32_e32 vcc_lo, 1, v88
	s_cbranch_vccnz .LBB12_236
; %bb.235:
	v_lshlrev_b64 v[50:51], 2, v[84:85]
	v_add_co_u32 v50, vcc_lo, v48, v50
	v_add_co_ci_u32_e64 v51, null, v49, v51, vcc_lo
	flat_load_dword v50, v[50:51]
	s_waitcnt vmcnt(0) lgkmcnt(0)
	v_mul_f32_e32 v50, s7, v50
	s_branch .LBB12_237
.LBB12_236:
	v_mov_b32_e32 v50, 0
.LBB12_237:
	v_add_f32_e32 v51, v11, v43
	v_add_f32_e32 v52, v10, v42
	;; [unrolled: 1-line block ×4, first 2 shown]
	v_min3_f32 v55, v52, v51, v120
	v_lshlrev_b64 v[51:52], 2, v[84:85]
	v_min_f32_e32 v53, v54, v53
	v_min3_f32 v53, v50, v53, v55
	v_add_co_u32 v50, vcc_lo, v46, v51
	v_add_co_ci_u32_e64 v51, null, v47, v52, vcc_lo
	flat_store_dword v[50:51], v53
	s_or_b32 exec_lo, exec_lo, s8
	s_and_b32 s8, s3, s4
	s_and_saveexec_b32 s4, s8
	s_cbranch_execz .LBB12_242
.LBB12_238:
	v_cmp_ne_u32_e32 vcc_lo, 1, v88
	s_cbranch_vccnz .LBB12_240
; %bb.239:
	v_lshlrev_b64 v[50:51], 2, v[86:87]
	v_add_co_u32 v48, vcc_lo, v48, v50
	v_add_co_ci_u32_e64 v49, null, v49, v51, vcc_lo
	flat_load_dword v48, v[48:49]
	s_waitcnt vmcnt(0) lgkmcnt(0)
	v_mul_f32_e32 v48, s7, v48
	s_branch .LBB12_241
.LBB12_240:
	v_mov_b32_e32 v48, 0
.LBB12_241:
	v_add_f32_e32 v43, v3, v43
	v_add_f32_e32 v42, v2, v42
	;; [unrolled: 1-line block ×4, first 2 shown]
	v_min3_f32 v49, v42, v43, v119
	v_lshlrev_b64 v[42:43], 2, v[86:87]
	v_min_f32_e32 v44, v44, v45
	v_min3_f32 v44, v48, v44, v49
	v_add_co_u32 v42, vcc_lo, v46, v42
	v_add_co_ci_u32_e64 v43, null, v47, v43, vcc_lo
	flat_store_dword v[42:43], v44
.LBB12_242:
	s_or_b32 exec_lo, exec_lo, s4
	v_add_nc_u32_e32 v46, 0x50, v89
	v_mad_i64_i32 v[42:43], null, v46, s6, 0
	v_mad_i64_i32 v[44:45], null, v46, s5, 0
	v_cmp_gt_i32_e64 s4, s9, v46
	v_lshlrev_b64 v[42:43], 2, v[42:43]
	s_and_b32 s14, s0, s4
	v_lshlrev_b64 v[46:47], 2, v[44:45]
	v_add_co_u32 v44, vcc_lo, s12, v42
	v_add_co_ci_u32_e64 v45, null, s13, v43, vcc_lo
	v_add_co_u32 v42, vcc_lo, s10, v46
	v_add_co_ci_u32_e64 v43, null, s11, v47, vcc_lo
	s_and_saveexec_b32 s8, s14
	s_cbranch_execnz .LBB12_246
; %bb.243:
	s_or_b32 exec_lo, exec_lo, s8
	s_and_b32 s14, s1, s4
	s_and_saveexec_b32 s8, s14
	s_cbranch_execnz .LBB12_250
.LBB12_244:
	s_or_b32 exec_lo, exec_lo, s8
	s_and_b32 s14, s2, s4
	s_and_saveexec_b32 s8, s14
	s_cbranch_execnz .LBB12_254
.LBB12_245:
	s_or_b32 exec_lo, exec_lo, s8
	s_and_b32 s8, s3, s4
	s_and_saveexec_b32 s4, s8
	s_cbranch_execnz .LBB12_258
	s_branch .LBB12_262
.LBB12_246:
	v_cmp_ne_u32_e32 vcc_lo, 1, v88
	s_cbranch_vccnz .LBB12_248
; %bb.247:
	v_lshlrev_b64 v[46:47], 2, v[0:1]
	v_add_co_u32 v46, vcc_lo, v44, v46
	v_add_co_ci_u32_e64 v47, null, v45, v47, vcc_lo
	flat_load_dword v46, v[46:47]
	s_waitcnt vmcnt(0) lgkmcnt(0)
	v_mul_f32_e32 v46, s7, v46
	s_branch .LBB12_249
.LBB12_248:
	v_mov_b32_e32 v46, 0
.LBB12_249:
	v_add_f32_e32 v47, v19, v39
	v_add_f32_e32 v48, v18, v38
	;; [unrolled: 1-line block ×4, first 2 shown]
	v_min3_f32 v51, v48, v47, v117
	v_lshlrev_b64 v[47:48], 2, v[0:1]
	v_min_f32_e32 v49, v50, v49
	v_min3_f32 v49, v46, v49, v51
	v_add_co_u32 v46, vcc_lo, v42, v47
	v_add_co_ci_u32_e64 v47, null, v43, v48, vcc_lo
	flat_store_dword v[46:47], v49
	s_or_b32 exec_lo, exec_lo, s8
	s_and_b32 s14, s1, s4
	s_and_saveexec_b32 s8, s14
	s_cbranch_execz .LBB12_244
.LBB12_250:
	v_cmp_ne_u32_e32 vcc_lo, 1, v88
	s_cbranch_vccnz .LBB12_252
; %bb.251:
	v_lshlrev_b64 v[46:47], 2, v[82:83]
	v_add_co_u32 v46, vcc_lo, v44, v46
	v_add_co_ci_u32_e64 v47, null, v45, v47, vcc_lo
	flat_load_dword v46, v[46:47]
	s_waitcnt vmcnt(0) lgkmcnt(0)
	v_mul_f32_e32 v46, s7, v46
	s_branch .LBB12_253
.LBB12_252:
	v_mov_b32_e32 v46, 0
.LBB12_253:
	v_add_f32_e32 v47, v15, v39
	v_add_f32_e32 v48, v14, v38
	v_add_f32_e32 v49, v17, v41
	v_add_f32_e32 v50, v16, v40
	v_min3_f32 v51, v48, v47, v115
	v_lshlrev_b64 v[47:48], 2, v[82:83]
	v_min_f32_e32 v49, v50, v49
	v_min3_f32 v49, v46, v49, v51
	v_add_co_u32 v46, vcc_lo, v42, v47
	v_add_co_ci_u32_e64 v47, null, v43, v48, vcc_lo
	flat_store_dword v[46:47], v49
	s_or_b32 exec_lo, exec_lo, s8
	s_and_b32 s14, s2, s4
	s_and_saveexec_b32 s8, s14
	s_cbranch_execz .LBB12_245
.LBB12_254:
	v_cmp_ne_u32_e32 vcc_lo, 1, v88
	s_cbranch_vccnz .LBB12_256
; %bb.255:
	v_lshlrev_b64 v[46:47], 2, v[84:85]
	v_add_co_u32 v46, vcc_lo, v44, v46
	v_add_co_ci_u32_e64 v47, null, v45, v47, vcc_lo
	flat_load_dword v46, v[46:47]
	s_waitcnt vmcnt(0) lgkmcnt(0)
	v_mul_f32_e32 v46, s7, v46
	s_branch .LBB12_257
.LBB12_256:
	v_mov_b32_e32 v46, 0
.LBB12_257:
	v_add_f32_e32 v47, v11, v39
	v_add_f32_e32 v48, v10, v38
	;; [unrolled: 1-line block ×4, first 2 shown]
	v_min3_f32 v51, v48, v47, v113
	v_lshlrev_b64 v[47:48], 2, v[84:85]
	v_min_f32_e32 v49, v50, v49
	v_min3_f32 v49, v46, v49, v51
	v_add_co_u32 v46, vcc_lo, v42, v47
	v_add_co_ci_u32_e64 v47, null, v43, v48, vcc_lo
	flat_store_dword v[46:47], v49
	s_or_b32 exec_lo, exec_lo, s8
	s_and_b32 s8, s3, s4
	s_and_saveexec_b32 s4, s8
	s_cbranch_execz .LBB12_262
.LBB12_258:
	v_cmp_ne_u32_e32 vcc_lo, 1, v88
	s_cbranch_vccnz .LBB12_260
; %bb.259:
	v_lshlrev_b64 v[46:47], 2, v[86:87]
	v_add_co_u32 v44, vcc_lo, v44, v46
	v_add_co_ci_u32_e64 v45, null, v45, v47, vcc_lo
	flat_load_dword v44, v[44:45]
	s_waitcnt vmcnt(0) lgkmcnt(0)
	v_mul_f32_e32 v44, s7, v44
	s_branch .LBB12_261
.LBB12_260:
	v_mov_b32_e32 v44, 0
.LBB12_261:
	v_add_f32_e32 v39, v3, v39
	v_add_f32_e32 v38, v2, v38
	;; [unrolled: 1-line block ×4, first 2 shown]
	v_min3_f32 v45, v38, v39, v112
	v_lshlrev_b64 v[38:39], 2, v[86:87]
	v_min_f32_e32 v40, v40, v41
	v_min3_f32 v40, v44, v40, v45
	v_add_co_u32 v38, vcc_lo, v42, v38
	v_add_co_ci_u32_e64 v39, null, v43, v39, vcc_lo
	flat_store_dword v[38:39], v40
.LBB12_262:
	s_or_b32 exec_lo, exec_lo, s4
	v_add_nc_u32_e32 v42, 0x58, v89
	v_mad_i64_i32 v[38:39], null, v42, s6, 0
	v_mad_i64_i32 v[40:41], null, v42, s5, 0
	v_cmp_gt_i32_e64 s4, s9, v42
	v_lshlrev_b64 v[38:39], 2, v[38:39]
	s_and_b32 s14, s0, s4
	v_lshlrev_b64 v[42:43], 2, v[40:41]
	v_add_co_u32 v40, vcc_lo, s12, v38
	v_add_co_ci_u32_e64 v41, null, s13, v39, vcc_lo
	v_add_co_u32 v38, vcc_lo, s10, v42
	v_add_co_ci_u32_e64 v39, null, s11, v43, vcc_lo
	s_and_saveexec_b32 s8, s14
	s_cbranch_execnz .LBB12_266
; %bb.263:
	s_or_b32 exec_lo, exec_lo, s8
	s_and_b32 s14, s1, s4
	s_and_saveexec_b32 s8, s14
	s_cbranch_execnz .LBB12_270
.LBB12_264:
	s_or_b32 exec_lo, exec_lo, s8
	s_and_b32 s14, s2, s4
	s_and_saveexec_b32 s8, s14
	s_cbranch_execnz .LBB12_274
.LBB12_265:
	s_or_b32 exec_lo, exec_lo, s8
	s_and_b32 s8, s3, s4
	s_and_saveexec_b32 s4, s8
	s_cbranch_execnz .LBB12_278
	s_branch .LBB12_282
.LBB12_266:
	v_cmp_ne_u32_e32 vcc_lo, 1, v88
	s_cbranch_vccnz .LBB12_268
; %bb.267:
	v_lshlrev_b64 v[42:43], 2, v[0:1]
	v_add_co_u32 v42, vcc_lo, v40, v42
	v_add_co_ci_u32_e64 v43, null, v41, v43, vcc_lo
	flat_load_dword v42, v[42:43]
	s_waitcnt vmcnt(0) lgkmcnt(0)
	v_mul_f32_e32 v42, s7, v42
	s_branch .LBB12_269
.LBB12_268:
	v_mov_b32_e32 v42, 0
.LBB12_269:
	v_add_f32_e32 v43, v19, v35
	v_add_f32_e32 v44, v18, v34
	;; [unrolled: 1-line block ×4, first 2 shown]
	v_min3_f32 v47, v44, v43, v111
	v_lshlrev_b64 v[43:44], 2, v[0:1]
	v_min_f32_e32 v45, v46, v45
	v_min3_f32 v45, v42, v45, v47
	v_add_co_u32 v42, vcc_lo, v38, v43
	v_add_co_ci_u32_e64 v43, null, v39, v44, vcc_lo
	flat_store_dword v[42:43], v45
	s_or_b32 exec_lo, exec_lo, s8
	s_and_b32 s14, s1, s4
	s_and_saveexec_b32 s8, s14
	s_cbranch_execz .LBB12_264
.LBB12_270:
	v_cmp_ne_u32_e32 vcc_lo, 1, v88
	s_cbranch_vccnz .LBB12_272
; %bb.271:
	v_lshlrev_b64 v[42:43], 2, v[82:83]
	v_add_co_u32 v42, vcc_lo, v40, v42
	v_add_co_ci_u32_e64 v43, null, v41, v43, vcc_lo
	flat_load_dword v42, v[42:43]
	s_waitcnt vmcnt(0) lgkmcnt(0)
	v_mul_f32_e32 v42, s7, v42
	s_branch .LBB12_273
.LBB12_272:
	v_mov_b32_e32 v42, 0
.LBB12_273:
	v_add_f32_e32 v43, v15, v35
	v_add_f32_e32 v44, v14, v34
	;; [unrolled: 1-line block ×4, first 2 shown]
	v_min3_f32 v47, v44, v43, v110
	v_lshlrev_b64 v[43:44], 2, v[82:83]
	v_min_f32_e32 v45, v46, v45
	v_min3_f32 v45, v42, v45, v47
	v_add_co_u32 v42, vcc_lo, v38, v43
	v_add_co_ci_u32_e64 v43, null, v39, v44, vcc_lo
	flat_store_dword v[42:43], v45
	s_or_b32 exec_lo, exec_lo, s8
	s_and_b32 s14, s2, s4
	s_and_saveexec_b32 s8, s14
	s_cbranch_execz .LBB12_265
.LBB12_274:
	v_cmp_ne_u32_e32 vcc_lo, 1, v88
	s_cbranch_vccnz .LBB12_276
; %bb.275:
	v_lshlrev_b64 v[42:43], 2, v[84:85]
	v_add_co_u32 v42, vcc_lo, v40, v42
	v_add_co_ci_u32_e64 v43, null, v41, v43, vcc_lo
	flat_load_dword v42, v[42:43]
	s_waitcnt vmcnt(0) lgkmcnt(0)
	v_mul_f32_e32 v42, s7, v42
	s_branch .LBB12_277
.LBB12_276:
	v_mov_b32_e32 v42, 0
.LBB12_277:
	v_add_f32_e32 v43, v11, v35
	v_add_f32_e32 v44, v10, v34
	;; [unrolled: 1-line block ×4, first 2 shown]
	v_min3_f32 v47, v44, v43, v109
	v_lshlrev_b64 v[43:44], 2, v[84:85]
	v_min_f32_e32 v45, v46, v45
	v_min3_f32 v45, v42, v45, v47
	v_add_co_u32 v42, vcc_lo, v38, v43
	v_add_co_ci_u32_e64 v43, null, v39, v44, vcc_lo
	flat_store_dword v[42:43], v45
	s_or_b32 exec_lo, exec_lo, s8
	s_and_b32 s8, s3, s4
	s_and_saveexec_b32 s4, s8
	s_cbranch_execz .LBB12_282
.LBB12_278:
	v_cmp_ne_u32_e32 vcc_lo, 1, v88
	s_cbranch_vccnz .LBB12_280
; %bb.279:
	v_lshlrev_b64 v[42:43], 2, v[86:87]
	v_add_co_u32 v40, vcc_lo, v40, v42
	v_add_co_ci_u32_e64 v41, null, v41, v43, vcc_lo
	flat_load_dword v40, v[40:41]
	s_waitcnt vmcnt(0) lgkmcnt(0)
	v_mul_f32_e32 v40, s7, v40
	s_branch .LBB12_281
.LBB12_280:
	v_mov_b32_e32 v40, 0
.LBB12_281:
	v_add_f32_e32 v35, v3, v35
	v_add_f32_e32 v34, v2, v34
	;; [unrolled: 1-line block ×4, first 2 shown]
	v_min3_f32 v41, v34, v35, v108
	v_lshlrev_b64 v[34:35], 2, v[86:87]
	v_min_f32_e32 v36, v36, v37
	v_min3_f32 v36, v40, v36, v41
	v_add_co_u32 v34, vcc_lo, v38, v34
	v_add_co_ci_u32_e64 v35, null, v39, v35, vcc_lo
	flat_store_dword v[34:35], v36
.LBB12_282:
	s_or_b32 exec_lo, exec_lo, s4
	v_add_nc_u32_e32 v38, 0x60, v89
	v_mad_i64_i32 v[34:35], null, v38, s6, 0
	v_mad_i64_i32 v[36:37], null, v38, s5, 0
	v_cmp_gt_i32_e64 s4, s9, v38
	v_lshlrev_b64 v[34:35], 2, v[34:35]
	s_and_b32 s14, s0, s4
	v_lshlrev_b64 v[38:39], 2, v[36:37]
	v_add_co_u32 v36, vcc_lo, s12, v34
	v_add_co_ci_u32_e64 v37, null, s13, v35, vcc_lo
	v_add_co_u32 v34, vcc_lo, s10, v38
	v_add_co_ci_u32_e64 v35, null, s11, v39, vcc_lo
	s_and_saveexec_b32 s8, s14
	s_cbranch_execnz .LBB12_286
; %bb.283:
	s_or_b32 exec_lo, exec_lo, s8
	s_and_b32 s14, s1, s4
	s_and_saveexec_b32 s8, s14
	s_cbranch_execnz .LBB12_290
.LBB12_284:
	s_or_b32 exec_lo, exec_lo, s8
	s_and_b32 s14, s2, s4
	s_and_saveexec_b32 s8, s14
	s_cbranch_execnz .LBB12_294
.LBB12_285:
	s_or_b32 exec_lo, exec_lo, s8
	s_and_b32 s8, s3, s4
	s_and_saveexec_b32 s4, s8
	s_cbranch_execnz .LBB12_298
	s_branch .LBB12_302
.LBB12_286:
	v_cmp_ne_u32_e32 vcc_lo, 1, v88
	s_cbranch_vccnz .LBB12_288
; %bb.287:
	v_lshlrev_b64 v[38:39], 2, v[0:1]
	v_add_co_u32 v38, vcc_lo, v36, v38
	v_add_co_ci_u32_e64 v39, null, v37, v39, vcc_lo
	flat_load_dword v38, v[38:39]
	s_waitcnt vmcnt(0) lgkmcnt(0)
	v_mul_f32_e32 v38, s7, v38
	s_branch .LBB12_289
.LBB12_288:
	v_mov_b32_e32 v38, 0
.LBB12_289:
	v_add_f32_e32 v39, v19, v31
	v_add_f32_e32 v40, v18, v30
	;; [unrolled: 1-line block ×4, first 2 shown]
	v_min3_f32 v43, v40, v39, v107
	v_lshlrev_b64 v[39:40], 2, v[0:1]
	v_min_f32_e32 v41, v42, v41
	v_min3_f32 v41, v38, v41, v43
	v_add_co_u32 v38, vcc_lo, v34, v39
	v_add_co_ci_u32_e64 v39, null, v35, v40, vcc_lo
	flat_store_dword v[38:39], v41
	s_or_b32 exec_lo, exec_lo, s8
	s_and_b32 s14, s1, s4
	s_and_saveexec_b32 s8, s14
	s_cbranch_execz .LBB12_284
.LBB12_290:
	v_cmp_ne_u32_e32 vcc_lo, 1, v88
	s_cbranch_vccnz .LBB12_292
; %bb.291:
	v_lshlrev_b64 v[38:39], 2, v[82:83]
	v_add_co_u32 v38, vcc_lo, v36, v38
	v_add_co_ci_u32_e64 v39, null, v37, v39, vcc_lo
	flat_load_dword v38, v[38:39]
	s_waitcnt vmcnt(0) lgkmcnt(0)
	v_mul_f32_e32 v38, s7, v38
	s_branch .LBB12_293
.LBB12_292:
	v_mov_b32_e32 v38, 0
.LBB12_293:
	v_add_f32_e32 v39, v15, v31
	v_add_f32_e32 v40, v14, v30
	;; [unrolled: 1-line block ×4, first 2 shown]
	v_min3_f32 v43, v40, v39, v106
	v_lshlrev_b64 v[39:40], 2, v[82:83]
	v_min_f32_e32 v41, v42, v41
	v_min3_f32 v41, v38, v41, v43
	v_add_co_u32 v38, vcc_lo, v34, v39
	v_add_co_ci_u32_e64 v39, null, v35, v40, vcc_lo
	flat_store_dword v[38:39], v41
	s_or_b32 exec_lo, exec_lo, s8
	s_and_b32 s14, s2, s4
	s_and_saveexec_b32 s8, s14
	s_cbranch_execz .LBB12_285
.LBB12_294:
	v_cmp_ne_u32_e32 vcc_lo, 1, v88
	s_cbranch_vccnz .LBB12_296
; %bb.295:
	v_lshlrev_b64 v[38:39], 2, v[84:85]
	v_add_co_u32 v38, vcc_lo, v36, v38
	v_add_co_ci_u32_e64 v39, null, v37, v39, vcc_lo
	flat_load_dword v38, v[38:39]
	s_waitcnt vmcnt(0) lgkmcnt(0)
	v_mul_f32_e32 v38, s7, v38
	s_branch .LBB12_297
.LBB12_296:
	v_mov_b32_e32 v38, 0
.LBB12_297:
	v_add_f32_e32 v39, v11, v31
	v_add_f32_e32 v40, v10, v30
	;; [unrolled: 1-line block ×4, first 2 shown]
	v_min3_f32 v43, v40, v39, v105
	v_lshlrev_b64 v[39:40], 2, v[84:85]
	v_min_f32_e32 v41, v42, v41
	v_min3_f32 v41, v38, v41, v43
	v_add_co_u32 v38, vcc_lo, v34, v39
	v_add_co_ci_u32_e64 v39, null, v35, v40, vcc_lo
	flat_store_dword v[38:39], v41
	s_or_b32 exec_lo, exec_lo, s8
	s_and_b32 s8, s3, s4
	s_and_saveexec_b32 s4, s8
	s_cbranch_execz .LBB12_302
.LBB12_298:
	v_cmp_ne_u32_e32 vcc_lo, 1, v88
	s_cbranch_vccnz .LBB12_300
; %bb.299:
	v_lshlrev_b64 v[38:39], 2, v[86:87]
	v_add_co_u32 v36, vcc_lo, v36, v38
	v_add_co_ci_u32_e64 v37, null, v37, v39, vcc_lo
	flat_load_dword v36, v[36:37]
	s_waitcnt vmcnt(0) lgkmcnt(0)
	v_mul_f32_e32 v36, s7, v36
	s_branch .LBB12_301
.LBB12_300:
	v_mov_b32_e32 v36, 0
.LBB12_301:
	v_add_f32_e32 v31, v3, v31
	v_add_f32_e32 v30, v2, v30
	;; [unrolled: 1-line block ×4, first 2 shown]
	v_min3_f32 v37, v30, v31, v104
	v_lshlrev_b64 v[30:31], 2, v[86:87]
	v_min_f32_e32 v32, v32, v33
	v_min3_f32 v32, v36, v32, v37
	v_add_co_u32 v30, vcc_lo, v34, v30
	v_add_co_ci_u32_e64 v31, null, v35, v31, vcc_lo
	flat_store_dword v[30:31], v32
.LBB12_302:
	s_or_b32 exec_lo, exec_lo, s4
	v_add_nc_u32_e32 v34, 0x68, v89
	v_mad_i64_i32 v[30:31], null, v34, s6, 0
	v_mad_i64_i32 v[32:33], null, v34, s5, 0
	v_cmp_gt_i32_e64 s4, s9, v34
	v_lshlrev_b64 v[30:31], 2, v[30:31]
	s_and_b32 s14, s0, s4
	v_lshlrev_b64 v[34:35], 2, v[32:33]
	v_add_co_u32 v32, vcc_lo, s12, v30
	v_add_co_ci_u32_e64 v33, null, s13, v31, vcc_lo
	v_add_co_u32 v30, vcc_lo, s10, v34
	v_add_co_ci_u32_e64 v31, null, s11, v35, vcc_lo
	s_and_saveexec_b32 s8, s14
	s_cbranch_execnz .LBB12_306
; %bb.303:
	s_or_b32 exec_lo, exec_lo, s8
	s_and_b32 s14, s1, s4
	s_and_saveexec_b32 s8, s14
	s_cbranch_execnz .LBB12_310
.LBB12_304:
	s_or_b32 exec_lo, exec_lo, s8
	s_and_b32 s14, s2, s4
	s_and_saveexec_b32 s8, s14
	s_cbranch_execnz .LBB12_314
.LBB12_305:
	s_or_b32 exec_lo, exec_lo, s8
	s_and_b32 s8, s3, s4
	s_and_saveexec_b32 s4, s8
	s_cbranch_execnz .LBB12_318
	s_branch .LBB12_322
.LBB12_306:
	v_cmp_ne_u32_e32 vcc_lo, 1, v88
	s_cbranch_vccnz .LBB12_308
; %bb.307:
	v_lshlrev_b64 v[34:35], 2, v[0:1]
	v_add_co_u32 v34, vcc_lo, v32, v34
	v_add_co_ci_u32_e64 v35, null, v33, v35, vcc_lo
	flat_load_dword v34, v[34:35]
	s_waitcnt vmcnt(0) lgkmcnt(0)
	v_mul_f32_e32 v34, s7, v34
	s_branch .LBB12_309
.LBB12_308:
	v_mov_b32_e32 v34, 0
.LBB12_309:
	v_add_f32_e32 v35, v19, v27
	v_add_f32_e32 v36, v18, v26
	;; [unrolled: 1-line block ×4, first 2 shown]
	v_min3_f32 v39, v36, v35, v103
	v_lshlrev_b64 v[35:36], 2, v[0:1]
	v_min_f32_e32 v37, v38, v37
	v_min3_f32 v37, v34, v37, v39
	v_add_co_u32 v34, vcc_lo, v30, v35
	v_add_co_ci_u32_e64 v35, null, v31, v36, vcc_lo
	flat_store_dword v[34:35], v37
	s_or_b32 exec_lo, exec_lo, s8
	s_and_b32 s14, s1, s4
	s_and_saveexec_b32 s8, s14
	s_cbranch_execz .LBB12_304
.LBB12_310:
	v_cmp_ne_u32_e32 vcc_lo, 1, v88
	s_cbranch_vccnz .LBB12_312
; %bb.311:
	v_lshlrev_b64 v[34:35], 2, v[82:83]
	v_add_co_u32 v34, vcc_lo, v32, v34
	v_add_co_ci_u32_e64 v35, null, v33, v35, vcc_lo
	flat_load_dword v34, v[34:35]
	s_waitcnt vmcnt(0) lgkmcnt(0)
	v_mul_f32_e32 v34, s7, v34
	s_branch .LBB12_313
.LBB12_312:
	v_mov_b32_e32 v34, 0
.LBB12_313:
	v_add_f32_e32 v35, v15, v27
	v_add_f32_e32 v36, v14, v26
	;; [unrolled: 1-line block ×4, first 2 shown]
	v_min3_f32 v39, v36, v35, v101
	v_lshlrev_b64 v[35:36], 2, v[82:83]
	v_min_f32_e32 v37, v38, v37
	v_min3_f32 v37, v34, v37, v39
	v_add_co_u32 v34, vcc_lo, v30, v35
	v_add_co_ci_u32_e64 v35, null, v31, v36, vcc_lo
	flat_store_dword v[34:35], v37
	s_or_b32 exec_lo, exec_lo, s8
	s_and_b32 s14, s2, s4
	s_and_saveexec_b32 s8, s14
	s_cbranch_execz .LBB12_305
.LBB12_314:
	v_cmp_ne_u32_e32 vcc_lo, 1, v88
	s_cbranch_vccnz .LBB12_316
; %bb.315:
	v_lshlrev_b64 v[34:35], 2, v[84:85]
	v_add_co_u32 v34, vcc_lo, v32, v34
	v_add_co_ci_u32_e64 v35, null, v33, v35, vcc_lo
	flat_load_dword v34, v[34:35]
	s_waitcnt vmcnt(0) lgkmcnt(0)
	v_mul_f32_e32 v34, s7, v34
	s_branch .LBB12_317
.LBB12_316:
	v_mov_b32_e32 v34, 0
.LBB12_317:
	v_add_f32_e32 v35, v11, v27
	v_add_f32_e32 v36, v10, v26
	;; [unrolled: 1-line block ×4, first 2 shown]
	v_min3_f32 v39, v36, v35, v100
	v_lshlrev_b64 v[35:36], 2, v[84:85]
	v_min_f32_e32 v37, v38, v37
	v_min3_f32 v37, v34, v37, v39
	v_add_co_u32 v34, vcc_lo, v30, v35
	v_add_co_ci_u32_e64 v35, null, v31, v36, vcc_lo
	flat_store_dword v[34:35], v37
	s_or_b32 exec_lo, exec_lo, s8
	s_and_b32 s8, s3, s4
	s_and_saveexec_b32 s4, s8
	s_cbranch_execz .LBB12_322
.LBB12_318:
	v_cmp_ne_u32_e32 vcc_lo, 1, v88
	s_cbranch_vccnz .LBB12_320
; %bb.319:
	v_lshlrev_b64 v[34:35], 2, v[86:87]
	v_add_co_u32 v32, vcc_lo, v32, v34
	v_add_co_ci_u32_e64 v33, null, v33, v35, vcc_lo
	flat_load_dword v32, v[32:33]
	s_waitcnt vmcnt(0) lgkmcnt(0)
	v_mul_f32_e32 v32, s7, v32
	s_branch .LBB12_321
.LBB12_320:
	v_mov_b32_e32 v32, 0
.LBB12_321:
	v_add_f32_e32 v27, v3, v27
	v_add_f32_e32 v26, v2, v26
	;; [unrolled: 1-line block ×4, first 2 shown]
	v_min3_f32 v33, v26, v27, v99
	v_lshlrev_b64 v[26:27], 2, v[86:87]
	v_min_f32_e32 v28, v28, v29
	v_min3_f32 v28, v32, v28, v33
	v_add_co_u32 v26, vcc_lo, v30, v26
	v_add_co_ci_u32_e64 v27, null, v31, v27, vcc_lo
	flat_store_dword v[26:27], v28
.LBB12_322:
	s_or_b32 exec_lo, exec_lo, s4
	v_add_nc_u32_e32 v30, 0x70, v89
	v_mad_i64_i32 v[26:27], null, v30, s6, 0
	v_mad_i64_i32 v[28:29], null, v30, s5, 0
	v_cmp_gt_i32_e64 s4, s9, v30
	v_lshlrev_b64 v[26:27], 2, v[26:27]
	s_and_b32 s14, s0, s4
	v_lshlrev_b64 v[30:31], 2, v[28:29]
	v_add_co_u32 v28, vcc_lo, s12, v26
	v_add_co_ci_u32_e64 v29, null, s13, v27, vcc_lo
	v_add_co_u32 v26, vcc_lo, s10, v30
	v_add_co_ci_u32_e64 v27, null, s11, v31, vcc_lo
	s_and_saveexec_b32 s8, s14
	s_cbranch_execnz .LBB12_326
; %bb.323:
	s_or_b32 exec_lo, exec_lo, s8
	s_and_b32 s14, s1, s4
	s_and_saveexec_b32 s8, s14
	s_cbranch_execnz .LBB12_330
.LBB12_324:
	s_or_b32 exec_lo, exec_lo, s8
	s_and_b32 s14, s2, s4
	s_and_saveexec_b32 s8, s14
	s_cbranch_execnz .LBB12_334
.LBB12_325:
	s_or_b32 exec_lo, exec_lo, s8
	s_and_b32 s8, s3, s4
	s_and_saveexec_b32 s4, s8
	s_cbranch_execnz .LBB12_338
	s_branch .LBB12_342
.LBB12_326:
	v_cmp_ne_u32_e32 vcc_lo, 1, v88
	s_cbranch_vccnz .LBB12_328
; %bb.327:
	v_lshlrev_b64 v[30:31], 2, v[0:1]
	v_add_co_u32 v30, vcc_lo, v28, v30
	v_add_co_ci_u32_e64 v31, null, v29, v31, vcc_lo
	flat_load_dword v30, v[30:31]
	s_waitcnt vmcnt(0) lgkmcnt(0)
	v_mul_f32_e32 v30, s7, v30
	s_branch .LBB12_329
.LBB12_328:
	v_mov_b32_e32 v30, 0
.LBB12_329:
	v_add_f32_e32 v31, v19, v23
	v_add_f32_e32 v32, v18, v22
	;; [unrolled: 1-line block ×4, first 2 shown]
	v_min3_f32 v35, v32, v31, v98
	v_lshlrev_b64 v[31:32], 2, v[0:1]
	v_min_f32_e32 v33, v34, v33
	v_min3_f32 v33, v30, v33, v35
	v_add_co_u32 v30, vcc_lo, v26, v31
	v_add_co_ci_u32_e64 v31, null, v27, v32, vcc_lo
	flat_store_dword v[30:31], v33
	s_or_b32 exec_lo, exec_lo, s8
	s_and_b32 s14, s1, s4
	s_and_saveexec_b32 s8, s14
	s_cbranch_execz .LBB12_324
.LBB12_330:
	v_cmp_ne_u32_e32 vcc_lo, 1, v88
	s_cbranch_vccnz .LBB12_332
; %bb.331:
	v_lshlrev_b64 v[30:31], 2, v[82:83]
	v_add_co_u32 v30, vcc_lo, v28, v30
	v_add_co_ci_u32_e64 v31, null, v29, v31, vcc_lo
	flat_load_dword v30, v[30:31]
	s_waitcnt vmcnt(0) lgkmcnt(0)
	v_mul_f32_e32 v30, s7, v30
	s_branch .LBB12_333
.LBB12_332:
	v_mov_b32_e32 v30, 0
.LBB12_333:
	v_add_f32_e32 v31, v15, v23
	v_add_f32_e32 v32, v14, v22
	;; [unrolled: 1-line block ×4, first 2 shown]
	v_min3_f32 v35, v32, v31, v97
	v_lshlrev_b64 v[31:32], 2, v[82:83]
	v_min_f32_e32 v33, v34, v33
	v_min3_f32 v33, v30, v33, v35
	v_add_co_u32 v30, vcc_lo, v26, v31
	v_add_co_ci_u32_e64 v31, null, v27, v32, vcc_lo
	flat_store_dword v[30:31], v33
	s_or_b32 exec_lo, exec_lo, s8
	s_and_b32 s14, s2, s4
	s_and_saveexec_b32 s8, s14
	s_cbranch_execz .LBB12_325
.LBB12_334:
	v_cmp_ne_u32_e32 vcc_lo, 1, v88
	s_cbranch_vccnz .LBB12_336
; %bb.335:
	v_lshlrev_b64 v[30:31], 2, v[84:85]
	v_add_co_u32 v30, vcc_lo, v28, v30
	v_add_co_ci_u32_e64 v31, null, v29, v31, vcc_lo
	flat_load_dword v30, v[30:31]
	s_waitcnt vmcnt(0) lgkmcnt(0)
	v_mul_f32_e32 v30, s7, v30
	s_branch .LBB12_337
.LBB12_336:
	v_mov_b32_e32 v30, 0
.LBB12_337:
	v_add_f32_e32 v31, v11, v23
	v_add_f32_e32 v32, v10, v22
	;; [unrolled: 1-line block ×4, first 2 shown]
	v_min3_f32 v35, v32, v31, v96
	v_lshlrev_b64 v[31:32], 2, v[84:85]
	v_min_f32_e32 v33, v34, v33
	v_min3_f32 v33, v30, v33, v35
	v_add_co_u32 v30, vcc_lo, v26, v31
	v_add_co_ci_u32_e64 v31, null, v27, v32, vcc_lo
	flat_store_dword v[30:31], v33
	s_or_b32 exec_lo, exec_lo, s8
	s_and_b32 s8, s3, s4
	s_and_saveexec_b32 s4, s8
	s_cbranch_execz .LBB12_342
.LBB12_338:
	v_cmp_ne_u32_e32 vcc_lo, 1, v88
	s_cbranch_vccnz .LBB12_340
; %bb.339:
	v_lshlrev_b64 v[30:31], 2, v[86:87]
	v_add_co_u32 v28, vcc_lo, v28, v30
	v_add_co_ci_u32_e64 v29, null, v29, v31, vcc_lo
	flat_load_dword v28, v[28:29]
	s_waitcnt vmcnt(0) lgkmcnt(0)
	v_mul_f32_e32 v28, s7, v28
	s_branch .LBB12_341
.LBB12_340:
	v_mov_b32_e32 v28, 0
.LBB12_341:
	v_add_f32_e32 v23, v3, v23
	v_add_f32_e32 v22, v2, v22
	;; [unrolled: 1-line block ×4, first 2 shown]
	v_min3_f32 v29, v22, v23, v95
	v_lshlrev_b64 v[22:23], 2, v[86:87]
	v_min_f32_e32 v24, v24, v25
	v_min3_f32 v24, v28, v24, v29
	v_add_co_u32 v22, vcc_lo, v26, v22
	v_add_co_ci_u32_e64 v23, null, v27, v23, vcc_lo
	flat_store_dword v[22:23], v24
.LBB12_342:
	s_or_b32 exec_lo, exec_lo, s4
	v_add_nc_u32_e32 v26, 0x78, v89
	v_mad_i64_i32 v[22:23], null, v26, s6, 0
	v_mad_i64_i32 v[24:25], null, v26, s5, 0
	v_cmp_gt_i32_e64 s4, s9, v26
	v_lshlrev_b64 v[22:23], 2, v[22:23]
	s_and_b32 s5, s0, s4
	v_lshlrev_b64 v[26:27], 2, v[24:25]
	v_add_co_u32 v24, vcc_lo, s12, v22
	v_add_co_ci_u32_e64 v25, null, s13, v23, vcc_lo
	v_add_co_u32 v22, vcc_lo, s10, v26
	v_add_co_ci_u32_e64 v23, null, s11, v27, vcc_lo
	s_and_saveexec_b32 s0, s5
	s_cbranch_execnz .LBB12_347
; %bb.343:
	s_or_b32 exec_lo, exec_lo, s0
	s_and_b32 s1, s1, s4
	s_and_saveexec_b32 s0, s1
	s_cbranch_execnz .LBB12_351
.LBB12_344:
	s_or_b32 exec_lo, exec_lo, s0
	s_and_b32 s1, s2, s4
	s_and_saveexec_b32 s0, s1
	s_cbranch_execnz .LBB12_355
.LBB12_345:
	s_or_b32 exec_lo, exec_lo, s0
	s_and_b32 s0, s3, s4
	s_and_saveexec_b32 s1, s0
	s_cbranch_execnz .LBB12_359
.LBB12_346:
	s_endpgm
.LBB12_347:
	v_cmp_ne_u32_e32 vcc_lo, 1, v88
	v_lshlrev_b64 v[0:1], 2, v[0:1]
	s_cbranch_vccnz .LBB12_349
; %bb.348:
	v_add_co_u32 v26, vcc_lo, v24, v0
	v_add_co_ci_u32_e64 v27, null, v25, v1, vcc_lo
	flat_load_dword v26, v[26:27]
	s_waitcnt vmcnt(0) lgkmcnt(0)
	v_mul_f32_e32 v26, s7, v26
	s_branch .LBB12_350
.LBB12_349:
	v_mov_b32_e32 v26, 0
.LBB12_350:
	v_add_f32_e32 v19, v19, v7
	v_add_f32_e32 v18, v18, v6
	;; [unrolled: 1-line block ×4, first 2 shown]
	v_add_co_u32 v0, vcc_lo, v22, v0
	v_min3_f32 v18, v18, v19, v94
	v_add_co_ci_u32_e64 v1, null, v23, v1, vcc_lo
	v_min_f32_e32 v19, v20, v21
	v_min3_f32 v18, v26, v19, v18
	flat_store_dword v[0:1], v18
	s_or_b32 exec_lo, exec_lo, s0
	s_and_b32 s1, s1, s4
	s_and_saveexec_b32 s0, s1
	s_cbranch_execz .LBB12_344
.LBB12_351:
	v_cmp_ne_u32_e32 vcc_lo, 1, v88
	v_lshlrev_b64 v[0:1], 2, v[82:83]
	s_cbranch_vccnz .LBB12_353
; %bb.352:
	v_add_co_u32 v18, vcc_lo, v24, v0
	v_add_co_ci_u32_e64 v19, null, v25, v1, vcc_lo
	flat_load_dword v18, v[18:19]
	s_waitcnt vmcnt(0) lgkmcnt(0)
	v_mul_f32_e32 v18, s7, v18
	s_branch .LBB12_354
.LBB12_353:
	v_mov_b32_e32 v18, 0
.LBB12_354:
	v_add_f32_e32 v15, v15, v7
	v_add_f32_e32 v14, v14, v6
	;; [unrolled: 1-line block ×4, first 2 shown]
	v_add_co_u32 v0, vcc_lo, v22, v0
	v_min3_f32 v14, v14, v15, v93
	v_add_co_ci_u32_e64 v1, null, v23, v1, vcc_lo
	v_min_f32_e32 v15, v16, v17
	v_min3_f32 v14, v18, v15, v14
	flat_store_dword v[0:1], v14
	s_or_b32 exec_lo, exec_lo, s0
	s_and_b32 s1, s2, s4
	s_and_saveexec_b32 s0, s1
	s_cbranch_execz .LBB12_345
.LBB12_355:
	v_cmp_ne_u32_e32 vcc_lo, 1, v88
	v_lshlrev_b64 v[0:1], 2, v[84:85]
	s_cbranch_vccnz .LBB12_357
; %bb.356:
	v_add_co_u32 v14, vcc_lo, v24, v0
	v_add_co_ci_u32_e64 v15, null, v25, v1, vcc_lo
	flat_load_dword v14, v[14:15]
	s_waitcnt vmcnt(0) lgkmcnt(0)
	v_mul_f32_e32 v14, s7, v14
	s_branch .LBB12_358
.LBB12_357:
	v_mov_b32_e32 v14, 0
.LBB12_358:
	v_add_f32_e32 v11, v11, v7
	v_add_f32_e32 v10, v10, v6
	;; [unrolled: 1-line block ×4, first 2 shown]
	v_add_co_u32 v0, vcc_lo, v22, v0
	v_min3_f32 v10, v10, v11, v92
	v_add_co_ci_u32_e64 v1, null, v23, v1, vcc_lo
	v_min_f32_e32 v11, v12, v13
	v_min3_f32 v10, v14, v11, v10
	flat_store_dword v[0:1], v10
	s_or_b32 exec_lo, exec_lo, s0
	s_and_b32 s0, s3, s4
	s_and_saveexec_b32 s1, s0
	s_cbranch_execz .LBB12_346
.LBB12_359:
	v_cmp_ne_u32_e32 vcc_lo, 1, v88
	v_lshlrev_b64 v[0:1], 2, v[86:87]
	s_cbranch_vccnz .LBB12_361
; %bb.360:
	v_add_co_u32 v10, vcc_lo, v24, v0
	v_add_co_ci_u32_e64 v11, null, v25, v1, vcc_lo
	flat_load_dword v10, v[10:11]
	s_waitcnt vmcnt(0) lgkmcnt(0)
	v_mul_f32_e32 v10, s7, v10
	s_branch .LBB12_362
.LBB12_361:
	v_mov_b32_e32 v10, 0
.LBB12_362:
	v_add_f32_e32 v3, v3, v7
	v_add_f32_e32 v2, v2, v6
	;; [unrolled: 1-line block ×4, first 2 shown]
	v_add_co_u32 v0, vcc_lo, v22, v0
	v_min3_f32 v2, v2, v3, v102
	v_add_co_ci_u32_e64 v1, null, v23, v1, vcc_lo
	v_min_f32_e32 v3, v4, v5
	v_min3_f32 v2, v10, v3, v2
	flat_store_dword v[0:1], v2
	s_endpgm
	.section	.rodata,"a",@progbits
	.p2align	6, 0x0
	.amdhsa_kernel _ZN12_GLOBAL__N_120geam_min_plus_kernelIf15HIP_vector_typeIfLj2EEfLi32ELi8ELi128ELi128ELi4ELi4ELi64ELi4ELi64ELc84ELc78ELb0ELb1ELb1EPKfKS4_KPfEEviiiT16_PT17_ilSA_ilS8_SA_ilPT18_ili26rocblas_geam_ex_operation_
		.amdhsa_group_segment_fixed_size 8192
		.amdhsa_private_segment_fixed_size 0
		.amdhsa_kernarg_size 136
		.amdhsa_user_sgpr_count 6
		.amdhsa_user_sgpr_private_segment_buffer 1
		.amdhsa_user_sgpr_dispatch_ptr 0
		.amdhsa_user_sgpr_queue_ptr 0
		.amdhsa_user_sgpr_kernarg_segment_ptr 1
		.amdhsa_user_sgpr_dispatch_id 0
		.amdhsa_user_sgpr_flat_scratch_init 0
		.amdhsa_user_sgpr_private_segment_size 0
		.amdhsa_wavefront_size32 1
		.amdhsa_uses_dynamic_stack 0
		.amdhsa_system_sgpr_private_segment_wavefront_offset 0
		.amdhsa_system_sgpr_workgroup_id_x 1
		.amdhsa_system_sgpr_workgroup_id_y 0
		.amdhsa_system_sgpr_workgroup_id_z 1
		.amdhsa_system_sgpr_workgroup_info 0
		.amdhsa_system_vgpr_workitem_id 1
		.amdhsa_next_free_vgpr 176
		.amdhsa_next_free_sgpr 28
		.amdhsa_reserve_vcc 1
		.amdhsa_reserve_flat_scratch 0
		.amdhsa_float_round_mode_32 0
		.amdhsa_float_round_mode_16_64 0
		.amdhsa_float_denorm_mode_32 3
		.amdhsa_float_denorm_mode_16_64 3
		.amdhsa_dx10_clamp 1
		.amdhsa_ieee_mode 1
		.amdhsa_fp16_overflow 0
		.amdhsa_workgroup_processor_mode 1
		.amdhsa_memory_ordered 1
		.amdhsa_forward_progress 1
		.amdhsa_shared_vgpr_count 0
		.amdhsa_exception_fp_ieee_invalid_op 0
		.amdhsa_exception_fp_denorm_src 0
		.amdhsa_exception_fp_ieee_div_zero 0
		.amdhsa_exception_fp_ieee_overflow 0
		.amdhsa_exception_fp_ieee_underflow 0
		.amdhsa_exception_fp_ieee_inexact 0
		.amdhsa_exception_int_div_zero 0
	.end_amdhsa_kernel
	.section	.text._ZN12_GLOBAL__N_120geam_min_plus_kernelIf15HIP_vector_typeIfLj2EEfLi32ELi8ELi128ELi128ELi4ELi4ELi64ELi4ELi64ELc84ELc78ELb0ELb1ELb1EPKfKS4_KPfEEviiiT16_PT17_ilSA_ilS8_SA_ilPT18_ili26rocblas_geam_ex_operation_,"axG",@progbits,_ZN12_GLOBAL__N_120geam_min_plus_kernelIf15HIP_vector_typeIfLj2EEfLi32ELi8ELi128ELi128ELi4ELi4ELi64ELi4ELi64ELc84ELc78ELb0ELb1ELb1EPKfKS4_KPfEEviiiT16_PT17_ilSA_ilS8_SA_ilPT18_ili26rocblas_geam_ex_operation_,comdat
.Lfunc_end12:
	.size	_ZN12_GLOBAL__N_120geam_min_plus_kernelIf15HIP_vector_typeIfLj2EEfLi32ELi8ELi128ELi128ELi4ELi4ELi64ELi4ELi64ELc84ELc78ELb0ELb1ELb1EPKfKS4_KPfEEviiiT16_PT17_ilSA_ilS8_SA_ilPT18_ili26rocblas_geam_ex_operation_, .Lfunc_end12-_ZN12_GLOBAL__N_120geam_min_plus_kernelIf15HIP_vector_typeIfLj2EEfLi32ELi8ELi128ELi128ELi4ELi4ELi64ELi4ELi64ELc84ELc78ELb0ELb1ELb1EPKfKS4_KPfEEviiiT16_PT17_ilSA_ilS8_SA_ilPT18_ili26rocblas_geam_ex_operation_
                                        ; -- End function
	.set _ZN12_GLOBAL__N_120geam_min_plus_kernelIf15HIP_vector_typeIfLj2EEfLi32ELi8ELi128ELi128ELi4ELi4ELi64ELi4ELi64ELc84ELc78ELb0ELb1ELb1EPKfKS4_KPfEEviiiT16_PT17_ilSA_ilS8_SA_ilPT18_ili26rocblas_geam_ex_operation_.num_vgpr, 176
	.set _ZN12_GLOBAL__N_120geam_min_plus_kernelIf15HIP_vector_typeIfLj2EEfLi32ELi8ELi128ELi128ELi4ELi4ELi64ELi4ELi64ELc84ELc78ELb0ELb1ELb1EPKfKS4_KPfEEviiiT16_PT17_ilSA_ilS8_SA_ilPT18_ili26rocblas_geam_ex_operation_.num_agpr, 0
	.set _ZN12_GLOBAL__N_120geam_min_plus_kernelIf15HIP_vector_typeIfLj2EEfLi32ELi8ELi128ELi128ELi4ELi4ELi64ELi4ELi64ELc84ELc78ELb0ELb1ELb1EPKfKS4_KPfEEviiiT16_PT17_ilSA_ilS8_SA_ilPT18_ili26rocblas_geam_ex_operation_.numbered_sgpr, 28
	.set _ZN12_GLOBAL__N_120geam_min_plus_kernelIf15HIP_vector_typeIfLj2EEfLi32ELi8ELi128ELi128ELi4ELi4ELi64ELi4ELi64ELc84ELc78ELb0ELb1ELb1EPKfKS4_KPfEEviiiT16_PT17_ilSA_ilS8_SA_ilPT18_ili26rocblas_geam_ex_operation_.num_named_barrier, 0
	.set _ZN12_GLOBAL__N_120geam_min_plus_kernelIf15HIP_vector_typeIfLj2EEfLi32ELi8ELi128ELi128ELi4ELi4ELi64ELi4ELi64ELc84ELc78ELb0ELb1ELb1EPKfKS4_KPfEEviiiT16_PT17_ilSA_ilS8_SA_ilPT18_ili26rocblas_geam_ex_operation_.private_seg_size, 0
	.set _ZN12_GLOBAL__N_120geam_min_plus_kernelIf15HIP_vector_typeIfLj2EEfLi32ELi8ELi128ELi128ELi4ELi4ELi64ELi4ELi64ELc84ELc78ELb0ELb1ELb1EPKfKS4_KPfEEviiiT16_PT17_ilSA_ilS8_SA_ilPT18_ili26rocblas_geam_ex_operation_.uses_vcc, 1
	.set _ZN12_GLOBAL__N_120geam_min_plus_kernelIf15HIP_vector_typeIfLj2EEfLi32ELi8ELi128ELi128ELi4ELi4ELi64ELi4ELi64ELc84ELc78ELb0ELb1ELb1EPKfKS4_KPfEEviiiT16_PT17_ilSA_ilS8_SA_ilPT18_ili26rocblas_geam_ex_operation_.uses_flat_scratch, 0
	.set _ZN12_GLOBAL__N_120geam_min_plus_kernelIf15HIP_vector_typeIfLj2EEfLi32ELi8ELi128ELi128ELi4ELi4ELi64ELi4ELi64ELc84ELc78ELb0ELb1ELb1EPKfKS4_KPfEEviiiT16_PT17_ilSA_ilS8_SA_ilPT18_ili26rocblas_geam_ex_operation_.has_dyn_sized_stack, 0
	.set _ZN12_GLOBAL__N_120geam_min_plus_kernelIf15HIP_vector_typeIfLj2EEfLi32ELi8ELi128ELi128ELi4ELi4ELi64ELi4ELi64ELc84ELc78ELb0ELb1ELb1EPKfKS4_KPfEEviiiT16_PT17_ilSA_ilS8_SA_ilPT18_ili26rocblas_geam_ex_operation_.has_recursion, 0
	.set _ZN12_GLOBAL__N_120geam_min_plus_kernelIf15HIP_vector_typeIfLj2EEfLi32ELi8ELi128ELi128ELi4ELi4ELi64ELi4ELi64ELc84ELc78ELb0ELb1ELb1EPKfKS4_KPfEEviiiT16_PT17_ilSA_ilS8_SA_ilPT18_ili26rocblas_geam_ex_operation_.has_indirect_call, 0
	.section	.AMDGPU.csdata,"",@progbits
; Kernel info:
; codeLenInByte = 20356
; TotalNumSgprs: 30
; NumVgprs: 176
; ScratchSize: 0
; MemoryBound: 0
; FloatMode: 240
; IeeeMode: 1
; LDSByteSize: 8192 bytes/workgroup (compile time only)
; SGPRBlocks: 0
; VGPRBlocks: 21
; NumSGPRsForWavesPerEU: 30
; NumVGPRsForWavesPerEU: 176
; Occupancy: 5
; WaveLimiterHint : 1
; COMPUTE_PGM_RSRC2:SCRATCH_EN: 0
; COMPUTE_PGM_RSRC2:USER_SGPR: 6
; COMPUTE_PGM_RSRC2:TRAP_HANDLER: 0
; COMPUTE_PGM_RSRC2:TGID_X_EN: 1
; COMPUTE_PGM_RSRC2:TGID_Y_EN: 0
; COMPUTE_PGM_RSRC2:TGID_Z_EN: 1
; COMPUTE_PGM_RSRC2:TIDIG_COMP_CNT: 1
	.section	.text._ZN12_GLOBAL__N_120geam_min_plus_kernelIf15HIP_vector_typeIfLj2EEfLi32ELi8ELi128ELi128ELi4ELi4ELi64ELi4ELi64ELc84ELc78ELb1ELb1ELb1EfKPKfKPfEEviiiT16_PT17_ilSA_ilS8_SA_ilPT18_ili26rocblas_geam_ex_operation_,"axG",@progbits,_ZN12_GLOBAL__N_120geam_min_plus_kernelIf15HIP_vector_typeIfLj2EEfLi32ELi8ELi128ELi128ELi4ELi4ELi64ELi4ELi64ELc84ELc78ELb1ELb1ELb1EfKPKfKPfEEviiiT16_PT17_ilSA_ilS8_SA_ilPT18_ili26rocblas_geam_ex_operation_,comdat
	.globl	_ZN12_GLOBAL__N_120geam_min_plus_kernelIf15HIP_vector_typeIfLj2EEfLi32ELi8ELi128ELi128ELi4ELi4ELi64ELi4ELi64ELc84ELc78ELb1ELb1ELb1EfKPKfKPfEEviiiT16_PT17_ilSA_ilS8_SA_ilPT18_ili26rocblas_geam_ex_operation_ ; -- Begin function _ZN12_GLOBAL__N_120geam_min_plus_kernelIf15HIP_vector_typeIfLj2EEfLi32ELi8ELi128ELi128ELi4ELi4ELi64ELi4ELi64ELc84ELc78ELb1ELb1ELb1EfKPKfKPfEEviiiT16_PT17_ilSA_ilS8_SA_ilPT18_ili26rocblas_geam_ex_operation_
	.p2align	8
	.type	_ZN12_GLOBAL__N_120geam_min_plus_kernelIf15HIP_vector_typeIfLj2EEfLi32ELi8ELi128ELi128ELi4ELi4ELi64ELi4ELi64ELc84ELc78ELb1ELb1ELb1EfKPKfKPfEEviiiT16_PT17_ilSA_ilS8_SA_ilPT18_ili26rocblas_geam_ex_operation_,@function
_ZN12_GLOBAL__N_120geam_min_plus_kernelIf15HIP_vector_typeIfLj2EEfLi32ELi8ELi128ELi128ELi4ELi4ELi64ELi4ELi64ELc84ELc78ELb1ELb1ELb1EfKPKfKPfEEviiiT16_PT17_ilSA_ilS8_SA_ilPT18_ili26rocblas_geam_ex_operation_: ; @_ZN12_GLOBAL__N_120geam_min_plus_kernelIf15HIP_vector_typeIfLj2EEfLi32ELi8ELi128ELi128ELi4ELi4ELi64ELi4ELi64ELc84ELc78ELb1ELb1ELb1EfKPKfKPfEEviiiT16_PT17_ilSA_ilS8_SA_ilPT18_ili26rocblas_geam_ex_operation_
; %bb.0:
	s_clause 0x1
	s_load_dwordx4 s[8:11], s[4:5], 0x0
	s_load_dwordx4 s[0:3], s[4:5], 0x20
	s_mov_b32 s14, s7
	s_mov_b32 s15, 0
	s_waitcnt lgkmcnt(0)
	v_cmp_eq_f32_e64 s7, s11, 0
	s_and_b32 vcc_lo, exec_lo, s7
	s_cbranch_vccnz .LBB13_3
; %bb.1:
	s_load_dwordx2 s[12:13], s[4:5], 0x10
	s_lshl_b64 s[16:17], s[14:15], 3
	s_waitcnt lgkmcnt(0)
	s_add_u32 s12, s12, s16
	s_addc_u32 s13, s13, s17
	s_lshl_b64 s[0:1], s[0:1], 2
	s_load_dwordx2 s[12:13], s[12:13], 0x0
	s_waitcnt lgkmcnt(0)
	s_add_u32 s16, s12, s0
	s_addc_u32 s17, s13, s1
	s_andn2_b32 vcc_lo, exec_lo, s7
	s_cbranch_vccnz .LBB13_4
.LBB13_2:
	s_mov_b32 s21, 0
	s_mov_b32 s20, s14
	s_mov_b32 s0, s21
	s_mov_b64 s[12:13], 0
	s_andn2_b32 vcc_lo, exec_lo, s0
	s_mov_b64 s[18:19], 0
	s_cbranch_vccz .LBB13_5
	s_branch .LBB13_6
.LBB13_3:
	s_mov_b64 s[16:17], 0
	s_andn2_b32 vcc_lo, exec_lo, s7
	s_cbranch_vccz .LBB13_2
.LBB13_4:
	s_mov_b64 s[20:21], s[14:15]
	s_mov_b64 s[12:13], 0
	;; [unrolled: 1-line block ×3, first 2 shown]
.LBB13_5:
	s_lshl_b64 s[0:1], s[14:15], 3
	s_load_dwordx2 s[14:15], s[4:5], 0x38
	s_add_u32 s0, s2, s0
	s_addc_u32 s1, s3, s1
	s_load_dwordx2 s[0:1], s[0:1], 0x0
	s_waitcnt lgkmcnt(0)
	s_lshl_b64 s[2:3], s[14:15], 2
	s_add_u32 s18, s0, s2
	s_addc_u32 s19, s1, s3
.LBB13_6:
	s_clause 0x1
	s_load_dword s7, s[4:5], 0x40
	s_load_dwordx4 s[0:3], s[4:5], 0x58
	s_waitcnt lgkmcnt(0)
	v_cmp_eq_f32_e64 s14, s7, 0
	v_cmp_neq_f32_e64 s11, s7, 0
	s_and_b32 vcc_lo, exec_lo, s14
	s_cbranch_vccnz .LBB13_8
; %bb.7:
	s_load_dwordx2 s[12:13], s[4:5], 0x48
	s_lshl_b64 s[14:15], s[20:21], 3
	s_waitcnt lgkmcnt(0)
	s_add_u32 s12, s12, s14
	s_addc_u32 s13, s13, s15
	s_lshl_b64 s[0:1], s[0:1], 2
	s_load_dwordx2 s[12:13], s[12:13], 0x0
	s_waitcnt lgkmcnt(0)
	s_add_u32 s12, s12, s0
	s_addc_u32 s13, s13, s1
.LBB13_8:
	s_lshl_b64 s[0:1], s[20:21], 3
	s_load_dword s22, s[4:5], 0x18
	s_add_u32 s14, s2, s0
	s_addc_u32 s15, s3, s1
	s_add_i32 s0, s8, -1
	v_and_b32_e32 v83, 3, v0
	s_ashr_i32 s1, s0, 31
	v_mov_b32_e32 v3, 0x7f7fffff
	s_lshr_b32 s1, s1, 25
	v_mov_b32_e32 v4, 0x7f7fffff
	s_add_i32 s0, s0, s1
	v_lshlrev_b32_e32 v84, 2, v83
	s_ashr_i32 s0, s0, 7
	s_add_i32 s1, s0, 1
	s_not_b32 s0, s0
	v_cvt_f32_u32_e32 v2, s1
	v_rcp_iflag_f32_e32 v2, v2
	v_mul_f32_e32 v2, 0x4f7ffffe, v2
	v_cvt_u32_f32_e32 v2, v2
	v_readfirstlane_b32 s2, v2
	v_lshl_add_u32 v2, v1, 5, v0
	s_mul_i32 s0, s0, s2
	v_lshrrev_b32_e32 v2, 2, v2
	s_mul_hi_u32 s0, s2, s0
	s_add_i32 s2, s2, s0
	s_mul_hi_u32 s0, s6, s2
	s_mul_i32 s2, s0, s1
	s_add_i32 s3, s0, 1
	s_sub_i32 s2, s6, s2
	s_sub_i32 s20, s2, s1
	s_cmp_ge_u32 s2, s1
	s_cselect_b32 s0, s3, s0
	s_cselect_b32 s2, s20, s2
	s_add_i32 s3, s0, 1
	s_cmp_ge_u32 s2, s1
	s_cselect_b32 s2, s3, s0
	v_cmp_le_i32_e64 s3, s10, v83
	s_mul_i32 s0, s2, s1
	s_sub_i32 s0, s6, s0
	s_lshl_b32 s20, s0, 7
	v_add_co_u32 v5, s0, s16, v84
	v_add_nc_u32_e32 v126, s20, v2
	v_add_co_ci_u32_e64 v6, null, s17, 0, s0
	v_cmp_le_i32_e32 vcc_lo, s8, v126
	s_nor_b32 s0, s3, vcc_lo
	s_and_saveexec_b32 s1, s0
	s_cbranch_execz .LBB13_10
; %bb.9:
	s_waitcnt lgkmcnt(0)
	v_mad_i64_i32 v[7:8], null, v126, s22, 0
	v_lshlrev_b64 v[7:8], 2, v[7:8]
	v_add_co_u32 v7, s0, v5, v7
	v_add_co_ci_u32_e64 v8, null, v6, v8, s0
	flat_load_dword v4, v[7:8]
.LBB13_10:
	s_or_b32 exec_lo, exec_lo, s1
	v_add_nc_u32_e32 v130, 64, v126
	v_cmp_le_i32_e64 s0, s8, v130
	s_nor_b32 s1, s3, s0
	s_and_saveexec_b32 s6, s1
	s_cbranch_execz .LBB13_12
; %bb.11:
	s_waitcnt lgkmcnt(0)
	v_mad_i64_i32 v[7:8], null, v130, s22, 0
	v_lshlrev_b64 v[7:8], 2, v[7:8]
	v_add_co_u32 v7, s1, v5, v7
	v_add_co_ci_u32_e64 v8, null, v6, v8, s1
	flat_load_dword v3, v[7:8]
.LBB13_12:
	s_or_b32 exec_lo, exec_lo, s6
	s_load_dword s23, s[4:5], 0x30
	s_lshl_b32 s21, s2, 7
	v_add_co_u32 v9, s1, s18, v84
	v_add_nc_u32_e32 v152, s21, v2
	v_add_co_ci_u32_e64 v10, null, s19, 0, s1
	v_mov_b32_e32 v7, 0x7f7fffff
	v_mov_b32_e32 v8, 0x7f7fffff
	v_cmp_le_i32_e64 s1, s9, v152
	s_nor_b32 s2, s3, s1
	s_and_saveexec_b32 s6, s2
	s_cbranch_execz .LBB13_14
; %bb.13:
	s_waitcnt lgkmcnt(0)
	v_mad_i64_i32 v[11:12], null, v152, s23, 0
	v_lshlrev_b64 v[11:12], 2, v[11:12]
	v_add_co_u32 v11, s2, v9, v11
	v_add_co_ci_u32_e64 v12, null, v10, v12, s2
	flat_load_dword v8, v[11:12]
.LBB13_14:
	s_or_b32 exec_lo, exec_lo, s6
	v_add_nc_u32_e32 v154, 64, v152
	v_cmp_le_i32_e64 s2, s9, v154
	s_nor_b32 s3, s3, s2
	s_and_saveexec_b32 s6, s3
	s_cbranch_execz .LBB13_16
; %bb.15:
	s_waitcnt lgkmcnt(0)
	v_mad_i64_i32 v[11:12], null, v154, s23, 0
	v_lshlrev_b64 v[11:12], 2, v[11:12]
	v_add_co_u32 v11, s3, v9, v11
	v_add_co_ci_u32_e64 v12, null, v10, v12, s3
	flat_load_dword v7, v[11:12]
.LBB13_16:
	s_or_b32 exec_lo, exec_lo, s6
	v_or_b32_e32 v11, 4, v83
	v_mov_b32_e32 v155, 0x7f7fffff
	v_mov_b32_e32 v156, 0x7f7fffff
	v_cmp_le_i32_e64 s3, s10, v11
	s_nor_b32 s6, s3, vcc_lo
	s_and_saveexec_b32 s24, s6
	s_cbranch_execz .LBB13_18
; %bb.17:
	s_waitcnt lgkmcnt(0)
	v_mad_i64_i32 v[11:12], null, v126, s22, 0
	v_lshlrev_b64 v[11:12], 2, v[11:12]
	v_add_co_u32 v11, s6, v5, v11
	v_add_co_ci_u32_e64 v12, null, v6, v12, s6
	flat_load_dword v156, v[11:12] offset:16
.LBB13_18:
	s_or_b32 exec_lo, exec_lo, s24
	s_nor_b32 s6, s3, s0
	s_and_saveexec_b32 s24, s6
	s_cbranch_execz .LBB13_20
; %bb.19:
	s_waitcnt lgkmcnt(0)
	v_mad_i64_i32 v[11:12], null, v130, s22, 0
	v_lshlrev_b64 v[11:12], 2, v[11:12]
	v_add_co_u32 v5, s6, v5, v11
	v_add_co_ci_u32_e64 v6, null, v6, v12, s6
	flat_load_dword v155, v[5:6] offset:16
.LBB13_20:
	s_or_b32 exec_lo, exec_lo, s24
	v_mov_b32_e32 v157, 0x7f7fffff
	v_mov_b32_e32 v158, 0x7f7fffff
	s_nor_b32 s6, s3, s1
	s_and_saveexec_b32 s24, s6
	s_cbranch_execz .LBB13_22
; %bb.21:
	s_waitcnt lgkmcnt(0)
	v_mad_i64_i32 v[5:6], null, v152, s23, 0
	v_lshlrev_b64 v[5:6], 2, v[5:6]
	v_add_co_u32 v5, s6, v9, v5
	v_add_co_ci_u32_e64 v6, null, v10, v6, s6
	flat_load_dword v158, v[5:6] offset:16
.LBB13_22:
	s_or_b32 exec_lo, exec_lo, s24
	s_nor_b32 s3, s3, s2
	s_and_saveexec_b32 s6, s3
	s_cbranch_execz .LBB13_24
; %bb.23:
	s_waitcnt lgkmcnt(0)
	v_mad_i64_i32 v[5:6], null, v154, s23, 0
	v_lshlrev_b64 v[5:6], 2, v[5:6]
	v_add_co_u32 v5, s3, v9, v5
	v_add_co_ci_u32_e64 v6, null, v10, v6, s3
	flat_load_dword v157, v[5:6] offset:16
.LBB13_24:
	s_or_b32 exec_lo, exec_lo, s6
	v_lshlrev_b32_e32 v2, 4, v2
	v_lshlrev_b32_e32 v85, 4, v0
	;; [unrolled: 1-line block ×3, first 2 shown]
	s_load_dwordx2 s[14:15], s[14:15], 0x0
	s_cmp_lt_i32 s10, 9
	v_lshl_or_b32 v86, v83, 2, v2
	s_waitcnt vmcnt(0) lgkmcnt(0)
	ds_write2st64_b32 v86, v4, v3 offset1:4
	ds_write2st64_b32 v86, v8, v7 offset0:16 offset1:20
	s_waitcnt lgkmcnt(0)
	s_barrier
	buffer_gl0_inv
	ds_read_b128 v[14:17], v85
	ds_read_b128 v[10:13], v85 offset:512
	ds_read_b128 v[6:9], v85 offset:1024
	;; [unrolled: 1-line block ×19, first 2 shown]
	ds_write2st64_b32 v86, v156, v155 offset0:8 offset1:12
	ds_write2st64_b32 v86, v158, v157 offset0:24 offset1:28
	s_waitcnt lgkmcnt(0)
	s_barrier
	buffer_gl0_inv
	v_add_f32_e32 v87, v15, v79
	v_add_f32_e32 v88, v14, v78
	;; [unrolled: 1-line block ×3, first 2 shown]
	v_min3_f32 v87, v88, v87, 0x7f7fffff
	v_add_f32_e32 v88, v11, v79
	v_min3_f32 v115, v89, v88, 0x7f7fffff
	v_add_f32_e32 v88, v7, v79
	v_add_f32_e32 v89, v6, v78
	;; [unrolled: 1-line block ×5, first 2 shown]
	v_min3_f32 v116, v89, v88, 0x7f7fffff
	v_min3_f32 v117, v78, v79, 0x7f7fffff
	v_add_f32_e32 v78, v15, v75
	v_add_f32_e32 v79, v14, v74
	v_min3_f32 v114, v79, v78, 0x7f7fffff
	v_add_f32_e32 v78, v11, v75
	v_add_f32_e32 v79, v10, v74
	v_min3_f32 v113, v79, v78, 0x7f7fffff
	v_add_f32_e32 v78, v7, v75
	v_add_f32_e32 v79, v6, v74
	v_add_f32_e32 v75, v3, v75
	v_add_f32_e32 v74, v2, v74
	v_min3_f32 v112, v79, v78, 0x7f7fffff
	v_min3_f32 v111, v74, v75, 0x7f7fffff
	v_add_f32_e32 v74, v15, v71
	v_add_f32_e32 v75, v14, v70
	v_min3_f32 v110, v75, v74, 0x7f7fffff
	v_add_f32_e32 v74, v11, v71
	v_add_f32_e32 v75, v10, v70
	v_min3_f32 v109, v75, v74, 0x7f7fffff
	v_add_f32_e32 v74, v7, v71
	v_add_f32_e32 v75, v6, v70
	v_add_f32_e32 v71, v3, v71
	v_add_f32_e32 v70, v2, v70
	;; [unrolled: 12-line block ×13, first 2 shown]
	v_add_f32_e32 v6, v6, v18
	v_min3_f32 v34, v31, v30, 0x7f7fffff
	v_min3_f32 v31, v26, v27, 0x7f7fffff
	v_add_f32_e32 v26, v15, v23
	v_add_f32_e32 v27, v14, v22
	v_add_f32_e32 v15, v15, v19
	v_add_f32_e32 v14, v14, v18
	v_min3_f32 v30, v27, v26, 0x7f7fffff
	v_add_f32_e32 v26, v11, v23
	v_add_f32_e32 v27, v10, v22
	;; [unrolled: 1-line block ×4, first 2 shown]
	v_min3_f32 v14, v14, v15, 0x7f7fffff
	v_add_f32_e32 v11, v11, v19
	v_min3_f32 v27, v27, v26, 0x7f7fffff
	v_add_f32_e32 v26, v7, v23
	v_add_f32_e32 v23, v3, v23
	;; [unrolled: 1-line block ×5, first 2 shown]
	v_min3_f32 v26, v118, v26, 0x7f7fffff
	v_min3_f32 v22, v22, v23, 0x7f7fffff
	;; [unrolled: 1-line block ×4, first 2 shown]
	v_add_f32_e32 v3, v17, v81
	v_add_f32_e32 v7, v16, v80
	v_min3_f32 v10, v10, v11, 0x7f7fffff
	v_min3_f32 v153, v7, v3, v87
	v_add_f32_e32 v3, v13, v81
	v_add_f32_e32 v7, v12, v80
	v_min3_f32 v151, v7, v3, v115
	v_add_f32_e32 v3, v9, v81
	v_add_f32_e32 v7, v8, v80
	;; [unrolled: 3-line block ×59, first 2 shown]
	v_add_f32_e32 v4, v4, v20
	v_min3_f32 v91, v7, v3, v22
	v_add_f32_e32 v3, v17, v21
	v_add_f32_e32 v7, v16, v20
	v_min3_f32 v90, v7, v3, v14
	v_add_f32_e32 v3, v13, v21
	;; [unrolled: 3-line block ×4, first 2 shown]
	v_min3_f32 v98, v4, v3, v2
	s_cbranch_scc1 .LBB13_43
; %bb.25:
	v_mad_i64_i32 v[2:3], null, s23, v152, 0
	v_mad_i64_i32 v[4:5], null, s23, v154, 0
	;; [unrolled: 1-line block ×4, first 2 shown]
	v_lshlrev_b64 v[2:3], 2, v[2:3]
	v_add_nc_u32_e32 v155, 0x1000, v86
	v_lshlrev_b64 v[4:5], 2, v[4:5]
	v_or_b32_e32 v152, 0x1000, v82
	v_add_nc_u32_e32 v154, 0x800, v86
	v_add_nc_u32_e32 v156, 0x1800, v86
	v_add_co_u32 v126, s3, s18, v2
	v_add_co_ci_u32_e64 v130, null, s19, v3, s3
	v_lshlrev_b64 v[2:3], 2, v[6:7]
	v_add_co_u32 v159, s3, s18, v4
	v_add_co_ci_u32_e64 v160, null, s19, v5, s3
	v_lshlrev_b64 v[4:5], 2, v[8:9]
	v_add_co_u32 v161, s3, s16, v2
	v_add_co_ci_u32_e64 v162, null, s17, v3, s3
	v_lshl_add_u32 v157, v0, 4, 0x800
	v_add_co_u32 v163, s3, s16, v4
	v_lshl_add_u32 v158, v1, 4, 0x1800
	v_add_co_ci_u32_e64 v164, null, s17, v5, s3
	s_add_i32 s16, s10, -8
	s_mov_b32 s17, 0
	s_branch .LBB13_27
.LBB13_26:                              ;   in Loop: Header=BB13_27 Depth=1
	s_or_b32 exec_lo, exec_lo, s6
	v_add_f32_e32 v169, v15, v79
	v_add_f32_e32 v170, v14, v78
	;; [unrolled: 1-line block ×10, first 2 shown]
	v_min3_f32 v153, v170, v169, v153
	v_min3_f32 v151, v172, v171, v151
	;; [unrolled: 1-line block ×3, first 2 shown]
	v_add_f32_e32 v150, v10, v74
	v_min3_f32 v79, v176, v175, v149
	v_add_f32_e32 v149, v11, v75
	v_add_f32_e32 v169, v7, v75
	;; [unrolled: 1-line block ×7, first 2 shown]
	v_min3_f32 v87, v174, v173, v87
	v_add_f32_e32 v173, v11, v71
	v_add_f32_e32 v174, v10, v70
	v_min3_f32 v148, v150, v149, v148
	v_min3_f32 v74, v74, v75, v146
	;; [unrolled: 1-line block ×3, first 2 shown]
	v_add_f32_e32 v145, v7, v71
	v_add_f32_e32 v146, v6, v70
	;; [unrolled: 1-line block ×6, first 2 shown]
	v_min3_f32 v147, v170, v169, v147
	v_add_f32_e32 v169, v11, v67
	v_add_f32_e32 v170, v10, v66
	;; [unrolled: 1-line block ×4, first 2 shown]
	v_min3_f32 v143, v146, v145, v143
	v_min3_f32 v70, v70, v71, v142
	;; [unrolled: 1-line block ×3, first 2 shown]
	v_add_f32_e32 v67, v3, v67
	v_add_f32_e32 v66, v2, v66
	;; [unrolled: 1-line block ×10, first 2 shown]
	v_min3_f32 v66, v66, v67, v138
	v_min3_f32 v67, v142, v141, v137
	;; [unrolled: 1-line block ×3, first 2 shown]
	v_add_f32_e32 v137, v11, v59
	v_min3_f32 v62, v62, v63, v134
	v_add_f32_e32 v63, v15, v59
	v_add_f32_e32 v134, v14, v58
	;; [unrolled: 1-line block ×9, first 2 shown]
	v_min3_f32 v63, v134, v63, v133
	v_min3_f32 v132, v138, v137, v132
	;; [unrolled: 1-line block ×3, first 2 shown]
	v_add_f32_e32 v129, v10, v54
	v_min3_f32 v59, v146, v145, v128
	v_add_f32_e32 v128, v11, v55
	v_add_f32_e32 v133, v7, v55
	;; [unrolled: 1-line block ×7, first 2 shown]
	v_min3_f32 v131, v142, v141, v131
	v_add_f32_e32 v141, v11, v51
	v_add_f32_e32 v142, v10, v50
	v_min3_f32 v127, v129, v128, v127
	v_min3_f32 v54, v54, v55, v124
	;; [unrolled: 1-line block ×3, first 2 shown]
	v_add_f32_e32 v123, v7, v51
	v_add_f32_e32 v124, v6, v50
	;; [unrolled: 1-line block ×6, first 2 shown]
	v_min3_f32 v125, v134, v133, v125
	v_add_f32_e32 v133, v11, v47
	v_add_f32_e32 v134, v10, v46
	;; [unrolled: 1-line block ×4, first 2 shown]
	v_min3_f32 v121, v124, v123, v121
	v_min3_f32 v50, v50, v51, v120
	;; [unrolled: 1-line block ×3, first 2 shown]
	v_add_f32_e32 v47, v3, v47
	v_add_f32_e32 v46, v2, v46
	;; [unrolled: 1-line block ×10, first 2 shown]
	v_min3_f32 v46, v46, v47, v116
	v_min3_f32 v47, v120, v119, v115
	;; [unrolled: 1-line block ×3, first 2 shown]
	v_add_f32_e32 v115, v11, v39
	v_min3_f32 v42, v42, v43, v112
	v_add_f32_e32 v43, v15, v39
	v_add_f32_e32 v112, v14, v38
	;; [unrolled: 1-line block ×9, first 2 shown]
	v_min3_f32 v43, v112, v43, v111
	v_min3_f32 v110, v116, v115, v110
	;; [unrolled: 1-line block ×3, first 2 shown]
	v_add_f32_e32 v108, v10, v34
	v_min3_f32 v39, v124, v123, v107
	v_add_f32_e32 v107, v11, v35
	v_add_f32_e32 v111, v7, v35
	;; [unrolled: 1-line block ×7, first 2 shown]
	v_min3_f32 v109, v120, v119, v109
	v_add_f32_e32 v119, v11, v31
	v_add_f32_e32 v120, v10, v30
	v_min3_f32 v106, v108, v107, v106
	v_min3_f32 v34, v34, v35, v104
	;; [unrolled: 1-line block ×3, first 2 shown]
	v_add_f32_e32 v103, v7, v31
	v_add_f32_e32 v104, v6, v30
	;; [unrolled: 1-line block ×6, first 2 shown]
	v_min3_f32 v105, v112, v111, v105
	v_add_f32_e32 v111, v11, v27
	v_add_f32_e32 v112, v10, v26
	;; [unrolled: 1-line block ×4, first 2 shown]
	v_min3_f32 v101, v104, v103, v101
	v_min3_f32 v30, v30, v31, v100
	;; [unrolled: 1-line block ×3, first 2 shown]
	v_add_f32_e32 v27, v3, v27
	v_add_f32_e32 v26, v2, v26
	;; [unrolled: 1-line block ×20, first 2 shown]
	v_min3_f32 v22, v22, v23, v91
	v_min3_f32 v14, v14, v15, v90
	;; [unrolled: 1-line block ×6, first 2 shown]
	v_add_f32_e32 v2, v13, v81
	v_add_f32_e32 v3, v12, v80
	;; [unrolled: 1-line block ×8, first 2 shown]
	v_min3_f32 v90, v3, v2, v151
	v_min3_f32 v91, v18, v11, v78
	v_add_f32_e32 v2, v9, v77
	v_add_f32_e32 v3, v8, v76
	;; [unrolled: 1-line block ×4, first 2 shown]
	v_min3_f32 v144, v174, v173, v144
	v_min3_f32 v140, v170, v169, v140
	;; [unrolled: 1-line block ×4, first 2 shown]
	v_add_f32_e32 v89, v12, v76
	v_min3_f32 v87, v7, v6, v87
	v_min3_f32 v94, v80, v19, v79
	v_add_f32_e32 v6, v5, v77
	v_add_f32_e32 v7, v4, v76
	;; [unrolled: 1-line block ×4, first 2 shown]
	v_min3_f32 v95, v3, v2, v147
	v_min3_f32 v99, v18, v11, v75
	v_add_f32_e32 v2, v5, v73
	v_add_f32_e32 v3, v4, v72
	;; [unrolled: 1-line block ×4, first 2 shown]
	v_min3_f32 v139, v172, v171, v139
	v_min3_f32 v135, v150, v149, v135
	;; [unrolled: 1-line block ×4, first 2 shown]
	v_add_f32_e32 v78, v8, v72
	v_min3_f32 v98, v7, v6, v74
	v_min3_f32 v100, v76, v19, v144
	v_add_f32_e32 v6, v17, v69
	v_add_f32_e32 v7, v16, v68
	;; [unrolled: 1-line block ×4, first 2 shown]
	v_min3_f32 v104, v3, v2, v70
	v_min3_f32 v108, v18, v11, v140
	v_add_f32_e32 v2, v17, v65
	v_add_f32_e32 v3, v16, v64
	;; [unrolled: 1-line block ×4, first 2 shown]
	v_min3_f32 v102, v120, v119, v102
	v_min3_f32 v97, v112, v111, v97
	v_min3_f32 v96, v116, v115, v96
	v_add_f32_e32 v69, v5, v69
	v_add_f32_e32 v68, v4, v68
	v_min3_f32 v107, v7, v6, v71
	v_min3_f32 v111, v72, v19, v139
	v_add_f32_e32 v6, v13, v65
	v_add_f32_e32 v7, v12, v64
	;; [unrolled: 1-line block ×4, first 2 shown]
	v_min3_f32 v115, v3, v2, v67
	v_min3_f32 v119, v18, v11, v135
	v_add_f32_e32 v2, v13, v61
	v_add_f32_e32 v3, v12, v60
	;; [unrolled: 1-line block ×4, first 2 shown]
	v_min3_f32 v113, v129, v128, v113
	v_min3_f32 v112, v68, v69, v66
	v_add_f32_e32 v66, v16, v60
	v_min3_f32 v116, v7, v6, v136
	v_min3_f32 v120, v64, v19, v62
	v_add_f32_e32 v6, v9, v61
	v_add_f32_e32 v7, v8, v60
	;; [unrolled: 1-line block ×4, first 2 shown]
	v_min3_f32 v124, v3, v2, v132
	v_min3_f32 v129, v18, v11, v58
	v_add_f32_e32 v2, v9, v57
	v_add_f32_e32 v3, v8, v56
	v_add_f32_e32 v11, v17, v53
	v_add_f32_e32 v18, v16, v52
	v_min3_f32 v122, v142, v141, v122
	v_min3_f32 v118, v134, v133, v118
	v_add_f32_e32 v62, v12, v56
	v_min3_f32 v128, v7, v6, v131
	v_min3_f32 v131, v60, v19, v59
	v_add_f32_e32 v6, v5, v57
	v_add_f32_e32 v7, v4, v56
	;; [unrolled: 1-line block ×4, first 2 shown]
	v_min3_f32 v125, v3, v2, v125
	v_min3_f32 v133, v18, v11, v55
	v_add_f32_e32 v2, v5, v53
	v_add_f32_e32 v3, v4, v52
	;; [unrolled: 1-line block ×4, first 2 shown]
	v_min3_f32 v117, v138, v137, v117
	v_add_f32_e32 v58, v8, v52
	v_min3_f32 v132, v7, v6, v54
	v_min3_f32 v122, v56, v19, v122
	v_add_f32_e32 v6, v17, v49
	v_add_f32_e32 v7, v16, v48
	;; [unrolled: 1-line block ×4, first 2 shown]
	v_min3_f32 v134, v3, v2, v50
	v_min3_f32 v118, v18, v11, v118
	v_add_f32_e32 v2, v17, v45
	v_add_f32_e32 v3, v16, v44
	;; [unrolled: 1-line block ×6, first 2 shown]
	v_min3_f32 v135, v7, v6, v51
	v_min3_f32 v117, v52, v19, v117
	v_add_f32_e32 v6, v13, v45
	v_add_f32_e32 v7, v12, v44
	;; [unrolled: 1-line block ×4, first 2 shown]
	v_min3_f32 v137, v3, v2, v47
	v_min3_f32 v113, v18, v11, v113
	v_add_f32_e32 v2, v13, v41
	v_add_f32_e32 v3, v12, v40
	;; [unrolled: 1-line block ×6, first 2 shown]
	v_min3_f32 v136, v48, v49, v46
	v_add_f32_e32 v46, v16, v40
	v_min3_f32 v114, v7, v6, v114
	v_min3_f32 v138, v44, v19, v42
	v_add_f32_e32 v6, v9, v41
	v_add_f32_e32 v7, v8, v40
	;; [unrolled: 1-line block ×4, first 2 shown]
	v_min3_f32 v110, v3, v2, v110
	v_min3_f32 v140, v18, v11, v38
	v_add_f32_e32 v2, v9, v37
	v_add_f32_e32 v3, v8, v36
	;; [unrolled: 1-line block ×4, first 2 shown]
	v_min3_f32 v103, v78, v77, v143
	v_add_f32_e32 v42, v12, v36
	v_min3_f32 v109, v7, v6, v109
	v_min3_f32 v141, v40, v19, v39
	v_add_f32_e32 v6, v5, v37
	v_add_f32_e32 v7, v4, v36
	;; [unrolled: 1-line block ×4, first 2 shown]
	v_min3_f32 v105, v3, v2, v105
	v_min3_f32 v143, v18, v11, v35
	v_add_f32_e32 v2, v5, v33
	v_add_f32_e32 v3, v4, v32
	;; [unrolled: 1-line block ×7, first 2 shown]
	v_min3_f32 v142, v7, v6, v34
	v_min3_f32 v102, v36, v19, v102
	v_add_f32_e32 v6, v17, v29
	v_add_f32_e32 v7, v16, v28
	;; [unrolled: 1-line block ×4, first 2 shown]
	v_min3_f32 v144, v3, v2, v30
	v_min3_f32 v97, v18, v11, v97
	v_add_f32_e32 v2, v17, v25
	v_add_f32_e32 v3, v16, v24
	;; [unrolled: 1-line block ×6, first 2 shown]
	v_min3_f32 v145, v7, v6, v31
	v_min3_f32 v96, v32, v19, v96
	v_add_f32_e32 v6, v13, v25
	v_add_f32_e32 v7, v12, v24
	;; [unrolled: 1-line block ×4, first 2 shown]
	v_min3_f32 v92, v18, v11, v92
	v_min3_f32 v149, v16, v17, v14
	v_add_f32_e32 v11, v13, v21
	v_add_f32_e32 v12, v12, v20
	;; [unrolled: 1-line block ×4, first 2 shown]
	v_min3_f32 v89, v89, v81, v148
	v_add_f32_e32 v61, v13, v57
	v_add_f32_e32 v57, v9, v53
	;; [unrolled: 1-line block ×6, first 2 shown]
	v_min3_f32 v147, v3, v2, v27
	v_min3_f32 v93, v7, v6, v93
	;; [unrolled: 1-line block ×3, first 2 shown]
	v_add_f32_e32 v18, v5, v21
	v_add_f32_e32 v19, v4, v20
	ds_read_b128 v[2:5], v85
	ds_read_b128 v[6:9], v152
	v_min3_f32 v150, v12, v11, v10
	ds_read_b128 v[10:13], v85 offset:512
	v_min3_f32 v151, v16, v14, v15
	ds_read_b128 v[14:17], v85 offset:1024
	v_min3_f32 v123, v66, v65, v63
	v_min3_f32 v127, v62, v61, v127
	;; [unrolled: 1-line block ×8, first 2 shown]
	ds_read_b128 v[18:21], v85 offset:1536
	ds_read_b128 v[22:25], v152 offset:128
	;; [unrolled: 1-line block ×16, first 2 shown]
	v_add_co_u32 v126, s3, v126, 32
	v_add_co_ci_u32_e64 v130, null, 0, v130, s3
	v_add_co_u32 v159, s3, v159, 32
	s_waitcnt lgkmcnt(18)
	v_add_f32_e32 v169, v3, v7
	v_add_f32_e32 v170, v2, v6
	s_waitcnt lgkmcnt(17)
	v_add_f32_e32 v171, v11, v7
	v_add_f32_e32 v172, v10, v6
	;; [unrolled: 3-line block ×3, first 2 shown]
	v_min3_f32 v88, v170, v169, v88
	s_waitcnt lgkmcnt(15)
	v_add_f32_e32 v7, v19, v7
	v_min3_f32 v90, v172, v171, v90
	v_add_f32_e32 v6, v18, v6
	v_min3_f32 v87, v174, v173, v87
	s_waitcnt lgkmcnt(14)
	v_add_f32_e32 v169, v3, v23
	v_add_f32_e32 v170, v2, v22
	;; [unrolled: 1-line block ×8, first 2 shown]
	v_min3_f32 v6, v6, v7, v91
	v_min3_f32 v7, v170, v169, v94
	;; [unrolled: 1-line block ×5, first 2 shown]
	s_waitcnt lgkmcnt(13)
	v_add_f32_e32 v23, v3, v27
	v_add_f32_e32 v94, v2, v26
	v_add_f32_e32 v95, v11, v27
	v_add_f32_e32 v98, v10, v26
	v_add_f32_e32 v169, v15, v27
	v_add_f32_e32 v170, v14, v26
	v_add_f32_e32 v27, v19, v27
	v_add_f32_e32 v26, v18, v26
	s_waitcnt lgkmcnt(12)
	v_add_f32_e32 v171, v3, v31
	v_add_f32_e32 v172, v2, v30
	v_min3_f32 v23, v94, v23, v99
	v_min3_f32 v94, v98, v95, v100
	;; [unrolled: 1-line block ×5, first 2 shown]
	v_add_f32_e32 v98, v11, v31
	v_add_f32_e32 v99, v10, v30
	;; [unrolled: 1-line block ×6, first 2 shown]
	s_waitcnt lgkmcnt(11)
	v_add_f32_e32 v104, v3, v35
	v_add_f32_e32 v107, v2, v34
	v_add_f32_e32 v169, v11, v35
	v_add_f32_e32 v170, v10, v34
	v_min3_f32 v98, v99, v98, v108
	v_min3_f32 v99, v103, v100, v111
	;; [unrolled: 1-line block ×5, first 2 shown]
	v_add_f32_e32 v103, v15, v35
	v_add_f32_e32 v104, v14, v34
	;; [unrolled: 1-line block ×4, first 2 shown]
	s_waitcnt lgkmcnt(10)
	v_add_f32_e32 v107, v3, v39
	v_add_f32_e32 v108, v2, v38
	;; [unrolled: 1-line block ×6, first 2 shown]
	v_min3_f32 v103, v104, v103, v119
	v_min3_f32 v34, v34, v35, v120
	;; [unrolled: 1-line block ×5, first 2 shown]
	v_add_f32_e32 v39, v19, v39
	v_add_f32_e32 v38, v18, v38
	s_waitcnt lgkmcnt(9)
	v_add_f32_e32 v108, v3, v43
	v_add_f32_e32 v111, v2, v42
	;; [unrolled: 1-line block ×8, first 2 shown]
	v_min3_f32 v38, v38, v39, v129
	v_min3_f32 v39, v111, v108, v131
	;; [unrolled: 1-line block ×5, first 2 shown]
	s_waitcnt lgkmcnt(8)
	v_add_f32_e32 v43, v3, v47
	v_add_f32_e32 v112, v2, v46
	;; [unrolled: 1-line block ×8, first 2 shown]
	s_waitcnt lgkmcnt(7)
	v_add_f32_e32 v123, v3, v51
	v_add_f32_e32 v124, v2, v50
	v_min3_f32 v43, v112, v43, v133
	v_min3_f32 v112, v116, v115, v122
	;; [unrolled: 1-line block ×5, first 2 shown]
	v_add_f32_e32 v116, v11, v51
	v_add_f32_e32 v119, v10, v50
	;; [unrolled: 1-line block ×6, first 2 shown]
	s_waitcnt lgkmcnt(6)
	v_add_f32_e32 v122, v3, v55
	v_add_f32_e32 v123, v2, v54
	;; [unrolled: 1-line block ×4, first 2 shown]
	v_min3_f32 v116, v119, v116, v118
	v_min3_f32 v117, v121, v120, v117
	;; [unrolled: 1-line block ×4, first 2 shown]
	v_add_f32_e32 v118, v15, v55
	v_add_f32_e32 v119, v14, v54
	;; [unrolled: 1-line block ×4, first 2 shown]
	s_waitcnt lgkmcnt(5)
	v_add_f32_e32 v120, v3, v59
	v_add_f32_e32 v121, v2, v58
	;; [unrolled: 1-line block ×4, first 2 shown]
	v_min3_f32 v114, v125, v124, v114
	v_add_f32_e32 v124, v15, v59
	v_add_f32_e32 v125, v14, v58
	v_min3_f32 v113, v119, v118, v113
	v_min3_f32 v54, v54, v55, v138
	;; [unrolled: 1-line block ×4, first 2 shown]
	v_add_f32_e32 v59, v19, v59
	v_add_f32_e32 v58, v18, v58
	s_waitcnt lgkmcnt(4)
	v_add_f32_e32 v118, v3, v63
	v_add_f32_e32 v119, v2, v62
	;; [unrolled: 1-line block ×8, first 2 shown]
	v_min3_f32 v58, v58, v59, v140
	v_min3_f32 v59, v119, v118, v141
	;; [unrolled: 1-line block ×3, first 2 shown]
	s_waitcnt lgkmcnt(3)
	v_add_f32_e32 v118, v2, v66
	v_min3_f32 v62, v62, v63, v142
	v_add_f32_e32 v63, v3, v67
	v_add_f32_e32 v119, v11, v67
	;; [unrolled: 1-line block ×3, first 2 shown]
	v_min3_f32 v109, v125, v124, v109
	v_min3_f32 v105, v123, v122, v105
	v_add_f32_e32 v121, v15, v67
	v_add_f32_e32 v122, v14, v66
	;; [unrolled: 1-line block ×4, first 2 shown]
	s_waitcnt lgkmcnt(2)
	v_add_f32_e32 v123, v3, v71
	v_add_f32_e32 v124, v2, v70
	v_min3_f32 v63, v118, v63, v143
	v_min3_f32 v102, v120, v119, v102
	v_add_f32_e32 v118, v11, v71
	v_add_f32_e32 v119, v10, v70
	v_min3_f32 v101, v122, v121, v101
	v_min3_f32 v66, v66, v67, v144
	;; [unrolled: 1-line block ×3, first 2 shown]
	v_add_f32_e32 v120, v15, v71
	v_add_f32_e32 v121, v14, v70
	s_waitcnt lgkmcnt(1)
	v_add_f32_e32 v122, v3, v75
	v_add_f32_e32 v123, v2, v74
	;; [unrolled: 1-line block ×4, first 2 shown]
	v_min3_f32 v97, v119, v118, v97
	v_add_f32_e32 v118, v15, v75
	v_add_f32_e32 v119, v14, v74
	;; [unrolled: 1-line block ×4, first 2 shown]
	s_waitcnt lgkmcnt(0)
	v_add_f32_e32 v3, v3, v79
	v_add_f32_e32 v2, v2, v78
	;; [unrolled: 1-line block ×8, first 2 shown]
	v_min3_f32 v74, v74, v75, v148
	v_min3_f32 v2, v2, v3, v149
	;; [unrolled: 1-line block ×4, first 2 shown]
	v_add_f32_e32 v11, v19, v79
	v_add_f32_e32 v14, v18, v78
	;; [unrolled: 1-line block ×10, first 2 shown]
	v_min3_f32 v11, v14, v11, v153
	v_min3_f32 v153, v18, v15, v88
	v_add_f32_e32 v14, v12, v24
	v_add_f32_e32 v15, v17, v25
	v_min3_f32 v150, v8, v9, v6
	v_add_f32_e32 v6, v5, v25
	v_add_f32_e32 v8, v4, v24
	;; [unrolled: 1-line block ×4, first 2 shown]
	v_min3_f32 v70, v70, v71, v146
	v_min3_f32 v71, v123, v122, v147
	;; [unrolled: 1-line block ×3, first 2 shown]
	v_add_f32_e32 v19, v21, v25
	v_add_f32_e32 v24, v20, v24
	v_add_f32_e32 v25, v5, v29
	v_add_f32_e32 v75, v4, v28
	v_min3_f32 v149, v8, v6, v7
	v_min3_f32 v148, v14, v9, v89
	v_min3_f32 v147, v18, v15, v91
	v_add_f32_e32 v6, v13, v29
	v_add_f32_e32 v7, v12, v28
	v_add_f32_e32 v8, v17, v29
	v_add_f32_e32 v9, v16, v28
	v_add_f32_e32 v14, v21, v29
	v_add_f32_e32 v15, v20, v28
	v_min3_f32 v146, v24, v19, v22
	v_min3_f32 v145, v75, v25, v23
	v_add_f32_e32 v18, v5, v33
	v_add_f32_e32 v19, v4, v32
	v_add_f32_e32 v22, v13, v33
	v_add_f32_e32 v23, v12, v32
	v_min3_f32 v144, v7, v6, v94
	v_min3_f32 v143, v9, v8, v95
	v_min3_f32 v142, v15, v14, v26
	v_add_f32_e32 v6, v17, v33
	v_add_f32_e32 v7, v16, v32
	v_add_f32_e32 v8, v21, v33
	v_add_f32_e32 v9, v20, v32
	v_add_f32_e32 v14, v5, v37
	v_add_f32_e32 v15, v4, v36
	v_min3_f32 v141, v19, v18, v27
	v_min3_f32 v140, v23, v22, v98
	;; [unrolled: 15-line block ×4, first 2 shown]
	v_min3_f32 v129, v23, v22, v38
	v_add_f32_e32 v18, v21, v45
	v_add_f32_e32 v19, v20, v44
	v_add_f32_e32 v22, v5, v49
	v_add_f32_e32 v23, v4, v48
	v_min3_f32 v128, v7, v6, v39
	v_min3_f32 v127, v9, v8, v108
	v_min3_f32 v125, v15, v14, v111
	v_add_f32_e32 v6, v13, v49
	v_add_f32_e32 v7, v12, v48
	v_add_f32_e32 v8, v17, v49
	v_add_f32_e32 v9, v16, v48
	v_add_f32_e32 v14, v21, v49
	v_add_f32_e32 v15, v20, v48
	v_min3_f32 v96, v121, v120, v96
	v_min3_f32 v124, v19, v18, v42
	v_min3_f32 v123, v23, v22, v43
	v_add_f32_e32 v18, v5, v53
	v_add_f32_e32 v19, v4, v52
	v_add_f32_e32 v22, v13, v53
	v_add_f32_e32 v23, v12, v52
	v_min3_f32 v122, v7, v6, v112
	v_min3_f32 v121, v9, v8, v115
	v_min3_f32 v120, v15, v14, v46
	v_add_f32_e32 v6, v17, v53
	v_add_f32_e32 v7, v16, v52
	v_add_f32_e32 v8, v21, v53
	v_add_f32_e32 v9, v20, v52
	v_add_f32_e32 v14, v5, v57
	v_add_f32_e32 v15, v4, v56
	v_min3_f32 v92, v119, v118, v92
	v_min3_f32 v119, v19, v18, v47
	v_min3_f32 v118, v23, v22, v116
	v_add_f32_e32 v18, v13, v57
	v_add_f32_e32 v19, v12, v56
	v_add_f32_e32 v22, v17, v57
	v_add_f32_e32 v23, v16, v56
	v_min3_f32 v117, v7, v6, v117
	v_min3_f32 v116, v9, v8, v50
	v_min3_f32 v115, v15, v14, v51
	v_add_f32_e32 v6, v21, v57
	v_add_f32_e32 v7, v20, v56
	v_add_f32_e32 v8, v5, v61
	v_add_f32_e32 v9, v4, v60
	v_add_f32_e32 v14, v13, v61
	v_add_f32_e32 v15, v12, v60
	v_min3_f32 v114, v19, v18, v114
	v_min3_f32 v113, v23, v22, v113
	v_add_f32_e32 v18, v17, v61
	v_add_f32_e32 v19, v16, v60
	v_add_f32_e32 v22, v21, v61
	v_add_f32_e32 v23, v20, v60
	v_min3_f32 v112, v7, v6, v54
	v_min3_f32 v111, v9, v8, v55
	v_min3_f32 v110, v15, v14, v110
	v_add_f32_e32 v6, v5, v65
	v_add_f32_e32 v7, v4, v64
	v_add_f32_e32 v8, v13, v65
	v_add_f32_e32 v9, v12, v64
	v_add_f32_e32 v14, v17, v65
	v_add_f32_e32 v15, v16, v64
	v_min3_f32 v109, v19, v18, v109
	v_min3_f32 v108, v23, v22, v58
	v_add_f32_e32 v18, v21, v65
	v_add_f32_e32 v19, v20, v64
	v_add_f32_e32 v22, v5, v69
	v_add_f32_e32 v23, v4, v68
	v_min3_f32 v107, v7, v6, v59
	v_min3_f32 v106, v9, v8, v106
	v_min3_f32 v105, v15, v14, v105
	v_add_f32_e32 v6, v13, v69
	v_add_f32_e32 v7, v12, v68
	v_add_f32_e32 v8, v17, v69
	v_add_f32_e32 v9, v16, v68
	v_add_f32_e32 v14, v21, v69
	v_add_f32_e32 v15, v20, v68
	v_min3_f32 v104, v19, v18, v62
	v_min3_f32 v103, v23, v22, v63
	v_add_f32_e32 v18, v5, v73
	v_add_f32_e32 v19, v4, v72
	v_add_f32_e32 v22, v13, v73
	v_add_f32_e32 v23, v12, v72
	v_min3_f32 v102, v7, v6, v102
	v_min3_f32 v101, v9, v8, v101
	v_min3_f32 v100, v15, v14, v66
	v_add_f32_e32 v6, v17, v73
	v_add_f32_e32 v7, v16, v72
	v_add_f32_e32 v8, v21, v73
	v_add_f32_e32 v9, v20, v72
	v_add_f32_e32 v14, v5, v77
	v_add_f32_e32 v15, v4, v76
	v_min3_f32 v99, v19, v18, v67
	v_min3_f32 v97, v23, v22, v97
	v_add_f32_e32 v18, v13, v77
	v_add_f32_e32 v19, v12, v76
	v_add_f32_e32 v22, v17, v77
	v_add_f32_e32 v23, v16, v76
	v_min3_f32 v96, v7, v6, v96
	v_min3_f32 v95, v9, v8, v70
	;; [unrolled: 1-line block ×3, first 2 shown]
	v_add_f32_e32 v6, v21, v77
	v_add_f32_e32 v7, v20, v76
	v_add_f32_e32 v5, v5, v81
	v_add_f32_e32 v4, v4, v80
	v_add_f32_e32 v8, v13, v81
	v_add_f32_e32 v9, v12, v80
	v_add_f32_e32 v12, v17, v81
	v_add_f32_e32 v13, v16, v80
	v_add_f32_e32 v14, v21, v81
	v_add_f32_e32 v15, v20, v80
	v_add_co_ci_u32_e64 v160, null, 0, v160, s3
	v_add_co_u32 v161, s3, v161, 32
	v_add_co_ci_u32_e64 v162, null, 0, v162, s3
	v_add_co_u32 v163, s3, v163, 32
	v_min3_f32 v87, v79, v78, v87
	v_min3_f32 v93, v19, v18, v93
	;; [unrolled: 1-line block ×8, first 2 shown]
	v_add_co_ci_u32_e64 v164, null, 0, v164, s3
	s_add_i32 s17, s17, 8
	s_waitcnt vmcnt(0)
	ds_write2st64_b32 v154, v166, v165 offset1:4
	ds_write2st64_b32 v156, v168, v167 offset1:4
	s_cmp_ge_i32 s17, s16
	s_waitcnt lgkmcnt(0)
	s_barrier
	buffer_gl0_inv
	s_cbranch_scc1 .LBB13_43
.LBB13_27:                              ; =>This Inner Loop Header: Depth=1
	v_add_nc_u32_e32 v165, s17, v83
	v_mov_b32_e32 v166, 0x7f7fffff
	v_mov_b32_e32 v167, 0x7f7fffff
	v_add_nc_u32_e32 v2, 8, v165
	v_cmp_le_i32_e64 s3, s10, v2
	s_nor_b32 s6, vcc_lo, s3
	s_and_saveexec_b32 s18, s6
	s_cbranch_execz .LBB13_29
; %bb.28:                               ;   in Loop: Header=BB13_27 Depth=1
	v_add_co_u32 v2, s6, v161, v84
	v_add_co_ci_u32_e64 v3, null, 0, v162, s6
	flat_load_dword v167, v[2:3] offset:32
.LBB13_29:                              ;   in Loop: Header=BB13_27 Depth=1
	s_or_b32 exec_lo, exec_lo, s18
	s_nor_b32 s6, s0, s3
	s_and_saveexec_b32 s18, s6
	s_cbranch_execz .LBB13_31
; %bb.30:                               ;   in Loop: Header=BB13_27 Depth=1
	v_add_co_u32 v2, s6, v163, v84
	v_add_co_ci_u32_e64 v3, null, 0, v164, s6
	flat_load_dword v166, v[2:3] offset:32
.LBB13_31:                              ;   in Loop: Header=BB13_27 Depth=1
	s_or_b32 exec_lo, exec_lo, s18
	v_mov_b32_e32 v168, 0x7f7fffff
	v_mov_b32_e32 v169, 0x7f7fffff
	s_nor_b32 s6, s1, s3
	s_and_saveexec_b32 s18, s6
	s_cbranch_execz .LBB13_33
; %bb.32:                               ;   in Loop: Header=BB13_27 Depth=1
	v_add_co_u32 v2, s6, v126, v84
	v_add_co_ci_u32_e64 v3, null, 0, v130, s6
	flat_load_dword v169, v[2:3] offset:32
.LBB13_33:                              ;   in Loop: Header=BB13_27 Depth=1
	s_or_b32 exec_lo, exec_lo, s18
	s_nor_b32 s3, s2, s3
	s_and_saveexec_b32 s6, s3
	s_cbranch_execz .LBB13_35
; %bb.34:                               ;   in Loop: Header=BB13_27 Depth=1
	v_add_co_u32 v2, s3, v159, v84
	v_add_co_ci_u32_e64 v3, null, 0, v160, s3
	flat_load_dword v168, v[2:3] offset:32
.LBB13_35:                              ;   in Loop: Header=BB13_27 Depth=1
	s_or_b32 exec_lo, exec_lo, s6
	ds_read_b128 v[14:17], v157
	ds_read_b128 v[10:13], v157 offset:512
	ds_read_b128 v[6:9], v157 offset:1024
	;; [unrolled: 1-line block ×3, first 2 shown]
	ds_read_b128 v[78:81], v158
	ds_read_b128 v[74:77], v158 offset:128
	ds_read_b128 v[70:73], v158 offset:256
	;; [unrolled: 1-line block ×15, first 2 shown]
	v_add_nc_u32_e32 v165, 12, v165
	s_waitcnt vmcnt(0) lgkmcnt(20)
	ds_write2st64_b32 v86, v167, v166 offset1:4
	ds_write2st64_b32 v155, v169, v168 offset1:4
	v_mov_b32_e32 v166, 0x7f7fffff
	s_waitcnt lgkmcnt(0)
	s_barrier
	v_cmp_le_i32_e64 s3, s10, v165
	v_mov_b32_e32 v165, 0x7f7fffff
	buffer_gl0_inv
	s_nor_b32 s6, vcc_lo, s3
	s_and_saveexec_b32 s18, s6
	s_cbranch_execz .LBB13_37
; %bb.36:                               ;   in Loop: Header=BB13_27 Depth=1
	v_add_co_u32 v166, s6, v161, v84
	v_add_co_ci_u32_e64 v167, null, 0, v162, s6
	flat_load_dword v166, v[166:167] offset:48
.LBB13_37:                              ;   in Loop: Header=BB13_27 Depth=1
	s_or_b32 exec_lo, exec_lo, s18
	s_nor_b32 s6, s0, s3
	s_and_saveexec_b32 s18, s6
	s_cbranch_execz .LBB13_39
; %bb.38:                               ;   in Loop: Header=BB13_27 Depth=1
	v_add_co_u32 v167, s6, v163, v84
	v_add_co_ci_u32_e64 v168, null, 0, v164, s6
	flat_load_dword v165, v[167:168] offset:48
.LBB13_39:                              ;   in Loop: Header=BB13_27 Depth=1
	s_or_b32 exec_lo, exec_lo, s18
	v_mov_b32_e32 v167, 0x7f7fffff
	v_mov_b32_e32 v168, 0x7f7fffff
	s_nor_b32 s6, s1, s3
	s_and_saveexec_b32 s18, s6
	s_cbranch_execz .LBB13_41
; %bb.40:                               ;   in Loop: Header=BB13_27 Depth=1
	v_add_co_u32 v168, s6, v126, v84
	v_add_co_ci_u32_e64 v169, null, 0, v130, s6
	flat_load_dword v168, v[168:169] offset:48
.LBB13_41:                              ;   in Loop: Header=BB13_27 Depth=1
	s_or_b32 exec_lo, exec_lo, s18
	s_nor_b32 s3, s2, s3
	s_and_saveexec_b32 s6, s3
	s_cbranch_execz .LBB13_26
; %bb.42:                               ;   in Loop: Header=BB13_27 Depth=1
	v_add_co_u32 v169, s3, v159, v84
	v_add_co_ci_u32_e64 v170, null, 0, v160, s3
	flat_load_dword v167, v[169:170] offset:48
	s_branch .LBB13_26
.LBB13_43:
	s_clause 0x2
	s_load_dwordx2 s[0:1], s[4:5], 0x70
	s_load_dword s6, s[4:5], 0x50
	s_load_dword s5, s[4:5], 0x68
	ds_read_b128 v[18:21], v85 offset:2048
	ds_read_b128 v[14:17], v85 offset:2560
	;; [unrolled: 1-line block ×14, first 2 shown]
	v_add_nc_u32_e32 v130, s21, v1
	ds_read_b128 v[38:41], v82 offset:7424
	ds_read_b128 v[34:37], v82 offset:7552
	;; [unrolled: 1-line block ×6, first 2 shown]
	v_add_nc_u32_e32 v0, s20, v0
	v_cmp_gt_i32_e64 s4, s9, v130
	v_cndmask_b32_e64 v126, 0, 1, s11
	v_ashrrev_i32_e32 v1, 31, v0
	s_waitcnt lgkmcnt(0)
	s_lshl_b64 s[0:1], s[0:1], 2
	v_mad_i64_i32 v[83:84], null, v130, s6, 0
	v_mad_i64_i32 v[85:86], null, v130, s5, 0
	s_add_u32 s10, s14, s0
	s_addc_u32 s14, s15, s1
	v_cmp_gt_i32_e64 s0, s8, v0
	v_lshlrev_b64 v[82:83], 2, v[83:84]
	v_lshlrev_b64 v[84:85], 2, v[85:86]
	s_and_b32 s2, s0, s4
	v_add_co_u32 v155, vcc_lo, s12, v82
	v_add_co_ci_u32_e64 v156, null, s13, v83, vcc_lo
	v_add_co_u32 v152, vcc_lo, s10, v84
	v_add_co_ci_u32_e64 v154, null, s14, v85, vcc_lo
	s_and_saveexec_b32 s1, s2
	s_cbranch_execz .LBB13_48
; %bb.44:
	s_andn2_b32 vcc_lo, exec_lo, s11
	s_cbranch_vccnz .LBB13_46
; %bb.45:
	v_lshlrev_b64 v[82:83], 2, v[0:1]
	v_add_co_u32 v82, vcc_lo, v155, v82
	v_add_co_ci_u32_e64 v83, null, v156, v83, vcc_lo
	flat_load_dword v82, v[82:83]
	s_waitcnt vmcnt(0) lgkmcnt(0)
	v_mul_f32_e32 v82, s7, v82
	s_branch .LBB13_47
.LBB13_46:
	v_mov_b32_e32 v82, 0
.LBB13_47:
	v_add_f32_e32 v83, v19, v79
	v_add_f32_e32 v84, v18, v78
	;; [unrolled: 1-line block ×4, first 2 shown]
	v_min3_f32 v153, v84, v83, v153
	v_lshlrev_b64 v[83:84], 2, v[0:1]
	v_min_f32_e32 v85, v86, v85
	v_min3_f32 v85, v82, v85, v153
	v_add_co_u32 v82, vcc_lo, v152, v83
	v_add_co_ci_u32_e64 v83, null, v154, v84, vcc_lo
	flat_store_dword v[82:83], v85
.LBB13_48:
	s_or_b32 exec_lo, exec_lo, s1
	v_add_nc_u32_e32 v82, 32, v0
	v_cmp_gt_i32_e64 s1, s8, v82
	v_ashrrev_i32_e32 v83, 31, v82
	s_and_b32 s3, s1, s4
	s_and_saveexec_b32 s2, s3
	s_cbranch_execz .LBB13_53
; %bb.49:
	v_cmp_ne_u32_e32 vcc_lo, 1, v126
	s_cbranch_vccnz .LBB13_51
; %bb.50:
	v_lshlrev_b64 v[84:85], 2, v[82:83]
	v_add_co_u32 v84, vcc_lo, v155, v84
	v_add_co_ci_u32_e64 v85, null, v156, v85, vcc_lo
	flat_load_dword v84, v[84:85]
	s_waitcnt vmcnt(0) lgkmcnt(0)
	v_mul_f32_e32 v84, s7, v84
	s_branch .LBB13_52
.LBB13_51:
	v_mov_b32_e32 v84, 0
.LBB13_52:
	v_add_f32_e32 v85, v15, v79
	v_add_f32_e32 v86, v14, v78
	;; [unrolled: 1-line block ×4, first 2 shown]
	v_min3_f32 v151, v86, v85, v151
	v_lshlrev_b64 v[85:86], 2, v[82:83]
	v_min_f32_e32 v153, v157, v153
	v_min3_f32 v151, v84, v153, v151
	v_add_co_u32 v84, vcc_lo, v152, v85
	v_add_co_ci_u32_e64 v85, null, v154, v86, vcc_lo
	flat_store_dword v[84:85], v151
.LBB13_53:
	s_or_b32 exec_lo, exec_lo, s2
	v_add_nc_u32_e32 v84, 64, v0
	v_cmp_gt_i32_e64 s2, s8, v84
	v_ashrrev_i32_e32 v85, 31, v84
	s_and_b32 s11, s2, s4
	s_and_saveexec_b32 s3, s11
	s_cbranch_execz .LBB13_58
; %bb.54:
	v_cmp_ne_u32_e32 vcc_lo, 1, v126
	s_cbranch_vccnz .LBB13_56
; %bb.55:
	v_lshlrev_b64 v[157:158], 2, v[84:85]
	v_add_co_u32 v157, vcc_lo, v155, v157
	v_add_co_ci_u32_e64 v158, null, v156, v158, vcc_lo
	flat_load_dword v86, v[157:158]
	s_waitcnt vmcnt(0) lgkmcnt(0)
	v_mul_f32_e32 v86, s7, v86
	s_branch .LBB13_57
.LBB13_56:
	v_mov_b32_e32 v86, 0
.LBB13_57:
	v_add_f32_e32 v151, v11, v79
	v_add_f32_e32 v153, v10, v78
	;; [unrolled: 1-line block ×4, first 2 shown]
	v_min3_f32 v87, v153, v151, v87
	v_min_f32_e32 v151, v158, v157
	v_lshlrev_b64 v[157:158], 2, v[84:85]
	v_min3_f32 v151, v86, v151, v87
	v_add_co_u32 v86, vcc_lo, v152, v157
	v_add_co_ci_u32_e64 v87, null, v154, v158, vcc_lo
	flat_store_dword v[86:87], v151
.LBB13_58:
	s_or_b32 exec_lo, exec_lo, s3
	v_add_nc_u32_e32 v86, 0x60, v0
	v_cmp_gt_i32_e64 s3, s8, v86
	v_ashrrev_i32_e32 v87, 31, v86
	s_and_b32 s8, s3, s4
	s_and_saveexec_b32 s4, s8
	s_cbranch_execz .LBB13_63
; %bb.59:
	v_cmp_ne_u32_e32 vcc_lo, 1, v126
	s_cbranch_vccnz .LBB13_61
; %bb.60:
	v_lshlrev_b64 v[157:158], 2, v[86:87]
	v_add_co_u32 v155, vcc_lo, v155, v157
	v_add_co_ci_u32_e64 v156, null, v156, v158, vcc_lo
	flat_load_dword v151, v[155:156]
	s_waitcnt vmcnt(0) lgkmcnt(0)
	v_mul_f32_e32 v151, s7, v151
	s_branch .LBB13_62
.LBB13_61:
	v_mov_b32_e32 v151, 0
.LBB13_62:
	v_add_f32_e32 v79, v3, v79
	v_add_f32_e32 v78, v2, v78
	;; [unrolled: 1-line block ×4, first 2 shown]
	v_min3_f32 v150, v78, v79, v150
	v_lshlrev_b64 v[78:79], 2, v[86:87]
	v_min_f32_e32 v80, v80, v81
	v_min3_f32 v80, v151, v80, v150
	v_add_co_u32 v78, vcc_lo, v152, v78
	v_add_co_ci_u32_e64 v79, null, v154, v79, vcc_lo
	flat_store_dword v[78:79], v80
.LBB13_63:
	s_or_b32 exec_lo, exec_lo, s4
	v_add_nc_u32_e32 v150, 8, v130
	v_mad_i64_i32 v[78:79], null, v150, s6, 0
	v_mad_i64_i32 v[80:81], null, v150, s5, 0
	v_cmp_gt_i32_e64 s4, s9, v150
	v_lshlrev_b64 v[78:79], 2, v[78:79]
	s_and_b32 s11, s0, s4
	v_lshlrev_b64 v[150:151], 2, v[80:81]
	v_add_co_u32 v80, vcc_lo, s12, v78
	v_add_co_ci_u32_e64 v81, null, s13, v79, vcc_lo
	v_add_co_u32 v78, vcc_lo, s10, v150
	v_add_co_ci_u32_e64 v79, null, s14, v151, vcc_lo
	s_and_saveexec_b32 s8, s11
	s_cbranch_execnz .LBB13_67
; %bb.64:
	s_or_b32 exec_lo, exec_lo, s8
	s_and_b32 s11, s1, s4
	s_and_saveexec_b32 s8, s11
	s_cbranch_execnz .LBB13_71
.LBB13_65:
	s_or_b32 exec_lo, exec_lo, s8
	s_and_b32 s11, s2, s4
	s_and_saveexec_b32 s8, s11
	s_cbranch_execnz .LBB13_75
.LBB13_66:
	s_or_b32 exec_lo, exec_lo, s8
	s_and_b32 s8, s3, s4
	s_and_saveexec_b32 s4, s8
	s_cbranch_execnz .LBB13_79
	s_branch .LBB13_83
.LBB13_67:
	v_cmp_ne_u32_e32 vcc_lo, 1, v126
	s_cbranch_vccnz .LBB13_69
; %bb.68:
	v_lshlrev_b64 v[150:151], 2, v[0:1]
	v_add_co_u32 v150, vcc_lo, v80, v150
	v_add_co_ci_u32_e64 v151, null, v81, v151, vcc_lo
	flat_load_dword v150, v[150:151]
	s_waitcnt vmcnt(0) lgkmcnt(0)
	v_mul_f32_e32 v150, s7, v150
	s_branch .LBB13_70
.LBB13_69:
	v_mov_b32_e32 v150, 0
.LBB13_70:
	v_add_f32_e32 v151, v19, v75
	v_add_f32_e32 v152, v18, v74
	;; [unrolled: 1-line block ×4, first 2 shown]
	v_min3_f32 v149, v152, v151, v149
	v_lshlrev_b64 v[151:152], 2, v[0:1]
	v_min_f32_e32 v153, v154, v153
	v_min3_f32 v153, v150, v153, v149
	v_add_co_u32 v149, vcc_lo, v78, v151
	v_add_co_ci_u32_e64 v150, null, v79, v152, vcc_lo
	flat_store_dword v[149:150], v153
	s_or_b32 exec_lo, exec_lo, s8
	s_and_b32 s11, s1, s4
	s_and_saveexec_b32 s8, s11
	s_cbranch_execz .LBB13_65
.LBB13_71:
	v_cmp_ne_u32_e32 vcc_lo, 1, v126
	s_cbranch_vccnz .LBB13_73
; %bb.72:
	v_lshlrev_b64 v[149:150], 2, v[82:83]
	v_add_co_u32 v149, vcc_lo, v80, v149
	v_add_co_ci_u32_e64 v150, null, v81, v150, vcc_lo
	flat_load_dword v149, v[149:150]
	s_waitcnt vmcnt(0) lgkmcnt(0)
	v_mul_f32_e32 v149, s7, v149
	s_branch .LBB13_74
.LBB13_73:
	v_mov_b32_e32 v149, 0
.LBB13_74:
	v_add_f32_e32 v150, v15, v75
	v_add_f32_e32 v151, v14, v74
	;; [unrolled: 1-line block ×4, first 2 shown]
	v_min3_f32 v148, v151, v150, v148
	v_lshlrev_b64 v[150:151], 2, v[82:83]
	v_min_f32_e32 v152, v153, v152
	v_min3_f32 v152, v149, v152, v148
	v_add_co_u32 v148, vcc_lo, v78, v150
	v_add_co_ci_u32_e64 v149, null, v79, v151, vcc_lo
	flat_store_dword v[148:149], v152
	s_or_b32 exec_lo, exec_lo, s8
	s_and_b32 s11, s2, s4
	s_and_saveexec_b32 s8, s11
	s_cbranch_execz .LBB13_66
.LBB13_75:
	v_cmp_ne_u32_e32 vcc_lo, 1, v126
	s_cbranch_vccnz .LBB13_77
; %bb.76:
	v_lshlrev_b64 v[148:149], 2, v[84:85]
	v_add_co_u32 v148, vcc_lo, v80, v148
	v_add_co_ci_u32_e64 v149, null, v81, v149, vcc_lo
	flat_load_dword v148, v[148:149]
	s_waitcnt vmcnt(0) lgkmcnt(0)
	v_mul_f32_e32 v148, s7, v148
	s_branch .LBB13_78
.LBB13_77:
	v_mov_b32_e32 v148, 0
.LBB13_78:
	v_add_f32_e32 v149, v11, v75
	v_add_f32_e32 v150, v10, v74
	v_add_f32_e32 v151, v13, v77
	v_add_f32_e32 v152, v12, v76
	v_min3_f32 v147, v150, v149, v147
	v_lshlrev_b64 v[149:150], 2, v[84:85]
	v_min_f32_e32 v151, v152, v151
	v_min3_f32 v151, v148, v151, v147
	v_add_co_u32 v147, vcc_lo, v78, v149
	v_add_co_ci_u32_e64 v148, null, v79, v150, vcc_lo
	flat_store_dword v[147:148], v151
	s_or_b32 exec_lo, exec_lo, s8
	s_and_b32 s8, s3, s4
	s_and_saveexec_b32 s4, s8
	s_cbranch_execz .LBB13_83
.LBB13_79:
	v_cmp_ne_u32_e32 vcc_lo, 1, v126
	s_cbranch_vccnz .LBB13_81
; %bb.80:
	v_lshlrev_b64 v[147:148], 2, v[86:87]
	v_add_co_u32 v80, vcc_lo, v80, v147
	v_add_co_ci_u32_e64 v81, null, v81, v148, vcc_lo
	flat_load_dword v80, v[80:81]
	s_waitcnt vmcnt(0) lgkmcnt(0)
	v_mul_f32_e32 v80, s7, v80
	s_branch .LBB13_82
.LBB13_81:
	v_mov_b32_e32 v80, 0
.LBB13_82:
	v_add_f32_e32 v75, v3, v75
	v_add_f32_e32 v74, v2, v74
	;; [unrolled: 1-line block ×4, first 2 shown]
	v_min3_f32 v81, v74, v75, v146
	v_lshlrev_b64 v[74:75], 2, v[86:87]
	v_min_f32_e32 v76, v76, v77
	v_min3_f32 v76, v80, v76, v81
	v_add_co_u32 v74, vcc_lo, v78, v74
	v_add_co_ci_u32_e64 v75, null, v79, v75, vcc_lo
	flat_store_dword v[74:75], v76
.LBB13_83:
	s_or_b32 exec_lo, exec_lo, s4
	v_add_nc_u32_e32 v78, 16, v130
	v_mad_i64_i32 v[74:75], null, v78, s6, 0
	v_mad_i64_i32 v[76:77], null, v78, s5, 0
	v_cmp_gt_i32_e64 s4, s9, v78
	v_lshlrev_b64 v[74:75], 2, v[74:75]
	s_and_b32 s11, s0, s4
	v_lshlrev_b64 v[78:79], 2, v[76:77]
	v_add_co_u32 v76, vcc_lo, s12, v74
	v_add_co_ci_u32_e64 v77, null, s13, v75, vcc_lo
	v_add_co_u32 v74, vcc_lo, s10, v78
	v_add_co_ci_u32_e64 v75, null, s14, v79, vcc_lo
	s_and_saveexec_b32 s8, s11
	s_cbranch_execnz .LBB13_87
; %bb.84:
	s_or_b32 exec_lo, exec_lo, s8
	s_and_b32 s11, s1, s4
	s_and_saveexec_b32 s8, s11
	s_cbranch_execnz .LBB13_91
.LBB13_85:
	s_or_b32 exec_lo, exec_lo, s8
	s_and_b32 s11, s2, s4
	s_and_saveexec_b32 s8, s11
	s_cbranch_execnz .LBB13_95
.LBB13_86:
	s_or_b32 exec_lo, exec_lo, s8
	s_and_b32 s8, s3, s4
	s_and_saveexec_b32 s4, s8
	s_cbranch_execnz .LBB13_99
	s_branch .LBB13_103
.LBB13_87:
	v_cmp_ne_u32_e32 vcc_lo, 1, v126
	s_cbranch_vccnz .LBB13_89
; %bb.88:
	v_lshlrev_b64 v[78:79], 2, v[0:1]
	v_add_co_u32 v78, vcc_lo, v76, v78
	v_add_co_ci_u32_e64 v79, null, v77, v79, vcc_lo
	flat_load_dword v78, v[78:79]
	s_waitcnt vmcnt(0) lgkmcnt(0)
	v_mul_f32_e32 v78, s7, v78
	s_branch .LBB13_90
.LBB13_89:
	v_mov_b32_e32 v78, 0
.LBB13_90:
	v_add_f32_e32 v79, v19, v71
	v_add_f32_e32 v80, v18, v70
	;; [unrolled: 1-line block ×4, first 2 shown]
	v_min3_f32 v145, v80, v79, v145
	v_lshlrev_b64 v[79:80], 2, v[0:1]
	v_min_f32_e32 v81, v146, v81
	v_min3_f32 v81, v78, v81, v145
	v_add_co_u32 v78, vcc_lo, v74, v79
	v_add_co_ci_u32_e64 v79, null, v75, v80, vcc_lo
	flat_store_dword v[78:79], v81
	s_or_b32 exec_lo, exec_lo, s8
	s_and_b32 s11, s1, s4
	s_and_saveexec_b32 s8, s11
	s_cbranch_execz .LBB13_85
.LBB13_91:
	v_cmp_ne_u32_e32 vcc_lo, 1, v126
	s_cbranch_vccnz .LBB13_93
; %bb.92:
	v_lshlrev_b64 v[78:79], 2, v[82:83]
	v_add_co_u32 v78, vcc_lo, v76, v78
	v_add_co_ci_u32_e64 v79, null, v77, v79, vcc_lo
	flat_load_dword v78, v[78:79]
	s_waitcnt vmcnt(0) lgkmcnt(0)
	v_mul_f32_e32 v78, s7, v78
	s_branch .LBB13_94
.LBB13_93:
	v_mov_b32_e32 v78, 0
.LBB13_94:
	v_add_f32_e32 v79, v15, v71
	v_add_f32_e32 v80, v14, v70
	v_add_f32_e32 v81, v17, v73
	v_add_f32_e32 v145, v16, v72
	v_min3_f32 v144, v80, v79, v144
	v_lshlrev_b64 v[79:80], 2, v[82:83]
	v_min_f32_e32 v81, v145, v81
	v_min3_f32 v81, v78, v81, v144
	v_add_co_u32 v78, vcc_lo, v74, v79
	v_add_co_ci_u32_e64 v79, null, v75, v80, vcc_lo
	flat_store_dword v[78:79], v81
	s_or_b32 exec_lo, exec_lo, s8
	s_and_b32 s11, s2, s4
	s_and_saveexec_b32 s8, s11
	s_cbranch_execz .LBB13_86
.LBB13_95:
	v_cmp_ne_u32_e32 vcc_lo, 1, v126
	s_cbranch_vccnz .LBB13_97
; %bb.96:
	v_lshlrev_b64 v[78:79], 2, v[84:85]
	v_add_co_u32 v78, vcc_lo, v76, v78
	v_add_co_ci_u32_e64 v79, null, v77, v79, vcc_lo
	flat_load_dword v78, v[78:79]
	s_waitcnt vmcnt(0) lgkmcnt(0)
	v_mul_f32_e32 v78, s7, v78
	s_branch .LBB13_98
.LBB13_97:
	v_mov_b32_e32 v78, 0
.LBB13_98:
	v_add_f32_e32 v79, v11, v71
	v_add_f32_e32 v80, v10, v70
	;; [unrolled: 1-line block ×4, first 2 shown]
	v_min3_f32 v143, v80, v79, v143
	v_lshlrev_b64 v[79:80], 2, v[84:85]
	v_min_f32_e32 v81, v144, v81
	v_min3_f32 v81, v78, v81, v143
	v_add_co_u32 v78, vcc_lo, v74, v79
	v_add_co_ci_u32_e64 v79, null, v75, v80, vcc_lo
	flat_store_dword v[78:79], v81
	s_or_b32 exec_lo, exec_lo, s8
	s_and_b32 s8, s3, s4
	s_and_saveexec_b32 s4, s8
	s_cbranch_execz .LBB13_103
.LBB13_99:
	v_cmp_ne_u32_e32 vcc_lo, 1, v126
	s_cbranch_vccnz .LBB13_101
; %bb.100:
	v_lshlrev_b64 v[78:79], 2, v[86:87]
	v_add_co_u32 v76, vcc_lo, v76, v78
	v_add_co_ci_u32_e64 v77, null, v77, v79, vcc_lo
	flat_load_dword v76, v[76:77]
	s_waitcnt vmcnt(0) lgkmcnt(0)
	v_mul_f32_e32 v76, s7, v76
	s_branch .LBB13_102
.LBB13_101:
	v_mov_b32_e32 v76, 0
.LBB13_102:
	v_add_f32_e32 v71, v3, v71
	v_add_f32_e32 v70, v2, v70
	;; [unrolled: 1-line block ×4, first 2 shown]
	v_min3_f32 v77, v70, v71, v142
	v_lshlrev_b64 v[70:71], 2, v[86:87]
	v_min_f32_e32 v72, v72, v73
	v_min3_f32 v72, v76, v72, v77
	v_add_co_u32 v70, vcc_lo, v74, v70
	v_add_co_ci_u32_e64 v71, null, v75, v71, vcc_lo
	flat_store_dword v[70:71], v72
.LBB13_103:
	s_or_b32 exec_lo, exec_lo, s4
	v_add_nc_u32_e32 v74, 24, v130
	v_mad_i64_i32 v[70:71], null, v74, s6, 0
	v_mad_i64_i32 v[72:73], null, v74, s5, 0
	v_cmp_gt_i32_e64 s4, s9, v74
	v_lshlrev_b64 v[70:71], 2, v[70:71]
	s_and_b32 s11, s0, s4
	v_lshlrev_b64 v[74:75], 2, v[72:73]
	v_add_co_u32 v72, vcc_lo, s12, v70
	v_add_co_ci_u32_e64 v73, null, s13, v71, vcc_lo
	v_add_co_u32 v70, vcc_lo, s10, v74
	v_add_co_ci_u32_e64 v71, null, s14, v75, vcc_lo
	s_and_saveexec_b32 s8, s11
	s_cbranch_execnz .LBB13_107
; %bb.104:
	s_or_b32 exec_lo, exec_lo, s8
	s_and_b32 s11, s1, s4
	s_and_saveexec_b32 s8, s11
	s_cbranch_execnz .LBB13_111
.LBB13_105:
	s_or_b32 exec_lo, exec_lo, s8
	s_and_b32 s11, s2, s4
	s_and_saveexec_b32 s8, s11
	s_cbranch_execnz .LBB13_115
.LBB13_106:
	s_or_b32 exec_lo, exec_lo, s8
	s_and_b32 s8, s3, s4
	s_and_saveexec_b32 s4, s8
	s_cbranch_execnz .LBB13_119
	s_branch .LBB13_123
.LBB13_107:
	v_cmp_ne_u32_e32 vcc_lo, 1, v126
	s_cbranch_vccnz .LBB13_109
; %bb.108:
	v_lshlrev_b64 v[74:75], 2, v[0:1]
	v_add_co_u32 v74, vcc_lo, v72, v74
	v_add_co_ci_u32_e64 v75, null, v73, v75, vcc_lo
	flat_load_dword v74, v[74:75]
	s_waitcnt vmcnt(0) lgkmcnt(0)
	v_mul_f32_e32 v74, s7, v74
	s_branch .LBB13_110
.LBB13_109:
	v_mov_b32_e32 v74, 0
.LBB13_110:
	v_add_f32_e32 v75, v19, v67
	v_add_f32_e32 v76, v18, v66
	;; [unrolled: 1-line block ×4, first 2 shown]
	v_min3_f32 v79, v76, v75, v141
	v_lshlrev_b64 v[75:76], 2, v[0:1]
	v_min_f32_e32 v77, v78, v77
	v_min3_f32 v77, v74, v77, v79
	v_add_co_u32 v74, vcc_lo, v70, v75
	v_add_co_ci_u32_e64 v75, null, v71, v76, vcc_lo
	flat_store_dword v[74:75], v77
	s_or_b32 exec_lo, exec_lo, s8
	s_and_b32 s11, s1, s4
	s_and_saveexec_b32 s8, s11
	s_cbranch_execz .LBB13_105
.LBB13_111:
	v_cmp_ne_u32_e32 vcc_lo, 1, v126
	s_cbranch_vccnz .LBB13_113
; %bb.112:
	v_lshlrev_b64 v[74:75], 2, v[82:83]
	v_add_co_u32 v74, vcc_lo, v72, v74
	v_add_co_ci_u32_e64 v75, null, v73, v75, vcc_lo
	flat_load_dword v74, v[74:75]
	s_waitcnt vmcnt(0) lgkmcnt(0)
	v_mul_f32_e32 v74, s7, v74
	s_branch .LBB13_114
.LBB13_113:
	v_mov_b32_e32 v74, 0
.LBB13_114:
	v_add_f32_e32 v75, v15, v67
	v_add_f32_e32 v76, v14, v66
	;; [unrolled: 1-line block ×4, first 2 shown]
	v_min3_f32 v79, v76, v75, v140
	v_lshlrev_b64 v[75:76], 2, v[82:83]
	v_min_f32_e32 v77, v78, v77
	v_min3_f32 v77, v74, v77, v79
	v_add_co_u32 v74, vcc_lo, v70, v75
	v_add_co_ci_u32_e64 v75, null, v71, v76, vcc_lo
	flat_store_dword v[74:75], v77
	s_or_b32 exec_lo, exec_lo, s8
	s_and_b32 s11, s2, s4
	s_and_saveexec_b32 s8, s11
	s_cbranch_execz .LBB13_106
.LBB13_115:
	v_cmp_ne_u32_e32 vcc_lo, 1, v126
	s_cbranch_vccnz .LBB13_117
; %bb.116:
	v_lshlrev_b64 v[74:75], 2, v[84:85]
	v_add_co_u32 v74, vcc_lo, v72, v74
	v_add_co_ci_u32_e64 v75, null, v73, v75, vcc_lo
	flat_load_dword v74, v[74:75]
	s_waitcnt vmcnt(0) lgkmcnt(0)
	v_mul_f32_e32 v74, s7, v74
	s_branch .LBB13_118
.LBB13_117:
	v_mov_b32_e32 v74, 0
.LBB13_118:
	v_add_f32_e32 v75, v11, v67
	v_add_f32_e32 v76, v10, v66
	;; [unrolled: 1-line block ×4, first 2 shown]
	v_min3_f32 v79, v76, v75, v139
	v_lshlrev_b64 v[75:76], 2, v[84:85]
	v_min_f32_e32 v77, v78, v77
	v_min3_f32 v77, v74, v77, v79
	v_add_co_u32 v74, vcc_lo, v70, v75
	v_add_co_ci_u32_e64 v75, null, v71, v76, vcc_lo
	flat_store_dword v[74:75], v77
	s_or_b32 exec_lo, exec_lo, s8
	s_and_b32 s8, s3, s4
	s_and_saveexec_b32 s4, s8
	s_cbranch_execz .LBB13_123
.LBB13_119:
	v_cmp_ne_u32_e32 vcc_lo, 1, v126
	s_cbranch_vccnz .LBB13_121
; %bb.120:
	v_lshlrev_b64 v[74:75], 2, v[86:87]
	v_add_co_u32 v72, vcc_lo, v72, v74
	v_add_co_ci_u32_e64 v73, null, v73, v75, vcc_lo
	flat_load_dword v72, v[72:73]
	s_waitcnt vmcnt(0) lgkmcnt(0)
	v_mul_f32_e32 v72, s7, v72
	s_branch .LBB13_122
.LBB13_121:
	v_mov_b32_e32 v72, 0
.LBB13_122:
	v_add_f32_e32 v67, v3, v67
	v_add_f32_e32 v66, v2, v66
	;; [unrolled: 1-line block ×4, first 2 shown]
	v_min3_f32 v73, v66, v67, v138
	v_lshlrev_b64 v[66:67], 2, v[86:87]
	v_min_f32_e32 v68, v68, v69
	v_min3_f32 v68, v72, v68, v73
	v_add_co_u32 v66, vcc_lo, v70, v66
	v_add_co_ci_u32_e64 v67, null, v71, v67, vcc_lo
	flat_store_dword v[66:67], v68
.LBB13_123:
	s_or_b32 exec_lo, exec_lo, s4
	v_add_nc_u32_e32 v70, 32, v130
	v_mad_i64_i32 v[66:67], null, v70, s6, 0
	v_mad_i64_i32 v[68:69], null, v70, s5, 0
	v_cmp_gt_i32_e64 s4, s9, v70
	v_lshlrev_b64 v[66:67], 2, v[66:67]
	s_and_b32 s11, s0, s4
	v_lshlrev_b64 v[70:71], 2, v[68:69]
	v_add_co_u32 v68, vcc_lo, s12, v66
	v_add_co_ci_u32_e64 v69, null, s13, v67, vcc_lo
	v_add_co_u32 v66, vcc_lo, s10, v70
	v_add_co_ci_u32_e64 v67, null, s14, v71, vcc_lo
	s_and_saveexec_b32 s8, s11
	s_cbranch_execnz .LBB13_127
; %bb.124:
	s_or_b32 exec_lo, exec_lo, s8
	s_and_b32 s11, s1, s4
	s_and_saveexec_b32 s8, s11
	s_cbranch_execnz .LBB13_131
.LBB13_125:
	s_or_b32 exec_lo, exec_lo, s8
	s_and_b32 s11, s2, s4
	s_and_saveexec_b32 s8, s11
	s_cbranch_execnz .LBB13_135
.LBB13_126:
	s_or_b32 exec_lo, exec_lo, s8
	s_and_b32 s8, s3, s4
	s_and_saveexec_b32 s4, s8
	s_cbranch_execnz .LBB13_139
	s_branch .LBB13_143
.LBB13_127:
	v_cmp_ne_u32_e32 vcc_lo, 1, v126
	s_cbranch_vccnz .LBB13_129
; %bb.128:
	v_lshlrev_b64 v[70:71], 2, v[0:1]
	v_add_co_u32 v70, vcc_lo, v68, v70
	v_add_co_ci_u32_e64 v71, null, v69, v71, vcc_lo
	flat_load_dword v70, v[70:71]
	s_waitcnt vmcnt(0) lgkmcnt(0)
	v_mul_f32_e32 v70, s7, v70
	s_branch .LBB13_130
.LBB13_129:
	v_mov_b32_e32 v70, 0
.LBB13_130:
	v_add_f32_e32 v71, v19, v63
	v_add_f32_e32 v72, v18, v62
	;; [unrolled: 1-line block ×4, first 2 shown]
	v_min3_f32 v75, v72, v71, v137
	v_lshlrev_b64 v[71:72], 2, v[0:1]
	v_min_f32_e32 v73, v74, v73
	v_min3_f32 v73, v70, v73, v75
	v_add_co_u32 v70, vcc_lo, v66, v71
	v_add_co_ci_u32_e64 v71, null, v67, v72, vcc_lo
	flat_store_dword v[70:71], v73
	s_or_b32 exec_lo, exec_lo, s8
	s_and_b32 s11, s1, s4
	s_and_saveexec_b32 s8, s11
	s_cbranch_execz .LBB13_125
.LBB13_131:
	v_cmp_ne_u32_e32 vcc_lo, 1, v126
	s_cbranch_vccnz .LBB13_133
; %bb.132:
	v_lshlrev_b64 v[70:71], 2, v[82:83]
	v_add_co_u32 v70, vcc_lo, v68, v70
	v_add_co_ci_u32_e64 v71, null, v69, v71, vcc_lo
	flat_load_dword v70, v[70:71]
	s_waitcnt vmcnt(0) lgkmcnt(0)
	v_mul_f32_e32 v70, s7, v70
	s_branch .LBB13_134
.LBB13_133:
	v_mov_b32_e32 v70, 0
.LBB13_134:
	v_add_f32_e32 v71, v15, v63
	v_add_f32_e32 v72, v14, v62
	;; [unrolled: 1-line block ×4, first 2 shown]
	v_min3_f32 v75, v72, v71, v136
	v_lshlrev_b64 v[71:72], 2, v[82:83]
	v_min_f32_e32 v73, v74, v73
	v_min3_f32 v73, v70, v73, v75
	v_add_co_u32 v70, vcc_lo, v66, v71
	v_add_co_ci_u32_e64 v71, null, v67, v72, vcc_lo
	flat_store_dword v[70:71], v73
	s_or_b32 exec_lo, exec_lo, s8
	s_and_b32 s11, s2, s4
	s_and_saveexec_b32 s8, s11
	s_cbranch_execz .LBB13_126
.LBB13_135:
	v_cmp_ne_u32_e32 vcc_lo, 1, v126
	s_cbranch_vccnz .LBB13_137
; %bb.136:
	v_lshlrev_b64 v[70:71], 2, v[84:85]
	v_add_co_u32 v70, vcc_lo, v68, v70
	v_add_co_ci_u32_e64 v71, null, v69, v71, vcc_lo
	flat_load_dword v70, v[70:71]
	s_waitcnt vmcnt(0) lgkmcnt(0)
	v_mul_f32_e32 v70, s7, v70
	s_branch .LBB13_138
.LBB13_137:
	v_mov_b32_e32 v70, 0
.LBB13_138:
	v_add_f32_e32 v71, v11, v63
	v_add_f32_e32 v72, v10, v62
	;; [unrolled: 1-line block ×4, first 2 shown]
	v_min3_f32 v75, v72, v71, v135
	v_lshlrev_b64 v[71:72], 2, v[84:85]
	v_min_f32_e32 v73, v74, v73
	v_min3_f32 v73, v70, v73, v75
	v_add_co_u32 v70, vcc_lo, v66, v71
	v_add_co_ci_u32_e64 v71, null, v67, v72, vcc_lo
	flat_store_dword v[70:71], v73
	s_or_b32 exec_lo, exec_lo, s8
	s_and_b32 s8, s3, s4
	s_and_saveexec_b32 s4, s8
	s_cbranch_execz .LBB13_143
.LBB13_139:
	v_cmp_ne_u32_e32 vcc_lo, 1, v126
	s_cbranch_vccnz .LBB13_141
; %bb.140:
	v_lshlrev_b64 v[70:71], 2, v[86:87]
	v_add_co_u32 v68, vcc_lo, v68, v70
	v_add_co_ci_u32_e64 v69, null, v69, v71, vcc_lo
	flat_load_dword v68, v[68:69]
	s_waitcnt vmcnt(0) lgkmcnt(0)
	v_mul_f32_e32 v68, s7, v68
	s_branch .LBB13_142
.LBB13_141:
	v_mov_b32_e32 v68, 0
.LBB13_142:
	v_add_f32_e32 v63, v3, v63
	v_add_f32_e32 v62, v2, v62
	;; [unrolled: 1-line block ×4, first 2 shown]
	v_min3_f32 v69, v62, v63, v134
	v_lshlrev_b64 v[62:63], 2, v[86:87]
	v_min_f32_e32 v64, v64, v65
	v_min3_f32 v64, v68, v64, v69
	v_add_co_u32 v62, vcc_lo, v66, v62
	v_add_co_ci_u32_e64 v63, null, v67, v63, vcc_lo
	flat_store_dword v[62:63], v64
.LBB13_143:
	s_or_b32 exec_lo, exec_lo, s4
	v_add_nc_u32_e32 v66, 40, v130
	v_mad_i64_i32 v[62:63], null, v66, s6, 0
	v_mad_i64_i32 v[64:65], null, v66, s5, 0
	v_cmp_gt_i32_e64 s4, s9, v66
	v_lshlrev_b64 v[62:63], 2, v[62:63]
	s_and_b32 s11, s0, s4
	v_lshlrev_b64 v[66:67], 2, v[64:65]
	v_add_co_u32 v64, vcc_lo, s12, v62
	v_add_co_ci_u32_e64 v65, null, s13, v63, vcc_lo
	v_add_co_u32 v62, vcc_lo, s10, v66
	v_add_co_ci_u32_e64 v63, null, s14, v67, vcc_lo
	s_and_saveexec_b32 s8, s11
	s_cbranch_execnz .LBB13_147
; %bb.144:
	s_or_b32 exec_lo, exec_lo, s8
	s_and_b32 s11, s1, s4
	s_and_saveexec_b32 s8, s11
	s_cbranch_execnz .LBB13_151
.LBB13_145:
	s_or_b32 exec_lo, exec_lo, s8
	s_and_b32 s11, s2, s4
	s_and_saveexec_b32 s8, s11
	s_cbranch_execnz .LBB13_155
.LBB13_146:
	s_or_b32 exec_lo, exec_lo, s8
	s_and_b32 s8, s3, s4
	s_and_saveexec_b32 s4, s8
	s_cbranch_execnz .LBB13_159
	s_branch .LBB13_163
.LBB13_147:
	v_cmp_ne_u32_e32 vcc_lo, 1, v126
	s_cbranch_vccnz .LBB13_149
; %bb.148:
	v_lshlrev_b64 v[66:67], 2, v[0:1]
	v_add_co_u32 v66, vcc_lo, v64, v66
	v_add_co_ci_u32_e64 v67, null, v65, v67, vcc_lo
	flat_load_dword v66, v[66:67]
	s_waitcnt vmcnt(0) lgkmcnt(0)
	v_mul_f32_e32 v66, s7, v66
	s_branch .LBB13_150
.LBB13_149:
	v_mov_b32_e32 v66, 0
.LBB13_150:
	v_add_f32_e32 v67, v19, v59
	v_add_f32_e32 v68, v18, v58
	;; [unrolled: 1-line block ×4, first 2 shown]
	v_min3_f32 v71, v68, v67, v133
	v_lshlrev_b64 v[67:68], 2, v[0:1]
	v_min_f32_e32 v69, v70, v69
	v_min3_f32 v69, v66, v69, v71
	v_add_co_u32 v66, vcc_lo, v62, v67
	v_add_co_ci_u32_e64 v67, null, v63, v68, vcc_lo
	flat_store_dword v[66:67], v69
	s_or_b32 exec_lo, exec_lo, s8
	s_and_b32 s11, s1, s4
	s_and_saveexec_b32 s8, s11
	s_cbranch_execz .LBB13_145
.LBB13_151:
	v_cmp_ne_u32_e32 vcc_lo, 1, v126
	s_cbranch_vccnz .LBB13_153
; %bb.152:
	v_lshlrev_b64 v[66:67], 2, v[82:83]
	v_add_co_u32 v66, vcc_lo, v64, v66
	v_add_co_ci_u32_e64 v67, null, v65, v67, vcc_lo
	flat_load_dword v66, v[66:67]
	s_waitcnt vmcnt(0) lgkmcnt(0)
	v_mul_f32_e32 v66, s7, v66
	s_branch .LBB13_154
.LBB13_153:
	v_mov_b32_e32 v66, 0
.LBB13_154:
	v_add_f32_e32 v67, v15, v59
	v_add_f32_e32 v68, v14, v58
	;; [unrolled: 1-line block ×4, first 2 shown]
	v_min3_f32 v71, v68, v67, v132
	v_lshlrev_b64 v[67:68], 2, v[82:83]
	v_min_f32_e32 v69, v70, v69
	v_min3_f32 v69, v66, v69, v71
	v_add_co_u32 v66, vcc_lo, v62, v67
	v_add_co_ci_u32_e64 v67, null, v63, v68, vcc_lo
	flat_store_dword v[66:67], v69
	s_or_b32 exec_lo, exec_lo, s8
	s_and_b32 s11, s2, s4
	s_and_saveexec_b32 s8, s11
	s_cbranch_execz .LBB13_146
.LBB13_155:
	v_cmp_ne_u32_e32 vcc_lo, 1, v126
	s_cbranch_vccnz .LBB13_157
; %bb.156:
	v_lshlrev_b64 v[66:67], 2, v[84:85]
	v_add_co_u32 v66, vcc_lo, v64, v66
	v_add_co_ci_u32_e64 v67, null, v65, v67, vcc_lo
	flat_load_dword v66, v[66:67]
	s_waitcnt vmcnt(0) lgkmcnt(0)
	v_mul_f32_e32 v66, s7, v66
	s_branch .LBB13_158
.LBB13_157:
	v_mov_b32_e32 v66, 0
.LBB13_158:
	v_add_f32_e32 v67, v11, v59
	v_add_f32_e32 v68, v10, v58
	v_add_f32_e32 v69, v13, v61
	v_add_f32_e32 v70, v12, v60
	v_min3_f32 v71, v68, v67, v131
	v_lshlrev_b64 v[67:68], 2, v[84:85]
	v_min_f32_e32 v69, v70, v69
	v_min3_f32 v69, v66, v69, v71
	v_add_co_u32 v66, vcc_lo, v62, v67
	v_add_co_ci_u32_e64 v67, null, v63, v68, vcc_lo
	flat_store_dword v[66:67], v69
	s_or_b32 exec_lo, exec_lo, s8
	s_and_b32 s8, s3, s4
	s_and_saveexec_b32 s4, s8
	s_cbranch_execz .LBB13_163
.LBB13_159:
	v_cmp_ne_u32_e32 vcc_lo, 1, v126
	s_cbranch_vccnz .LBB13_161
; %bb.160:
	v_lshlrev_b64 v[66:67], 2, v[86:87]
	v_add_co_u32 v64, vcc_lo, v64, v66
	v_add_co_ci_u32_e64 v65, null, v65, v67, vcc_lo
	flat_load_dword v64, v[64:65]
	s_waitcnt vmcnt(0) lgkmcnt(0)
	v_mul_f32_e32 v64, s7, v64
	s_branch .LBB13_162
.LBB13_161:
	v_mov_b32_e32 v64, 0
.LBB13_162:
	v_add_f32_e32 v59, v3, v59
	v_add_f32_e32 v58, v2, v58
	;; [unrolled: 1-line block ×4, first 2 shown]
	v_min3_f32 v65, v58, v59, v129
	v_lshlrev_b64 v[58:59], 2, v[86:87]
	v_min_f32_e32 v60, v60, v61
	v_min3_f32 v60, v64, v60, v65
	v_add_co_u32 v58, vcc_lo, v62, v58
	v_add_co_ci_u32_e64 v59, null, v63, v59, vcc_lo
	flat_store_dword v[58:59], v60
.LBB13_163:
	s_or_b32 exec_lo, exec_lo, s4
	v_add_nc_u32_e32 v62, 48, v130
	v_mad_i64_i32 v[58:59], null, v62, s6, 0
	v_mad_i64_i32 v[60:61], null, v62, s5, 0
	v_cmp_gt_i32_e64 s4, s9, v62
	v_lshlrev_b64 v[58:59], 2, v[58:59]
	s_and_b32 s11, s0, s4
	v_lshlrev_b64 v[62:63], 2, v[60:61]
	v_add_co_u32 v60, vcc_lo, s12, v58
	v_add_co_ci_u32_e64 v61, null, s13, v59, vcc_lo
	v_add_co_u32 v58, vcc_lo, s10, v62
	v_add_co_ci_u32_e64 v59, null, s14, v63, vcc_lo
	s_and_saveexec_b32 s8, s11
	s_cbranch_execnz .LBB13_167
; %bb.164:
	s_or_b32 exec_lo, exec_lo, s8
	s_and_b32 s11, s1, s4
	s_and_saveexec_b32 s8, s11
	s_cbranch_execnz .LBB13_171
.LBB13_165:
	s_or_b32 exec_lo, exec_lo, s8
	s_and_b32 s11, s2, s4
	s_and_saveexec_b32 s8, s11
	s_cbranch_execnz .LBB13_175
.LBB13_166:
	s_or_b32 exec_lo, exec_lo, s8
	s_and_b32 s8, s3, s4
	s_and_saveexec_b32 s4, s8
	s_cbranch_execnz .LBB13_179
	s_branch .LBB13_183
.LBB13_167:
	v_cmp_ne_u32_e32 vcc_lo, 1, v126
	s_cbranch_vccnz .LBB13_169
; %bb.168:
	v_lshlrev_b64 v[62:63], 2, v[0:1]
	v_add_co_u32 v62, vcc_lo, v60, v62
	v_add_co_ci_u32_e64 v63, null, v61, v63, vcc_lo
	flat_load_dword v62, v[62:63]
	s_waitcnt vmcnt(0) lgkmcnt(0)
	v_mul_f32_e32 v62, s7, v62
	s_branch .LBB13_170
.LBB13_169:
	v_mov_b32_e32 v62, 0
.LBB13_170:
	v_add_f32_e32 v63, v19, v55
	v_add_f32_e32 v64, v18, v54
	v_add_f32_e32 v65, v21, v57
	v_add_f32_e32 v66, v20, v56
	v_min3_f32 v67, v64, v63, v128
	v_lshlrev_b64 v[63:64], 2, v[0:1]
	v_min_f32_e32 v65, v66, v65
	v_min3_f32 v65, v62, v65, v67
	v_add_co_u32 v62, vcc_lo, v58, v63
	v_add_co_ci_u32_e64 v63, null, v59, v64, vcc_lo
	flat_store_dword v[62:63], v65
	s_or_b32 exec_lo, exec_lo, s8
	s_and_b32 s11, s1, s4
	s_and_saveexec_b32 s8, s11
	s_cbranch_execz .LBB13_165
.LBB13_171:
	v_cmp_ne_u32_e32 vcc_lo, 1, v126
	s_cbranch_vccnz .LBB13_173
; %bb.172:
	v_lshlrev_b64 v[62:63], 2, v[82:83]
	v_add_co_u32 v62, vcc_lo, v60, v62
	v_add_co_ci_u32_e64 v63, null, v61, v63, vcc_lo
	flat_load_dword v62, v[62:63]
	s_waitcnt vmcnt(0) lgkmcnt(0)
	v_mul_f32_e32 v62, s7, v62
	s_branch .LBB13_174
.LBB13_173:
	v_mov_b32_e32 v62, 0
.LBB13_174:
	v_add_f32_e32 v63, v15, v55
	v_add_f32_e32 v64, v14, v54
	;; [unrolled: 1-line block ×4, first 2 shown]
	v_min3_f32 v67, v64, v63, v127
	v_lshlrev_b64 v[63:64], 2, v[82:83]
	v_min_f32_e32 v65, v66, v65
	v_min3_f32 v65, v62, v65, v67
	v_add_co_u32 v62, vcc_lo, v58, v63
	v_add_co_ci_u32_e64 v63, null, v59, v64, vcc_lo
	flat_store_dword v[62:63], v65
	s_or_b32 exec_lo, exec_lo, s8
	s_and_b32 s11, s2, s4
	s_and_saveexec_b32 s8, s11
	s_cbranch_execz .LBB13_166
.LBB13_175:
	v_cmp_ne_u32_e32 vcc_lo, 1, v126
	s_cbranch_vccnz .LBB13_177
; %bb.176:
	v_lshlrev_b64 v[62:63], 2, v[84:85]
	v_add_co_u32 v62, vcc_lo, v60, v62
	v_add_co_ci_u32_e64 v63, null, v61, v63, vcc_lo
	flat_load_dword v62, v[62:63]
	s_waitcnt vmcnt(0) lgkmcnt(0)
	v_mul_f32_e32 v62, s7, v62
	s_branch .LBB13_178
.LBB13_177:
	v_mov_b32_e32 v62, 0
.LBB13_178:
	v_add_f32_e32 v63, v11, v55
	v_add_f32_e32 v64, v10, v54
	;; [unrolled: 1-line block ×4, first 2 shown]
	v_min3_f32 v67, v64, v63, v125
	v_lshlrev_b64 v[63:64], 2, v[84:85]
	v_min_f32_e32 v65, v66, v65
	v_min3_f32 v65, v62, v65, v67
	v_add_co_u32 v62, vcc_lo, v58, v63
	v_add_co_ci_u32_e64 v63, null, v59, v64, vcc_lo
	flat_store_dword v[62:63], v65
	s_or_b32 exec_lo, exec_lo, s8
	s_and_b32 s8, s3, s4
	s_and_saveexec_b32 s4, s8
	s_cbranch_execz .LBB13_183
.LBB13_179:
	v_cmp_ne_u32_e32 vcc_lo, 1, v126
	s_cbranch_vccnz .LBB13_181
; %bb.180:
	v_lshlrev_b64 v[62:63], 2, v[86:87]
	v_add_co_u32 v60, vcc_lo, v60, v62
	v_add_co_ci_u32_e64 v61, null, v61, v63, vcc_lo
	flat_load_dword v60, v[60:61]
	s_waitcnt vmcnt(0) lgkmcnt(0)
	v_mul_f32_e32 v60, s7, v60
	s_branch .LBB13_182
.LBB13_181:
	v_mov_b32_e32 v60, 0
.LBB13_182:
	v_add_f32_e32 v55, v3, v55
	v_add_f32_e32 v54, v2, v54
	;; [unrolled: 1-line block ×4, first 2 shown]
	v_min3_f32 v61, v54, v55, v124
	v_lshlrev_b64 v[54:55], 2, v[86:87]
	v_min_f32_e32 v56, v56, v57
	v_min3_f32 v56, v60, v56, v61
	v_add_co_u32 v54, vcc_lo, v58, v54
	v_add_co_ci_u32_e64 v55, null, v59, v55, vcc_lo
	flat_store_dword v[54:55], v56
.LBB13_183:
	s_or_b32 exec_lo, exec_lo, s4
	v_add_nc_u32_e32 v58, 56, v130
	v_mad_i64_i32 v[54:55], null, v58, s6, 0
	v_mad_i64_i32 v[56:57], null, v58, s5, 0
	v_cmp_gt_i32_e64 s4, s9, v58
	v_lshlrev_b64 v[54:55], 2, v[54:55]
	s_and_b32 s11, s0, s4
	v_lshlrev_b64 v[58:59], 2, v[56:57]
	v_add_co_u32 v56, vcc_lo, s12, v54
	v_add_co_ci_u32_e64 v57, null, s13, v55, vcc_lo
	v_add_co_u32 v54, vcc_lo, s10, v58
	v_add_co_ci_u32_e64 v55, null, s14, v59, vcc_lo
	s_and_saveexec_b32 s8, s11
	s_cbranch_execnz .LBB13_187
; %bb.184:
	s_or_b32 exec_lo, exec_lo, s8
	s_and_b32 s11, s1, s4
	s_and_saveexec_b32 s8, s11
	s_cbranch_execnz .LBB13_191
.LBB13_185:
	s_or_b32 exec_lo, exec_lo, s8
	s_and_b32 s11, s2, s4
	s_and_saveexec_b32 s8, s11
	s_cbranch_execnz .LBB13_195
.LBB13_186:
	s_or_b32 exec_lo, exec_lo, s8
	s_and_b32 s8, s3, s4
	s_and_saveexec_b32 s4, s8
	s_cbranch_execnz .LBB13_199
	s_branch .LBB13_203
.LBB13_187:
	v_cmp_ne_u32_e32 vcc_lo, 1, v126
	s_cbranch_vccnz .LBB13_189
; %bb.188:
	v_lshlrev_b64 v[58:59], 2, v[0:1]
	v_add_co_u32 v58, vcc_lo, v56, v58
	v_add_co_ci_u32_e64 v59, null, v57, v59, vcc_lo
	flat_load_dword v58, v[58:59]
	s_waitcnt vmcnt(0) lgkmcnt(0)
	v_mul_f32_e32 v58, s7, v58
	s_branch .LBB13_190
.LBB13_189:
	v_mov_b32_e32 v58, 0
.LBB13_190:
	v_add_f32_e32 v59, v19, v51
	v_add_f32_e32 v60, v18, v50
	;; [unrolled: 1-line block ×4, first 2 shown]
	v_min3_f32 v63, v60, v59, v123
	v_lshlrev_b64 v[59:60], 2, v[0:1]
	v_min_f32_e32 v61, v62, v61
	v_min3_f32 v61, v58, v61, v63
	v_add_co_u32 v58, vcc_lo, v54, v59
	v_add_co_ci_u32_e64 v59, null, v55, v60, vcc_lo
	flat_store_dword v[58:59], v61
	s_or_b32 exec_lo, exec_lo, s8
	s_and_b32 s11, s1, s4
	s_and_saveexec_b32 s8, s11
	s_cbranch_execz .LBB13_185
.LBB13_191:
	v_cmp_ne_u32_e32 vcc_lo, 1, v126
	s_cbranch_vccnz .LBB13_193
; %bb.192:
	v_lshlrev_b64 v[58:59], 2, v[82:83]
	v_add_co_u32 v58, vcc_lo, v56, v58
	v_add_co_ci_u32_e64 v59, null, v57, v59, vcc_lo
	flat_load_dword v58, v[58:59]
	s_waitcnt vmcnt(0) lgkmcnt(0)
	v_mul_f32_e32 v58, s7, v58
	s_branch .LBB13_194
.LBB13_193:
	v_mov_b32_e32 v58, 0
.LBB13_194:
	v_add_f32_e32 v59, v15, v51
	v_add_f32_e32 v60, v14, v50
	;; [unrolled: 1-line block ×4, first 2 shown]
	v_min3_f32 v63, v60, v59, v122
	v_lshlrev_b64 v[59:60], 2, v[82:83]
	v_min_f32_e32 v61, v62, v61
	v_min3_f32 v61, v58, v61, v63
	v_add_co_u32 v58, vcc_lo, v54, v59
	v_add_co_ci_u32_e64 v59, null, v55, v60, vcc_lo
	flat_store_dword v[58:59], v61
	s_or_b32 exec_lo, exec_lo, s8
	s_and_b32 s11, s2, s4
	s_and_saveexec_b32 s8, s11
	s_cbranch_execz .LBB13_186
.LBB13_195:
	v_cmp_ne_u32_e32 vcc_lo, 1, v126
	s_cbranch_vccnz .LBB13_197
; %bb.196:
	v_lshlrev_b64 v[58:59], 2, v[84:85]
	v_add_co_u32 v58, vcc_lo, v56, v58
	v_add_co_ci_u32_e64 v59, null, v57, v59, vcc_lo
	flat_load_dword v58, v[58:59]
	s_waitcnt vmcnt(0) lgkmcnt(0)
	v_mul_f32_e32 v58, s7, v58
	s_branch .LBB13_198
.LBB13_197:
	v_mov_b32_e32 v58, 0
.LBB13_198:
	v_add_f32_e32 v59, v11, v51
	v_add_f32_e32 v60, v10, v50
	;; [unrolled: 1-line block ×4, first 2 shown]
	v_min3_f32 v63, v60, v59, v121
	v_lshlrev_b64 v[59:60], 2, v[84:85]
	v_min_f32_e32 v61, v62, v61
	v_min3_f32 v61, v58, v61, v63
	v_add_co_u32 v58, vcc_lo, v54, v59
	v_add_co_ci_u32_e64 v59, null, v55, v60, vcc_lo
	flat_store_dword v[58:59], v61
	s_or_b32 exec_lo, exec_lo, s8
	s_and_b32 s8, s3, s4
	s_and_saveexec_b32 s4, s8
	s_cbranch_execz .LBB13_203
.LBB13_199:
	v_cmp_ne_u32_e32 vcc_lo, 1, v126
	s_cbranch_vccnz .LBB13_201
; %bb.200:
	v_lshlrev_b64 v[58:59], 2, v[86:87]
	v_add_co_u32 v56, vcc_lo, v56, v58
	v_add_co_ci_u32_e64 v57, null, v57, v59, vcc_lo
	flat_load_dword v56, v[56:57]
	s_waitcnt vmcnt(0) lgkmcnt(0)
	v_mul_f32_e32 v56, s7, v56
	s_branch .LBB13_202
.LBB13_201:
	v_mov_b32_e32 v56, 0
.LBB13_202:
	v_add_f32_e32 v51, v3, v51
	v_add_f32_e32 v50, v2, v50
	;; [unrolled: 1-line block ×4, first 2 shown]
	v_min3_f32 v57, v50, v51, v120
	v_lshlrev_b64 v[50:51], 2, v[86:87]
	v_min_f32_e32 v52, v52, v53
	v_min3_f32 v52, v56, v52, v57
	v_add_co_u32 v50, vcc_lo, v54, v50
	v_add_co_ci_u32_e64 v51, null, v55, v51, vcc_lo
	flat_store_dword v[50:51], v52
.LBB13_203:
	s_or_b32 exec_lo, exec_lo, s4
	v_add_nc_u32_e32 v54, 64, v130
	v_mad_i64_i32 v[50:51], null, v54, s6, 0
	v_mad_i64_i32 v[52:53], null, v54, s5, 0
	v_cmp_gt_i32_e64 s4, s9, v54
	v_lshlrev_b64 v[50:51], 2, v[50:51]
	s_and_b32 s11, s0, s4
	v_lshlrev_b64 v[54:55], 2, v[52:53]
	v_add_co_u32 v52, vcc_lo, s12, v50
	v_add_co_ci_u32_e64 v53, null, s13, v51, vcc_lo
	v_add_co_u32 v50, vcc_lo, s10, v54
	v_add_co_ci_u32_e64 v51, null, s14, v55, vcc_lo
	s_and_saveexec_b32 s8, s11
	s_cbranch_execnz .LBB13_207
; %bb.204:
	s_or_b32 exec_lo, exec_lo, s8
	s_and_b32 s11, s1, s4
	s_and_saveexec_b32 s8, s11
	s_cbranch_execnz .LBB13_211
.LBB13_205:
	s_or_b32 exec_lo, exec_lo, s8
	s_and_b32 s11, s2, s4
	s_and_saveexec_b32 s8, s11
	s_cbranch_execnz .LBB13_215
.LBB13_206:
	s_or_b32 exec_lo, exec_lo, s8
	s_and_b32 s8, s3, s4
	s_and_saveexec_b32 s4, s8
	s_cbranch_execnz .LBB13_219
	s_branch .LBB13_223
.LBB13_207:
	v_cmp_ne_u32_e32 vcc_lo, 1, v126
	s_cbranch_vccnz .LBB13_209
; %bb.208:
	v_lshlrev_b64 v[54:55], 2, v[0:1]
	v_add_co_u32 v54, vcc_lo, v52, v54
	v_add_co_ci_u32_e64 v55, null, v53, v55, vcc_lo
	flat_load_dword v54, v[54:55]
	s_waitcnt vmcnt(0) lgkmcnt(0)
	v_mul_f32_e32 v54, s7, v54
	s_branch .LBB13_210
.LBB13_209:
	v_mov_b32_e32 v54, 0
.LBB13_210:
	v_add_f32_e32 v55, v19, v47
	v_add_f32_e32 v56, v18, v46
	;; [unrolled: 1-line block ×4, first 2 shown]
	v_min3_f32 v59, v56, v55, v119
	v_lshlrev_b64 v[55:56], 2, v[0:1]
	v_min_f32_e32 v57, v58, v57
	v_min3_f32 v57, v54, v57, v59
	v_add_co_u32 v54, vcc_lo, v50, v55
	v_add_co_ci_u32_e64 v55, null, v51, v56, vcc_lo
	flat_store_dword v[54:55], v57
	s_or_b32 exec_lo, exec_lo, s8
	s_and_b32 s11, s1, s4
	s_and_saveexec_b32 s8, s11
	s_cbranch_execz .LBB13_205
.LBB13_211:
	v_cmp_ne_u32_e32 vcc_lo, 1, v126
	s_cbranch_vccnz .LBB13_213
; %bb.212:
	v_lshlrev_b64 v[54:55], 2, v[82:83]
	v_add_co_u32 v54, vcc_lo, v52, v54
	v_add_co_ci_u32_e64 v55, null, v53, v55, vcc_lo
	flat_load_dword v54, v[54:55]
	s_waitcnt vmcnt(0) lgkmcnt(0)
	v_mul_f32_e32 v54, s7, v54
	s_branch .LBB13_214
.LBB13_213:
	v_mov_b32_e32 v54, 0
.LBB13_214:
	v_add_f32_e32 v55, v15, v47
	v_add_f32_e32 v56, v14, v46
	;; [unrolled: 1-line block ×4, first 2 shown]
	v_min3_f32 v59, v56, v55, v118
	v_lshlrev_b64 v[55:56], 2, v[82:83]
	v_min_f32_e32 v57, v58, v57
	v_min3_f32 v57, v54, v57, v59
	v_add_co_u32 v54, vcc_lo, v50, v55
	v_add_co_ci_u32_e64 v55, null, v51, v56, vcc_lo
	flat_store_dword v[54:55], v57
	s_or_b32 exec_lo, exec_lo, s8
	s_and_b32 s11, s2, s4
	s_and_saveexec_b32 s8, s11
	s_cbranch_execz .LBB13_206
.LBB13_215:
	v_cmp_ne_u32_e32 vcc_lo, 1, v126
	s_cbranch_vccnz .LBB13_217
; %bb.216:
	v_lshlrev_b64 v[54:55], 2, v[84:85]
	v_add_co_u32 v54, vcc_lo, v52, v54
	v_add_co_ci_u32_e64 v55, null, v53, v55, vcc_lo
	flat_load_dword v54, v[54:55]
	s_waitcnt vmcnt(0) lgkmcnt(0)
	v_mul_f32_e32 v54, s7, v54
	s_branch .LBB13_218
.LBB13_217:
	v_mov_b32_e32 v54, 0
.LBB13_218:
	v_add_f32_e32 v55, v11, v47
	v_add_f32_e32 v56, v10, v46
	;; [unrolled: 1-line block ×4, first 2 shown]
	v_min3_f32 v59, v56, v55, v117
	v_lshlrev_b64 v[55:56], 2, v[84:85]
	v_min_f32_e32 v57, v58, v57
	v_min3_f32 v57, v54, v57, v59
	v_add_co_u32 v54, vcc_lo, v50, v55
	v_add_co_ci_u32_e64 v55, null, v51, v56, vcc_lo
	flat_store_dword v[54:55], v57
	s_or_b32 exec_lo, exec_lo, s8
	s_and_b32 s8, s3, s4
	s_and_saveexec_b32 s4, s8
	s_cbranch_execz .LBB13_223
.LBB13_219:
	v_cmp_ne_u32_e32 vcc_lo, 1, v126
	s_cbranch_vccnz .LBB13_221
; %bb.220:
	v_lshlrev_b64 v[54:55], 2, v[86:87]
	v_add_co_u32 v52, vcc_lo, v52, v54
	v_add_co_ci_u32_e64 v53, null, v53, v55, vcc_lo
	flat_load_dword v52, v[52:53]
	s_waitcnt vmcnt(0) lgkmcnt(0)
	v_mul_f32_e32 v52, s7, v52
	s_branch .LBB13_222
.LBB13_221:
	v_mov_b32_e32 v52, 0
.LBB13_222:
	v_add_f32_e32 v47, v3, v47
	v_add_f32_e32 v46, v2, v46
	;; [unrolled: 1-line block ×4, first 2 shown]
	v_min3_f32 v53, v46, v47, v116
	v_lshlrev_b64 v[46:47], 2, v[86:87]
	v_min_f32_e32 v48, v48, v49
	v_min3_f32 v48, v52, v48, v53
	v_add_co_u32 v46, vcc_lo, v50, v46
	v_add_co_ci_u32_e64 v47, null, v51, v47, vcc_lo
	flat_store_dword v[46:47], v48
.LBB13_223:
	s_or_b32 exec_lo, exec_lo, s4
	v_add_nc_u32_e32 v50, 0x48, v130
	v_mad_i64_i32 v[46:47], null, v50, s6, 0
	v_mad_i64_i32 v[48:49], null, v50, s5, 0
	v_cmp_gt_i32_e64 s4, s9, v50
	v_lshlrev_b64 v[46:47], 2, v[46:47]
	s_and_b32 s11, s0, s4
	v_lshlrev_b64 v[50:51], 2, v[48:49]
	v_add_co_u32 v48, vcc_lo, s12, v46
	v_add_co_ci_u32_e64 v49, null, s13, v47, vcc_lo
	v_add_co_u32 v46, vcc_lo, s10, v50
	v_add_co_ci_u32_e64 v47, null, s14, v51, vcc_lo
	s_and_saveexec_b32 s8, s11
	s_cbranch_execnz .LBB13_227
; %bb.224:
	s_or_b32 exec_lo, exec_lo, s8
	s_and_b32 s11, s1, s4
	s_and_saveexec_b32 s8, s11
	s_cbranch_execnz .LBB13_231
.LBB13_225:
	s_or_b32 exec_lo, exec_lo, s8
	s_and_b32 s11, s2, s4
	s_and_saveexec_b32 s8, s11
	s_cbranch_execnz .LBB13_235
.LBB13_226:
	s_or_b32 exec_lo, exec_lo, s8
	s_and_b32 s8, s3, s4
	s_and_saveexec_b32 s4, s8
	s_cbranch_execnz .LBB13_239
	s_branch .LBB13_243
.LBB13_227:
	v_cmp_ne_u32_e32 vcc_lo, 1, v126
	s_cbranch_vccnz .LBB13_229
; %bb.228:
	v_lshlrev_b64 v[50:51], 2, v[0:1]
	v_add_co_u32 v50, vcc_lo, v48, v50
	v_add_co_ci_u32_e64 v51, null, v49, v51, vcc_lo
	flat_load_dword v50, v[50:51]
	s_waitcnt vmcnt(0) lgkmcnt(0)
	v_mul_f32_e32 v50, s7, v50
	s_branch .LBB13_230
.LBB13_229:
	v_mov_b32_e32 v50, 0
.LBB13_230:
	v_add_f32_e32 v51, v19, v43
	v_add_f32_e32 v52, v18, v42
	;; [unrolled: 1-line block ×4, first 2 shown]
	v_min3_f32 v55, v52, v51, v115
	v_lshlrev_b64 v[51:52], 2, v[0:1]
	v_min_f32_e32 v53, v54, v53
	v_min3_f32 v53, v50, v53, v55
	v_add_co_u32 v50, vcc_lo, v46, v51
	v_add_co_ci_u32_e64 v51, null, v47, v52, vcc_lo
	flat_store_dword v[50:51], v53
	s_or_b32 exec_lo, exec_lo, s8
	s_and_b32 s11, s1, s4
	s_and_saveexec_b32 s8, s11
	s_cbranch_execz .LBB13_225
.LBB13_231:
	v_cmp_ne_u32_e32 vcc_lo, 1, v126
	s_cbranch_vccnz .LBB13_233
; %bb.232:
	v_lshlrev_b64 v[50:51], 2, v[82:83]
	v_add_co_u32 v50, vcc_lo, v48, v50
	v_add_co_ci_u32_e64 v51, null, v49, v51, vcc_lo
	flat_load_dword v50, v[50:51]
	s_waitcnt vmcnt(0) lgkmcnt(0)
	v_mul_f32_e32 v50, s7, v50
	s_branch .LBB13_234
.LBB13_233:
	v_mov_b32_e32 v50, 0
.LBB13_234:
	v_add_f32_e32 v51, v15, v43
	v_add_f32_e32 v52, v14, v42
	v_add_f32_e32 v53, v17, v45
	v_add_f32_e32 v54, v16, v44
	v_min3_f32 v55, v52, v51, v114
	v_lshlrev_b64 v[51:52], 2, v[82:83]
	v_min_f32_e32 v53, v54, v53
	v_min3_f32 v53, v50, v53, v55
	v_add_co_u32 v50, vcc_lo, v46, v51
	v_add_co_ci_u32_e64 v51, null, v47, v52, vcc_lo
	flat_store_dword v[50:51], v53
	s_or_b32 exec_lo, exec_lo, s8
	s_and_b32 s11, s2, s4
	s_and_saveexec_b32 s8, s11
	s_cbranch_execz .LBB13_226
.LBB13_235:
	v_cmp_ne_u32_e32 vcc_lo, 1, v126
	s_cbranch_vccnz .LBB13_237
; %bb.236:
	v_lshlrev_b64 v[50:51], 2, v[84:85]
	v_add_co_u32 v50, vcc_lo, v48, v50
	v_add_co_ci_u32_e64 v51, null, v49, v51, vcc_lo
	flat_load_dword v50, v[50:51]
	s_waitcnt vmcnt(0) lgkmcnt(0)
	v_mul_f32_e32 v50, s7, v50
	s_branch .LBB13_238
.LBB13_237:
	v_mov_b32_e32 v50, 0
.LBB13_238:
	v_add_f32_e32 v51, v11, v43
	v_add_f32_e32 v52, v10, v42
	;; [unrolled: 1-line block ×4, first 2 shown]
	v_min3_f32 v55, v52, v51, v113
	v_lshlrev_b64 v[51:52], 2, v[84:85]
	v_min_f32_e32 v53, v54, v53
	v_min3_f32 v53, v50, v53, v55
	v_add_co_u32 v50, vcc_lo, v46, v51
	v_add_co_ci_u32_e64 v51, null, v47, v52, vcc_lo
	flat_store_dword v[50:51], v53
	s_or_b32 exec_lo, exec_lo, s8
	s_and_b32 s8, s3, s4
	s_and_saveexec_b32 s4, s8
	s_cbranch_execz .LBB13_243
.LBB13_239:
	v_cmp_ne_u32_e32 vcc_lo, 1, v126
	s_cbranch_vccnz .LBB13_241
; %bb.240:
	v_lshlrev_b64 v[50:51], 2, v[86:87]
	v_add_co_u32 v48, vcc_lo, v48, v50
	v_add_co_ci_u32_e64 v49, null, v49, v51, vcc_lo
	flat_load_dword v48, v[48:49]
	s_waitcnt vmcnt(0) lgkmcnt(0)
	v_mul_f32_e32 v48, s7, v48
	s_branch .LBB13_242
.LBB13_241:
	v_mov_b32_e32 v48, 0
.LBB13_242:
	v_add_f32_e32 v43, v3, v43
	v_add_f32_e32 v42, v2, v42
	;; [unrolled: 1-line block ×4, first 2 shown]
	v_min3_f32 v49, v42, v43, v112
	v_lshlrev_b64 v[42:43], 2, v[86:87]
	v_min_f32_e32 v44, v44, v45
	v_min3_f32 v44, v48, v44, v49
	v_add_co_u32 v42, vcc_lo, v46, v42
	v_add_co_ci_u32_e64 v43, null, v47, v43, vcc_lo
	flat_store_dword v[42:43], v44
.LBB13_243:
	s_or_b32 exec_lo, exec_lo, s4
	v_add_nc_u32_e32 v46, 0x50, v130
	v_mad_i64_i32 v[42:43], null, v46, s6, 0
	v_mad_i64_i32 v[44:45], null, v46, s5, 0
	v_cmp_gt_i32_e64 s4, s9, v46
	v_lshlrev_b64 v[42:43], 2, v[42:43]
	s_and_b32 s11, s0, s4
	v_lshlrev_b64 v[46:47], 2, v[44:45]
	v_add_co_u32 v44, vcc_lo, s12, v42
	v_add_co_ci_u32_e64 v45, null, s13, v43, vcc_lo
	v_add_co_u32 v42, vcc_lo, s10, v46
	v_add_co_ci_u32_e64 v43, null, s14, v47, vcc_lo
	s_and_saveexec_b32 s8, s11
	s_cbranch_execnz .LBB13_247
; %bb.244:
	s_or_b32 exec_lo, exec_lo, s8
	s_and_b32 s11, s1, s4
	s_and_saveexec_b32 s8, s11
	s_cbranch_execnz .LBB13_251
.LBB13_245:
	s_or_b32 exec_lo, exec_lo, s8
	s_and_b32 s11, s2, s4
	s_and_saveexec_b32 s8, s11
	s_cbranch_execnz .LBB13_255
.LBB13_246:
	s_or_b32 exec_lo, exec_lo, s8
	s_and_b32 s8, s3, s4
	s_and_saveexec_b32 s4, s8
	s_cbranch_execnz .LBB13_259
	s_branch .LBB13_263
.LBB13_247:
	v_cmp_ne_u32_e32 vcc_lo, 1, v126
	s_cbranch_vccnz .LBB13_249
; %bb.248:
	v_lshlrev_b64 v[46:47], 2, v[0:1]
	v_add_co_u32 v46, vcc_lo, v44, v46
	v_add_co_ci_u32_e64 v47, null, v45, v47, vcc_lo
	flat_load_dword v46, v[46:47]
	s_waitcnt vmcnt(0) lgkmcnt(0)
	v_mul_f32_e32 v46, s7, v46
	s_branch .LBB13_250
.LBB13_249:
	v_mov_b32_e32 v46, 0
.LBB13_250:
	v_add_f32_e32 v47, v19, v39
	v_add_f32_e32 v48, v18, v38
	;; [unrolled: 1-line block ×4, first 2 shown]
	v_min3_f32 v51, v48, v47, v111
	v_lshlrev_b64 v[47:48], 2, v[0:1]
	v_min_f32_e32 v49, v50, v49
	v_min3_f32 v49, v46, v49, v51
	v_add_co_u32 v46, vcc_lo, v42, v47
	v_add_co_ci_u32_e64 v47, null, v43, v48, vcc_lo
	flat_store_dword v[46:47], v49
	s_or_b32 exec_lo, exec_lo, s8
	s_and_b32 s11, s1, s4
	s_and_saveexec_b32 s8, s11
	s_cbranch_execz .LBB13_245
.LBB13_251:
	v_cmp_ne_u32_e32 vcc_lo, 1, v126
	s_cbranch_vccnz .LBB13_253
; %bb.252:
	v_lshlrev_b64 v[46:47], 2, v[82:83]
	v_add_co_u32 v46, vcc_lo, v44, v46
	v_add_co_ci_u32_e64 v47, null, v45, v47, vcc_lo
	flat_load_dword v46, v[46:47]
	s_waitcnt vmcnt(0) lgkmcnt(0)
	v_mul_f32_e32 v46, s7, v46
	s_branch .LBB13_254
.LBB13_253:
	v_mov_b32_e32 v46, 0
.LBB13_254:
	v_add_f32_e32 v47, v15, v39
	v_add_f32_e32 v48, v14, v38
	;; [unrolled: 1-line block ×4, first 2 shown]
	v_min3_f32 v51, v48, v47, v110
	v_lshlrev_b64 v[47:48], 2, v[82:83]
	v_min_f32_e32 v49, v50, v49
	v_min3_f32 v49, v46, v49, v51
	v_add_co_u32 v46, vcc_lo, v42, v47
	v_add_co_ci_u32_e64 v47, null, v43, v48, vcc_lo
	flat_store_dword v[46:47], v49
	s_or_b32 exec_lo, exec_lo, s8
	s_and_b32 s11, s2, s4
	s_and_saveexec_b32 s8, s11
	s_cbranch_execz .LBB13_246
.LBB13_255:
	v_cmp_ne_u32_e32 vcc_lo, 1, v126
	s_cbranch_vccnz .LBB13_257
; %bb.256:
	v_lshlrev_b64 v[46:47], 2, v[84:85]
	v_add_co_u32 v46, vcc_lo, v44, v46
	v_add_co_ci_u32_e64 v47, null, v45, v47, vcc_lo
	flat_load_dword v46, v[46:47]
	s_waitcnt vmcnt(0) lgkmcnt(0)
	v_mul_f32_e32 v46, s7, v46
	s_branch .LBB13_258
.LBB13_257:
	v_mov_b32_e32 v46, 0
.LBB13_258:
	v_add_f32_e32 v47, v11, v39
	v_add_f32_e32 v48, v10, v38
	;; [unrolled: 1-line block ×4, first 2 shown]
	v_min3_f32 v51, v48, v47, v109
	v_lshlrev_b64 v[47:48], 2, v[84:85]
	v_min_f32_e32 v49, v50, v49
	v_min3_f32 v49, v46, v49, v51
	v_add_co_u32 v46, vcc_lo, v42, v47
	v_add_co_ci_u32_e64 v47, null, v43, v48, vcc_lo
	flat_store_dword v[46:47], v49
	s_or_b32 exec_lo, exec_lo, s8
	s_and_b32 s8, s3, s4
	s_and_saveexec_b32 s4, s8
	s_cbranch_execz .LBB13_263
.LBB13_259:
	v_cmp_ne_u32_e32 vcc_lo, 1, v126
	s_cbranch_vccnz .LBB13_261
; %bb.260:
	v_lshlrev_b64 v[46:47], 2, v[86:87]
	v_add_co_u32 v44, vcc_lo, v44, v46
	v_add_co_ci_u32_e64 v45, null, v45, v47, vcc_lo
	flat_load_dword v44, v[44:45]
	s_waitcnt vmcnt(0) lgkmcnt(0)
	v_mul_f32_e32 v44, s7, v44
	s_branch .LBB13_262
.LBB13_261:
	v_mov_b32_e32 v44, 0
.LBB13_262:
	v_add_f32_e32 v39, v3, v39
	v_add_f32_e32 v38, v2, v38
	;; [unrolled: 1-line block ×4, first 2 shown]
	v_min3_f32 v45, v38, v39, v108
	v_lshlrev_b64 v[38:39], 2, v[86:87]
	v_min_f32_e32 v40, v40, v41
	v_min3_f32 v40, v44, v40, v45
	v_add_co_u32 v38, vcc_lo, v42, v38
	v_add_co_ci_u32_e64 v39, null, v43, v39, vcc_lo
	flat_store_dword v[38:39], v40
.LBB13_263:
	s_or_b32 exec_lo, exec_lo, s4
	v_add_nc_u32_e32 v42, 0x58, v130
	v_mad_i64_i32 v[38:39], null, v42, s6, 0
	v_mad_i64_i32 v[40:41], null, v42, s5, 0
	v_cmp_gt_i32_e64 s4, s9, v42
	v_lshlrev_b64 v[38:39], 2, v[38:39]
	s_and_b32 s11, s0, s4
	v_lshlrev_b64 v[42:43], 2, v[40:41]
	v_add_co_u32 v40, vcc_lo, s12, v38
	v_add_co_ci_u32_e64 v41, null, s13, v39, vcc_lo
	v_add_co_u32 v38, vcc_lo, s10, v42
	v_add_co_ci_u32_e64 v39, null, s14, v43, vcc_lo
	s_and_saveexec_b32 s8, s11
	s_cbranch_execnz .LBB13_267
; %bb.264:
	s_or_b32 exec_lo, exec_lo, s8
	s_and_b32 s11, s1, s4
	s_and_saveexec_b32 s8, s11
	s_cbranch_execnz .LBB13_271
.LBB13_265:
	s_or_b32 exec_lo, exec_lo, s8
	s_and_b32 s11, s2, s4
	s_and_saveexec_b32 s8, s11
	s_cbranch_execnz .LBB13_275
.LBB13_266:
	s_or_b32 exec_lo, exec_lo, s8
	s_and_b32 s8, s3, s4
	s_and_saveexec_b32 s4, s8
	s_cbranch_execnz .LBB13_279
	s_branch .LBB13_283
.LBB13_267:
	v_cmp_ne_u32_e32 vcc_lo, 1, v126
	s_cbranch_vccnz .LBB13_269
; %bb.268:
	v_lshlrev_b64 v[42:43], 2, v[0:1]
	v_add_co_u32 v42, vcc_lo, v40, v42
	v_add_co_ci_u32_e64 v43, null, v41, v43, vcc_lo
	flat_load_dword v42, v[42:43]
	s_waitcnt vmcnt(0) lgkmcnt(0)
	v_mul_f32_e32 v42, s7, v42
	s_branch .LBB13_270
.LBB13_269:
	v_mov_b32_e32 v42, 0
.LBB13_270:
	v_add_f32_e32 v43, v19, v35
	v_add_f32_e32 v44, v18, v34
	;; [unrolled: 1-line block ×4, first 2 shown]
	v_min3_f32 v47, v44, v43, v107
	v_lshlrev_b64 v[43:44], 2, v[0:1]
	v_min_f32_e32 v45, v46, v45
	v_min3_f32 v45, v42, v45, v47
	v_add_co_u32 v42, vcc_lo, v38, v43
	v_add_co_ci_u32_e64 v43, null, v39, v44, vcc_lo
	flat_store_dword v[42:43], v45
	s_or_b32 exec_lo, exec_lo, s8
	s_and_b32 s11, s1, s4
	s_and_saveexec_b32 s8, s11
	s_cbranch_execz .LBB13_265
.LBB13_271:
	v_cmp_ne_u32_e32 vcc_lo, 1, v126
	s_cbranch_vccnz .LBB13_273
; %bb.272:
	v_lshlrev_b64 v[42:43], 2, v[82:83]
	v_add_co_u32 v42, vcc_lo, v40, v42
	v_add_co_ci_u32_e64 v43, null, v41, v43, vcc_lo
	flat_load_dword v42, v[42:43]
	s_waitcnt vmcnt(0) lgkmcnt(0)
	v_mul_f32_e32 v42, s7, v42
	s_branch .LBB13_274
.LBB13_273:
	v_mov_b32_e32 v42, 0
.LBB13_274:
	v_add_f32_e32 v43, v15, v35
	v_add_f32_e32 v44, v14, v34
	v_add_f32_e32 v45, v17, v37
	v_add_f32_e32 v46, v16, v36
	v_min3_f32 v47, v44, v43, v106
	v_lshlrev_b64 v[43:44], 2, v[82:83]
	v_min_f32_e32 v45, v46, v45
	v_min3_f32 v45, v42, v45, v47
	v_add_co_u32 v42, vcc_lo, v38, v43
	v_add_co_ci_u32_e64 v43, null, v39, v44, vcc_lo
	flat_store_dword v[42:43], v45
	s_or_b32 exec_lo, exec_lo, s8
	s_and_b32 s11, s2, s4
	s_and_saveexec_b32 s8, s11
	s_cbranch_execz .LBB13_266
.LBB13_275:
	v_cmp_ne_u32_e32 vcc_lo, 1, v126
	s_cbranch_vccnz .LBB13_277
; %bb.276:
	v_lshlrev_b64 v[42:43], 2, v[84:85]
	v_add_co_u32 v42, vcc_lo, v40, v42
	v_add_co_ci_u32_e64 v43, null, v41, v43, vcc_lo
	flat_load_dword v42, v[42:43]
	s_waitcnt vmcnt(0) lgkmcnt(0)
	v_mul_f32_e32 v42, s7, v42
	s_branch .LBB13_278
.LBB13_277:
	v_mov_b32_e32 v42, 0
.LBB13_278:
	v_add_f32_e32 v43, v11, v35
	v_add_f32_e32 v44, v10, v34
	v_add_f32_e32 v45, v13, v37
	v_add_f32_e32 v46, v12, v36
	v_min3_f32 v47, v44, v43, v105
	v_lshlrev_b64 v[43:44], 2, v[84:85]
	v_min_f32_e32 v45, v46, v45
	v_min3_f32 v45, v42, v45, v47
	v_add_co_u32 v42, vcc_lo, v38, v43
	v_add_co_ci_u32_e64 v43, null, v39, v44, vcc_lo
	flat_store_dword v[42:43], v45
	s_or_b32 exec_lo, exec_lo, s8
	s_and_b32 s8, s3, s4
	s_and_saveexec_b32 s4, s8
	s_cbranch_execz .LBB13_283
.LBB13_279:
	v_cmp_ne_u32_e32 vcc_lo, 1, v126
	s_cbranch_vccnz .LBB13_281
; %bb.280:
	v_lshlrev_b64 v[42:43], 2, v[86:87]
	v_add_co_u32 v40, vcc_lo, v40, v42
	v_add_co_ci_u32_e64 v41, null, v41, v43, vcc_lo
	flat_load_dword v40, v[40:41]
	s_waitcnt vmcnt(0) lgkmcnt(0)
	v_mul_f32_e32 v40, s7, v40
	s_branch .LBB13_282
.LBB13_281:
	v_mov_b32_e32 v40, 0
.LBB13_282:
	v_add_f32_e32 v35, v3, v35
	v_add_f32_e32 v34, v2, v34
	;; [unrolled: 1-line block ×4, first 2 shown]
	v_min3_f32 v41, v34, v35, v104
	v_lshlrev_b64 v[34:35], 2, v[86:87]
	v_min_f32_e32 v36, v36, v37
	v_min3_f32 v36, v40, v36, v41
	v_add_co_u32 v34, vcc_lo, v38, v34
	v_add_co_ci_u32_e64 v35, null, v39, v35, vcc_lo
	flat_store_dword v[34:35], v36
.LBB13_283:
	s_or_b32 exec_lo, exec_lo, s4
	v_add_nc_u32_e32 v38, 0x60, v130
	v_mad_i64_i32 v[34:35], null, v38, s6, 0
	v_mad_i64_i32 v[36:37], null, v38, s5, 0
	v_cmp_gt_i32_e64 s4, s9, v38
	v_lshlrev_b64 v[34:35], 2, v[34:35]
	s_and_b32 s11, s0, s4
	v_lshlrev_b64 v[38:39], 2, v[36:37]
	v_add_co_u32 v36, vcc_lo, s12, v34
	v_add_co_ci_u32_e64 v37, null, s13, v35, vcc_lo
	v_add_co_u32 v34, vcc_lo, s10, v38
	v_add_co_ci_u32_e64 v35, null, s14, v39, vcc_lo
	s_and_saveexec_b32 s8, s11
	s_cbranch_execnz .LBB13_287
; %bb.284:
	s_or_b32 exec_lo, exec_lo, s8
	s_and_b32 s11, s1, s4
	s_and_saveexec_b32 s8, s11
	s_cbranch_execnz .LBB13_291
.LBB13_285:
	s_or_b32 exec_lo, exec_lo, s8
	s_and_b32 s11, s2, s4
	s_and_saveexec_b32 s8, s11
	s_cbranch_execnz .LBB13_295
.LBB13_286:
	s_or_b32 exec_lo, exec_lo, s8
	s_and_b32 s8, s3, s4
	s_and_saveexec_b32 s4, s8
	s_cbranch_execnz .LBB13_299
	s_branch .LBB13_303
.LBB13_287:
	v_cmp_ne_u32_e32 vcc_lo, 1, v126
	s_cbranch_vccnz .LBB13_289
; %bb.288:
	v_lshlrev_b64 v[38:39], 2, v[0:1]
	v_add_co_u32 v38, vcc_lo, v36, v38
	v_add_co_ci_u32_e64 v39, null, v37, v39, vcc_lo
	flat_load_dword v38, v[38:39]
	s_waitcnt vmcnt(0) lgkmcnt(0)
	v_mul_f32_e32 v38, s7, v38
	s_branch .LBB13_290
.LBB13_289:
	v_mov_b32_e32 v38, 0
.LBB13_290:
	v_add_f32_e32 v39, v19, v31
	v_add_f32_e32 v40, v18, v30
	;; [unrolled: 1-line block ×4, first 2 shown]
	v_min3_f32 v43, v40, v39, v103
	v_lshlrev_b64 v[39:40], 2, v[0:1]
	v_min_f32_e32 v41, v42, v41
	v_min3_f32 v41, v38, v41, v43
	v_add_co_u32 v38, vcc_lo, v34, v39
	v_add_co_ci_u32_e64 v39, null, v35, v40, vcc_lo
	flat_store_dword v[38:39], v41
	s_or_b32 exec_lo, exec_lo, s8
	s_and_b32 s11, s1, s4
	s_and_saveexec_b32 s8, s11
	s_cbranch_execz .LBB13_285
.LBB13_291:
	v_cmp_ne_u32_e32 vcc_lo, 1, v126
	s_cbranch_vccnz .LBB13_293
; %bb.292:
	v_lshlrev_b64 v[38:39], 2, v[82:83]
	v_add_co_u32 v38, vcc_lo, v36, v38
	v_add_co_ci_u32_e64 v39, null, v37, v39, vcc_lo
	flat_load_dword v38, v[38:39]
	s_waitcnt vmcnt(0) lgkmcnt(0)
	v_mul_f32_e32 v38, s7, v38
	s_branch .LBB13_294
.LBB13_293:
	v_mov_b32_e32 v38, 0
.LBB13_294:
	v_add_f32_e32 v39, v15, v31
	v_add_f32_e32 v40, v14, v30
	;; [unrolled: 1-line block ×4, first 2 shown]
	v_min3_f32 v43, v40, v39, v102
	v_lshlrev_b64 v[39:40], 2, v[82:83]
	v_min_f32_e32 v41, v42, v41
	v_min3_f32 v41, v38, v41, v43
	v_add_co_u32 v38, vcc_lo, v34, v39
	v_add_co_ci_u32_e64 v39, null, v35, v40, vcc_lo
	flat_store_dword v[38:39], v41
	s_or_b32 exec_lo, exec_lo, s8
	s_and_b32 s11, s2, s4
	s_and_saveexec_b32 s8, s11
	s_cbranch_execz .LBB13_286
.LBB13_295:
	v_cmp_ne_u32_e32 vcc_lo, 1, v126
	s_cbranch_vccnz .LBB13_297
; %bb.296:
	v_lshlrev_b64 v[38:39], 2, v[84:85]
	v_add_co_u32 v38, vcc_lo, v36, v38
	v_add_co_ci_u32_e64 v39, null, v37, v39, vcc_lo
	flat_load_dword v38, v[38:39]
	s_waitcnt vmcnt(0) lgkmcnt(0)
	v_mul_f32_e32 v38, s7, v38
	s_branch .LBB13_298
.LBB13_297:
	v_mov_b32_e32 v38, 0
.LBB13_298:
	v_add_f32_e32 v39, v11, v31
	v_add_f32_e32 v40, v10, v30
	;; [unrolled: 1-line block ×4, first 2 shown]
	v_min3_f32 v43, v40, v39, v101
	v_lshlrev_b64 v[39:40], 2, v[84:85]
	v_min_f32_e32 v41, v42, v41
	v_min3_f32 v41, v38, v41, v43
	v_add_co_u32 v38, vcc_lo, v34, v39
	v_add_co_ci_u32_e64 v39, null, v35, v40, vcc_lo
	flat_store_dword v[38:39], v41
	s_or_b32 exec_lo, exec_lo, s8
	s_and_b32 s8, s3, s4
	s_and_saveexec_b32 s4, s8
	s_cbranch_execz .LBB13_303
.LBB13_299:
	v_cmp_ne_u32_e32 vcc_lo, 1, v126
	s_cbranch_vccnz .LBB13_301
; %bb.300:
	v_lshlrev_b64 v[38:39], 2, v[86:87]
	v_add_co_u32 v36, vcc_lo, v36, v38
	v_add_co_ci_u32_e64 v37, null, v37, v39, vcc_lo
	flat_load_dword v36, v[36:37]
	s_waitcnt vmcnt(0) lgkmcnt(0)
	v_mul_f32_e32 v36, s7, v36
	s_branch .LBB13_302
.LBB13_301:
	v_mov_b32_e32 v36, 0
.LBB13_302:
	v_add_f32_e32 v31, v3, v31
	v_add_f32_e32 v30, v2, v30
	;; [unrolled: 1-line block ×4, first 2 shown]
	v_min3_f32 v37, v30, v31, v100
	v_lshlrev_b64 v[30:31], 2, v[86:87]
	v_min_f32_e32 v32, v32, v33
	v_min3_f32 v32, v36, v32, v37
	v_add_co_u32 v30, vcc_lo, v34, v30
	v_add_co_ci_u32_e64 v31, null, v35, v31, vcc_lo
	flat_store_dword v[30:31], v32
.LBB13_303:
	s_or_b32 exec_lo, exec_lo, s4
	v_add_nc_u32_e32 v34, 0x68, v130
	v_mad_i64_i32 v[30:31], null, v34, s6, 0
	v_mad_i64_i32 v[32:33], null, v34, s5, 0
	v_cmp_gt_i32_e64 s4, s9, v34
	v_lshlrev_b64 v[30:31], 2, v[30:31]
	s_and_b32 s11, s0, s4
	v_lshlrev_b64 v[34:35], 2, v[32:33]
	v_add_co_u32 v32, vcc_lo, s12, v30
	v_add_co_ci_u32_e64 v33, null, s13, v31, vcc_lo
	v_add_co_u32 v30, vcc_lo, s10, v34
	v_add_co_ci_u32_e64 v31, null, s14, v35, vcc_lo
	s_and_saveexec_b32 s8, s11
	s_cbranch_execnz .LBB13_307
; %bb.304:
	s_or_b32 exec_lo, exec_lo, s8
	s_and_b32 s11, s1, s4
	s_and_saveexec_b32 s8, s11
	s_cbranch_execnz .LBB13_311
.LBB13_305:
	s_or_b32 exec_lo, exec_lo, s8
	s_and_b32 s11, s2, s4
	s_and_saveexec_b32 s8, s11
	s_cbranch_execnz .LBB13_315
.LBB13_306:
	s_or_b32 exec_lo, exec_lo, s8
	s_and_b32 s8, s3, s4
	s_and_saveexec_b32 s4, s8
	s_cbranch_execnz .LBB13_319
	s_branch .LBB13_323
.LBB13_307:
	v_cmp_ne_u32_e32 vcc_lo, 1, v126
	s_cbranch_vccnz .LBB13_309
; %bb.308:
	v_lshlrev_b64 v[34:35], 2, v[0:1]
	v_add_co_u32 v34, vcc_lo, v32, v34
	v_add_co_ci_u32_e64 v35, null, v33, v35, vcc_lo
	flat_load_dword v34, v[34:35]
	s_waitcnt vmcnt(0) lgkmcnt(0)
	v_mul_f32_e32 v34, s7, v34
	s_branch .LBB13_310
.LBB13_309:
	v_mov_b32_e32 v34, 0
.LBB13_310:
	v_add_f32_e32 v35, v19, v27
	v_add_f32_e32 v36, v18, v26
	;; [unrolled: 1-line block ×4, first 2 shown]
	v_min3_f32 v39, v36, v35, v99
	v_lshlrev_b64 v[35:36], 2, v[0:1]
	v_min_f32_e32 v37, v38, v37
	v_min3_f32 v37, v34, v37, v39
	v_add_co_u32 v34, vcc_lo, v30, v35
	v_add_co_ci_u32_e64 v35, null, v31, v36, vcc_lo
	flat_store_dword v[34:35], v37
	s_or_b32 exec_lo, exec_lo, s8
	s_and_b32 s11, s1, s4
	s_and_saveexec_b32 s8, s11
	s_cbranch_execz .LBB13_305
.LBB13_311:
	v_cmp_ne_u32_e32 vcc_lo, 1, v126
	s_cbranch_vccnz .LBB13_313
; %bb.312:
	v_lshlrev_b64 v[34:35], 2, v[82:83]
	v_add_co_u32 v34, vcc_lo, v32, v34
	v_add_co_ci_u32_e64 v35, null, v33, v35, vcc_lo
	flat_load_dword v34, v[34:35]
	s_waitcnt vmcnt(0) lgkmcnt(0)
	v_mul_f32_e32 v34, s7, v34
	s_branch .LBB13_314
.LBB13_313:
	v_mov_b32_e32 v34, 0
.LBB13_314:
	v_add_f32_e32 v35, v15, v27
	v_add_f32_e32 v36, v14, v26
	;; [unrolled: 1-line block ×4, first 2 shown]
	v_min3_f32 v39, v36, v35, v97
	v_lshlrev_b64 v[35:36], 2, v[82:83]
	v_min_f32_e32 v37, v38, v37
	v_min3_f32 v37, v34, v37, v39
	v_add_co_u32 v34, vcc_lo, v30, v35
	v_add_co_ci_u32_e64 v35, null, v31, v36, vcc_lo
	flat_store_dword v[34:35], v37
	s_or_b32 exec_lo, exec_lo, s8
	s_and_b32 s11, s2, s4
	s_and_saveexec_b32 s8, s11
	s_cbranch_execz .LBB13_306
.LBB13_315:
	v_cmp_ne_u32_e32 vcc_lo, 1, v126
	s_cbranch_vccnz .LBB13_317
; %bb.316:
	v_lshlrev_b64 v[34:35], 2, v[84:85]
	v_add_co_u32 v34, vcc_lo, v32, v34
	v_add_co_ci_u32_e64 v35, null, v33, v35, vcc_lo
	flat_load_dword v34, v[34:35]
	s_waitcnt vmcnt(0) lgkmcnt(0)
	v_mul_f32_e32 v34, s7, v34
	s_branch .LBB13_318
.LBB13_317:
	v_mov_b32_e32 v34, 0
.LBB13_318:
	v_add_f32_e32 v35, v11, v27
	v_add_f32_e32 v36, v10, v26
	;; [unrolled: 1-line block ×4, first 2 shown]
	v_min3_f32 v39, v36, v35, v96
	v_lshlrev_b64 v[35:36], 2, v[84:85]
	v_min_f32_e32 v37, v38, v37
	v_min3_f32 v37, v34, v37, v39
	v_add_co_u32 v34, vcc_lo, v30, v35
	v_add_co_ci_u32_e64 v35, null, v31, v36, vcc_lo
	flat_store_dword v[34:35], v37
	s_or_b32 exec_lo, exec_lo, s8
	s_and_b32 s8, s3, s4
	s_and_saveexec_b32 s4, s8
	s_cbranch_execz .LBB13_323
.LBB13_319:
	v_cmp_ne_u32_e32 vcc_lo, 1, v126
	s_cbranch_vccnz .LBB13_321
; %bb.320:
	v_lshlrev_b64 v[34:35], 2, v[86:87]
	v_add_co_u32 v32, vcc_lo, v32, v34
	v_add_co_ci_u32_e64 v33, null, v33, v35, vcc_lo
	flat_load_dword v32, v[32:33]
	s_waitcnt vmcnt(0) lgkmcnt(0)
	v_mul_f32_e32 v32, s7, v32
	s_branch .LBB13_322
.LBB13_321:
	v_mov_b32_e32 v32, 0
.LBB13_322:
	v_add_f32_e32 v27, v3, v27
	v_add_f32_e32 v26, v2, v26
	;; [unrolled: 1-line block ×4, first 2 shown]
	v_min3_f32 v33, v26, v27, v95
	v_lshlrev_b64 v[26:27], 2, v[86:87]
	v_min_f32_e32 v28, v28, v29
	v_min3_f32 v28, v32, v28, v33
	v_add_co_u32 v26, vcc_lo, v30, v26
	v_add_co_ci_u32_e64 v27, null, v31, v27, vcc_lo
	flat_store_dword v[26:27], v28
.LBB13_323:
	s_or_b32 exec_lo, exec_lo, s4
	v_add_nc_u32_e32 v30, 0x70, v130
	v_mad_i64_i32 v[26:27], null, v30, s6, 0
	v_mad_i64_i32 v[28:29], null, v30, s5, 0
	v_cmp_gt_i32_e64 s4, s9, v30
	v_lshlrev_b64 v[26:27], 2, v[26:27]
	s_and_b32 s11, s0, s4
	v_lshlrev_b64 v[30:31], 2, v[28:29]
	v_add_co_u32 v28, vcc_lo, s12, v26
	v_add_co_ci_u32_e64 v29, null, s13, v27, vcc_lo
	v_add_co_u32 v26, vcc_lo, s10, v30
	v_add_co_ci_u32_e64 v27, null, s14, v31, vcc_lo
	s_and_saveexec_b32 s8, s11
	s_cbranch_execnz .LBB13_327
; %bb.324:
	s_or_b32 exec_lo, exec_lo, s8
	s_and_b32 s11, s1, s4
	s_and_saveexec_b32 s8, s11
	s_cbranch_execnz .LBB13_331
.LBB13_325:
	s_or_b32 exec_lo, exec_lo, s8
	s_and_b32 s11, s2, s4
	s_and_saveexec_b32 s8, s11
	s_cbranch_execnz .LBB13_335
.LBB13_326:
	s_or_b32 exec_lo, exec_lo, s8
	s_and_b32 s8, s3, s4
	s_and_saveexec_b32 s4, s8
	s_cbranch_execnz .LBB13_339
	s_branch .LBB13_343
.LBB13_327:
	v_cmp_ne_u32_e32 vcc_lo, 1, v126
	s_cbranch_vccnz .LBB13_329
; %bb.328:
	v_lshlrev_b64 v[30:31], 2, v[0:1]
	v_add_co_u32 v30, vcc_lo, v28, v30
	v_add_co_ci_u32_e64 v31, null, v29, v31, vcc_lo
	flat_load_dword v30, v[30:31]
	s_waitcnt vmcnt(0) lgkmcnt(0)
	v_mul_f32_e32 v30, s7, v30
	s_branch .LBB13_330
.LBB13_329:
	v_mov_b32_e32 v30, 0
.LBB13_330:
	v_add_f32_e32 v31, v19, v23
	v_add_f32_e32 v32, v18, v22
	;; [unrolled: 1-line block ×4, first 2 shown]
	v_min3_f32 v35, v32, v31, v94
	v_lshlrev_b64 v[31:32], 2, v[0:1]
	v_min_f32_e32 v33, v34, v33
	v_min3_f32 v33, v30, v33, v35
	v_add_co_u32 v30, vcc_lo, v26, v31
	v_add_co_ci_u32_e64 v31, null, v27, v32, vcc_lo
	flat_store_dword v[30:31], v33
	s_or_b32 exec_lo, exec_lo, s8
	s_and_b32 s11, s1, s4
	s_and_saveexec_b32 s8, s11
	s_cbranch_execz .LBB13_325
.LBB13_331:
	v_cmp_ne_u32_e32 vcc_lo, 1, v126
	s_cbranch_vccnz .LBB13_333
; %bb.332:
	v_lshlrev_b64 v[30:31], 2, v[82:83]
	v_add_co_u32 v30, vcc_lo, v28, v30
	v_add_co_ci_u32_e64 v31, null, v29, v31, vcc_lo
	flat_load_dword v30, v[30:31]
	s_waitcnt vmcnt(0) lgkmcnt(0)
	v_mul_f32_e32 v30, s7, v30
	s_branch .LBB13_334
.LBB13_333:
	v_mov_b32_e32 v30, 0
.LBB13_334:
	v_add_f32_e32 v31, v15, v23
	v_add_f32_e32 v32, v14, v22
	;; [unrolled: 1-line block ×4, first 2 shown]
	v_min3_f32 v35, v32, v31, v93
	v_lshlrev_b64 v[31:32], 2, v[82:83]
	v_min_f32_e32 v33, v34, v33
	v_min3_f32 v33, v30, v33, v35
	v_add_co_u32 v30, vcc_lo, v26, v31
	v_add_co_ci_u32_e64 v31, null, v27, v32, vcc_lo
	flat_store_dword v[30:31], v33
	s_or_b32 exec_lo, exec_lo, s8
	s_and_b32 s11, s2, s4
	s_and_saveexec_b32 s8, s11
	s_cbranch_execz .LBB13_326
.LBB13_335:
	v_cmp_ne_u32_e32 vcc_lo, 1, v126
	s_cbranch_vccnz .LBB13_337
; %bb.336:
	v_lshlrev_b64 v[30:31], 2, v[84:85]
	v_add_co_u32 v30, vcc_lo, v28, v30
	v_add_co_ci_u32_e64 v31, null, v29, v31, vcc_lo
	flat_load_dword v30, v[30:31]
	s_waitcnt vmcnt(0) lgkmcnt(0)
	v_mul_f32_e32 v30, s7, v30
	s_branch .LBB13_338
.LBB13_337:
	v_mov_b32_e32 v30, 0
.LBB13_338:
	v_add_f32_e32 v31, v11, v23
	v_add_f32_e32 v32, v10, v22
	;; [unrolled: 1-line block ×4, first 2 shown]
	v_min3_f32 v35, v32, v31, v92
	v_lshlrev_b64 v[31:32], 2, v[84:85]
	v_min_f32_e32 v33, v34, v33
	v_min3_f32 v33, v30, v33, v35
	v_add_co_u32 v30, vcc_lo, v26, v31
	v_add_co_ci_u32_e64 v31, null, v27, v32, vcc_lo
	flat_store_dword v[30:31], v33
	s_or_b32 exec_lo, exec_lo, s8
	s_and_b32 s8, s3, s4
	s_and_saveexec_b32 s4, s8
	s_cbranch_execz .LBB13_343
.LBB13_339:
	v_cmp_ne_u32_e32 vcc_lo, 1, v126
	s_cbranch_vccnz .LBB13_341
; %bb.340:
	v_lshlrev_b64 v[30:31], 2, v[86:87]
	v_add_co_u32 v28, vcc_lo, v28, v30
	v_add_co_ci_u32_e64 v29, null, v29, v31, vcc_lo
	flat_load_dword v28, v[28:29]
	s_waitcnt vmcnt(0) lgkmcnt(0)
	v_mul_f32_e32 v28, s7, v28
	s_branch .LBB13_342
.LBB13_341:
	v_mov_b32_e32 v28, 0
.LBB13_342:
	v_add_f32_e32 v23, v3, v23
	v_add_f32_e32 v22, v2, v22
	;; [unrolled: 1-line block ×4, first 2 shown]
	v_min3_f32 v29, v22, v23, v91
	v_lshlrev_b64 v[22:23], 2, v[86:87]
	v_min_f32_e32 v24, v24, v25
	v_min3_f32 v24, v28, v24, v29
	v_add_co_u32 v22, vcc_lo, v26, v22
	v_add_co_ci_u32_e64 v23, null, v27, v23, vcc_lo
	flat_store_dword v[22:23], v24
.LBB13_343:
	s_or_b32 exec_lo, exec_lo, s4
	v_add_nc_u32_e32 v26, 0x78, v130
	v_mad_i64_i32 v[22:23], null, v26, s6, 0
	v_mad_i64_i32 v[24:25], null, v26, s5, 0
	v_cmp_gt_i32_e64 s4, s9, v26
	v_lshlrev_b64 v[22:23], 2, v[22:23]
	s_and_b32 s5, s0, s4
	v_lshlrev_b64 v[26:27], 2, v[24:25]
	v_add_co_u32 v24, vcc_lo, s12, v22
	v_add_co_ci_u32_e64 v25, null, s13, v23, vcc_lo
	v_add_co_u32 v22, vcc_lo, s10, v26
	v_add_co_ci_u32_e64 v23, null, s14, v27, vcc_lo
	s_and_saveexec_b32 s0, s5
	s_cbranch_execnz .LBB13_348
; %bb.344:
	s_or_b32 exec_lo, exec_lo, s0
	s_and_b32 s1, s1, s4
	s_and_saveexec_b32 s0, s1
	s_cbranch_execnz .LBB13_352
.LBB13_345:
	s_or_b32 exec_lo, exec_lo, s0
	s_and_b32 s1, s2, s4
	s_and_saveexec_b32 s0, s1
	s_cbranch_execnz .LBB13_356
.LBB13_346:
	s_or_b32 exec_lo, exec_lo, s0
	s_and_b32 s0, s3, s4
	s_and_saveexec_b32 s1, s0
	s_cbranch_execnz .LBB13_360
.LBB13_347:
	s_endpgm
.LBB13_348:
	v_cmp_ne_u32_e32 vcc_lo, 1, v126
	v_lshlrev_b64 v[0:1], 2, v[0:1]
	s_cbranch_vccnz .LBB13_350
; %bb.349:
	v_add_co_u32 v26, vcc_lo, v24, v0
	v_add_co_ci_u32_e64 v27, null, v25, v1, vcc_lo
	flat_load_dword v26, v[26:27]
	s_waitcnt vmcnt(0) lgkmcnt(0)
	v_mul_f32_e32 v26, s7, v26
	s_branch .LBB13_351
.LBB13_350:
	v_mov_b32_e32 v26, 0
.LBB13_351:
	v_add_f32_e32 v19, v19, v7
	v_add_f32_e32 v18, v18, v6
	;; [unrolled: 1-line block ×4, first 2 shown]
	v_add_co_u32 v0, vcc_lo, v22, v0
	v_min3_f32 v18, v18, v19, v90
	v_add_co_ci_u32_e64 v1, null, v23, v1, vcc_lo
	v_min_f32_e32 v19, v20, v21
	v_min3_f32 v18, v26, v19, v18
	flat_store_dword v[0:1], v18
	s_or_b32 exec_lo, exec_lo, s0
	s_and_b32 s1, s1, s4
	s_and_saveexec_b32 s0, s1
	s_cbranch_execz .LBB13_345
.LBB13_352:
	v_cmp_ne_u32_e32 vcc_lo, 1, v126
	v_lshlrev_b64 v[0:1], 2, v[82:83]
	s_cbranch_vccnz .LBB13_354
; %bb.353:
	v_add_co_u32 v18, vcc_lo, v24, v0
	v_add_co_ci_u32_e64 v19, null, v25, v1, vcc_lo
	flat_load_dword v18, v[18:19]
	s_waitcnt vmcnt(0) lgkmcnt(0)
	v_mul_f32_e32 v18, s7, v18
	s_branch .LBB13_355
.LBB13_354:
	v_mov_b32_e32 v18, 0
.LBB13_355:
	v_add_f32_e32 v15, v15, v7
	v_add_f32_e32 v14, v14, v6
	;; [unrolled: 1-line block ×4, first 2 shown]
	v_add_co_u32 v0, vcc_lo, v22, v0
	v_min3_f32 v14, v14, v15, v89
	v_add_co_ci_u32_e64 v1, null, v23, v1, vcc_lo
	v_min_f32_e32 v15, v16, v17
	v_min3_f32 v14, v18, v15, v14
	flat_store_dword v[0:1], v14
	s_or_b32 exec_lo, exec_lo, s0
	s_and_b32 s1, s2, s4
	s_and_saveexec_b32 s0, s1
	s_cbranch_execz .LBB13_346
.LBB13_356:
	v_cmp_ne_u32_e32 vcc_lo, 1, v126
	v_lshlrev_b64 v[0:1], 2, v[84:85]
	s_cbranch_vccnz .LBB13_358
; %bb.357:
	v_add_co_u32 v14, vcc_lo, v24, v0
	v_add_co_ci_u32_e64 v15, null, v25, v1, vcc_lo
	flat_load_dword v14, v[14:15]
	s_waitcnt vmcnt(0) lgkmcnt(0)
	v_mul_f32_e32 v14, s7, v14
	s_branch .LBB13_359
.LBB13_358:
	v_mov_b32_e32 v14, 0
.LBB13_359:
	v_add_f32_e32 v11, v11, v7
	v_add_f32_e32 v10, v10, v6
	;; [unrolled: 1-line block ×4, first 2 shown]
	v_add_co_u32 v0, vcc_lo, v22, v0
	v_min3_f32 v10, v10, v11, v88
	v_add_co_ci_u32_e64 v1, null, v23, v1, vcc_lo
	v_min_f32_e32 v11, v12, v13
	v_min3_f32 v10, v14, v11, v10
	flat_store_dword v[0:1], v10
	s_or_b32 exec_lo, exec_lo, s0
	s_and_b32 s0, s3, s4
	s_and_saveexec_b32 s1, s0
	s_cbranch_execz .LBB13_347
.LBB13_360:
	v_cmp_ne_u32_e32 vcc_lo, 1, v126
	v_lshlrev_b64 v[0:1], 2, v[86:87]
	s_cbranch_vccnz .LBB13_362
; %bb.361:
	v_add_co_u32 v10, vcc_lo, v24, v0
	v_add_co_ci_u32_e64 v11, null, v25, v1, vcc_lo
	flat_load_dword v10, v[10:11]
	s_waitcnt vmcnt(0) lgkmcnt(0)
	v_mul_f32_e32 v10, s7, v10
	s_branch .LBB13_363
.LBB13_362:
	v_mov_b32_e32 v10, 0
.LBB13_363:
	v_add_f32_e32 v3, v3, v7
	v_add_f32_e32 v2, v2, v6
	;; [unrolled: 1-line block ×4, first 2 shown]
	v_add_co_u32 v0, vcc_lo, v22, v0
	v_min3_f32 v2, v2, v3, v98
	v_add_co_ci_u32_e64 v1, null, v23, v1, vcc_lo
	v_min_f32_e32 v3, v4, v5
	v_min3_f32 v2, v10, v3, v2
	flat_store_dword v[0:1], v2
	s_endpgm
	.section	.rodata,"a",@progbits
	.p2align	6, 0x0
	.amdhsa_kernel _ZN12_GLOBAL__N_120geam_min_plus_kernelIf15HIP_vector_typeIfLj2EEfLi32ELi8ELi128ELi128ELi4ELi4ELi64ELi4ELi64ELc84ELc78ELb1ELb1ELb1EfKPKfKPfEEviiiT16_PT17_ilSA_ilS8_SA_ilPT18_ili26rocblas_geam_ex_operation_
		.amdhsa_group_segment_fixed_size 8192
		.amdhsa_private_segment_fixed_size 0
		.amdhsa_kernarg_size 128
		.amdhsa_user_sgpr_count 6
		.amdhsa_user_sgpr_private_segment_buffer 1
		.amdhsa_user_sgpr_dispatch_ptr 0
		.amdhsa_user_sgpr_queue_ptr 0
		.amdhsa_user_sgpr_kernarg_segment_ptr 1
		.amdhsa_user_sgpr_dispatch_id 0
		.amdhsa_user_sgpr_flat_scratch_init 0
		.amdhsa_user_sgpr_private_segment_size 0
		.amdhsa_wavefront_size32 1
		.amdhsa_uses_dynamic_stack 0
		.amdhsa_system_sgpr_private_segment_wavefront_offset 0
		.amdhsa_system_sgpr_workgroup_id_x 1
		.amdhsa_system_sgpr_workgroup_id_y 0
		.amdhsa_system_sgpr_workgroup_id_z 1
		.amdhsa_system_sgpr_workgroup_info 0
		.amdhsa_system_vgpr_workitem_id 1
		.amdhsa_next_free_vgpr 177
		.amdhsa_next_free_sgpr 25
		.amdhsa_reserve_vcc 1
		.amdhsa_reserve_flat_scratch 0
		.amdhsa_float_round_mode_32 0
		.amdhsa_float_round_mode_16_64 0
		.amdhsa_float_denorm_mode_32 3
		.amdhsa_float_denorm_mode_16_64 3
		.amdhsa_dx10_clamp 1
		.amdhsa_ieee_mode 1
		.amdhsa_fp16_overflow 0
		.amdhsa_workgroup_processor_mode 1
		.amdhsa_memory_ordered 1
		.amdhsa_forward_progress 1
		.amdhsa_shared_vgpr_count 0
		.amdhsa_exception_fp_ieee_invalid_op 0
		.amdhsa_exception_fp_denorm_src 0
		.amdhsa_exception_fp_ieee_div_zero 0
		.amdhsa_exception_fp_ieee_overflow 0
		.amdhsa_exception_fp_ieee_underflow 0
		.amdhsa_exception_fp_ieee_inexact 0
		.amdhsa_exception_int_div_zero 0
	.end_amdhsa_kernel
	.section	.text._ZN12_GLOBAL__N_120geam_min_plus_kernelIf15HIP_vector_typeIfLj2EEfLi32ELi8ELi128ELi128ELi4ELi4ELi64ELi4ELi64ELc84ELc78ELb1ELb1ELb1EfKPKfKPfEEviiiT16_PT17_ilSA_ilS8_SA_ilPT18_ili26rocblas_geam_ex_operation_,"axG",@progbits,_ZN12_GLOBAL__N_120geam_min_plus_kernelIf15HIP_vector_typeIfLj2EEfLi32ELi8ELi128ELi128ELi4ELi4ELi64ELi4ELi64ELc84ELc78ELb1ELb1ELb1EfKPKfKPfEEviiiT16_PT17_ilSA_ilS8_SA_ilPT18_ili26rocblas_geam_ex_operation_,comdat
.Lfunc_end13:
	.size	_ZN12_GLOBAL__N_120geam_min_plus_kernelIf15HIP_vector_typeIfLj2EEfLi32ELi8ELi128ELi128ELi4ELi4ELi64ELi4ELi64ELc84ELc78ELb1ELb1ELb1EfKPKfKPfEEviiiT16_PT17_ilSA_ilS8_SA_ilPT18_ili26rocblas_geam_ex_operation_, .Lfunc_end13-_ZN12_GLOBAL__N_120geam_min_plus_kernelIf15HIP_vector_typeIfLj2EEfLi32ELi8ELi128ELi128ELi4ELi4ELi64ELi4ELi64ELc84ELc78ELb1ELb1ELb1EfKPKfKPfEEviiiT16_PT17_ilSA_ilS8_SA_ilPT18_ili26rocblas_geam_ex_operation_
                                        ; -- End function
	.set _ZN12_GLOBAL__N_120geam_min_plus_kernelIf15HIP_vector_typeIfLj2EEfLi32ELi8ELi128ELi128ELi4ELi4ELi64ELi4ELi64ELc84ELc78ELb1ELb1ELb1EfKPKfKPfEEviiiT16_PT17_ilSA_ilS8_SA_ilPT18_ili26rocblas_geam_ex_operation_.num_vgpr, 177
	.set _ZN12_GLOBAL__N_120geam_min_plus_kernelIf15HIP_vector_typeIfLj2EEfLi32ELi8ELi128ELi128ELi4ELi4ELi64ELi4ELi64ELc84ELc78ELb1ELb1ELb1EfKPKfKPfEEviiiT16_PT17_ilSA_ilS8_SA_ilPT18_ili26rocblas_geam_ex_operation_.num_agpr, 0
	.set _ZN12_GLOBAL__N_120geam_min_plus_kernelIf15HIP_vector_typeIfLj2EEfLi32ELi8ELi128ELi128ELi4ELi4ELi64ELi4ELi64ELc84ELc78ELb1ELb1ELb1EfKPKfKPfEEviiiT16_PT17_ilSA_ilS8_SA_ilPT18_ili26rocblas_geam_ex_operation_.numbered_sgpr, 25
	.set _ZN12_GLOBAL__N_120geam_min_plus_kernelIf15HIP_vector_typeIfLj2EEfLi32ELi8ELi128ELi128ELi4ELi4ELi64ELi4ELi64ELc84ELc78ELb1ELb1ELb1EfKPKfKPfEEviiiT16_PT17_ilSA_ilS8_SA_ilPT18_ili26rocblas_geam_ex_operation_.num_named_barrier, 0
	.set _ZN12_GLOBAL__N_120geam_min_plus_kernelIf15HIP_vector_typeIfLj2EEfLi32ELi8ELi128ELi128ELi4ELi4ELi64ELi4ELi64ELc84ELc78ELb1ELb1ELb1EfKPKfKPfEEviiiT16_PT17_ilSA_ilS8_SA_ilPT18_ili26rocblas_geam_ex_operation_.private_seg_size, 0
	.set _ZN12_GLOBAL__N_120geam_min_plus_kernelIf15HIP_vector_typeIfLj2EEfLi32ELi8ELi128ELi128ELi4ELi4ELi64ELi4ELi64ELc84ELc78ELb1ELb1ELb1EfKPKfKPfEEviiiT16_PT17_ilSA_ilS8_SA_ilPT18_ili26rocblas_geam_ex_operation_.uses_vcc, 1
	.set _ZN12_GLOBAL__N_120geam_min_plus_kernelIf15HIP_vector_typeIfLj2EEfLi32ELi8ELi128ELi128ELi4ELi4ELi64ELi4ELi64ELc84ELc78ELb1ELb1ELb1EfKPKfKPfEEviiiT16_PT17_ilSA_ilS8_SA_ilPT18_ili26rocblas_geam_ex_operation_.uses_flat_scratch, 0
	.set _ZN12_GLOBAL__N_120geam_min_plus_kernelIf15HIP_vector_typeIfLj2EEfLi32ELi8ELi128ELi128ELi4ELi4ELi64ELi4ELi64ELc84ELc78ELb1ELb1ELb1EfKPKfKPfEEviiiT16_PT17_ilSA_ilS8_SA_ilPT18_ili26rocblas_geam_ex_operation_.has_dyn_sized_stack, 0
	.set _ZN12_GLOBAL__N_120geam_min_plus_kernelIf15HIP_vector_typeIfLj2EEfLi32ELi8ELi128ELi128ELi4ELi4ELi64ELi4ELi64ELc84ELc78ELb1ELb1ELb1EfKPKfKPfEEviiiT16_PT17_ilSA_ilS8_SA_ilPT18_ili26rocblas_geam_ex_operation_.has_recursion, 0
	.set _ZN12_GLOBAL__N_120geam_min_plus_kernelIf15HIP_vector_typeIfLj2EEfLi32ELi8ELi128ELi128ELi4ELi4ELi64ELi4ELi64ELc84ELc78ELb1ELb1ELb1EfKPKfKPfEEviiiT16_PT17_ilSA_ilS8_SA_ilPT18_ili26rocblas_geam_ex_operation_.has_indirect_call, 0
	.section	.AMDGPU.csdata,"",@progbits
; Kernel info:
; codeLenInByte = 20164
; TotalNumSgprs: 27
; NumVgprs: 177
; ScratchSize: 0
; MemoryBound: 0
; FloatMode: 240
; IeeeMode: 1
; LDSByteSize: 8192 bytes/workgroup (compile time only)
; SGPRBlocks: 0
; VGPRBlocks: 22
; NumSGPRsForWavesPerEU: 27
; NumVGPRsForWavesPerEU: 177
; Occupancy: 5
; WaveLimiterHint : 1
; COMPUTE_PGM_RSRC2:SCRATCH_EN: 0
; COMPUTE_PGM_RSRC2:USER_SGPR: 6
; COMPUTE_PGM_RSRC2:TRAP_HANDLER: 0
; COMPUTE_PGM_RSRC2:TGID_X_EN: 1
; COMPUTE_PGM_RSRC2:TGID_Y_EN: 0
; COMPUTE_PGM_RSRC2:TGID_Z_EN: 1
; COMPUTE_PGM_RSRC2:TIDIG_COMP_CNT: 1
	.section	.text._ZN12_GLOBAL__N_120geam_min_plus_kernelIf15HIP_vector_typeIfLj2EEfLi32ELi8ELi128ELi128ELi4ELi4ELi64ELi4ELi64ELc84ELc78ELb0ELb1ELb1EfKPKfKPfEEviiiT16_PT17_ilSA_ilS8_SA_ilPT18_ili26rocblas_geam_ex_operation_,"axG",@progbits,_ZN12_GLOBAL__N_120geam_min_plus_kernelIf15HIP_vector_typeIfLj2EEfLi32ELi8ELi128ELi128ELi4ELi4ELi64ELi4ELi64ELc84ELc78ELb0ELb1ELb1EfKPKfKPfEEviiiT16_PT17_ilSA_ilS8_SA_ilPT18_ili26rocblas_geam_ex_operation_,comdat
	.globl	_ZN12_GLOBAL__N_120geam_min_plus_kernelIf15HIP_vector_typeIfLj2EEfLi32ELi8ELi128ELi128ELi4ELi4ELi64ELi4ELi64ELc84ELc78ELb0ELb1ELb1EfKPKfKPfEEviiiT16_PT17_ilSA_ilS8_SA_ilPT18_ili26rocblas_geam_ex_operation_ ; -- Begin function _ZN12_GLOBAL__N_120geam_min_plus_kernelIf15HIP_vector_typeIfLj2EEfLi32ELi8ELi128ELi128ELi4ELi4ELi64ELi4ELi64ELc84ELc78ELb0ELb1ELb1EfKPKfKPfEEviiiT16_PT17_ilSA_ilS8_SA_ilPT18_ili26rocblas_geam_ex_operation_
	.p2align	8
	.type	_ZN12_GLOBAL__N_120geam_min_plus_kernelIf15HIP_vector_typeIfLj2EEfLi32ELi8ELi128ELi128ELi4ELi4ELi64ELi4ELi64ELc84ELc78ELb0ELb1ELb1EfKPKfKPfEEviiiT16_PT17_ilSA_ilS8_SA_ilPT18_ili26rocblas_geam_ex_operation_,@function
_ZN12_GLOBAL__N_120geam_min_plus_kernelIf15HIP_vector_typeIfLj2EEfLi32ELi8ELi128ELi128ELi4ELi4ELi64ELi4ELi64ELc84ELc78ELb0ELb1ELb1EfKPKfKPfEEviiiT16_PT17_ilSA_ilS8_SA_ilPT18_ili26rocblas_geam_ex_operation_: ; @_ZN12_GLOBAL__N_120geam_min_plus_kernelIf15HIP_vector_typeIfLj2EEfLi32ELi8ELi128ELi128ELi4ELi4ELi64ELi4ELi64ELc84ELc78ELb0ELb1ELb1EfKPKfKPfEEviiiT16_PT17_ilSA_ilS8_SA_ilPT18_ili26rocblas_geam_ex_operation_
; %bb.0:
	s_clause 0x1
	s_load_dwordx4 s[8:11], s[4:5], 0x0
	s_load_dwordx4 s[0:3], s[4:5], 0x20
	s_mov_b32 s18, s7
	s_mov_b32 s19, 0
	s_waitcnt lgkmcnt(0)
	v_cmp_eq_f32_e64 s7, s11, 0
	s_and_b32 vcc_lo, exec_lo, s7
	s_cbranch_vccnz .LBB14_3
; %bb.1:
	s_load_dwordx2 s[12:13], s[4:5], 0x10
	s_lshl_b64 s[14:15], s[18:19], 3
	s_waitcnt lgkmcnt(0)
	s_add_u32 s12, s12, s14
	s_addc_u32 s13, s13, s15
	s_lshl_b64 s[0:1], s[0:1], 2
	s_load_dwordx2 s[12:13], s[12:13], 0x0
	s_waitcnt lgkmcnt(0)
	s_add_u32 s14, s12, s0
	s_addc_u32 s15, s13, s1
	s_andn2_b32 vcc_lo, exec_lo, s7
	s_cbranch_vccnz .LBB14_4
.LBB14_2:
	s_mov_b32 s21, 0
	s_mov_b32 s20, s18
	;; [unrolled: 1-line block ×3, first 2 shown]
	s_mov_b64 s[12:13], 0
	s_andn2_b32 vcc_lo, exec_lo, s0
	s_mov_b64 s[16:17], 0
	s_cbranch_vccz .LBB14_5
	s_branch .LBB14_6
.LBB14_3:
	s_mov_b64 s[14:15], 0
	s_andn2_b32 vcc_lo, exec_lo, s7
	s_cbranch_vccz .LBB14_2
.LBB14_4:
	s_mov_b64 s[20:21], s[18:19]
	s_mov_b64 s[12:13], 0
	s_mov_b64 s[16:17], 0
.LBB14_5:
	s_lshl_b64 s[0:1], s[18:19], 3
	s_load_dwordx2 s[16:17], s[4:5], 0x38
	s_add_u32 s0, s2, s0
	s_addc_u32 s1, s3, s1
	s_load_dwordx2 s[0:1], s[0:1], 0x0
	s_waitcnt lgkmcnt(0)
	s_lshl_b64 s[2:3], s[16:17], 2
	s_add_u32 s16, s0, s2
	s_addc_u32 s17, s1, s3
.LBB14_6:
	s_clause 0x1
	s_load_dword s7, s[4:5], 0x40
	s_load_dwordx4 s[0:3], s[4:5], 0x58
	s_waitcnt lgkmcnt(0)
	v_cmp_eq_f32_e64 s18, s7, 0
	v_cmp_neq_f32_e64 s22, s7, 0
	s_and_b32 vcc_lo, exec_lo, s18
	s_cbranch_vccnz .LBB14_8
; %bb.7:
	s_load_dwordx2 s[12:13], s[4:5], 0x48
	s_lshl_b64 s[18:19], s[20:21], 3
	s_waitcnt lgkmcnt(0)
	s_add_u32 s12, s12, s18
	s_addc_u32 s13, s13, s19
	s_lshl_b64 s[0:1], s[0:1], 2
	s_load_dwordx2 s[12:13], s[12:13], 0x0
	s_waitcnt lgkmcnt(0)
	s_add_u32 s12, s12, s0
	s_addc_u32 s13, s13, s1
.LBB14_8:
	s_lshl_b64 s[0:1], s[20:21], 3
	v_and_b32_e32 v114, 3, v0
	s_add_u32 s18, s2, s0
	s_addc_u32 s19, s3, s1
	s_add_i32 s0, s8, -1
	v_lshl_add_u32 v3, v1, 5, v0
	s_ashr_i32 s1, s0, 31
	s_load_dword s25, s[4:5], 0x18
	s_lshr_b32 s1, s1, 25
	v_cmp_eq_f32_e64 s24, s11, 0
	s_add_i32 s0, s0, s1
	v_lshrrev_b32_e32 v4, 2, v3
	s_ashr_i32 s0, s0, 7
	s_add_i32 s1, s0, 1
	s_not_b32 s0, s0
	v_cvt_f32_u32_e32 v2, s1
	v_rcp_iflag_f32_e32 v2, v2
	v_mul_f32_e32 v2, 0x4f7ffffe, v2
	v_cvt_u32_f32_e32 v2, v2
	v_readfirstlane_b32 s2, v2
	s_mul_i32 s0, s0, s2
	s_mul_hi_u32 s0, s2, s0
	s_add_i32 s2, s2, s0
	s_mul_hi_u32 s0, s6, s2
	s_mul_i32 s2, s0, s1
	s_add_i32 s3, s0, 1
	s_sub_i32 s2, s6, s2
	s_sub_i32 s20, s2, s1
	s_cmp_ge_u32 s2, s1
	s_cselect_b32 s0, s3, s0
	s_cselect_b32 s2, s20, s2
	s_add_i32 s3, s0, 1
	s_cmp_ge_u32 s2, s1
	s_cselect_b32 s2, s3, s0
	s_add_i32 s23, s10, -1
	s_mul_i32 s0, s2, s1
	v_min_i32_e32 v2, s23, v114
	s_sub_i32 s0, s6, s0
	v_cmp_le_i32_e64 s3, s10, v114
	s_lshl_b32 s20, s0, 7
	v_ashrrev_i32_e32 v3, 31, v2
	v_add_nc_u32_e32 v82, s20, v4
	v_lshlrev_b64 v[2:3], 2, v[2:3]
	v_cmp_le_i32_e32 vcc_lo, s8, v82
	v_add_co_u32 v7, s0, s14, v2
	v_add_co_ci_u32_e64 v8, null, s15, v3, s0
	s_or_b32 s0, s3, vcc_lo
	v_cndmask_b32_e64 v5, 0, 0x7f7fffff, s0
	s_nor_b32 s0, s24, s0
	s_and_saveexec_b32 s1, s0
	s_cbranch_execz .LBB14_10
; %bb.9:
	s_waitcnt lgkmcnt(0)
	v_mad_i64_i32 v[5:6], null, v82, s25, 0
	v_lshlrev_b64 v[5:6], 2, v[5:6]
	v_add_co_u32 v5, s0, v7, v5
	v_add_co_ci_u32_e64 v6, null, v8, v6, s0
	flat_load_dword v5, v[5:6]
	s_waitcnt vmcnt(0) lgkmcnt(0)
	v_mul_f32_e32 v5, s11, v5
.LBB14_10:
	s_or_b32 exec_lo, exec_lo, s1
	v_add_nc_u32_e32 v83, 64, v82
	v_cmp_le_i32_e64 s0, s8, v83
	s_or_b32 s1, s3, s0
	v_cndmask_b32_e64 v6, 0, 0x7f7fffff, s1
	s_nor_b32 s1, s24, s1
	s_and_saveexec_b32 s6, s1
	s_cbranch_execz .LBB14_12
; %bb.11:
	s_waitcnt lgkmcnt(0)
	v_mad_i64_i32 v[9:10], null, v83, s25, 0
	v_lshlrev_b64 v[9:10], 2, v[9:10]
	v_add_co_u32 v6, s1, v7, v9
	v_add_co_ci_u32_e64 v7, null, v8, v10, s1
	flat_load_dword v6, v[6:7]
	s_waitcnt vmcnt(0) lgkmcnt(0)
	v_mul_f32_e32 v6, s11, v6
.LBB14_12:
	s_or_b32 exec_lo, exec_lo, s6
	s_load_dword s26, s[4:5], 0x30
	s_lshl_b32 s21, s2, 7
	v_add_co_u32 v2, s2, s16, v2
	v_add_nc_u32_e32 v84, s21, v4
	v_add_co_ci_u32_e64 v3, null, s17, v3, s2
	v_cmp_le_i32_e64 s1, s9, v84
	s_or_b32 s2, s3, s1
	v_cndmask_b32_e64 v7, 0, 0x7f7fffff, s2
	s_nor_b32 s2, s24, s2
	s_and_saveexec_b32 s6, s2
	s_cbranch_execz .LBB14_14
; %bb.13:
	s_waitcnt lgkmcnt(0)
	v_mad_i64_i32 v[7:8], null, v84, s26, 0
	v_lshlrev_b64 v[7:8], 2, v[7:8]
	v_add_co_u32 v7, s2, v2, v7
	v_add_co_ci_u32_e64 v8, null, v3, v8, s2
	flat_load_dword v7, v[7:8]
	s_waitcnt vmcnt(0) lgkmcnt(0)
	v_mul_f32_e32 v7, s11, v7
.LBB14_14:
	s_or_b32 exec_lo, exec_lo, s6
	v_add_nc_u32_e32 v85, 64, v84
	v_cmp_le_i32_e64 s2, s9, v85
	s_or_b32 s3, s3, s2
	v_cndmask_b32_e64 v8, 0, 0x7f7fffff, s3
	s_nor_b32 s3, s24, s3
	s_and_saveexec_b32 s6, s3
	s_cbranch_execz .LBB14_16
; %bb.15:
	s_waitcnt lgkmcnt(0)
	v_mad_i64_i32 v[8:9], null, v85, s26, 0
	v_lshlrev_b64 v[8:9], 2, v[8:9]
	v_add_co_u32 v2, s3, v2, v8
	v_add_co_ci_u32_e64 v3, null, v3, v9, s3
	flat_load_dword v2, v[2:3]
	s_waitcnt vmcnt(0) lgkmcnt(0)
	v_mul_f32_e32 v8, s11, v2
.LBB14_16:
	s_or_b32 exec_lo, exec_lo, s6
	v_or_b32_e32 v9, 4, v114
	v_min_i32_e32 v2, s23, v9
	v_cmp_le_i32_e64 s3, s10, v9
	v_ashrrev_i32_e32 v3, 31, v2
	v_lshlrev_b64 v[2:3], 2, v[2:3]
	v_add_co_u32 v9, s6, s14, v2
	v_add_co_ci_u32_e64 v10, null, s15, v3, s6
	s_or_b32 s6, s3, vcc_lo
	v_cndmask_b32_e64 v86, 0, 0x7f7fffff, s6
	s_nor_b32 s6, s24, s6
	s_and_saveexec_b32 s27, s6
	s_cbranch_execz .LBB14_18
; %bb.17:
	s_waitcnt lgkmcnt(0)
	v_mad_i64_i32 v[11:12], null, v82, s25, 0
	v_lshlrev_b64 v[11:12], 2, v[11:12]
	v_add_co_u32 v11, s6, v9, v11
	v_add_co_ci_u32_e64 v12, null, v10, v12, s6
	flat_load_dword v11, v[11:12]
	s_waitcnt vmcnt(0) lgkmcnt(0)
	v_mul_f32_e32 v86, s11, v11
.LBB14_18:
	s_or_b32 exec_lo, exec_lo, s27
	s_or_b32 s6, s3, s0
	v_cndmask_b32_e64 v87, 0, 0x7f7fffff, s6
	s_nor_b32 s6, s24, s6
	s_and_saveexec_b32 s27, s6
	s_cbranch_execz .LBB14_20
; %bb.19:
	s_waitcnt lgkmcnt(0)
	v_mad_i64_i32 v[11:12], null, v83, s25, 0
	v_lshlrev_b64 v[11:12], 2, v[11:12]
	v_add_co_u32 v9, s6, v9, v11
	v_add_co_ci_u32_e64 v10, null, v10, v12, s6
	flat_load_dword v9, v[9:10]
	s_waitcnt vmcnt(0) lgkmcnt(0)
	v_mul_f32_e32 v87, s11, v9
.LBB14_20:
	s_or_b32 exec_lo, exec_lo, s27
	v_add_co_u32 v2, s6, s16, v2
	v_add_co_ci_u32_e64 v3, null, s17, v3, s6
	s_or_b32 s6, s3, s1
	v_cndmask_b32_e64 v88, 0, 0x7f7fffff, s6
	s_nor_b32 s6, s24, s6
	s_and_saveexec_b32 s27, s6
	s_cbranch_execz .LBB14_22
; %bb.21:
	s_waitcnt lgkmcnt(0)
	v_mad_i64_i32 v[9:10], null, v84, s26, 0
	v_lshlrev_b64 v[9:10], 2, v[9:10]
	v_add_co_u32 v9, s6, v2, v9
	v_add_co_ci_u32_e64 v10, null, v3, v10, s6
	flat_load_dword v9, v[9:10]
	s_waitcnt vmcnt(0) lgkmcnt(0)
	v_mul_f32_e32 v88, s11, v9
.LBB14_22:
	s_or_b32 exec_lo, exec_lo, s27
	s_or_b32 s3, s3, s2
	v_cndmask_b32_e64 v89, 0, 0x7f7fffff, s3
	s_nor_b32 s3, s24, s3
	s_and_saveexec_b32 s6, s3
	s_cbranch_execz .LBB14_24
; %bb.23:
	s_waitcnt lgkmcnt(0)
	v_mad_i64_i32 v[9:10], null, v85, s26, 0
	v_lshlrev_b64 v[9:10], 2, v[9:10]
	v_add_co_u32 v2, s3, v2, v9
	v_add_co_ci_u32_e64 v3, null, v3, v10, s3
	flat_load_dword v2, v[2:3]
	s_waitcnt vmcnt(0) lgkmcnt(0)
	v_mul_f32_e32 v89, s11, v2
.LBB14_24:
	s_or_b32 exec_lo, exec_lo, s6
	v_lshlrev_b32_e32 v2, 4, v4
	v_lshlrev_b32_e32 v118, 4, v0
	;; [unrolled: 1-line block ×3, first 2 shown]
	s_load_dwordx2 s[18:19], s[18:19], 0x0
	s_cmp_lt_i32 s10, 9
	v_lshl_or_b32 v124, v114, 2, v2
	ds_write2st64_b32 v124, v5, v6 offset1:4
	ds_write2st64_b32 v124, v7, v8 offset0:16 offset1:20
	s_waitcnt lgkmcnt(0)
	s_barrier
	buffer_gl0_inv
	ds_read_b128 v[14:17], v118
	ds_read_b128 v[10:13], v118 offset:512
	ds_read_b128 v[6:9], v118 offset:1024
	;; [unrolled: 1-line block ×19, first 2 shown]
	ds_write2st64_b32 v124, v86, v87 offset0:8 offset1:12
	ds_write2st64_b32 v124, v88, v89 offset0:24 offset1:28
	s_waitcnt lgkmcnt(0)
	s_barrier
	buffer_gl0_inv
	v_add_f32_e32 v90, v15, v79
	v_add_f32_e32 v91, v14, v78
	v_min3_f32 v120, v91, v90, 0x7f7fffff
	v_add_f32_e32 v90, v11, v79
	v_add_f32_e32 v91, v10, v78
	v_min3_f32 v121, v91, v90, 0x7f7fffff
	v_add_f32_e32 v90, v7, v79
	v_add_f32_e32 v91, v6, v78
	v_add_f32_e32 v79, v3, v79
	v_add_f32_e32 v78, v2, v78
	v_add_f32_e32 v125, v6, v22
	v_min3_f32 v122, v91, v90, 0x7f7fffff
	v_min3_f32 v123, v78, v79, 0x7f7fffff
	v_add_f32_e32 v78, v15, v75
	v_add_f32_e32 v79, v14, v74
	v_min3_f32 v119, v79, v78, 0x7f7fffff
	v_add_f32_e32 v78, v11, v75
	v_add_f32_e32 v79, v10, v74
	v_min3_f32 v117, v79, v78, 0x7f7fffff
	v_add_f32_e32 v78, v7, v75
	v_add_f32_e32 v79, v6, v74
	v_add_f32_e32 v75, v3, v75
	v_add_f32_e32 v74, v2, v74
	v_min3_f32 v115, v79, v78, 0x7f7fffff
	v_min3_f32 v113, v74, v75, 0x7f7fffff
	v_add_f32_e32 v74, v15, v71
	v_add_f32_e32 v75, v14, v70
	v_min3_f32 v112, v75, v74, 0x7f7fffff
	v_add_f32_e32 v74, v11, v71
	v_add_f32_e32 v75, v10, v70
	v_min3_f32 v111, v75, v74, 0x7f7fffff
	v_add_f32_e32 v74, v7, v71
	v_add_f32_e32 v75, v6, v70
	v_add_f32_e32 v71, v3, v71
	v_add_f32_e32 v70, v2, v70
	;; [unrolled: 12-line block ×13, first 2 shown]
	v_add_f32_e32 v6, v6, v18
	v_min3_f32 v34, v31, v30, 0x7f7fffff
	v_min3_f32 v31, v26, v27, 0x7f7fffff
	v_add_f32_e32 v26, v15, v23
	v_add_f32_e32 v27, v14, v22
	;; [unrolled: 1-line block ×4, first 2 shown]
	v_min3_f32 v30, v27, v26, 0x7f7fffff
	v_add_f32_e32 v26, v11, v23
	v_add_f32_e32 v27, v10, v22
	;; [unrolled: 1-line block ×4, first 2 shown]
	v_min3_f32 v14, v14, v15, 0x7f7fffff
	v_add_f32_e32 v11, v11, v19
	v_min3_f32 v27, v27, v26, 0x7f7fffff
	v_add_f32_e32 v26, v7, v23
	v_add_f32_e32 v23, v3, v23
	;; [unrolled: 1-line block ×5, first 2 shown]
	v_min3_f32 v26, v125, v26, 0x7f7fffff
	v_min3_f32 v22, v22, v23, 0x7f7fffff
	;; [unrolled: 1-line block ×4, first 2 shown]
	v_add_f32_e32 v3, v17, v81
	v_add_f32_e32 v7, v16, v80
	v_min3_f32 v10, v10, v11, 0x7f7fffff
	v_min3_f32 v159, v7, v3, v120
	v_add_f32_e32 v3, v13, v81
	v_add_f32_e32 v7, v12, v80
	v_min3_f32 v158, v7, v3, v121
	v_add_f32_e32 v3, v9, v81
	v_add_f32_e32 v7, v8, v80
	;; [unrolled: 3-line block ×59, first 2 shown]
	v_add_f32_e32 v4, v4, v20
	v_min3_f32 v95, v7, v3, v22
	v_add_f32_e32 v3, v17, v21
	v_add_f32_e32 v7, v16, v20
	v_min3_f32 v94, v7, v3, v14
	v_add_f32_e32 v3, v13, v21
	;; [unrolled: 3-line block ×4, first 2 shown]
	v_min3_f32 v102, v4, v3, v2
	s_cbranch_scc1 .LBB14_43
; %bb.25:
	v_mad_i64_i32 v[2:3], null, v82, s25, 0
	v_mad_i64_i32 v[4:5], null, v83, s25, 0
	;; [unrolled: 1-line block ×4, first 2 shown]
	v_lshlrev_b64 v[82:83], 2, v[2:3]
	v_add_nc_u32_e32 v160, 0x1000, v124
	v_lshlrev_b64 v[84:85], 2, v[4:5]
	v_or_b32_e32 v161, 0x1000, v116
	v_lshlrev_b64 v[86:87], 2, v[6:7]
	v_add_nc_u32_e32 v162, 0x800, v124
	v_lshlrev_b64 v[88:89], 2, v[8:9]
	v_add_nc_u32_e32 v163, 0x1800, v124
	v_lshl_add_u32 v164, v0, 4, 0x800
	v_lshl_add_u32 v165, v1, 4, 0x1800
	s_add_i32 s25, s10, -8
	s_mov_b32 s26, 0
	s_branch .LBB14_27
.LBB14_26:                              ;   in Loop: Header=BB14_27 Depth=1
	s_or_b32 exec_lo, exec_lo, s6
	v_add_f32_e32 v168, v15, v79
	v_add_f32_e32 v169, v14, v78
	;; [unrolled: 1-line block ×10, first 2 shown]
	v_min3_f32 v159, v169, v168, v159
	v_min3_f32 v158, v171, v170, v158
	;; [unrolled: 1-line block ×3, first 2 shown]
	v_add_f32_e32 v156, v10, v74
	v_min3_f32 v79, v175, v174, v155
	v_add_f32_e32 v155, v11, v75
	v_add_f32_e32 v168, v7, v75
	;; [unrolled: 1-line block ×7, first 2 shown]
	v_min3_f32 v157, v173, v172, v157
	v_add_f32_e32 v172, v11, v71
	v_add_f32_e32 v173, v10, v70
	v_min3_f32 v154, v156, v155, v154
	v_min3_f32 v74, v74, v75, v152
	;; [unrolled: 1-line block ×3, first 2 shown]
	v_add_f32_e32 v151, v7, v71
	v_add_f32_e32 v152, v6, v70
	;; [unrolled: 1-line block ×6, first 2 shown]
	v_min3_f32 v153, v169, v168, v153
	v_add_f32_e32 v168, v11, v67
	v_add_f32_e32 v169, v10, v66
	;; [unrolled: 1-line block ×4, first 2 shown]
	v_min3_f32 v149, v152, v151, v149
	v_min3_f32 v70, v70, v71, v148
	;; [unrolled: 1-line block ×3, first 2 shown]
	v_add_f32_e32 v67, v3, v67
	v_add_f32_e32 v66, v2, v66
	v_add_f32_e32 v147, v15, v63
	v_add_f32_e32 v148, v14, v62
	v_add_f32_e32 v151, v11, v63
	v_add_f32_e32 v152, v10, v62
	v_add_f32_e32 v155, v7, v63
	v_add_f32_e32 v156, v6, v62
	v_add_f32_e32 v63, v3, v63
	v_add_f32_e32 v62, v2, v62
	v_min3_f32 v66, v66, v67, v144
	v_min3_f32 v67, v148, v147, v143
	v_min3_f32 v142, v152, v151, v142
	v_add_f32_e32 v143, v11, v59
	v_min3_f32 v62, v62, v63, v140
	v_add_f32_e32 v63, v15, v59
	v_add_f32_e32 v140, v14, v58
	;; [unrolled: 1-line block ×9, first 2 shown]
	v_min3_f32 v63, v140, v63, v139
	v_min3_f32 v138, v144, v143, v138
	;; [unrolled: 1-line block ×3, first 2 shown]
	v_add_f32_e32 v136, v10, v54
	v_min3_f32 v59, v152, v151, v135
	v_add_f32_e32 v135, v11, v55
	v_add_f32_e32 v139, v7, v55
	;; [unrolled: 1-line block ×7, first 2 shown]
	v_min3_f32 v137, v148, v147, v137
	v_add_f32_e32 v147, v11, v47
	v_add_f32_e32 v148, v10, v46
	v_min3_f32 v134, v136, v135, v134
	v_min3_f32 v54, v54, v55, v132
	;; [unrolled: 1-line block ×3, first 2 shown]
	v_add_f32_e32 v131, v7, v47
	v_add_f32_e32 v132, v6, v46
	v_add_f32_e32 v47, v3, v47
	v_add_f32_e32 v46, v2, v46
	v_add_f32_e32 v135, v15, v51
	v_add_f32_e32 v136, v14, v50
	v_min3_f32 v133, v140, v139, v133
	v_add_f32_e32 v139, v11, v51
	v_add_f32_e32 v140, v10, v50
	;; [unrolled: 1-line block ×4, first 2 shown]
	v_min3_f32 v129, v132, v131, v129
	v_min3_f32 v46, v46, v47, v128
	;; [unrolled: 1-line block ×3, first 2 shown]
	v_add_f32_e32 v51, v3, v51
	v_add_f32_e32 v50, v2, v50
	;; [unrolled: 1-line block ×10, first 2 shown]
	v_min3_f32 v50, v50, v51, v123
	v_min3_f32 v51, v128, v127, v122
	;; [unrolled: 1-line block ×3, first 2 shown]
	v_add_f32_e32 v122, v11, v39
	v_min3_f32 v42, v42, v43, v119
	v_add_f32_e32 v43, v15, v39
	v_add_f32_e32 v119, v14, v38
	v_add_f32_e32 v123, v10, v38
	v_add_f32_e32 v127, v7, v39
	v_add_f32_e32 v128, v6, v38
	v_add_f32_e32 v39, v3, v39
	v_add_f32_e32 v38, v2, v38
	v_add_f32_e32 v131, v15, v35
	v_add_f32_e32 v132, v14, v34
	v_min3_f32 v43, v119, v43, v117
	v_min3_f32 v115, v123, v122, v115
	;; [unrolled: 1-line block ×3, first 2 shown]
	v_add_f32_e32 v112, v10, v34
	v_min3_f32 v39, v132, v131, v111
	v_add_f32_e32 v111, v11, v35
	v_add_f32_e32 v117, v7, v35
	;; [unrolled: 1-line block ×7, first 2 shown]
	v_min3_f32 v113, v128, v127, v113
	v_add_f32_e32 v127, v11, v31
	v_add_f32_e32 v128, v10, v30
	v_min3_f32 v110, v112, v111, v110
	v_min3_f32 v34, v34, v35, v108
	v_min3_f32 v35, v123, v122, v107
	v_add_f32_e32 v107, v7, v31
	v_add_f32_e32 v108, v6, v30
	;; [unrolled: 1-line block ×6, first 2 shown]
	v_min3_f32 v109, v119, v117, v109
	v_add_f32_e32 v117, v11, v27
	v_add_f32_e32 v119, v10, v26
	;; [unrolled: 1-line block ×4, first 2 shown]
	v_min3_f32 v105, v108, v107, v105
	v_min3_f32 v30, v30, v31, v104
	;; [unrolled: 1-line block ×3, first 2 shown]
	v_add_f32_e32 v27, v3, v27
	v_add_f32_e32 v26, v2, v26
	;; [unrolled: 1-line block ×20, first 2 shown]
	v_min3_f32 v22, v22, v23, v95
	v_min3_f32 v14, v14, v15, v94
	;; [unrolled: 1-line block ×6, first 2 shown]
	v_add_f32_e32 v2, v13, v81
	v_add_f32_e32 v3, v12, v80
	;; [unrolled: 1-line block ×6, first 2 shown]
	v_min3_f32 v26, v26, v27, v99
	v_min3_f32 v27, v104, v103, v98
	v_add_f32_e32 v19, v17, v77
	v_add_f32_e32 v80, v16, v76
	v_min3_f32 v94, v3, v2, v158
	v_min3_f32 v95, v7, v6, v157
	;; [unrolled: 1-line block ×3, first 2 shown]
	v_add_f32_e32 v2, v9, v77
	v_add_f32_e32 v3, v8, v76
	;; [unrolled: 1-line block ×6, first 2 shown]
	v_min3_f32 v150, v173, v172, v150
	v_min3_f32 v146, v169, v168, v146
	v_add_f32_e32 v93, v12, v76
	v_min3_f32 v99, v80, v19, v79
	v_add_f32_e32 v19, v13, v73
	v_add_f32_e32 v76, v12, v72
	v_min3_f32 v102, v3, v2, v153
	v_min3_f32 v103, v7, v6, v74
	;; [unrolled: 1-line block ×3, first 2 shown]
	v_add_f32_e32 v2, v5, v73
	v_add_f32_e32 v3, v4, v72
	;; [unrolled: 1-line block ×6, first 2 shown]
	v_min3_f32 v145, v171, v170, v145
	v_min3_f32 v141, v156, v155, v141
	;; [unrolled: 1-line block ×5, first 2 shown]
	v_add_f32_e32 v78, v8, v72
	v_min3_f32 v107, v76, v19, v150
	v_add_f32_e32 v19, v9, v69
	v_add_f32_e32 v72, v8, v68
	v_min3_f32 v111, v3, v2, v70
	v_min3_f32 v112, v7, v6, v71
	v_min3_f32 v117, v18, v11, v146
	v_add_f32_e32 v2, v17, v65
	v_add_f32_e32 v3, v16, v64
	;; [unrolled: 1-line block ×6, first 2 shown]
	v_min3_f32 v106, v128, v127, v106
	v_min3_f32 v100, v123, v122, v100
	v_add_f32_e32 v69, v5, v69
	v_add_f32_e32 v68, v4, v68
	v_min3_f32 v119, v72, v19, v145
	v_add_f32_e32 v19, v5, v65
	v_add_f32_e32 v64, v4, v64
	v_min3_f32 v123, v3, v2, v67
	v_min3_f32 v127, v7, v6, v142
	;; [unrolled: 1-line block ×3, first 2 shown]
	v_add_f32_e32 v2, v13, v61
	v_add_f32_e32 v3, v12, v60
	;; [unrolled: 1-line block ×6, first 2 shown]
	v_min3_f32 v120, v136, v135, v120
	v_min3_f32 v122, v68, v69, v66
	v_add_f32_e32 v66, v16, v60
	v_min3_f32 v131, v64, v19, v62
	v_add_f32_e32 v19, v17, v57
	v_add_f32_e32 v60, v16, v56
	v_min3_f32 v135, v3, v2, v138
	v_min3_f32 v136, v7, v6, v137
	;; [unrolled: 1-line block ×3, first 2 shown]
	v_add_f32_e32 v2, v9, v57
	v_add_f32_e32 v3, v8, v56
	;; [unrolled: 1-line block ×4, first 2 shown]
	v_min3_f32 v130, v148, v147, v130
	v_min3_f32 v126, v140, v139, v126
	v_add_f32_e32 v62, v12, v56
	v_min3_f32 v138, v60, v19, v59
	v_add_f32_e32 v6, v5, v57
	v_add_f32_e32 v7, v4, v56
	;; [unrolled: 1-line block ×4, first 2 shown]
	v_min3_f32 v133, v3, v2, v133
	v_min3_f32 v140, v18, v11, v55
	v_add_f32_e32 v2, v5, v49
	v_add_f32_e32 v3, v4, v48
	;; [unrolled: 1-line block ×4, first 2 shown]
	v_min3_f32 v125, v144, v143, v125
	v_add_f32_e32 v58, v8, v48
	v_min3_f32 v139, v7, v6, v54
	v_min3_f32 v130, v56, v19, v130
	v_add_f32_e32 v6, v17, v53
	v_add_f32_e32 v7, v16, v52
	v_add_f32_e32 v19, v9, v53
	v_add_f32_e32 v48, v8, v52
	v_min3_f32 v141, v3, v2, v46
	v_min3_f32 v126, v18, v11, v126
	v_add_f32_e32 v2, v17, v45
	v_add_f32_e32 v3, v16, v44
	v_add_f32_e32 v11, v9, v45
	;; [unrolled: 6-line block ×4, first 2 shown]
	v_add_f32_e32 v18, v4, v40
	v_add_f32_e32 v46, v16, v40
	v_min3_f32 v121, v7, v6, v121
	v_min3_f32 v145, v44, v19, v42
	v_add_f32_e32 v6, v9, v41
	v_add_f32_e32 v7, v8, v40
	;; [unrolled: 1-line block ×4, first 2 shown]
	v_min3_f32 v115, v3, v2, v115
	v_min3_f32 v147, v18, v11, v38
	v_add_f32_e32 v2, v9, v37
	v_add_f32_e32 v3, v8, v36
	;; [unrolled: 1-line block ×7, first 2 shown]
	v_min3_f32 v113, v7, v6, v113
	v_min3_f32 v148, v40, v19, v39
	v_add_f32_e32 v6, v5, v37
	v_add_f32_e32 v7, v4, v36
	;; [unrolled: 1-line block ×4, first 2 shown]
	v_min3_f32 v109, v3, v2, v109
	v_min3_f32 v150, v18, v11, v35
	v_add_f32_e32 v2, v5, v33
	v_add_f32_e32 v3, v4, v32
	;; [unrolled: 1-line block ×4, first 2 shown]
	v_min3_f32 v108, v78, v77, v149
	v_add_f32_e32 v65, v17, v61
	v_add_f32_e32 v45, v17, v41
	;; [unrolled: 1-line block ×3, first 2 shown]
	v_min3_f32 v149, v7, v6, v34
	v_min3_f32 v106, v36, v19, v106
	v_add_f32_e32 v6, v17, v29
	v_add_f32_e32 v7, v16, v28
	;; [unrolled: 1-line block ×4, first 2 shown]
	v_min3_f32 v151, v3, v2, v30
	v_min3_f32 v101, v18, v11, v101
	v_add_f32_e32 v2, v17, v25
	v_add_f32_e32 v3, v16, v24
	;; [unrolled: 1-line block ×6, first 2 shown]
	v_min3_f32 v152, v7, v6, v31
	v_min3_f32 v100, v32, v19, v100
	v_add_f32_e32 v6, v13, v25
	v_add_f32_e32 v7, v12, v24
	;; [unrolled: 1-line block ×4, first 2 shown]
	v_min3_f32 v96, v18, v11, v96
	v_min3_f32 v156, v16, v17, v14
	v_add_f32_e32 v11, v13, v21
	v_add_f32_e32 v12, v12, v20
	;; [unrolled: 1-line block ×4, first 2 shown]
	v_min3_f32 v93, v93, v81, v154
	v_add_f32_e32 v61, v13, v57
	v_add_f32_e32 v57, v9, v49
	;; [unrolled: 1-line block ×8, first 2 shown]
	v_min3_f32 v154, v3, v2, v27
	v_min3_f32 v97, v7, v6, v97
	;; [unrolled: 1-line block ×3, first 2 shown]
	v_add_f32_e32 v18, v5, v21
	v_add_f32_e32 v19, v4, v20
	ds_read_b128 v[2:5], v118
	ds_read_b128 v[6:9], v161
	v_min3_f32 v157, v12, v11, v10
	ds_read_b128 v[10:13], v118 offset:512
	v_min3_f32 v158, v16, v14, v15
	ds_read_b128 v[14:17], v118 offset:1024
	v_min3_f32 v132, v66, v65, v63
	v_min3_f32 v134, v62, v61, v134
	;; [unrolled: 1-line block ×9, first 2 shown]
	ds_read_b128 v[18:21], v118 offset:1536
	ds_read_b128 v[22:25], v161 offset:128
	;; [unrolled: 1-line block ×16, first 2 shown]
	s_add_i32 s26, s26, 8
	ds_write2st64_b32 v162, v166, v167 offset1:4
	ds_write2st64_b32 v163, v90, v91 offset1:4
	s_cmp_ge_i32 s26, s25
	s_waitcnt lgkmcnt(0)
	v_add_f32_e32 v168, v3, v7
	v_add_f32_e32 v169, v2, v6
	v_add_f32_e32 v170, v11, v7
	v_add_f32_e32 v171, v10, v6
	v_add_f32_e32 v172, v15, v7
	v_add_f32_e32 v173, v14, v6
	v_min3_f32 v92, v169, v168, v92
	v_add_f32_e32 v7, v19, v7
	v_min3_f32 v94, v171, v170, v94
	v_add_f32_e32 v6, v18, v6
	;; [unrolled: 2-line block ×3, first 2 shown]
	v_add_f32_e32 v169, v2, v22
	v_add_f32_e32 v170, v11, v23
	v_add_f32_e32 v171, v10, v22
	v_add_f32_e32 v172, v15, v23
	v_add_f32_e32 v173, v14, v22
	v_add_f32_e32 v23, v19, v23
	v_add_f32_e32 v22, v18, v22
	v_min3_f32 v6, v6, v7, v98
	v_min3_f32 v7, v169, v168, v99
	v_min3_f32 v93, v171, v170, v93
	v_min3_f32 v98, v173, v172, v102
	v_min3_f32 v22, v22, v23, v103
	v_add_f32_e32 v23, v3, v27
	v_add_f32_e32 v99, v2, v26
	v_add_f32_e32 v102, v11, v27
	v_add_f32_e32 v103, v10, v26
	v_add_f32_e32 v168, v15, v27
	v_add_f32_e32 v169, v14, v26
	v_add_f32_e32 v27, v19, v27
	v_add_f32_e32 v26, v18, v26
	v_add_f32_e32 v170, v3, v31
	v_add_f32_e32 v171, v2, v30
	v_min3_f32 v23, v99, v23, v104
	v_min3_f32 v99, v103, v102, v107
	v_min3_f32 v102, v169, v168, v108
	v_min3_f32 v26, v26, v27, v111
	v_min3_f32 v27, v171, v170, v112
	v_add_f32_e32 v103, v11, v31
	v_add_f32_e32 v104, v10, v30
	v_add_f32_e32 v107, v15, v31
	;; [unrolled: 15-line block ×6, first 2 shown]
	v_add_f32_e32 v130, v14, v50
	v_add_f32_e32 v51, v19, v51
	;; [unrolled: 1-line block ×7, first 2 shown]
	v_min3_f32 v126, v128, v127, v126
	v_min3_f32 v125, v130, v129, v125
	v_min3_f32 v50, v50, v51, v143
	v_min3_f32 v51, v132, v131, v144
	v_add_f32_e32 v127, v15, v55
	v_add_f32_e32 v128, v14, v54
	v_add_f32_e32 v55, v19, v55
	v_add_f32_e32 v54, v18, v54
	v_add_f32_e32 v129, v3, v59
	v_add_f32_e32 v130, v2, v58
	v_add_f32_e32 v131, v11, v59
	v_add_f32_e32 v132, v10, v58
	v_min3_f32 v121, v134, v133, v121
	v_add_f32_e32 v133, v15, v59
	v_add_f32_e32 v134, v14, v58
	v_min3_f32 v120, v128, v127, v120
	v_min3_f32 v54, v54, v55, v145
	;; [unrolled: 1-line block ×4, first 2 shown]
	v_add_f32_e32 v59, v19, v59
	v_add_f32_e32 v58, v18, v58
	;; [unrolled: 1-line block ×10, first 2 shown]
	v_min3_f32 v58, v58, v59, v147
	v_min3_f32 v59, v128, v127, v148
	;; [unrolled: 1-line block ×3, first 2 shown]
	v_add_f32_e32 v127, v2, v66
	v_min3_f32 v62, v62, v63, v149
	v_add_f32_e32 v63, v3, v67
	v_add_f32_e32 v128, v11, v67
	;; [unrolled: 1-line block ×3, first 2 shown]
	v_min3_f32 v113, v134, v133, v113
	v_min3_f32 v109, v132, v131, v109
	v_add_f32_e32 v130, v15, v67
	v_add_f32_e32 v131, v14, v66
	v_add_f32_e32 v67, v19, v67
	v_add_f32_e32 v66, v18, v66
	v_add_f32_e32 v132, v3, v71
	v_add_f32_e32 v133, v2, v70
	v_min3_f32 v63, v127, v63, v150
	v_min3_f32 v106, v129, v128, v106
	v_add_f32_e32 v127, v11, v71
	v_add_f32_e32 v128, v10, v70
	v_min3_f32 v105, v131, v130, v105
	v_min3_f32 v66, v66, v67, v151
	;; [unrolled: 1-line block ×3, first 2 shown]
	v_add_f32_e32 v129, v15, v71
	v_add_f32_e32 v130, v14, v70
	;; [unrolled: 1-line block ×6, first 2 shown]
	v_min3_f32 v101, v128, v127, v101
	v_add_f32_e32 v127, v15, v75
	v_add_f32_e32 v128, v14, v74
	;; [unrolled: 1-line block ×12, first 2 shown]
	v_min3_f32 v74, v74, v75, v155
	v_min3_f32 v2, v2, v3, v156
	;; [unrolled: 1-line block ×4, first 2 shown]
	v_add_f32_e32 v11, v19, v79
	v_add_f32_e32 v14, v18, v78
	;; [unrolled: 1-line block ×10, first 2 shown]
	v_min3_f32 v11, v14, v11, v159
	v_min3_f32 v159, v18, v15, v92
	v_add_f32_e32 v14, v12, v24
	v_add_f32_e32 v15, v17, v25
	v_min3_f32 v156, v8, v9, v6
	v_add_f32_e32 v6, v5, v25
	v_add_f32_e32 v8, v4, v24
	;; [unrolled: 1-line block ×4, first 2 shown]
	v_min3_f32 v70, v70, v71, v153
	v_min3_f32 v71, v132, v131, v154
	v_min3_f32 v158, v75, v19, v94
	v_add_f32_e32 v19, v21, v25
	v_add_f32_e32 v24, v20, v24
	v_add_f32_e32 v25, v5, v29
	v_add_f32_e32 v75, v4, v28
	v_min3_f32 v155, v8, v6, v7
	v_min3_f32 v154, v14, v9, v93
	v_min3_f32 v153, v18, v15, v98
	v_add_f32_e32 v6, v13, v29
	v_add_f32_e32 v7, v12, v28
	v_add_f32_e32 v8, v17, v29
	v_add_f32_e32 v9, v16, v28
	v_add_f32_e32 v14, v21, v29
	v_add_f32_e32 v15, v20, v28
	v_min3_f32 v152, v24, v19, v22
	v_min3_f32 v151, v75, v25, v23
	v_add_f32_e32 v18, v5, v33
	v_add_f32_e32 v19, v4, v32
	v_add_f32_e32 v22, v13, v33
	v_add_f32_e32 v23, v12, v32
	v_min3_f32 v150, v7, v6, v99
	v_min3_f32 v149, v9, v8, v102
	v_min3_f32 v148, v15, v14, v26
	v_add_f32_e32 v6, v17, v33
	v_add_f32_e32 v7, v16, v32
	v_add_f32_e32 v8, v21, v33
	v_add_f32_e32 v9, v20, v32
	v_add_f32_e32 v14, v5, v37
	v_add_f32_e32 v15, v4, v36
	v_min3_f32 v147, v19, v18, v27
	v_min3_f32 v146, v23, v22, v103
	;; [unrolled: 15-line block ×4, first 2 shown]
	v_min3_f32 v136, v23, v22, v38
	v_add_f32_e32 v18, v21, v45
	v_add_f32_e32 v19, v20, v44
	;; [unrolled: 1-line block ×4, first 2 shown]
	v_min3_f32 v135, v7, v6, v39
	v_min3_f32 v134, v9, v8, v117
	v_min3_f32 v133, v15, v14, v119
	v_add_f32_e32 v6, v13, v49
	v_add_f32_e32 v7, v12, v48
	;; [unrolled: 1-line block ×6, first 2 shown]
	v_min3_f32 v100, v130, v129, v100
	v_min3_f32 v96, v128, v127, v96
	;; [unrolled: 1-line block ×4, first 2 shown]
	v_add_f32_e32 v18, v5, v53
	v_add_f32_e32 v19, v4, v52
	v_add_f32_e32 v22, v13, v53
	v_add_f32_e32 v23, v12, v52
	v_min3_f32 v130, v7, v6, v122
	v_min3_f32 v129, v9, v8, v123
	v_min3_f32 v128, v15, v14, v46
	v_add_f32_e32 v6, v17, v53
	v_add_f32_e32 v7, v16, v52
	v_add_f32_e32 v8, v21, v53
	v_add_f32_e32 v9, v20, v52
	v_add_f32_e32 v14, v5, v57
	v_add_f32_e32 v15, v4, v56
	v_min3_f32 v127, v19, v18, v47
	v_min3_f32 v126, v23, v22, v126
	v_add_f32_e32 v18, v13, v57
	v_add_f32_e32 v19, v12, v56
	v_add_f32_e32 v22, v17, v57
	v_add_f32_e32 v23, v16, v56
	v_min3_f32 v125, v7, v6, v125
	v_min3_f32 v123, v9, v8, v50
	v_min3_f32 v122, v15, v14, v51
	v_add_f32_e32 v6, v21, v57
	v_add_f32_e32 v7, v20, v56
	v_add_f32_e32 v8, v5, v61
	v_add_f32_e32 v9, v4, v60
	v_add_f32_e32 v14, v13, v61
	v_add_f32_e32 v15, v12, v60
	v_min3_f32 v121, v19, v18, v121
	v_min3_f32 v120, v23, v22, v120
	;; [unrolled: 15-line block ×5, first 2 shown]
	v_add_f32_e32 v18, v13, v77
	v_add_f32_e32 v19, v12, v76
	;; [unrolled: 1-line block ×4, first 2 shown]
	v_min3_f32 v100, v7, v6, v100
	v_min3_f32 v99, v9, v8, v70
	;; [unrolled: 1-line block ×3, first 2 shown]
	v_add_f32_e32 v6, v21, v77
	v_add_f32_e32 v7, v20, v76
	;; [unrolled: 1-line block ×10, first 2 shown]
	v_min3_f32 v157, v79, v78, v95
	v_min3_f32 v97, v19, v18, v97
	;; [unrolled: 1-line block ×8, first 2 shown]
	s_barrier
	buffer_gl0_inv
	s_cbranch_scc1 .LBB14_43
.LBB14_27:                              ; =>This Inner Loop Header: Depth=1
	v_add_nc_u32_e32 v18, s26, v114
	v_add_nc_u32_e32 v4, 8, v18
	v_min_i32_e32 v2, s23, v4
	v_cmp_le_i32_e64 s3, s10, v4
	v_ashrrev_i32_e32 v3, 31, v2
	v_lshlrev_b64 v[2:3], 2, v[2:3]
	v_add_co_u32 v4, s6, s14, v2
	v_add_co_ci_u32_e64 v5, null, s15, v3, s6
	s_or_b32 s6, vcc_lo, s3
	v_cndmask_b32_e64 v166, 0, 0x7f7fffff, s6
	s_nor_b32 s6, s24, s6
	s_and_saveexec_b32 s27, s6
	s_cbranch_execz .LBB14_29
; %bb.28:                               ;   in Loop: Header=BB14_27 Depth=1
	v_add_co_u32 v6, s6, v4, v82
	v_add_co_ci_u32_e64 v7, null, v5, v83, s6
	flat_load_dword v6, v[6:7]
	s_waitcnt vmcnt(0) lgkmcnt(0)
	v_mul_f32_e32 v166, s11, v6
.LBB14_29:                              ;   in Loop: Header=BB14_27 Depth=1
	s_or_b32 exec_lo, exec_lo, s27
	s_or_b32 s6, s0, s3
	v_cndmask_b32_e64 v167, 0, 0x7f7fffff, s6
	s_nor_b32 s6, s24, s6
	s_and_saveexec_b32 s27, s6
	s_cbranch_execz .LBB14_31
; %bb.30:                               ;   in Loop: Header=BB14_27 Depth=1
	v_add_co_u32 v4, s6, v4, v84
	v_add_co_ci_u32_e64 v5, null, v5, v85, s6
	flat_load_dword v4, v[4:5]
	s_waitcnt vmcnt(0) lgkmcnt(0)
	v_mul_f32_e32 v167, s11, v4
.LBB14_31:                              ;   in Loop: Header=BB14_27 Depth=1
	s_or_b32 exec_lo, exec_lo, s27
	v_add_co_u32 v2, s6, s16, v2
	v_add_co_ci_u32_e64 v3, null, s17, v3, s6
	s_or_b32 s6, s1, s3
	v_cndmask_b32_e64 v168, 0, 0x7f7fffff, s6
	s_nor_b32 s6, s24, s6
	s_and_saveexec_b32 s27, s6
	s_cbranch_execz .LBB14_33
; %bb.32:                               ;   in Loop: Header=BB14_27 Depth=1
	v_add_co_u32 v4, s6, v2, v86
	v_add_co_ci_u32_e64 v5, null, v3, v87, s6
	flat_load_dword v4, v[4:5]
	s_waitcnt vmcnt(0) lgkmcnt(0)
	v_mul_f32_e32 v168, s11, v4
.LBB14_33:                              ;   in Loop: Header=BB14_27 Depth=1
	s_or_b32 exec_lo, exec_lo, s27
	s_or_b32 s3, s2, s3
	v_cndmask_b32_e64 v169, 0, 0x7f7fffff, s3
	s_nor_b32 s3, s24, s3
	s_and_saveexec_b32 s6, s3
	s_cbranch_execz .LBB14_35
; %bb.34:                               ;   in Loop: Header=BB14_27 Depth=1
	v_add_co_u32 v2, s3, v2, v88
	v_add_co_ci_u32_e64 v3, null, v3, v89, s3
	flat_load_dword v2, v[2:3]
	s_waitcnt vmcnt(0) lgkmcnt(0)
	v_mul_f32_e32 v169, s11, v2
.LBB14_35:                              ;   in Loop: Header=BB14_27 Depth=1
	s_or_b32 exec_lo, exec_lo, s6
	ds_read_b128 v[14:17], v164
	ds_read_b128 v[10:13], v164 offset:512
	ds_read_b128 v[6:9], v164 offset:1024
	;; [unrolled: 1-line block ×3, first 2 shown]
	ds_read_b128 v[78:81], v165
	ds_read_b128 v[74:77], v165 offset:128
	ds_read_b128 v[70:73], v165 offset:256
	;; [unrolled: 1-line block ×7, first 2 shown]
	v_add_nc_u32_e32 v170, 12, v18
	ds_read_b128 v[50:53], v165 offset:1024
	ds_read_b128 v[42:45], v165 offset:1152
	;; [unrolled: 1-line block ×8, first 2 shown]
	ds_write2st64_b32 v124, v166, v167 offset1:4
	ds_write2st64_b32 v160, v168, v169 offset1:4
	s_waitcnt lgkmcnt(0)
	v_min_i32_e32 v90, s23, v170
	v_cmp_le_i32_e64 s3, s10, v170
	s_barrier
	buffer_gl0_inv
	v_ashrrev_i32_e32 v91, 31, v90
	s_or_b32 s27, vcc_lo, s3
	v_cndmask_b32_e64 v166, 0, 0x7f7fffff, s27
	v_lshlrev_b64 v[90:91], 2, v[90:91]
	v_add_co_u32 v168, s6, s14, v90
	v_add_co_ci_u32_e64 v169, null, s15, v91, s6
	s_nor_b32 s6, s24, s27
	s_and_saveexec_b32 s27, s6
	s_cbranch_execz .LBB14_37
; %bb.36:                               ;   in Loop: Header=BB14_27 Depth=1
	v_add_co_u32 v166, s6, v168, v82
	v_add_co_ci_u32_e64 v167, null, v169, v83, s6
	flat_load_dword v166, v[166:167]
	s_waitcnt vmcnt(0) lgkmcnt(0)
	v_mul_f32_e32 v166, s11, v166
.LBB14_37:                              ;   in Loop: Header=BB14_27 Depth=1
	s_or_b32 exec_lo, exec_lo, s27
	s_or_b32 s6, s0, s3
	v_cndmask_b32_e64 v167, 0, 0x7f7fffff, s6
	s_nor_b32 s6, s24, s6
	s_and_saveexec_b32 s27, s6
	s_cbranch_execz .LBB14_39
; %bb.38:                               ;   in Loop: Header=BB14_27 Depth=1
	v_add_co_u32 v167, s6, v168, v84
	v_add_co_ci_u32_e64 v168, null, v169, v85, s6
	flat_load_dword v167, v[167:168]
	s_waitcnt vmcnt(0) lgkmcnt(0)
	v_mul_f32_e32 v167, s11, v167
.LBB14_39:                              ;   in Loop: Header=BB14_27 Depth=1
	s_or_b32 exec_lo, exec_lo, s27
	v_add_co_u32 v168, s6, s16, v90
	v_add_co_ci_u32_e64 v169, null, s17, v91, s6
	s_or_b32 s6, s1, s3
	v_cndmask_b32_e64 v90, 0, 0x7f7fffff, s6
	s_nor_b32 s6, s24, s6
	s_and_saveexec_b32 s27, s6
	s_cbranch_execz .LBB14_41
; %bb.40:                               ;   in Loop: Header=BB14_27 Depth=1
	v_add_co_u32 v90, s6, v168, v86
	v_add_co_ci_u32_e64 v91, null, v169, v87, s6
	flat_load_dword v90, v[90:91]
	s_waitcnt vmcnt(0) lgkmcnt(0)
	v_mul_f32_e32 v90, s11, v90
.LBB14_41:                              ;   in Loop: Header=BB14_27 Depth=1
	s_or_b32 exec_lo, exec_lo, s27
	s_or_b32 s3, s2, s3
	v_cndmask_b32_e64 v91, 0, 0x7f7fffff, s3
	s_nor_b32 s3, s24, s3
	s_and_saveexec_b32 s6, s3
	s_cbranch_execz .LBB14_26
; %bb.42:                               ;   in Loop: Header=BB14_27 Depth=1
	v_add_co_u32 v168, s3, v168, v88
	v_add_co_ci_u32_e64 v169, null, v169, v89, s3
	flat_load_dword v91, v[168:169]
	s_waitcnt vmcnt(0) lgkmcnt(0)
	v_mul_f32_e32 v91, s11, v91
	s_branch .LBB14_26
.LBB14_43:
	s_clause 0x2
	s_load_dwordx2 s[0:1], s[4:5], 0x70
	s_load_dword s6, s[4:5], 0x50
	s_load_dword s5, s[4:5], 0x68
	ds_read_b128 v[18:21], v118 offset:2048
	ds_read_b128 v[14:17], v118 offset:2560
	;; [unrolled: 1-line block ×14, first 2 shown]
	v_add_nc_u32_e32 v89, s21, v1
	ds_read_b128 v[38:41], v116 offset:7424
	ds_read_b128 v[34:37], v116 offset:7552
	;; [unrolled: 1-line block ×6, first 2 shown]
	v_add_nc_u32_e32 v0, s20, v0
	v_cmp_gt_i32_e64 s4, s9, v89
	v_cndmask_b32_e64 v88, 0, 1, s22
	v_ashrrev_i32_e32 v1, 31, v0
	s_waitcnt lgkmcnt(0)
	s_lshl_b64 s[0:1], s[0:1], 2
	v_mad_i64_i32 v[82:83], null, v89, s6, 0
	v_mad_i64_i32 v[84:85], null, v89, s5, 0
	s_add_u32 s10, s18, s0
	s_addc_u32 s11, s19, s1
	v_cmp_gt_i32_e64 s0, s8, v0
	v_lshlrev_b64 v[82:83], 2, v[82:83]
	v_lshlrev_b64 v[84:85], 2, v[84:85]
	s_and_b32 s2, s0, s4
	v_add_co_u32 v114, vcc_lo, s12, v82
	v_add_co_ci_u32_e64 v116, null, s13, v83, vcc_lo
	v_add_co_u32 v90, vcc_lo, s10, v84
	v_add_co_ci_u32_e64 v91, null, s11, v85, vcc_lo
	s_and_saveexec_b32 s1, s2
	s_cbranch_execz .LBB14_48
; %bb.44:
	s_andn2_b32 vcc_lo, exec_lo, s22
	s_cbranch_vccnz .LBB14_46
; %bb.45:
	v_lshlrev_b64 v[82:83], 2, v[0:1]
	v_add_co_u32 v82, vcc_lo, v114, v82
	v_add_co_ci_u32_e64 v83, null, v116, v83, vcc_lo
	flat_load_dword v82, v[82:83]
	s_waitcnt vmcnt(0) lgkmcnt(0)
	v_mul_f32_e32 v82, s7, v82
	s_branch .LBB14_47
.LBB14_46:
	v_mov_b32_e32 v82, 0
.LBB14_47:
	v_add_f32_e32 v83, v19, v79
	v_add_f32_e32 v84, v18, v78
	;; [unrolled: 1-line block ×4, first 2 shown]
	v_min3_f32 v87, v84, v83, v159
	v_lshlrev_b64 v[83:84], 2, v[0:1]
	v_min_f32_e32 v85, v86, v85
	v_min3_f32 v85, v82, v85, v87
	v_add_co_u32 v82, vcc_lo, v90, v83
	v_add_co_ci_u32_e64 v83, null, v91, v84, vcc_lo
	flat_store_dword v[82:83], v85
.LBB14_48:
	s_or_b32 exec_lo, exec_lo, s1
	v_add_nc_u32_e32 v82, 32, v0
	v_cmp_gt_i32_e64 s1, s8, v82
	v_ashrrev_i32_e32 v83, 31, v82
	s_and_b32 s3, s1, s4
	s_and_saveexec_b32 s2, s3
	s_cbranch_execz .LBB14_53
; %bb.49:
	v_cmp_ne_u32_e32 vcc_lo, 1, v88
	s_cbranch_vccnz .LBB14_51
; %bb.50:
	v_lshlrev_b64 v[84:85], 2, v[82:83]
	v_add_co_u32 v84, vcc_lo, v114, v84
	v_add_co_ci_u32_e64 v85, null, v116, v85, vcc_lo
	flat_load_dword v84, v[84:85]
	s_waitcnt vmcnt(0) lgkmcnt(0)
	v_mul_f32_e32 v84, s7, v84
	s_branch .LBB14_52
.LBB14_51:
	v_mov_b32_e32 v84, 0
.LBB14_52:
	v_add_f32_e32 v85, v15, v79
	v_add_f32_e32 v86, v14, v78
	v_add_f32_e32 v87, v17, v81
	v_add_f32_e32 v118, v16, v80
	v_min3_f32 v124, v86, v85, v158
	v_lshlrev_b64 v[85:86], 2, v[82:83]
	v_min_f32_e32 v87, v118, v87
	v_min3_f32 v87, v84, v87, v124
	v_add_co_u32 v84, vcc_lo, v90, v85
	v_add_co_ci_u32_e64 v85, null, v91, v86, vcc_lo
	flat_store_dword v[84:85], v87
.LBB14_53:
	s_or_b32 exec_lo, exec_lo, s2
	v_add_nc_u32_e32 v84, 64, v0
	v_cmp_gt_i32_e64 s2, s8, v84
	v_ashrrev_i32_e32 v85, 31, v84
	s_and_b32 s14, s2, s4
	s_and_saveexec_b32 s3, s14
	s_cbranch_execz .LBB14_58
; %bb.54:
	v_cmp_ne_u32_e32 vcc_lo, 1, v88
	s_cbranch_vccnz .LBB14_56
; %bb.55:
	v_lshlrev_b64 v[86:87], 2, v[84:85]
	v_add_co_u32 v86, vcc_lo, v114, v86
	v_add_co_ci_u32_e64 v87, null, v116, v87, vcc_lo
	flat_load_dword v86, v[86:87]
	s_waitcnt vmcnt(0) lgkmcnt(0)
	v_mul_f32_e32 v86, s7, v86
	s_branch .LBB14_57
.LBB14_56:
	v_mov_b32_e32 v86, 0
.LBB14_57:
	v_add_f32_e32 v87, v11, v79
	v_add_f32_e32 v118, v10, v78
	;; [unrolled: 1-line block ×4, first 2 shown]
	v_min3_f32 v87, v118, v87, v157
	v_min_f32_e32 v118, v158, v124
	v_lshlrev_b64 v[157:158], 2, v[84:85]
	v_min3_f32 v118, v86, v118, v87
	v_add_co_u32 v86, vcc_lo, v90, v157
	v_add_co_ci_u32_e64 v87, null, v91, v158, vcc_lo
	flat_store_dword v[86:87], v118
.LBB14_58:
	s_or_b32 exec_lo, exec_lo, s3
	v_add_nc_u32_e32 v86, 0x60, v0
	v_cmp_gt_i32_e64 s3, s8, v86
	v_ashrrev_i32_e32 v87, 31, v86
	s_and_b32 s8, s3, s4
	s_and_saveexec_b32 s4, s8
	s_cbranch_execz .LBB14_63
; %bb.59:
	v_cmp_ne_u32_e32 vcc_lo, 1, v88
	s_cbranch_vccnz .LBB14_61
; %bb.60:
	v_lshlrev_b64 v[157:158], 2, v[86:87]
	v_add_co_u32 v157, vcc_lo, v114, v157
	v_add_co_ci_u32_e64 v158, null, v116, v158, vcc_lo
	flat_load_dword v114, v[157:158]
	s_waitcnt vmcnt(0) lgkmcnt(0)
	v_mul_f32_e32 v114, s7, v114
	s_branch .LBB14_62
.LBB14_61:
	v_mov_b32_e32 v114, 0
.LBB14_62:
	v_add_f32_e32 v79, v3, v79
	v_add_f32_e32 v78, v2, v78
	;; [unrolled: 1-line block ×4, first 2 shown]
	v_min3_f32 v116, v78, v79, v156
	v_lshlrev_b64 v[78:79], 2, v[86:87]
	v_min_f32_e32 v80, v80, v81
	v_min3_f32 v80, v114, v80, v116
	v_add_co_u32 v78, vcc_lo, v90, v78
	v_add_co_ci_u32_e64 v79, null, v91, v79, vcc_lo
	flat_store_dword v[78:79], v80
.LBB14_63:
	s_or_b32 exec_lo, exec_lo, s4
	v_add_nc_u32_e32 v90, 8, v89
	v_mad_i64_i32 v[78:79], null, v90, s6, 0
	v_mad_i64_i32 v[80:81], null, v90, s5, 0
	v_cmp_gt_i32_e64 s4, s9, v90
	v_lshlrev_b64 v[78:79], 2, v[78:79]
	s_and_b32 s14, s0, s4
	v_lshlrev_b64 v[90:91], 2, v[80:81]
	v_add_co_u32 v80, vcc_lo, s12, v78
	v_add_co_ci_u32_e64 v81, null, s13, v79, vcc_lo
	v_add_co_u32 v78, vcc_lo, s10, v90
	v_add_co_ci_u32_e64 v79, null, s11, v91, vcc_lo
	s_and_saveexec_b32 s8, s14
	s_cbranch_execnz .LBB14_67
; %bb.64:
	s_or_b32 exec_lo, exec_lo, s8
	s_and_b32 s14, s1, s4
	s_and_saveexec_b32 s8, s14
	s_cbranch_execnz .LBB14_71
.LBB14_65:
	s_or_b32 exec_lo, exec_lo, s8
	s_and_b32 s14, s2, s4
	s_and_saveexec_b32 s8, s14
	s_cbranch_execnz .LBB14_75
.LBB14_66:
	s_or_b32 exec_lo, exec_lo, s8
	s_and_b32 s8, s3, s4
	s_and_saveexec_b32 s4, s8
	s_cbranch_execnz .LBB14_79
	s_branch .LBB14_83
.LBB14_67:
	v_cmp_ne_u32_e32 vcc_lo, 1, v88
	s_cbranch_vccnz .LBB14_69
; %bb.68:
	v_lshlrev_b64 v[90:91], 2, v[0:1]
	v_add_co_u32 v90, vcc_lo, v80, v90
	v_add_co_ci_u32_e64 v91, null, v81, v91, vcc_lo
	flat_load_dword v90, v[90:91]
	s_waitcnt vmcnt(0) lgkmcnt(0)
	v_mul_f32_e32 v90, s7, v90
	s_branch .LBB14_70
.LBB14_69:
	v_mov_b32_e32 v90, 0
.LBB14_70:
	v_add_f32_e32 v91, v19, v75
	v_add_f32_e32 v114, v18, v74
	;; [unrolled: 1-line block ×4, first 2 shown]
	v_min3_f32 v91, v114, v91, v155
	v_lshlrev_b64 v[155:156], 2, v[0:1]
	v_min_f32_e32 v114, v118, v116
	v_min3_f32 v114, v90, v114, v91
	v_add_co_u32 v90, vcc_lo, v78, v155
	v_add_co_ci_u32_e64 v91, null, v79, v156, vcc_lo
	flat_store_dword v[90:91], v114
	s_or_b32 exec_lo, exec_lo, s8
	s_and_b32 s14, s1, s4
	s_and_saveexec_b32 s8, s14
	s_cbranch_execz .LBB14_65
.LBB14_71:
	v_cmp_ne_u32_e32 vcc_lo, 1, v88
	s_cbranch_vccnz .LBB14_73
; %bb.72:
	v_lshlrev_b64 v[90:91], 2, v[82:83]
	v_add_co_u32 v90, vcc_lo, v80, v90
	v_add_co_ci_u32_e64 v91, null, v81, v91, vcc_lo
	flat_load_dword v90, v[90:91]
	s_waitcnt vmcnt(0) lgkmcnt(0)
	v_mul_f32_e32 v90, s7, v90
	s_branch .LBB14_74
.LBB14_73:
	v_mov_b32_e32 v90, 0
.LBB14_74:
	v_add_f32_e32 v91, v15, v75
	v_add_f32_e32 v114, v14, v74
	;; [unrolled: 1-line block ×4, first 2 shown]
	v_min3_f32 v91, v114, v91, v154
	v_lshlrev_b64 v[154:155], 2, v[82:83]
	v_min_f32_e32 v114, v118, v116
	v_min3_f32 v114, v90, v114, v91
	v_add_co_u32 v90, vcc_lo, v78, v154
	v_add_co_ci_u32_e64 v91, null, v79, v155, vcc_lo
	flat_store_dword v[90:91], v114
	s_or_b32 exec_lo, exec_lo, s8
	s_and_b32 s14, s2, s4
	s_and_saveexec_b32 s8, s14
	s_cbranch_execz .LBB14_66
.LBB14_75:
	v_cmp_ne_u32_e32 vcc_lo, 1, v88
	s_cbranch_vccnz .LBB14_77
; %bb.76:
	v_lshlrev_b64 v[90:91], 2, v[84:85]
	v_add_co_u32 v90, vcc_lo, v80, v90
	v_add_co_ci_u32_e64 v91, null, v81, v91, vcc_lo
	flat_load_dword v90, v[90:91]
	s_waitcnt vmcnt(0) lgkmcnt(0)
	v_mul_f32_e32 v90, s7, v90
	s_branch .LBB14_78
.LBB14_77:
	v_mov_b32_e32 v90, 0
.LBB14_78:
	v_add_f32_e32 v91, v11, v75
	v_add_f32_e32 v114, v10, v74
	;; [unrolled: 1-line block ×4, first 2 shown]
	v_min3_f32 v91, v114, v91, v153
	v_lshlrev_b64 v[153:154], 2, v[84:85]
	v_min_f32_e32 v114, v118, v116
	v_min3_f32 v114, v90, v114, v91
	v_add_co_u32 v90, vcc_lo, v78, v153
	v_add_co_ci_u32_e64 v91, null, v79, v154, vcc_lo
	flat_store_dword v[90:91], v114
	s_or_b32 exec_lo, exec_lo, s8
	s_and_b32 s8, s3, s4
	s_and_saveexec_b32 s4, s8
	s_cbranch_execz .LBB14_83
.LBB14_79:
	v_cmp_ne_u32_e32 vcc_lo, 1, v88
	s_cbranch_vccnz .LBB14_81
; %bb.80:
	v_lshlrev_b64 v[90:91], 2, v[86:87]
	v_add_co_u32 v80, vcc_lo, v80, v90
	v_add_co_ci_u32_e64 v81, null, v81, v91, vcc_lo
	flat_load_dword v80, v[80:81]
	s_waitcnt vmcnt(0) lgkmcnt(0)
	v_mul_f32_e32 v80, s7, v80
	s_branch .LBB14_82
.LBB14_81:
	v_mov_b32_e32 v80, 0
.LBB14_82:
	v_add_f32_e32 v75, v3, v75
	v_add_f32_e32 v74, v2, v74
	;; [unrolled: 1-line block ×4, first 2 shown]
	v_min3_f32 v81, v74, v75, v152
	v_lshlrev_b64 v[74:75], 2, v[86:87]
	v_min_f32_e32 v76, v76, v77
	v_min3_f32 v76, v80, v76, v81
	v_add_co_u32 v74, vcc_lo, v78, v74
	v_add_co_ci_u32_e64 v75, null, v79, v75, vcc_lo
	flat_store_dword v[74:75], v76
.LBB14_83:
	s_or_b32 exec_lo, exec_lo, s4
	v_add_nc_u32_e32 v78, 16, v89
	v_mad_i64_i32 v[74:75], null, v78, s6, 0
	v_mad_i64_i32 v[76:77], null, v78, s5, 0
	v_cmp_gt_i32_e64 s4, s9, v78
	v_lshlrev_b64 v[74:75], 2, v[74:75]
	s_and_b32 s14, s0, s4
	v_lshlrev_b64 v[78:79], 2, v[76:77]
	v_add_co_u32 v76, vcc_lo, s12, v74
	v_add_co_ci_u32_e64 v77, null, s13, v75, vcc_lo
	v_add_co_u32 v74, vcc_lo, s10, v78
	v_add_co_ci_u32_e64 v75, null, s11, v79, vcc_lo
	s_and_saveexec_b32 s8, s14
	s_cbranch_execnz .LBB14_87
; %bb.84:
	s_or_b32 exec_lo, exec_lo, s8
	s_and_b32 s14, s1, s4
	s_and_saveexec_b32 s8, s14
	s_cbranch_execnz .LBB14_91
.LBB14_85:
	s_or_b32 exec_lo, exec_lo, s8
	s_and_b32 s14, s2, s4
	s_and_saveexec_b32 s8, s14
	s_cbranch_execnz .LBB14_95
.LBB14_86:
	s_or_b32 exec_lo, exec_lo, s8
	s_and_b32 s8, s3, s4
	s_and_saveexec_b32 s4, s8
	s_cbranch_execnz .LBB14_99
	s_branch .LBB14_103
.LBB14_87:
	v_cmp_ne_u32_e32 vcc_lo, 1, v88
	s_cbranch_vccnz .LBB14_89
; %bb.88:
	v_lshlrev_b64 v[78:79], 2, v[0:1]
	v_add_co_u32 v78, vcc_lo, v76, v78
	v_add_co_ci_u32_e64 v79, null, v77, v79, vcc_lo
	flat_load_dword v78, v[78:79]
	s_waitcnt vmcnt(0) lgkmcnt(0)
	v_mul_f32_e32 v78, s7, v78
	s_branch .LBB14_90
.LBB14_89:
	v_mov_b32_e32 v78, 0
.LBB14_90:
	v_add_f32_e32 v79, v19, v71
	v_add_f32_e32 v80, v18, v70
	v_add_f32_e32 v81, v21, v73
	v_add_f32_e32 v90, v20, v72
	v_min3_f32 v91, v80, v79, v151
	v_lshlrev_b64 v[79:80], 2, v[0:1]
	v_min_f32_e32 v81, v90, v81
	v_min3_f32 v81, v78, v81, v91
	v_add_co_u32 v78, vcc_lo, v74, v79
	v_add_co_ci_u32_e64 v79, null, v75, v80, vcc_lo
	flat_store_dword v[78:79], v81
	s_or_b32 exec_lo, exec_lo, s8
	s_and_b32 s14, s1, s4
	s_and_saveexec_b32 s8, s14
	s_cbranch_execz .LBB14_85
.LBB14_91:
	v_cmp_ne_u32_e32 vcc_lo, 1, v88
	s_cbranch_vccnz .LBB14_93
; %bb.92:
	v_lshlrev_b64 v[78:79], 2, v[82:83]
	v_add_co_u32 v78, vcc_lo, v76, v78
	v_add_co_ci_u32_e64 v79, null, v77, v79, vcc_lo
	flat_load_dword v78, v[78:79]
	s_waitcnt vmcnt(0) lgkmcnt(0)
	v_mul_f32_e32 v78, s7, v78
	s_branch .LBB14_94
.LBB14_93:
	v_mov_b32_e32 v78, 0
.LBB14_94:
	v_add_f32_e32 v79, v15, v71
	v_add_f32_e32 v80, v14, v70
	;; [unrolled: 1-line block ×4, first 2 shown]
	v_min3_f32 v91, v80, v79, v150
	v_lshlrev_b64 v[79:80], 2, v[82:83]
	v_min_f32_e32 v81, v90, v81
	v_min3_f32 v81, v78, v81, v91
	v_add_co_u32 v78, vcc_lo, v74, v79
	v_add_co_ci_u32_e64 v79, null, v75, v80, vcc_lo
	flat_store_dword v[78:79], v81
	s_or_b32 exec_lo, exec_lo, s8
	s_and_b32 s14, s2, s4
	s_and_saveexec_b32 s8, s14
	s_cbranch_execz .LBB14_86
.LBB14_95:
	v_cmp_ne_u32_e32 vcc_lo, 1, v88
	s_cbranch_vccnz .LBB14_97
; %bb.96:
	v_lshlrev_b64 v[78:79], 2, v[84:85]
	v_add_co_u32 v78, vcc_lo, v76, v78
	v_add_co_ci_u32_e64 v79, null, v77, v79, vcc_lo
	flat_load_dword v78, v[78:79]
	s_waitcnt vmcnt(0) lgkmcnt(0)
	v_mul_f32_e32 v78, s7, v78
	s_branch .LBB14_98
.LBB14_97:
	v_mov_b32_e32 v78, 0
.LBB14_98:
	v_add_f32_e32 v79, v11, v71
	v_add_f32_e32 v80, v10, v70
	;; [unrolled: 1-line block ×4, first 2 shown]
	v_min3_f32 v91, v80, v79, v149
	v_lshlrev_b64 v[79:80], 2, v[84:85]
	v_min_f32_e32 v81, v90, v81
	v_min3_f32 v81, v78, v81, v91
	v_add_co_u32 v78, vcc_lo, v74, v79
	v_add_co_ci_u32_e64 v79, null, v75, v80, vcc_lo
	flat_store_dword v[78:79], v81
	s_or_b32 exec_lo, exec_lo, s8
	s_and_b32 s8, s3, s4
	s_and_saveexec_b32 s4, s8
	s_cbranch_execz .LBB14_103
.LBB14_99:
	v_cmp_ne_u32_e32 vcc_lo, 1, v88
	s_cbranch_vccnz .LBB14_101
; %bb.100:
	v_lshlrev_b64 v[78:79], 2, v[86:87]
	v_add_co_u32 v76, vcc_lo, v76, v78
	v_add_co_ci_u32_e64 v77, null, v77, v79, vcc_lo
	flat_load_dword v76, v[76:77]
	s_waitcnt vmcnt(0) lgkmcnt(0)
	v_mul_f32_e32 v76, s7, v76
	s_branch .LBB14_102
.LBB14_101:
	v_mov_b32_e32 v76, 0
.LBB14_102:
	v_add_f32_e32 v71, v3, v71
	v_add_f32_e32 v70, v2, v70
	;; [unrolled: 1-line block ×4, first 2 shown]
	v_min3_f32 v77, v70, v71, v148
	v_lshlrev_b64 v[70:71], 2, v[86:87]
	v_min_f32_e32 v72, v72, v73
	v_min3_f32 v72, v76, v72, v77
	v_add_co_u32 v70, vcc_lo, v74, v70
	v_add_co_ci_u32_e64 v71, null, v75, v71, vcc_lo
	flat_store_dword v[70:71], v72
.LBB14_103:
	s_or_b32 exec_lo, exec_lo, s4
	v_add_nc_u32_e32 v74, 24, v89
	v_mad_i64_i32 v[70:71], null, v74, s6, 0
	v_mad_i64_i32 v[72:73], null, v74, s5, 0
	v_cmp_gt_i32_e64 s4, s9, v74
	v_lshlrev_b64 v[70:71], 2, v[70:71]
	s_and_b32 s14, s0, s4
	v_lshlrev_b64 v[74:75], 2, v[72:73]
	v_add_co_u32 v72, vcc_lo, s12, v70
	v_add_co_ci_u32_e64 v73, null, s13, v71, vcc_lo
	v_add_co_u32 v70, vcc_lo, s10, v74
	v_add_co_ci_u32_e64 v71, null, s11, v75, vcc_lo
	s_and_saveexec_b32 s8, s14
	s_cbranch_execnz .LBB14_107
; %bb.104:
	s_or_b32 exec_lo, exec_lo, s8
	s_and_b32 s14, s1, s4
	s_and_saveexec_b32 s8, s14
	s_cbranch_execnz .LBB14_111
.LBB14_105:
	s_or_b32 exec_lo, exec_lo, s8
	s_and_b32 s14, s2, s4
	s_and_saveexec_b32 s8, s14
	s_cbranch_execnz .LBB14_115
.LBB14_106:
	s_or_b32 exec_lo, exec_lo, s8
	s_and_b32 s8, s3, s4
	s_and_saveexec_b32 s4, s8
	s_cbranch_execnz .LBB14_119
	s_branch .LBB14_123
.LBB14_107:
	v_cmp_ne_u32_e32 vcc_lo, 1, v88
	s_cbranch_vccnz .LBB14_109
; %bb.108:
	v_lshlrev_b64 v[74:75], 2, v[0:1]
	v_add_co_u32 v74, vcc_lo, v72, v74
	v_add_co_ci_u32_e64 v75, null, v73, v75, vcc_lo
	flat_load_dword v74, v[74:75]
	s_waitcnt vmcnt(0) lgkmcnt(0)
	v_mul_f32_e32 v74, s7, v74
	s_branch .LBB14_110
.LBB14_109:
	v_mov_b32_e32 v74, 0
.LBB14_110:
	v_add_f32_e32 v75, v19, v67
	v_add_f32_e32 v76, v18, v66
	;; [unrolled: 1-line block ×4, first 2 shown]
	v_min3_f32 v79, v76, v75, v147
	v_lshlrev_b64 v[75:76], 2, v[0:1]
	v_min_f32_e32 v77, v78, v77
	v_min3_f32 v77, v74, v77, v79
	v_add_co_u32 v74, vcc_lo, v70, v75
	v_add_co_ci_u32_e64 v75, null, v71, v76, vcc_lo
	flat_store_dword v[74:75], v77
	s_or_b32 exec_lo, exec_lo, s8
	s_and_b32 s14, s1, s4
	s_and_saveexec_b32 s8, s14
	s_cbranch_execz .LBB14_105
.LBB14_111:
	v_cmp_ne_u32_e32 vcc_lo, 1, v88
	s_cbranch_vccnz .LBB14_113
; %bb.112:
	v_lshlrev_b64 v[74:75], 2, v[82:83]
	v_add_co_u32 v74, vcc_lo, v72, v74
	v_add_co_ci_u32_e64 v75, null, v73, v75, vcc_lo
	flat_load_dword v74, v[74:75]
	s_waitcnt vmcnt(0) lgkmcnt(0)
	v_mul_f32_e32 v74, s7, v74
	s_branch .LBB14_114
.LBB14_113:
	v_mov_b32_e32 v74, 0
.LBB14_114:
	v_add_f32_e32 v75, v15, v67
	v_add_f32_e32 v76, v14, v66
	;; [unrolled: 1-line block ×4, first 2 shown]
	v_min3_f32 v79, v76, v75, v146
	v_lshlrev_b64 v[75:76], 2, v[82:83]
	v_min_f32_e32 v77, v78, v77
	v_min3_f32 v77, v74, v77, v79
	v_add_co_u32 v74, vcc_lo, v70, v75
	v_add_co_ci_u32_e64 v75, null, v71, v76, vcc_lo
	flat_store_dword v[74:75], v77
	s_or_b32 exec_lo, exec_lo, s8
	s_and_b32 s14, s2, s4
	s_and_saveexec_b32 s8, s14
	s_cbranch_execz .LBB14_106
.LBB14_115:
	v_cmp_ne_u32_e32 vcc_lo, 1, v88
	s_cbranch_vccnz .LBB14_117
; %bb.116:
	v_lshlrev_b64 v[74:75], 2, v[84:85]
	v_add_co_u32 v74, vcc_lo, v72, v74
	v_add_co_ci_u32_e64 v75, null, v73, v75, vcc_lo
	flat_load_dword v74, v[74:75]
	s_waitcnt vmcnt(0) lgkmcnt(0)
	v_mul_f32_e32 v74, s7, v74
	s_branch .LBB14_118
.LBB14_117:
	v_mov_b32_e32 v74, 0
.LBB14_118:
	v_add_f32_e32 v75, v11, v67
	v_add_f32_e32 v76, v10, v66
	;; [unrolled: 1-line block ×4, first 2 shown]
	v_min3_f32 v79, v76, v75, v145
	v_lshlrev_b64 v[75:76], 2, v[84:85]
	v_min_f32_e32 v77, v78, v77
	v_min3_f32 v77, v74, v77, v79
	v_add_co_u32 v74, vcc_lo, v70, v75
	v_add_co_ci_u32_e64 v75, null, v71, v76, vcc_lo
	flat_store_dword v[74:75], v77
	s_or_b32 exec_lo, exec_lo, s8
	s_and_b32 s8, s3, s4
	s_and_saveexec_b32 s4, s8
	s_cbranch_execz .LBB14_123
.LBB14_119:
	v_cmp_ne_u32_e32 vcc_lo, 1, v88
	s_cbranch_vccnz .LBB14_121
; %bb.120:
	v_lshlrev_b64 v[74:75], 2, v[86:87]
	v_add_co_u32 v72, vcc_lo, v72, v74
	v_add_co_ci_u32_e64 v73, null, v73, v75, vcc_lo
	flat_load_dword v72, v[72:73]
	s_waitcnt vmcnt(0) lgkmcnt(0)
	v_mul_f32_e32 v72, s7, v72
	s_branch .LBB14_122
.LBB14_121:
	v_mov_b32_e32 v72, 0
.LBB14_122:
	v_add_f32_e32 v67, v3, v67
	v_add_f32_e32 v66, v2, v66
	;; [unrolled: 1-line block ×4, first 2 shown]
	v_min3_f32 v73, v66, v67, v144
	v_lshlrev_b64 v[66:67], 2, v[86:87]
	v_min_f32_e32 v68, v68, v69
	v_min3_f32 v68, v72, v68, v73
	v_add_co_u32 v66, vcc_lo, v70, v66
	v_add_co_ci_u32_e64 v67, null, v71, v67, vcc_lo
	flat_store_dword v[66:67], v68
.LBB14_123:
	s_or_b32 exec_lo, exec_lo, s4
	v_add_nc_u32_e32 v70, 32, v89
	v_mad_i64_i32 v[66:67], null, v70, s6, 0
	v_mad_i64_i32 v[68:69], null, v70, s5, 0
	v_cmp_gt_i32_e64 s4, s9, v70
	v_lshlrev_b64 v[66:67], 2, v[66:67]
	s_and_b32 s14, s0, s4
	v_lshlrev_b64 v[70:71], 2, v[68:69]
	v_add_co_u32 v68, vcc_lo, s12, v66
	v_add_co_ci_u32_e64 v69, null, s13, v67, vcc_lo
	v_add_co_u32 v66, vcc_lo, s10, v70
	v_add_co_ci_u32_e64 v67, null, s11, v71, vcc_lo
	s_and_saveexec_b32 s8, s14
	s_cbranch_execnz .LBB14_127
; %bb.124:
	s_or_b32 exec_lo, exec_lo, s8
	s_and_b32 s14, s1, s4
	s_and_saveexec_b32 s8, s14
	s_cbranch_execnz .LBB14_131
.LBB14_125:
	s_or_b32 exec_lo, exec_lo, s8
	s_and_b32 s14, s2, s4
	s_and_saveexec_b32 s8, s14
	s_cbranch_execnz .LBB14_135
.LBB14_126:
	s_or_b32 exec_lo, exec_lo, s8
	s_and_b32 s8, s3, s4
	s_and_saveexec_b32 s4, s8
	s_cbranch_execnz .LBB14_139
	s_branch .LBB14_143
.LBB14_127:
	v_cmp_ne_u32_e32 vcc_lo, 1, v88
	s_cbranch_vccnz .LBB14_129
; %bb.128:
	v_lshlrev_b64 v[70:71], 2, v[0:1]
	v_add_co_u32 v70, vcc_lo, v68, v70
	v_add_co_ci_u32_e64 v71, null, v69, v71, vcc_lo
	flat_load_dword v70, v[70:71]
	s_waitcnt vmcnt(0) lgkmcnt(0)
	v_mul_f32_e32 v70, s7, v70
	s_branch .LBB14_130
.LBB14_129:
	v_mov_b32_e32 v70, 0
.LBB14_130:
	v_add_f32_e32 v71, v19, v63
	v_add_f32_e32 v72, v18, v62
	;; [unrolled: 1-line block ×4, first 2 shown]
	v_min3_f32 v75, v72, v71, v143
	v_lshlrev_b64 v[71:72], 2, v[0:1]
	v_min_f32_e32 v73, v74, v73
	v_min3_f32 v73, v70, v73, v75
	v_add_co_u32 v70, vcc_lo, v66, v71
	v_add_co_ci_u32_e64 v71, null, v67, v72, vcc_lo
	flat_store_dword v[70:71], v73
	s_or_b32 exec_lo, exec_lo, s8
	s_and_b32 s14, s1, s4
	s_and_saveexec_b32 s8, s14
	s_cbranch_execz .LBB14_125
.LBB14_131:
	v_cmp_ne_u32_e32 vcc_lo, 1, v88
	s_cbranch_vccnz .LBB14_133
; %bb.132:
	v_lshlrev_b64 v[70:71], 2, v[82:83]
	v_add_co_u32 v70, vcc_lo, v68, v70
	v_add_co_ci_u32_e64 v71, null, v69, v71, vcc_lo
	flat_load_dword v70, v[70:71]
	s_waitcnt vmcnt(0) lgkmcnt(0)
	v_mul_f32_e32 v70, s7, v70
	s_branch .LBB14_134
.LBB14_133:
	v_mov_b32_e32 v70, 0
.LBB14_134:
	v_add_f32_e32 v71, v15, v63
	v_add_f32_e32 v72, v14, v62
	;; [unrolled: 1-line block ×4, first 2 shown]
	v_min3_f32 v75, v72, v71, v142
	v_lshlrev_b64 v[71:72], 2, v[82:83]
	v_min_f32_e32 v73, v74, v73
	v_min3_f32 v73, v70, v73, v75
	v_add_co_u32 v70, vcc_lo, v66, v71
	v_add_co_ci_u32_e64 v71, null, v67, v72, vcc_lo
	flat_store_dword v[70:71], v73
	s_or_b32 exec_lo, exec_lo, s8
	s_and_b32 s14, s2, s4
	s_and_saveexec_b32 s8, s14
	s_cbranch_execz .LBB14_126
.LBB14_135:
	v_cmp_ne_u32_e32 vcc_lo, 1, v88
	s_cbranch_vccnz .LBB14_137
; %bb.136:
	v_lshlrev_b64 v[70:71], 2, v[84:85]
	v_add_co_u32 v70, vcc_lo, v68, v70
	v_add_co_ci_u32_e64 v71, null, v69, v71, vcc_lo
	flat_load_dword v70, v[70:71]
	s_waitcnt vmcnt(0) lgkmcnt(0)
	v_mul_f32_e32 v70, s7, v70
	s_branch .LBB14_138
.LBB14_137:
	v_mov_b32_e32 v70, 0
.LBB14_138:
	v_add_f32_e32 v71, v11, v63
	v_add_f32_e32 v72, v10, v62
	;; [unrolled: 1-line block ×4, first 2 shown]
	v_min3_f32 v75, v72, v71, v141
	v_lshlrev_b64 v[71:72], 2, v[84:85]
	v_min_f32_e32 v73, v74, v73
	v_min3_f32 v73, v70, v73, v75
	v_add_co_u32 v70, vcc_lo, v66, v71
	v_add_co_ci_u32_e64 v71, null, v67, v72, vcc_lo
	flat_store_dword v[70:71], v73
	s_or_b32 exec_lo, exec_lo, s8
	s_and_b32 s8, s3, s4
	s_and_saveexec_b32 s4, s8
	s_cbranch_execz .LBB14_143
.LBB14_139:
	v_cmp_ne_u32_e32 vcc_lo, 1, v88
	s_cbranch_vccnz .LBB14_141
; %bb.140:
	v_lshlrev_b64 v[70:71], 2, v[86:87]
	v_add_co_u32 v68, vcc_lo, v68, v70
	v_add_co_ci_u32_e64 v69, null, v69, v71, vcc_lo
	flat_load_dword v68, v[68:69]
	s_waitcnt vmcnt(0) lgkmcnt(0)
	v_mul_f32_e32 v68, s7, v68
	s_branch .LBB14_142
.LBB14_141:
	v_mov_b32_e32 v68, 0
.LBB14_142:
	v_add_f32_e32 v63, v3, v63
	v_add_f32_e32 v62, v2, v62
	;; [unrolled: 1-line block ×4, first 2 shown]
	v_min3_f32 v69, v62, v63, v140
	v_lshlrev_b64 v[62:63], 2, v[86:87]
	v_min_f32_e32 v64, v64, v65
	v_min3_f32 v64, v68, v64, v69
	v_add_co_u32 v62, vcc_lo, v66, v62
	v_add_co_ci_u32_e64 v63, null, v67, v63, vcc_lo
	flat_store_dword v[62:63], v64
.LBB14_143:
	s_or_b32 exec_lo, exec_lo, s4
	v_add_nc_u32_e32 v66, 40, v89
	v_mad_i64_i32 v[62:63], null, v66, s6, 0
	v_mad_i64_i32 v[64:65], null, v66, s5, 0
	v_cmp_gt_i32_e64 s4, s9, v66
	v_lshlrev_b64 v[62:63], 2, v[62:63]
	s_and_b32 s14, s0, s4
	v_lshlrev_b64 v[66:67], 2, v[64:65]
	v_add_co_u32 v64, vcc_lo, s12, v62
	v_add_co_ci_u32_e64 v65, null, s13, v63, vcc_lo
	v_add_co_u32 v62, vcc_lo, s10, v66
	v_add_co_ci_u32_e64 v63, null, s11, v67, vcc_lo
	s_and_saveexec_b32 s8, s14
	s_cbranch_execnz .LBB14_147
; %bb.144:
	s_or_b32 exec_lo, exec_lo, s8
	s_and_b32 s14, s1, s4
	s_and_saveexec_b32 s8, s14
	s_cbranch_execnz .LBB14_151
.LBB14_145:
	s_or_b32 exec_lo, exec_lo, s8
	s_and_b32 s14, s2, s4
	s_and_saveexec_b32 s8, s14
	s_cbranch_execnz .LBB14_155
.LBB14_146:
	s_or_b32 exec_lo, exec_lo, s8
	s_and_b32 s8, s3, s4
	s_and_saveexec_b32 s4, s8
	s_cbranch_execnz .LBB14_159
	s_branch .LBB14_163
.LBB14_147:
	v_cmp_ne_u32_e32 vcc_lo, 1, v88
	s_cbranch_vccnz .LBB14_149
; %bb.148:
	v_lshlrev_b64 v[66:67], 2, v[0:1]
	v_add_co_u32 v66, vcc_lo, v64, v66
	v_add_co_ci_u32_e64 v67, null, v65, v67, vcc_lo
	flat_load_dword v66, v[66:67]
	s_waitcnt vmcnt(0) lgkmcnt(0)
	v_mul_f32_e32 v66, s7, v66
	s_branch .LBB14_150
.LBB14_149:
	v_mov_b32_e32 v66, 0
.LBB14_150:
	v_add_f32_e32 v67, v19, v59
	v_add_f32_e32 v68, v18, v58
	;; [unrolled: 1-line block ×4, first 2 shown]
	v_min3_f32 v71, v68, v67, v139
	v_lshlrev_b64 v[67:68], 2, v[0:1]
	v_min_f32_e32 v69, v70, v69
	v_min3_f32 v69, v66, v69, v71
	v_add_co_u32 v66, vcc_lo, v62, v67
	v_add_co_ci_u32_e64 v67, null, v63, v68, vcc_lo
	flat_store_dword v[66:67], v69
	s_or_b32 exec_lo, exec_lo, s8
	s_and_b32 s14, s1, s4
	s_and_saveexec_b32 s8, s14
	s_cbranch_execz .LBB14_145
.LBB14_151:
	v_cmp_ne_u32_e32 vcc_lo, 1, v88
	s_cbranch_vccnz .LBB14_153
; %bb.152:
	v_lshlrev_b64 v[66:67], 2, v[82:83]
	v_add_co_u32 v66, vcc_lo, v64, v66
	v_add_co_ci_u32_e64 v67, null, v65, v67, vcc_lo
	flat_load_dword v66, v[66:67]
	s_waitcnt vmcnt(0) lgkmcnt(0)
	v_mul_f32_e32 v66, s7, v66
	s_branch .LBB14_154
.LBB14_153:
	v_mov_b32_e32 v66, 0
.LBB14_154:
	v_add_f32_e32 v67, v15, v59
	v_add_f32_e32 v68, v14, v58
	;; [unrolled: 1-line block ×4, first 2 shown]
	v_min3_f32 v71, v68, v67, v138
	v_lshlrev_b64 v[67:68], 2, v[82:83]
	v_min_f32_e32 v69, v70, v69
	v_min3_f32 v69, v66, v69, v71
	v_add_co_u32 v66, vcc_lo, v62, v67
	v_add_co_ci_u32_e64 v67, null, v63, v68, vcc_lo
	flat_store_dword v[66:67], v69
	s_or_b32 exec_lo, exec_lo, s8
	s_and_b32 s14, s2, s4
	s_and_saveexec_b32 s8, s14
	s_cbranch_execz .LBB14_146
.LBB14_155:
	v_cmp_ne_u32_e32 vcc_lo, 1, v88
	s_cbranch_vccnz .LBB14_157
; %bb.156:
	v_lshlrev_b64 v[66:67], 2, v[84:85]
	v_add_co_u32 v66, vcc_lo, v64, v66
	v_add_co_ci_u32_e64 v67, null, v65, v67, vcc_lo
	flat_load_dword v66, v[66:67]
	s_waitcnt vmcnt(0) lgkmcnt(0)
	v_mul_f32_e32 v66, s7, v66
	s_branch .LBB14_158
.LBB14_157:
	v_mov_b32_e32 v66, 0
.LBB14_158:
	v_add_f32_e32 v67, v11, v59
	v_add_f32_e32 v68, v10, v58
	;; [unrolled: 1-line block ×4, first 2 shown]
	v_min3_f32 v71, v68, v67, v137
	v_lshlrev_b64 v[67:68], 2, v[84:85]
	v_min_f32_e32 v69, v70, v69
	v_min3_f32 v69, v66, v69, v71
	v_add_co_u32 v66, vcc_lo, v62, v67
	v_add_co_ci_u32_e64 v67, null, v63, v68, vcc_lo
	flat_store_dword v[66:67], v69
	s_or_b32 exec_lo, exec_lo, s8
	s_and_b32 s8, s3, s4
	s_and_saveexec_b32 s4, s8
	s_cbranch_execz .LBB14_163
.LBB14_159:
	v_cmp_ne_u32_e32 vcc_lo, 1, v88
	s_cbranch_vccnz .LBB14_161
; %bb.160:
	v_lshlrev_b64 v[66:67], 2, v[86:87]
	v_add_co_u32 v64, vcc_lo, v64, v66
	v_add_co_ci_u32_e64 v65, null, v65, v67, vcc_lo
	flat_load_dword v64, v[64:65]
	s_waitcnt vmcnt(0) lgkmcnt(0)
	v_mul_f32_e32 v64, s7, v64
	s_branch .LBB14_162
.LBB14_161:
	v_mov_b32_e32 v64, 0
.LBB14_162:
	v_add_f32_e32 v59, v3, v59
	v_add_f32_e32 v58, v2, v58
	;; [unrolled: 1-line block ×4, first 2 shown]
	v_min3_f32 v65, v58, v59, v136
	v_lshlrev_b64 v[58:59], 2, v[86:87]
	v_min_f32_e32 v60, v60, v61
	v_min3_f32 v60, v64, v60, v65
	v_add_co_u32 v58, vcc_lo, v62, v58
	v_add_co_ci_u32_e64 v59, null, v63, v59, vcc_lo
	flat_store_dword v[58:59], v60
.LBB14_163:
	s_or_b32 exec_lo, exec_lo, s4
	v_add_nc_u32_e32 v62, 48, v89
	v_mad_i64_i32 v[58:59], null, v62, s6, 0
	v_mad_i64_i32 v[60:61], null, v62, s5, 0
	v_cmp_gt_i32_e64 s4, s9, v62
	v_lshlrev_b64 v[58:59], 2, v[58:59]
	s_and_b32 s14, s0, s4
	v_lshlrev_b64 v[62:63], 2, v[60:61]
	v_add_co_u32 v60, vcc_lo, s12, v58
	v_add_co_ci_u32_e64 v61, null, s13, v59, vcc_lo
	v_add_co_u32 v58, vcc_lo, s10, v62
	v_add_co_ci_u32_e64 v59, null, s11, v63, vcc_lo
	s_and_saveexec_b32 s8, s14
	s_cbranch_execnz .LBB14_167
; %bb.164:
	s_or_b32 exec_lo, exec_lo, s8
	s_and_b32 s14, s1, s4
	s_and_saveexec_b32 s8, s14
	s_cbranch_execnz .LBB14_171
.LBB14_165:
	s_or_b32 exec_lo, exec_lo, s8
	s_and_b32 s14, s2, s4
	s_and_saveexec_b32 s8, s14
	s_cbranch_execnz .LBB14_175
.LBB14_166:
	s_or_b32 exec_lo, exec_lo, s8
	s_and_b32 s8, s3, s4
	s_and_saveexec_b32 s4, s8
	s_cbranch_execnz .LBB14_179
	s_branch .LBB14_183
.LBB14_167:
	v_cmp_ne_u32_e32 vcc_lo, 1, v88
	s_cbranch_vccnz .LBB14_169
; %bb.168:
	v_lshlrev_b64 v[62:63], 2, v[0:1]
	v_add_co_u32 v62, vcc_lo, v60, v62
	v_add_co_ci_u32_e64 v63, null, v61, v63, vcc_lo
	flat_load_dword v62, v[62:63]
	s_waitcnt vmcnt(0) lgkmcnt(0)
	v_mul_f32_e32 v62, s7, v62
	s_branch .LBB14_170
.LBB14_169:
	v_mov_b32_e32 v62, 0
.LBB14_170:
	v_add_f32_e32 v63, v19, v55
	v_add_f32_e32 v64, v18, v54
	;; [unrolled: 1-line block ×4, first 2 shown]
	v_min3_f32 v67, v64, v63, v135
	v_lshlrev_b64 v[63:64], 2, v[0:1]
	v_min_f32_e32 v65, v66, v65
	v_min3_f32 v65, v62, v65, v67
	v_add_co_u32 v62, vcc_lo, v58, v63
	v_add_co_ci_u32_e64 v63, null, v59, v64, vcc_lo
	flat_store_dword v[62:63], v65
	s_or_b32 exec_lo, exec_lo, s8
	s_and_b32 s14, s1, s4
	s_and_saveexec_b32 s8, s14
	s_cbranch_execz .LBB14_165
.LBB14_171:
	v_cmp_ne_u32_e32 vcc_lo, 1, v88
	s_cbranch_vccnz .LBB14_173
; %bb.172:
	v_lshlrev_b64 v[62:63], 2, v[82:83]
	v_add_co_u32 v62, vcc_lo, v60, v62
	v_add_co_ci_u32_e64 v63, null, v61, v63, vcc_lo
	flat_load_dword v62, v[62:63]
	s_waitcnt vmcnt(0) lgkmcnt(0)
	v_mul_f32_e32 v62, s7, v62
	s_branch .LBB14_174
.LBB14_173:
	v_mov_b32_e32 v62, 0
.LBB14_174:
	v_add_f32_e32 v63, v15, v55
	v_add_f32_e32 v64, v14, v54
	;; [unrolled: 1-line block ×4, first 2 shown]
	v_min3_f32 v67, v64, v63, v134
	v_lshlrev_b64 v[63:64], 2, v[82:83]
	v_min_f32_e32 v65, v66, v65
	v_min3_f32 v65, v62, v65, v67
	v_add_co_u32 v62, vcc_lo, v58, v63
	v_add_co_ci_u32_e64 v63, null, v59, v64, vcc_lo
	flat_store_dword v[62:63], v65
	s_or_b32 exec_lo, exec_lo, s8
	s_and_b32 s14, s2, s4
	s_and_saveexec_b32 s8, s14
	s_cbranch_execz .LBB14_166
.LBB14_175:
	v_cmp_ne_u32_e32 vcc_lo, 1, v88
	s_cbranch_vccnz .LBB14_177
; %bb.176:
	v_lshlrev_b64 v[62:63], 2, v[84:85]
	v_add_co_u32 v62, vcc_lo, v60, v62
	v_add_co_ci_u32_e64 v63, null, v61, v63, vcc_lo
	flat_load_dword v62, v[62:63]
	s_waitcnt vmcnt(0) lgkmcnt(0)
	v_mul_f32_e32 v62, s7, v62
	s_branch .LBB14_178
.LBB14_177:
	v_mov_b32_e32 v62, 0
.LBB14_178:
	v_add_f32_e32 v63, v11, v55
	v_add_f32_e32 v64, v10, v54
	;; [unrolled: 1-line block ×4, first 2 shown]
	v_min3_f32 v67, v64, v63, v133
	v_lshlrev_b64 v[63:64], 2, v[84:85]
	v_min_f32_e32 v65, v66, v65
	v_min3_f32 v65, v62, v65, v67
	v_add_co_u32 v62, vcc_lo, v58, v63
	v_add_co_ci_u32_e64 v63, null, v59, v64, vcc_lo
	flat_store_dword v[62:63], v65
	s_or_b32 exec_lo, exec_lo, s8
	s_and_b32 s8, s3, s4
	s_and_saveexec_b32 s4, s8
	s_cbranch_execz .LBB14_183
.LBB14_179:
	v_cmp_ne_u32_e32 vcc_lo, 1, v88
	s_cbranch_vccnz .LBB14_181
; %bb.180:
	v_lshlrev_b64 v[62:63], 2, v[86:87]
	v_add_co_u32 v60, vcc_lo, v60, v62
	v_add_co_ci_u32_e64 v61, null, v61, v63, vcc_lo
	flat_load_dword v60, v[60:61]
	s_waitcnt vmcnt(0) lgkmcnt(0)
	v_mul_f32_e32 v60, s7, v60
	s_branch .LBB14_182
.LBB14_181:
	v_mov_b32_e32 v60, 0
.LBB14_182:
	v_add_f32_e32 v55, v3, v55
	v_add_f32_e32 v54, v2, v54
	;; [unrolled: 1-line block ×4, first 2 shown]
	v_min3_f32 v61, v54, v55, v132
	v_lshlrev_b64 v[54:55], 2, v[86:87]
	v_min_f32_e32 v56, v56, v57
	v_min3_f32 v56, v60, v56, v61
	v_add_co_u32 v54, vcc_lo, v58, v54
	v_add_co_ci_u32_e64 v55, null, v59, v55, vcc_lo
	flat_store_dword v[54:55], v56
.LBB14_183:
	s_or_b32 exec_lo, exec_lo, s4
	v_add_nc_u32_e32 v58, 56, v89
	v_mad_i64_i32 v[54:55], null, v58, s6, 0
	v_mad_i64_i32 v[56:57], null, v58, s5, 0
	v_cmp_gt_i32_e64 s4, s9, v58
	v_lshlrev_b64 v[54:55], 2, v[54:55]
	s_and_b32 s14, s0, s4
	v_lshlrev_b64 v[58:59], 2, v[56:57]
	v_add_co_u32 v56, vcc_lo, s12, v54
	v_add_co_ci_u32_e64 v57, null, s13, v55, vcc_lo
	v_add_co_u32 v54, vcc_lo, s10, v58
	v_add_co_ci_u32_e64 v55, null, s11, v59, vcc_lo
	s_and_saveexec_b32 s8, s14
	s_cbranch_execnz .LBB14_187
; %bb.184:
	s_or_b32 exec_lo, exec_lo, s8
	s_and_b32 s14, s1, s4
	s_and_saveexec_b32 s8, s14
	s_cbranch_execnz .LBB14_191
.LBB14_185:
	s_or_b32 exec_lo, exec_lo, s8
	s_and_b32 s14, s2, s4
	s_and_saveexec_b32 s8, s14
	s_cbranch_execnz .LBB14_195
.LBB14_186:
	s_or_b32 exec_lo, exec_lo, s8
	s_and_b32 s8, s3, s4
	s_and_saveexec_b32 s4, s8
	s_cbranch_execnz .LBB14_199
	s_branch .LBB14_203
.LBB14_187:
	v_cmp_ne_u32_e32 vcc_lo, 1, v88
	s_cbranch_vccnz .LBB14_189
; %bb.188:
	v_lshlrev_b64 v[58:59], 2, v[0:1]
	v_add_co_u32 v58, vcc_lo, v56, v58
	v_add_co_ci_u32_e64 v59, null, v57, v59, vcc_lo
	flat_load_dword v58, v[58:59]
	s_waitcnt vmcnt(0) lgkmcnt(0)
	v_mul_f32_e32 v58, s7, v58
	s_branch .LBB14_190
.LBB14_189:
	v_mov_b32_e32 v58, 0
.LBB14_190:
	v_add_f32_e32 v59, v19, v51
	v_add_f32_e32 v60, v18, v50
	;; [unrolled: 1-line block ×4, first 2 shown]
	v_min3_f32 v63, v60, v59, v131
	v_lshlrev_b64 v[59:60], 2, v[0:1]
	v_min_f32_e32 v61, v62, v61
	v_min3_f32 v61, v58, v61, v63
	v_add_co_u32 v58, vcc_lo, v54, v59
	v_add_co_ci_u32_e64 v59, null, v55, v60, vcc_lo
	flat_store_dword v[58:59], v61
	s_or_b32 exec_lo, exec_lo, s8
	s_and_b32 s14, s1, s4
	s_and_saveexec_b32 s8, s14
	s_cbranch_execz .LBB14_185
.LBB14_191:
	v_cmp_ne_u32_e32 vcc_lo, 1, v88
	s_cbranch_vccnz .LBB14_193
; %bb.192:
	v_lshlrev_b64 v[58:59], 2, v[82:83]
	v_add_co_u32 v58, vcc_lo, v56, v58
	v_add_co_ci_u32_e64 v59, null, v57, v59, vcc_lo
	flat_load_dword v58, v[58:59]
	s_waitcnt vmcnt(0) lgkmcnt(0)
	v_mul_f32_e32 v58, s7, v58
	s_branch .LBB14_194
.LBB14_193:
	v_mov_b32_e32 v58, 0
.LBB14_194:
	v_add_f32_e32 v59, v15, v51
	v_add_f32_e32 v60, v14, v50
	v_add_f32_e32 v61, v17, v53
	v_add_f32_e32 v62, v16, v52
	v_min3_f32 v63, v60, v59, v130
	v_lshlrev_b64 v[59:60], 2, v[82:83]
	v_min_f32_e32 v61, v62, v61
	v_min3_f32 v61, v58, v61, v63
	v_add_co_u32 v58, vcc_lo, v54, v59
	v_add_co_ci_u32_e64 v59, null, v55, v60, vcc_lo
	flat_store_dword v[58:59], v61
	s_or_b32 exec_lo, exec_lo, s8
	s_and_b32 s14, s2, s4
	s_and_saveexec_b32 s8, s14
	s_cbranch_execz .LBB14_186
.LBB14_195:
	v_cmp_ne_u32_e32 vcc_lo, 1, v88
	s_cbranch_vccnz .LBB14_197
; %bb.196:
	v_lshlrev_b64 v[58:59], 2, v[84:85]
	v_add_co_u32 v58, vcc_lo, v56, v58
	v_add_co_ci_u32_e64 v59, null, v57, v59, vcc_lo
	flat_load_dword v58, v[58:59]
	s_waitcnt vmcnt(0) lgkmcnt(0)
	v_mul_f32_e32 v58, s7, v58
	s_branch .LBB14_198
.LBB14_197:
	v_mov_b32_e32 v58, 0
.LBB14_198:
	v_add_f32_e32 v59, v11, v51
	v_add_f32_e32 v60, v10, v50
	;; [unrolled: 1-line block ×4, first 2 shown]
	v_min3_f32 v63, v60, v59, v129
	v_lshlrev_b64 v[59:60], 2, v[84:85]
	v_min_f32_e32 v61, v62, v61
	v_min3_f32 v61, v58, v61, v63
	v_add_co_u32 v58, vcc_lo, v54, v59
	v_add_co_ci_u32_e64 v59, null, v55, v60, vcc_lo
	flat_store_dword v[58:59], v61
	s_or_b32 exec_lo, exec_lo, s8
	s_and_b32 s8, s3, s4
	s_and_saveexec_b32 s4, s8
	s_cbranch_execz .LBB14_203
.LBB14_199:
	v_cmp_ne_u32_e32 vcc_lo, 1, v88
	s_cbranch_vccnz .LBB14_201
; %bb.200:
	v_lshlrev_b64 v[58:59], 2, v[86:87]
	v_add_co_u32 v56, vcc_lo, v56, v58
	v_add_co_ci_u32_e64 v57, null, v57, v59, vcc_lo
	flat_load_dword v56, v[56:57]
	s_waitcnt vmcnt(0) lgkmcnt(0)
	v_mul_f32_e32 v56, s7, v56
	s_branch .LBB14_202
.LBB14_201:
	v_mov_b32_e32 v56, 0
.LBB14_202:
	v_add_f32_e32 v51, v3, v51
	v_add_f32_e32 v50, v2, v50
	;; [unrolled: 1-line block ×4, first 2 shown]
	v_min3_f32 v57, v50, v51, v128
	v_lshlrev_b64 v[50:51], 2, v[86:87]
	v_min_f32_e32 v52, v52, v53
	v_min3_f32 v52, v56, v52, v57
	v_add_co_u32 v50, vcc_lo, v54, v50
	v_add_co_ci_u32_e64 v51, null, v55, v51, vcc_lo
	flat_store_dword v[50:51], v52
.LBB14_203:
	s_or_b32 exec_lo, exec_lo, s4
	v_add_nc_u32_e32 v54, 64, v89
	v_mad_i64_i32 v[50:51], null, v54, s6, 0
	v_mad_i64_i32 v[52:53], null, v54, s5, 0
	v_cmp_gt_i32_e64 s4, s9, v54
	v_lshlrev_b64 v[50:51], 2, v[50:51]
	s_and_b32 s14, s0, s4
	v_lshlrev_b64 v[54:55], 2, v[52:53]
	v_add_co_u32 v52, vcc_lo, s12, v50
	v_add_co_ci_u32_e64 v53, null, s13, v51, vcc_lo
	v_add_co_u32 v50, vcc_lo, s10, v54
	v_add_co_ci_u32_e64 v51, null, s11, v55, vcc_lo
	s_and_saveexec_b32 s8, s14
	s_cbranch_execnz .LBB14_207
; %bb.204:
	s_or_b32 exec_lo, exec_lo, s8
	s_and_b32 s14, s1, s4
	s_and_saveexec_b32 s8, s14
	s_cbranch_execnz .LBB14_211
.LBB14_205:
	s_or_b32 exec_lo, exec_lo, s8
	s_and_b32 s14, s2, s4
	s_and_saveexec_b32 s8, s14
	s_cbranch_execnz .LBB14_215
.LBB14_206:
	s_or_b32 exec_lo, exec_lo, s8
	s_and_b32 s8, s3, s4
	s_and_saveexec_b32 s4, s8
	s_cbranch_execnz .LBB14_219
	s_branch .LBB14_223
.LBB14_207:
	v_cmp_ne_u32_e32 vcc_lo, 1, v88
	s_cbranch_vccnz .LBB14_209
; %bb.208:
	v_lshlrev_b64 v[54:55], 2, v[0:1]
	v_add_co_u32 v54, vcc_lo, v52, v54
	v_add_co_ci_u32_e64 v55, null, v53, v55, vcc_lo
	flat_load_dword v54, v[54:55]
	s_waitcnt vmcnt(0) lgkmcnt(0)
	v_mul_f32_e32 v54, s7, v54
	s_branch .LBB14_210
.LBB14_209:
	v_mov_b32_e32 v54, 0
.LBB14_210:
	v_add_f32_e32 v55, v19, v47
	v_add_f32_e32 v56, v18, v46
	;; [unrolled: 1-line block ×4, first 2 shown]
	v_min3_f32 v59, v56, v55, v127
	v_lshlrev_b64 v[55:56], 2, v[0:1]
	v_min_f32_e32 v57, v58, v57
	v_min3_f32 v57, v54, v57, v59
	v_add_co_u32 v54, vcc_lo, v50, v55
	v_add_co_ci_u32_e64 v55, null, v51, v56, vcc_lo
	flat_store_dword v[54:55], v57
	s_or_b32 exec_lo, exec_lo, s8
	s_and_b32 s14, s1, s4
	s_and_saveexec_b32 s8, s14
	s_cbranch_execz .LBB14_205
.LBB14_211:
	v_cmp_ne_u32_e32 vcc_lo, 1, v88
	s_cbranch_vccnz .LBB14_213
; %bb.212:
	v_lshlrev_b64 v[54:55], 2, v[82:83]
	v_add_co_u32 v54, vcc_lo, v52, v54
	v_add_co_ci_u32_e64 v55, null, v53, v55, vcc_lo
	flat_load_dword v54, v[54:55]
	s_waitcnt vmcnt(0) lgkmcnt(0)
	v_mul_f32_e32 v54, s7, v54
	s_branch .LBB14_214
.LBB14_213:
	v_mov_b32_e32 v54, 0
.LBB14_214:
	v_add_f32_e32 v55, v15, v47
	v_add_f32_e32 v56, v14, v46
	;; [unrolled: 1-line block ×4, first 2 shown]
	v_min3_f32 v59, v56, v55, v126
	v_lshlrev_b64 v[55:56], 2, v[82:83]
	v_min_f32_e32 v57, v58, v57
	v_min3_f32 v57, v54, v57, v59
	v_add_co_u32 v54, vcc_lo, v50, v55
	v_add_co_ci_u32_e64 v55, null, v51, v56, vcc_lo
	flat_store_dword v[54:55], v57
	s_or_b32 exec_lo, exec_lo, s8
	s_and_b32 s14, s2, s4
	s_and_saveexec_b32 s8, s14
	s_cbranch_execz .LBB14_206
.LBB14_215:
	v_cmp_ne_u32_e32 vcc_lo, 1, v88
	s_cbranch_vccnz .LBB14_217
; %bb.216:
	v_lshlrev_b64 v[54:55], 2, v[84:85]
	v_add_co_u32 v54, vcc_lo, v52, v54
	v_add_co_ci_u32_e64 v55, null, v53, v55, vcc_lo
	flat_load_dword v54, v[54:55]
	s_waitcnt vmcnt(0) lgkmcnt(0)
	v_mul_f32_e32 v54, s7, v54
	s_branch .LBB14_218
.LBB14_217:
	v_mov_b32_e32 v54, 0
.LBB14_218:
	v_add_f32_e32 v55, v11, v47
	v_add_f32_e32 v56, v10, v46
	;; [unrolled: 1-line block ×4, first 2 shown]
	v_min3_f32 v59, v56, v55, v125
	v_lshlrev_b64 v[55:56], 2, v[84:85]
	v_min_f32_e32 v57, v58, v57
	v_min3_f32 v57, v54, v57, v59
	v_add_co_u32 v54, vcc_lo, v50, v55
	v_add_co_ci_u32_e64 v55, null, v51, v56, vcc_lo
	flat_store_dword v[54:55], v57
	s_or_b32 exec_lo, exec_lo, s8
	s_and_b32 s8, s3, s4
	s_and_saveexec_b32 s4, s8
	s_cbranch_execz .LBB14_223
.LBB14_219:
	v_cmp_ne_u32_e32 vcc_lo, 1, v88
	s_cbranch_vccnz .LBB14_221
; %bb.220:
	v_lshlrev_b64 v[54:55], 2, v[86:87]
	v_add_co_u32 v52, vcc_lo, v52, v54
	v_add_co_ci_u32_e64 v53, null, v53, v55, vcc_lo
	flat_load_dword v52, v[52:53]
	s_waitcnt vmcnt(0) lgkmcnt(0)
	v_mul_f32_e32 v52, s7, v52
	s_branch .LBB14_222
.LBB14_221:
	v_mov_b32_e32 v52, 0
.LBB14_222:
	v_add_f32_e32 v47, v3, v47
	v_add_f32_e32 v46, v2, v46
	;; [unrolled: 1-line block ×4, first 2 shown]
	v_min3_f32 v53, v46, v47, v123
	v_lshlrev_b64 v[46:47], 2, v[86:87]
	v_min_f32_e32 v48, v48, v49
	v_min3_f32 v48, v52, v48, v53
	v_add_co_u32 v46, vcc_lo, v50, v46
	v_add_co_ci_u32_e64 v47, null, v51, v47, vcc_lo
	flat_store_dword v[46:47], v48
.LBB14_223:
	s_or_b32 exec_lo, exec_lo, s4
	v_add_nc_u32_e32 v50, 0x48, v89
	v_mad_i64_i32 v[46:47], null, v50, s6, 0
	v_mad_i64_i32 v[48:49], null, v50, s5, 0
	v_cmp_gt_i32_e64 s4, s9, v50
	v_lshlrev_b64 v[46:47], 2, v[46:47]
	s_and_b32 s14, s0, s4
	v_lshlrev_b64 v[50:51], 2, v[48:49]
	v_add_co_u32 v48, vcc_lo, s12, v46
	v_add_co_ci_u32_e64 v49, null, s13, v47, vcc_lo
	v_add_co_u32 v46, vcc_lo, s10, v50
	v_add_co_ci_u32_e64 v47, null, s11, v51, vcc_lo
	s_and_saveexec_b32 s8, s14
	s_cbranch_execnz .LBB14_227
; %bb.224:
	s_or_b32 exec_lo, exec_lo, s8
	s_and_b32 s14, s1, s4
	s_and_saveexec_b32 s8, s14
	s_cbranch_execnz .LBB14_231
.LBB14_225:
	s_or_b32 exec_lo, exec_lo, s8
	s_and_b32 s14, s2, s4
	s_and_saveexec_b32 s8, s14
	s_cbranch_execnz .LBB14_235
.LBB14_226:
	s_or_b32 exec_lo, exec_lo, s8
	s_and_b32 s8, s3, s4
	s_and_saveexec_b32 s4, s8
	s_cbranch_execnz .LBB14_239
	s_branch .LBB14_243
.LBB14_227:
	v_cmp_ne_u32_e32 vcc_lo, 1, v88
	s_cbranch_vccnz .LBB14_229
; %bb.228:
	v_lshlrev_b64 v[50:51], 2, v[0:1]
	v_add_co_u32 v50, vcc_lo, v48, v50
	v_add_co_ci_u32_e64 v51, null, v49, v51, vcc_lo
	flat_load_dword v50, v[50:51]
	s_waitcnt vmcnt(0) lgkmcnt(0)
	v_mul_f32_e32 v50, s7, v50
	s_branch .LBB14_230
.LBB14_229:
	v_mov_b32_e32 v50, 0
.LBB14_230:
	v_add_f32_e32 v51, v19, v43
	v_add_f32_e32 v52, v18, v42
	;; [unrolled: 1-line block ×4, first 2 shown]
	v_min3_f32 v55, v52, v51, v122
	v_lshlrev_b64 v[51:52], 2, v[0:1]
	v_min_f32_e32 v53, v54, v53
	v_min3_f32 v53, v50, v53, v55
	v_add_co_u32 v50, vcc_lo, v46, v51
	v_add_co_ci_u32_e64 v51, null, v47, v52, vcc_lo
	flat_store_dword v[50:51], v53
	s_or_b32 exec_lo, exec_lo, s8
	s_and_b32 s14, s1, s4
	s_and_saveexec_b32 s8, s14
	s_cbranch_execz .LBB14_225
.LBB14_231:
	v_cmp_ne_u32_e32 vcc_lo, 1, v88
	s_cbranch_vccnz .LBB14_233
; %bb.232:
	v_lshlrev_b64 v[50:51], 2, v[82:83]
	v_add_co_u32 v50, vcc_lo, v48, v50
	v_add_co_ci_u32_e64 v51, null, v49, v51, vcc_lo
	flat_load_dword v50, v[50:51]
	s_waitcnt vmcnt(0) lgkmcnt(0)
	v_mul_f32_e32 v50, s7, v50
	s_branch .LBB14_234
.LBB14_233:
	v_mov_b32_e32 v50, 0
.LBB14_234:
	v_add_f32_e32 v51, v15, v43
	v_add_f32_e32 v52, v14, v42
	;; [unrolled: 1-line block ×4, first 2 shown]
	v_min3_f32 v55, v52, v51, v121
	v_lshlrev_b64 v[51:52], 2, v[82:83]
	v_min_f32_e32 v53, v54, v53
	v_min3_f32 v53, v50, v53, v55
	v_add_co_u32 v50, vcc_lo, v46, v51
	v_add_co_ci_u32_e64 v51, null, v47, v52, vcc_lo
	flat_store_dword v[50:51], v53
	s_or_b32 exec_lo, exec_lo, s8
	s_and_b32 s14, s2, s4
	s_and_saveexec_b32 s8, s14
	s_cbranch_execz .LBB14_226
.LBB14_235:
	v_cmp_ne_u32_e32 vcc_lo, 1, v88
	s_cbranch_vccnz .LBB14_237
; %bb.236:
	v_lshlrev_b64 v[50:51], 2, v[84:85]
	v_add_co_u32 v50, vcc_lo, v48, v50
	v_add_co_ci_u32_e64 v51, null, v49, v51, vcc_lo
	flat_load_dword v50, v[50:51]
	s_waitcnt vmcnt(0) lgkmcnt(0)
	v_mul_f32_e32 v50, s7, v50
	s_branch .LBB14_238
.LBB14_237:
	v_mov_b32_e32 v50, 0
.LBB14_238:
	v_add_f32_e32 v51, v11, v43
	v_add_f32_e32 v52, v10, v42
	;; [unrolled: 1-line block ×4, first 2 shown]
	v_min3_f32 v55, v52, v51, v120
	v_lshlrev_b64 v[51:52], 2, v[84:85]
	v_min_f32_e32 v53, v54, v53
	v_min3_f32 v53, v50, v53, v55
	v_add_co_u32 v50, vcc_lo, v46, v51
	v_add_co_ci_u32_e64 v51, null, v47, v52, vcc_lo
	flat_store_dword v[50:51], v53
	s_or_b32 exec_lo, exec_lo, s8
	s_and_b32 s8, s3, s4
	s_and_saveexec_b32 s4, s8
	s_cbranch_execz .LBB14_243
.LBB14_239:
	v_cmp_ne_u32_e32 vcc_lo, 1, v88
	s_cbranch_vccnz .LBB14_241
; %bb.240:
	v_lshlrev_b64 v[50:51], 2, v[86:87]
	v_add_co_u32 v48, vcc_lo, v48, v50
	v_add_co_ci_u32_e64 v49, null, v49, v51, vcc_lo
	flat_load_dword v48, v[48:49]
	s_waitcnt vmcnt(0) lgkmcnt(0)
	v_mul_f32_e32 v48, s7, v48
	s_branch .LBB14_242
.LBB14_241:
	v_mov_b32_e32 v48, 0
.LBB14_242:
	v_add_f32_e32 v43, v3, v43
	v_add_f32_e32 v42, v2, v42
	;; [unrolled: 1-line block ×4, first 2 shown]
	v_min3_f32 v49, v42, v43, v119
	v_lshlrev_b64 v[42:43], 2, v[86:87]
	v_min_f32_e32 v44, v44, v45
	v_min3_f32 v44, v48, v44, v49
	v_add_co_u32 v42, vcc_lo, v46, v42
	v_add_co_ci_u32_e64 v43, null, v47, v43, vcc_lo
	flat_store_dword v[42:43], v44
.LBB14_243:
	s_or_b32 exec_lo, exec_lo, s4
	v_add_nc_u32_e32 v46, 0x50, v89
	v_mad_i64_i32 v[42:43], null, v46, s6, 0
	v_mad_i64_i32 v[44:45], null, v46, s5, 0
	v_cmp_gt_i32_e64 s4, s9, v46
	v_lshlrev_b64 v[42:43], 2, v[42:43]
	s_and_b32 s14, s0, s4
	v_lshlrev_b64 v[46:47], 2, v[44:45]
	v_add_co_u32 v44, vcc_lo, s12, v42
	v_add_co_ci_u32_e64 v45, null, s13, v43, vcc_lo
	v_add_co_u32 v42, vcc_lo, s10, v46
	v_add_co_ci_u32_e64 v43, null, s11, v47, vcc_lo
	s_and_saveexec_b32 s8, s14
	s_cbranch_execnz .LBB14_247
; %bb.244:
	s_or_b32 exec_lo, exec_lo, s8
	s_and_b32 s14, s1, s4
	s_and_saveexec_b32 s8, s14
	s_cbranch_execnz .LBB14_251
.LBB14_245:
	s_or_b32 exec_lo, exec_lo, s8
	s_and_b32 s14, s2, s4
	s_and_saveexec_b32 s8, s14
	s_cbranch_execnz .LBB14_255
.LBB14_246:
	s_or_b32 exec_lo, exec_lo, s8
	s_and_b32 s8, s3, s4
	s_and_saveexec_b32 s4, s8
	s_cbranch_execnz .LBB14_259
	s_branch .LBB14_263
.LBB14_247:
	v_cmp_ne_u32_e32 vcc_lo, 1, v88
	s_cbranch_vccnz .LBB14_249
; %bb.248:
	v_lshlrev_b64 v[46:47], 2, v[0:1]
	v_add_co_u32 v46, vcc_lo, v44, v46
	v_add_co_ci_u32_e64 v47, null, v45, v47, vcc_lo
	flat_load_dword v46, v[46:47]
	s_waitcnt vmcnt(0) lgkmcnt(0)
	v_mul_f32_e32 v46, s7, v46
	s_branch .LBB14_250
.LBB14_249:
	v_mov_b32_e32 v46, 0
.LBB14_250:
	v_add_f32_e32 v47, v19, v39
	v_add_f32_e32 v48, v18, v38
	;; [unrolled: 1-line block ×4, first 2 shown]
	v_min3_f32 v51, v48, v47, v117
	v_lshlrev_b64 v[47:48], 2, v[0:1]
	v_min_f32_e32 v49, v50, v49
	v_min3_f32 v49, v46, v49, v51
	v_add_co_u32 v46, vcc_lo, v42, v47
	v_add_co_ci_u32_e64 v47, null, v43, v48, vcc_lo
	flat_store_dword v[46:47], v49
	s_or_b32 exec_lo, exec_lo, s8
	s_and_b32 s14, s1, s4
	s_and_saveexec_b32 s8, s14
	s_cbranch_execz .LBB14_245
.LBB14_251:
	v_cmp_ne_u32_e32 vcc_lo, 1, v88
	s_cbranch_vccnz .LBB14_253
; %bb.252:
	v_lshlrev_b64 v[46:47], 2, v[82:83]
	v_add_co_u32 v46, vcc_lo, v44, v46
	v_add_co_ci_u32_e64 v47, null, v45, v47, vcc_lo
	flat_load_dword v46, v[46:47]
	s_waitcnt vmcnt(0) lgkmcnt(0)
	v_mul_f32_e32 v46, s7, v46
	s_branch .LBB14_254
.LBB14_253:
	v_mov_b32_e32 v46, 0
.LBB14_254:
	v_add_f32_e32 v47, v15, v39
	v_add_f32_e32 v48, v14, v38
	;; [unrolled: 1-line block ×4, first 2 shown]
	v_min3_f32 v51, v48, v47, v115
	v_lshlrev_b64 v[47:48], 2, v[82:83]
	v_min_f32_e32 v49, v50, v49
	v_min3_f32 v49, v46, v49, v51
	v_add_co_u32 v46, vcc_lo, v42, v47
	v_add_co_ci_u32_e64 v47, null, v43, v48, vcc_lo
	flat_store_dword v[46:47], v49
	s_or_b32 exec_lo, exec_lo, s8
	s_and_b32 s14, s2, s4
	s_and_saveexec_b32 s8, s14
	s_cbranch_execz .LBB14_246
.LBB14_255:
	v_cmp_ne_u32_e32 vcc_lo, 1, v88
	s_cbranch_vccnz .LBB14_257
; %bb.256:
	v_lshlrev_b64 v[46:47], 2, v[84:85]
	v_add_co_u32 v46, vcc_lo, v44, v46
	v_add_co_ci_u32_e64 v47, null, v45, v47, vcc_lo
	flat_load_dword v46, v[46:47]
	s_waitcnt vmcnt(0) lgkmcnt(0)
	v_mul_f32_e32 v46, s7, v46
	s_branch .LBB14_258
.LBB14_257:
	v_mov_b32_e32 v46, 0
.LBB14_258:
	v_add_f32_e32 v47, v11, v39
	v_add_f32_e32 v48, v10, v38
	v_add_f32_e32 v49, v13, v41
	v_add_f32_e32 v50, v12, v40
	v_min3_f32 v51, v48, v47, v113
	v_lshlrev_b64 v[47:48], 2, v[84:85]
	v_min_f32_e32 v49, v50, v49
	v_min3_f32 v49, v46, v49, v51
	v_add_co_u32 v46, vcc_lo, v42, v47
	v_add_co_ci_u32_e64 v47, null, v43, v48, vcc_lo
	flat_store_dword v[46:47], v49
	s_or_b32 exec_lo, exec_lo, s8
	s_and_b32 s8, s3, s4
	s_and_saveexec_b32 s4, s8
	s_cbranch_execz .LBB14_263
.LBB14_259:
	v_cmp_ne_u32_e32 vcc_lo, 1, v88
	s_cbranch_vccnz .LBB14_261
; %bb.260:
	v_lshlrev_b64 v[46:47], 2, v[86:87]
	v_add_co_u32 v44, vcc_lo, v44, v46
	v_add_co_ci_u32_e64 v45, null, v45, v47, vcc_lo
	flat_load_dword v44, v[44:45]
	s_waitcnt vmcnt(0) lgkmcnt(0)
	v_mul_f32_e32 v44, s7, v44
	s_branch .LBB14_262
.LBB14_261:
	v_mov_b32_e32 v44, 0
.LBB14_262:
	v_add_f32_e32 v39, v3, v39
	v_add_f32_e32 v38, v2, v38
	;; [unrolled: 1-line block ×4, first 2 shown]
	v_min3_f32 v45, v38, v39, v112
	v_lshlrev_b64 v[38:39], 2, v[86:87]
	v_min_f32_e32 v40, v40, v41
	v_min3_f32 v40, v44, v40, v45
	v_add_co_u32 v38, vcc_lo, v42, v38
	v_add_co_ci_u32_e64 v39, null, v43, v39, vcc_lo
	flat_store_dword v[38:39], v40
.LBB14_263:
	s_or_b32 exec_lo, exec_lo, s4
	v_add_nc_u32_e32 v42, 0x58, v89
	v_mad_i64_i32 v[38:39], null, v42, s6, 0
	v_mad_i64_i32 v[40:41], null, v42, s5, 0
	v_cmp_gt_i32_e64 s4, s9, v42
	v_lshlrev_b64 v[38:39], 2, v[38:39]
	s_and_b32 s14, s0, s4
	v_lshlrev_b64 v[42:43], 2, v[40:41]
	v_add_co_u32 v40, vcc_lo, s12, v38
	v_add_co_ci_u32_e64 v41, null, s13, v39, vcc_lo
	v_add_co_u32 v38, vcc_lo, s10, v42
	v_add_co_ci_u32_e64 v39, null, s11, v43, vcc_lo
	s_and_saveexec_b32 s8, s14
	s_cbranch_execnz .LBB14_267
; %bb.264:
	s_or_b32 exec_lo, exec_lo, s8
	s_and_b32 s14, s1, s4
	s_and_saveexec_b32 s8, s14
	s_cbranch_execnz .LBB14_271
.LBB14_265:
	s_or_b32 exec_lo, exec_lo, s8
	s_and_b32 s14, s2, s4
	s_and_saveexec_b32 s8, s14
	s_cbranch_execnz .LBB14_275
.LBB14_266:
	s_or_b32 exec_lo, exec_lo, s8
	s_and_b32 s8, s3, s4
	s_and_saveexec_b32 s4, s8
	s_cbranch_execnz .LBB14_279
	s_branch .LBB14_283
.LBB14_267:
	v_cmp_ne_u32_e32 vcc_lo, 1, v88
	s_cbranch_vccnz .LBB14_269
; %bb.268:
	v_lshlrev_b64 v[42:43], 2, v[0:1]
	v_add_co_u32 v42, vcc_lo, v40, v42
	v_add_co_ci_u32_e64 v43, null, v41, v43, vcc_lo
	flat_load_dword v42, v[42:43]
	s_waitcnt vmcnt(0) lgkmcnt(0)
	v_mul_f32_e32 v42, s7, v42
	s_branch .LBB14_270
.LBB14_269:
	v_mov_b32_e32 v42, 0
.LBB14_270:
	v_add_f32_e32 v43, v19, v35
	v_add_f32_e32 v44, v18, v34
	;; [unrolled: 1-line block ×4, first 2 shown]
	v_min3_f32 v47, v44, v43, v111
	v_lshlrev_b64 v[43:44], 2, v[0:1]
	v_min_f32_e32 v45, v46, v45
	v_min3_f32 v45, v42, v45, v47
	v_add_co_u32 v42, vcc_lo, v38, v43
	v_add_co_ci_u32_e64 v43, null, v39, v44, vcc_lo
	flat_store_dword v[42:43], v45
	s_or_b32 exec_lo, exec_lo, s8
	s_and_b32 s14, s1, s4
	s_and_saveexec_b32 s8, s14
	s_cbranch_execz .LBB14_265
.LBB14_271:
	v_cmp_ne_u32_e32 vcc_lo, 1, v88
	s_cbranch_vccnz .LBB14_273
; %bb.272:
	v_lshlrev_b64 v[42:43], 2, v[82:83]
	v_add_co_u32 v42, vcc_lo, v40, v42
	v_add_co_ci_u32_e64 v43, null, v41, v43, vcc_lo
	flat_load_dword v42, v[42:43]
	s_waitcnt vmcnt(0) lgkmcnt(0)
	v_mul_f32_e32 v42, s7, v42
	s_branch .LBB14_274
.LBB14_273:
	v_mov_b32_e32 v42, 0
.LBB14_274:
	v_add_f32_e32 v43, v15, v35
	v_add_f32_e32 v44, v14, v34
	;; [unrolled: 1-line block ×4, first 2 shown]
	v_min3_f32 v47, v44, v43, v110
	v_lshlrev_b64 v[43:44], 2, v[82:83]
	v_min_f32_e32 v45, v46, v45
	v_min3_f32 v45, v42, v45, v47
	v_add_co_u32 v42, vcc_lo, v38, v43
	v_add_co_ci_u32_e64 v43, null, v39, v44, vcc_lo
	flat_store_dword v[42:43], v45
	s_or_b32 exec_lo, exec_lo, s8
	s_and_b32 s14, s2, s4
	s_and_saveexec_b32 s8, s14
	s_cbranch_execz .LBB14_266
.LBB14_275:
	v_cmp_ne_u32_e32 vcc_lo, 1, v88
	s_cbranch_vccnz .LBB14_277
; %bb.276:
	v_lshlrev_b64 v[42:43], 2, v[84:85]
	v_add_co_u32 v42, vcc_lo, v40, v42
	v_add_co_ci_u32_e64 v43, null, v41, v43, vcc_lo
	flat_load_dword v42, v[42:43]
	s_waitcnt vmcnt(0) lgkmcnt(0)
	v_mul_f32_e32 v42, s7, v42
	s_branch .LBB14_278
.LBB14_277:
	v_mov_b32_e32 v42, 0
.LBB14_278:
	v_add_f32_e32 v43, v11, v35
	v_add_f32_e32 v44, v10, v34
	;; [unrolled: 1-line block ×4, first 2 shown]
	v_min3_f32 v47, v44, v43, v109
	v_lshlrev_b64 v[43:44], 2, v[84:85]
	v_min_f32_e32 v45, v46, v45
	v_min3_f32 v45, v42, v45, v47
	v_add_co_u32 v42, vcc_lo, v38, v43
	v_add_co_ci_u32_e64 v43, null, v39, v44, vcc_lo
	flat_store_dword v[42:43], v45
	s_or_b32 exec_lo, exec_lo, s8
	s_and_b32 s8, s3, s4
	s_and_saveexec_b32 s4, s8
	s_cbranch_execz .LBB14_283
.LBB14_279:
	v_cmp_ne_u32_e32 vcc_lo, 1, v88
	s_cbranch_vccnz .LBB14_281
; %bb.280:
	v_lshlrev_b64 v[42:43], 2, v[86:87]
	v_add_co_u32 v40, vcc_lo, v40, v42
	v_add_co_ci_u32_e64 v41, null, v41, v43, vcc_lo
	flat_load_dword v40, v[40:41]
	s_waitcnt vmcnt(0) lgkmcnt(0)
	v_mul_f32_e32 v40, s7, v40
	s_branch .LBB14_282
.LBB14_281:
	v_mov_b32_e32 v40, 0
.LBB14_282:
	v_add_f32_e32 v35, v3, v35
	v_add_f32_e32 v34, v2, v34
	;; [unrolled: 1-line block ×4, first 2 shown]
	v_min3_f32 v41, v34, v35, v108
	v_lshlrev_b64 v[34:35], 2, v[86:87]
	v_min_f32_e32 v36, v36, v37
	v_min3_f32 v36, v40, v36, v41
	v_add_co_u32 v34, vcc_lo, v38, v34
	v_add_co_ci_u32_e64 v35, null, v39, v35, vcc_lo
	flat_store_dword v[34:35], v36
.LBB14_283:
	s_or_b32 exec_lo, exec_lo, s4
	v_add_nc_u32_e32 v38, 0x60, v89
	v_mad_i64_i32 v[34:35], null, v38, s6, 0
	v_mad_i64_i32 v[36:37], null, v38, s5, 0
	v_cmp_gt_i32_e64 s4, s9, v38
	v_lshlrev_b64 v[34:35], 2, v[34:35]
	s_and_b32 s14, s0, s4
	v_lshlrev_b64 v[38:39], 2, v[36:37]
	v_add_co_u32 v36, vcc_lo, s12, v34
	v_add_co_ci_u32_e64 v37, null, s13, v35, vcc_lo
	v_add_co_u32 v34, vcc_lo, s10, v38
	v_add_co_ci_u32_e64 v35, null, s11, v39, vcc_lo
	s_and_saveexec_b32 s8, s14
	s_cbranch_execnz .LBB14_287
; %bb.284:
	s_or_b32 exec_lo, exec_lo, s8
	s_and_b32 s14, s1, s4
	s_and_saveexec_b32 s8, s14
	s_cbranch_execnz .LBB14_291
.LBB14_285:
	s_or_b32 exec_lo, exec_lo, s8
	s_and_b32 s14, s2, s4
	s_and_saveexec_b32 s8, s14
	s_cbranch_execnz .LBB14_295
.LBB14_286:
	s_or_b32 exec_lo, exec_lo, s8
	s_and_b32 s8, s3, s4
	s_and_saveexec_b32 s4, s8
	s_cbranch_execnz .LBB14_299
	s_branch .LBB14_303
.LBB14_287:
	v_cmp_ne_u32_e32 vcc_lo, 1, v88
	s_cbranch_vccnz .LBB14_289
; %bb.288:
	v_lshlrev_b64 v[38:39], 2, v[0:1]
	v_add_co_u32 v38, vcc_lo, v36, v38
	v_add_co_ci_u32_e64 v39, null, v37, v39, vcc_lo
	flat_load_dword v38, v[38:39]
	s_waitcnt vmcnt(0) lgkmcnt(0)
	v_mul_f32_e32 v38, s7, v38
	s_branch .LBB14_290
.LBB14_289:
	v_mov_b32_e32 v38, 0
.LBB14_290:
	v_add_f32_e32 v39, v19, v31
	v_add_f32_e32 v40, v18, v30
	;; [unrolled: 1-line block ×4, first 2 shown]
	v_min3_f32 v43, v40, v39, v107
	v_lshlrev_b64 v[39:40], 2, v[0:1]
	v_min_f32_e32 v41, v42, v41
	v_min3_f32 v41, v38, v41, v43
	v_add_co_u32 v38, vcc_lo, v34, v39
	v_add_co_ci_u32_e64 v39, null, v35, v40, vcc_lo
	flat_store_dword v[38:39], v41
	s_or_b32 exec_lo, exec_lo, s8
	s_and_b32 s14, s1, s4
	s_and_saveexec_b32 s8, s14
	s_cbranch_execz .LBB14_285
.LBB14_291:
	v_cmp_ne_u32_e32 vcc_lo, 1, v88
	s_cbranch_vccnz .LBB14_293
; %bb.292:
	v_lshlrev_b64 v[38:39], 2, v[82:83]
	v_add_co_u32 v38, vcc_lo, v36, v38
	v_add_co_ci_u32_e64 v39, null, v37, v39, vcc_lo
	flat_load_dword v38, v[38:39]
	s_waitcnt vmcnt(0) lgkmcnt(0)
	v_mul_f32_e32 v38, s7, v38
	s_branch .LBB14_294
.LBB14_293:
	v_mov_b32_e32 v38, 0
.LBB14_294:
	v_add_f32_e32 v39, v15, v31
	v_add_f32_e32 v40, v14, v30
	;; [unrolled: 1-line block ×4, first 2 shown]
	v_min3_f32 v43, v40, v39, v106
	v_lshlrev_b64 v[39:40], 2, v[82:83]
	v_min_f32_e32 v41, v42, v41
	v_min3_f32 v41, v38, v41, v43
	v_add_co_u32 v38, vcc_lo, v34, v39
	v_add_co_ci_u32_e64 v39, null, v35, v40, vcc_lo
	flat_store_dword v[38:39], v41
	s_or_b32 exec_lo, exec_lo, s8
	s_and_b32 s14, s2, s4
	s_and_saveexec_b32 s8, s14
	s_cbranch_execz .LBB14_286
.LBB14_295:
	v_cmp_ne_u32_e32 vcc_lo, 1, v88
	s_cbranch_vccnz .LBB14_297
; %bb.296:
	v_lshlrev_b64 v[38:39], 2, v[84:85]
	v_add_co_u32 v38, vcc_lo, v36, v38
	v_add_co_ci_u32_e64 v39, null, v37, v39, vcc_lo
	flat_load_dword v38, v[38:39]
	s_waitcnt vmcnt(0) lgkmcnt(0)
	v_mul_f32_e32 v38, s7, v38
	s_branch .LBB14_298
.LBB14_297:
	v_mov_b32_e32 v38, 0
.LBB14_298:
	v_add_f32_e32 v39, v11, v31
	v_add_f32_e32 v40, v10, v30
	;; [unrolled: 1-line block ×4, first 2 shown]
	v_min3_f32 v43, v40, v39, v105
	v_lshlrev_b64 v[39:40], 2, v[84:85]
	v_min_f32_e32 v41, v42, v41
	v_min3_f32 v41, v38, v41, v43
	v_add_co_u32 v38, vcc_lo, v34, v39
	v_add_co_ci_u32_e64 v39, null, v35, v40, vcc_lo
	flat_store_dword v[38:39], v41
	s_or_b32 exec_lo, exec_lo, s8
	s_and_b32 s8, s3, s4
	s_and_saveexec_b32 s4, s8
	s_cbranch_execz .LBB14_303
.LBB14_299:
	v_cmp_ne_u32_e32 vcc_lo, 1, v88
	s_cbranch_vccnz .LBB14_301
; %bb.300:
	v_lshlrev_b64 v[38:39], 2, v[86:87]
	v_add_co_u32 v36, vcc_lo, v36, v38
	v_add_co_ci_u32_e64 v37, null, v37, v39, vcc_lo
	flat_load_dword v36, v[36:37]
	s_waitcnt vmcnt(0) lgkmcnt(0)
	v_mul_f32_e32 v36, s7, v36
	s_branch .LBB14_302
.LBB14_301:
	v_mov_b32_e32 v36, 0
.LBB14_302:
	v_add_f32_e32 v31, v3, v31
	v_add_f32_e32 v30, v2, v30
	;; [unrolled: 1-line block ×4, first 2 shown]
	v_min3_f32 v37, v30, v31, v104
	v_lshlrev_b64 v[30:31], 2, v[86:87]
	v_min_f32_e32 v32, v32, v33
	v_min3_f32 v32, v36, v32, v37
	v_add_co_u32 v30, vcc_lo, v34, v30
	v_add_co_ci_u32_e64 v31, null, v35, v31, vcc_lo
	flat_store_dword v[30:31], v32
.LBB14_303:
	s_or_b32 exec_lo, exec_lo, s4
	v_add_nc_u32_e32 v34, 0x68, v89
	v_mad_i64_i32 v[30:31], null, v34, s6, 0
	v_mad_i64_i32 v[32:33], null, v34, s5, 0
	v_cmp_gt_i32_e64 s4, s9, v34
	v_lshlrev_b64 v[30:31], 2, v[30:31]
	s_and_b32 s14, s0, s4
	v_lshlrev_b64 v[34:35], 2, v[32:33]
	v_add_co_u32 v32, vcc_lo, s12, v30
	v_add_co_ci_u32_e64 v33, null, s13, v31, vcc_lo
	v_add_co_u32 v30, vcc_lo, s10, v34
	v_add_co_ci_u32_e64 v31, null, s11, v35, vcc_lo
	s_and_saveexec_b32 s8, s14
	s_cbranch_execnz .LBB14_307
; %bb.304:
	s_or_b32 exec_lo, exec_lo, s8
	s_and_b32 s14, s1, s4
	s_and_saveexec_b32 s8, s14
	s_cbranch_execnz .LBB14_311
.LBB14_305:
	s_or_b32 exec_lo, exec_lo, s8
	s_and_b32 s14, s2, s4
	s_and_saveexec_b32 s8, s14
	s_cbranch_execnz .LBB14_315
.LBB14_306:
	s_or_b32 exec_lo, exec_lo, s8
	s_and_b32 s8, s3, s4
	s_and_saveexec_b32 s4, s8
	s_cbranch_execnz .LBB14_319
	s_branch .LBB14_323
.LBB14_307:
	v_cmp_ne_u32_e32 vcc_lo, 1, v88
	s_cbranch_vccnz .LBB14_309
; %bb.308:
	v_lshlrev_b64 v[34:35], 2, v[0:1]
	v_add_co_u32 v34, vcc_lo, v32, v34
	v_add_co_ci_u32_e64 v35, null, v33, v35, vcc_lo
	flat_load_dword v34, v[34:35]
	s_waitcnt vmcnt(0) lgkmcnt(0)
	v_mul_f32_e32 v34, s7, v34
	s_branch .LBB14_310
.LBB14_309:
	v_mov_b32_e32 v34, 0
.LBB14_310:
	v_add_f32_e32 v35, v19, v27
	v_add_f32_e32 v36, v18, v26
	;; [unrolled: 1-line block ×4, first 2 shown]
	v_min3_f32 v39, v36, v35, v103
	v_lshlrev_b64 v[35:36], 2, v[0:1]
	v_min_f32_e32 v37, v38, v37
	v_min3_f32 v37, v34, v37, v39
	v_add_co_u32 v34, vcc_lo, v30, v35
	v_add_co_ci_u32_e64 v35, null, v31, v36, vcc_lo
	flat_store_dword v[34:35], v37
	s_or_b32 exec_lo, exec_lo, s8
	s_and_b32 s14, s1, s4
	s_and_saveexec_b32 s8, s14
	s_cbranch_execz .LBB14_305
.LBB14_311:
	v_cmp_ne_u32_e32 vcc_lo, 1, v88
	s_cbranch_vccnz .LBB14_313
; %bb.312:
	v_lshlrev_b64 v[34:35], 2, v[82:83]
	v_add_co_u32 v34, vcc_lo, v32, v34
	v_add_co_ci_u32_e64 v35, null, v33, v35, vcc_lo
	flat_load_dword v34, v[34:35]
	s_waitcnt vmcnt(0) lgkmcnt(0)
	v_mul_f32_e32 v34, s7, v34
	s_branch .LBB14_314
.LBB14_313:
	v_mov_b32_e32 v34, 0
.LBB14_314:
	v_add_f32_e32 v35, v15, v27
	v_add_f32_e32 v36, v14, v26
	;; [unrolled: 1-line block ×4, first 2 shown]
	v_min3_f32 v39, v36, v35, v101
	v_lshlrev_b64 v[35:36], 2, v[82:83]
	v_min_f32_e32 v37, v38, v37
	v_min3_f32 v37, v34, v37, v39
	v_add_co_u32 v34, vcc_lo, v30, v35
	v_add_co_ci_u32_e64 v35, null, v31, v36, vcc_lo
	flat_store_dword v[34:35], v37
	s_or_b32 exec_lo, exec_lo, s8
	s_and_b32 s14, s2, s4
	s_and_saveexec_b32 s8, s14
	s_cbranch_execz .LBB14_306
.LBB14_315:
	v_cmp_ne_u32_e32 vcc_lo, 1, v88
	s_cbranch_vccnz .LBB14_317
; %bb.316:
	v_lshlrev_b64 v[34:35], 2, v[84:85]
	v_add_co_u32 v34, vcc_lo, v32, v34
	v_add_co_ci_u32_e64 v35, null, v33, v35, vcc_lo
	flat_load_dword v34, v[34:35]
	s_waitcnt vmcnt(0) lgkmcnt(0)
	v_mul_f32_e32 v34, s7, v34
	s_branch .LBB14_318
.LBB14_317:
	v_mov_b32_e32 v34, 0
.LBB14_318:
	v_add_f32_e32 v35, v11, v27
	v_add_f32_e32 v36, v10, v26
	;; [unrolled: 1-line block ×4, first 2 shown]
	v_min3_f32 v39, v36, v35, v100
	v_lshlrev_b64 v[35:36], 2, v[84:85]
	v_min_f32_e32 v37, v38, v37
	v_min3_f32 v37, v34, v37, v39
	v_add_co_u32 v34, vcc_lo, v30, v35
	v_add_co_ci_u32_e64 v35, null, v31, v36, vcc_lo
	flat_store_dword v[34:35], v37
	s_or_b32 exec_lo, exec_lo, s8
	s_and_b32 s8, s3, s4
	s_and_saveexec_b32 s4, s8
	s_cbranch_execz .LBB14_323
.LBB14_319:
	v_cmp_ne_u32_e32 vcc_lo, 1, v88
	s_cbranch_vccnz .LBB14_321
; %bb.320:
	v_lshlrev_b64 v[34:35], 2, v[86:87]
	v_add_co_u32 v32, vcc_lo, v32, v34
	v_add_co_ci_u32_e64 v33, null, v33, v35, vcc_lo
	flat_load_dword v32, v[32:33]
	s_waitcnt vmcnt(0) lgkmcnt(0)
	v_mul_f32_e32 v32, s7, v32
	s_branch .LBB14_322
.LBB14_321:
	v_mov_b32_e32 v32, 0
.LBB14_322:
	v_add_f32_e32 v27, v3, v27
	v_add_f32_e32 v26, v2, v26
	;; [unrolled: 1-line block ×4, first 2 shown]
	v_min3_f32 v33, v26, v27, v99
	v_lshlrev_b64 v[26:27], 2, v[86:87]
	v_min_f32_e32 v28, v28, v29
	v_min3_f32 v28, v32, v28, v33
	v_add_co_u32 v26, vcc_lo, v30, v26
	v_add_co_ci_u32_e64 v27, null, v31, v27, vcc_lo
	flat_store_dword v[26:27], v28
.LBB14_323:
	s_or_b32 exec_lo, exec_lo, s4
	v_add_nc_u32_e32 v30, 0x70, v89
	v_mad_i64_i32 v[26:27], null, v30, s6, 0
	v_mad_i64_i32 v[28:29], null, v30, s5, 0
	v_cmp_gt_i32_e64 s4, s9, v30
	v_lshlrev_b64 v[26:27], 2, v[26:27]
	s_and_b32 s14, s0, s4
	v_lshlrev_b64 v[30:31], 2, v[28:29]
	v_add_co_u32 v28, vcc_lo, s12, v26
	v_add_co_ci_u32_e64 v29, null, s13, v27, vcc_lo
	v_add_co_u32 v26, vcc_lo, s10, v30
	v_add_co_ci_u32_e64 v27, null, s11, v31, vcc_lo
	s_and_saveexec_b32 s8, s14
	s_cbranch_execnz .LBB14_327
; %bb.324:
	s_or_b32 exec_lo, exec_lo, s8
	s_and_b32 s14, s1, s4
	s_and_saveexec_b32 s8, s14
	s_cbranch_execnz .LBB14_331
.LBB14_325:
	s_or_b32 exec_lo, exec_lo, s8
	s_and_b32 s14, s2, s4
	s_and_saveexec_b32 s8, s14
	s_cbranch_execnz .LBB14_335
.LBB14_326:
	s_or_b32 exec_lo, exec_lo, s8
	s_and_b32 s8, s3, s4
	s_and_saveexec_b32 s4, s8
	s_cbranch_execnz .LBB14_339
	s_branch .LBB14_343
.LBB14_327:
	v_cmp_ne_u32_e32 vcc_lo, 1, v88
	s_cbranch_vccnz .LBB14_329
; %bb.328:
	v_lshlrev_b64 v[30:31], 2, v[0:1]
	v_add_co_u32 v30, vcc_lo, v28, v30
	v_add_co_ci_u32_e64 v31, null, v29, v31, vcc_lo
	flat_load_dword v30, v[30:31]
	s_waitcnt vmcnt(0) lgkmcnt(0)
	v_mul_f32_e32 v30, s7, v30
	s_branch .LBB14_330
.LBB14_329:
	v_mov_b32_e32 v30, 0
.LBB14_330:
	v_add_f32_e32 v31, v19, v23
	v_add_f32_e32 v32, v18, v22
	;; [unrolled: 1-line block ×4, first 2 shown]
	v_min3_f32 v35, v32, v31, v98
	v_lshlrev_b64 v[31:32], 2, v[0:1]
	v_min_f32_e32 v33, v34, v33
	v_min3_f32 v33, v30, v33, v35
	v_add_co_u32 v30, vcc_lo, v26, v31
	v_add_co_ci_u32_e64 v31, null, v27, v32, vcc_lo
	flat_store_dword v[30:31], v33
	s_or_b32 exec_lo, exec_lo, s8
	s_and_b32 s14, s1, s4
	s_and_saveexec_b32 s8, s14
	s_cbranch_execz .LBB14_325
.LBB14_331:
	v_cmp_ne_u32_e32 vcc_lo, 1, v88
	s_cbranch_vccnz .LBB14_333
; %bb.332:
	v_lshlrev_b64 v[30:31], 2, v[82:83]
	v_add_co_u32 v30, vcc_lo, v28, v30
	v_add_co_ci_u32_e64 v31, null, v29, v31, vcc_lo
	flat_load_dword v30, v[30:31]
	s_waitcnt vmcnt(0) lgkmcnt(0)
	v_mul_f32_e32 v30, s7, v30
	s_branch .LBB14_334
.LBB14_333:
	v_mov_b32_e32 v30, 0
.LBB14_334:
	v_add_f32_e32 v31, v15, v23
	v_add_f32_e32 v32, v14, v22
	v_add_f32_e32 v33, v17, v25
	v_add_f32_e32 v34, v16, v24
	v_min3_f32 v35, v32, v31, v97
	v_lshlrev_b64 v[31:32], 2, v[82:83]
	v_min_f32_e32 v33, v34, v33
	v_min3_f32 v33, v30, v33, v35
	v_add_co_u32 v30, vcc_lo, v26, v31
	v_add_co_ci_u32_e64 v31, null, v27, v32, vcc_lo
	flat_store_dword v[30:31], v33
	s_or_b32 exec_lo, exec_lo, s8
	s_and_b32 s14, s2, s4
	s_and_saveexec_b32 s8, s14
	s_cbranch_execz .LBB14_326
.LBB14_335:
	v_cmp_ne_u32_e32 vcc_lo, 1, v88
	s_cbranch_vccnz .LBB14_337
; %bb.336:
	v_lshlrev_b64 v[30:31], 2, v[84:85]
	v_add_co_u32 v30, vcc_lo, v28, v30
	v_add_co_ci_u32_e64 v31, null, v29, v31, vcc_lo
	flat_load_dword v30, v[30:31]
	s_waitcnt vmcnt(0) lgkmcnt(0)
	v_mul_f32_e32 v30, s7, v30
	s_branch .LBB14_338
.LBB14_337:
	v_mov_b32_e32 v30, 0
.LBB14_338:
	v_add_f32_e32 v31, v11, v23
	v_add_f32_e32 v32, v10, v22
	;; [unrolled: 1-line block ×4, first 2 shown]
	v_min3_f32 v35, v32, v31, v96
	v_lshlrev_b64 v[31:32], 2, v[84:85]
	v_min_f32_e32 v33, v34, v33
	v_min3_f32 v33, v30, v33, v35
	v_add_co_u32 v30, vcc_lo, v26, v31
	v_add_co_ci_u32_e64 v31, null, v27, v32, vcc_lo
	flat_store_dword v[30:31], v33
	s_or_b32 exec_lo, exec_lo, s8
	s_and_b32 s8, s3, s4
	s_and_saveexec_b32 s4, s8
	s_cbranch_execz .LBB14_343
.LBB14_339:
	v_cmp_ne_u32_e32 vcc_lo, 1, v88
	s_cbranch_vccnz .LBB14_341
; %bb.340:
	v_lshlrev_b64 v[30:31], 2, v[86:87]
	v_add_co_u32 v28, vcc_lo, v28, v30
	v_add_co_ci_u32_e64 v29, null, v29, v31, vcc_lo
	flat_load_dword v28, v[28:29]
	s_waitcnt vmcnt(0) lgkmcnt(0)
	v_mul_f32_e32 v28, s7, v28
	s_branch .LBB14_342
.LBB14_341:
	v_mov_b32_e32 v28, 0
.LBB14_342:
	v_add_f32_e32 v23, v3, v23
	v_add_f32_e32 v22, v2, v22
	;; [unrolled: 1-line block ×4, first 2 shown]
	v_min3_f32 v29, v22, v23, v95
	v_lshlrev_b64 v[22:23], 2, v[86:87]
	v_min_f32_e32 v24, v24, v25
	v_min3_f32 v24, v28, v24, v29
	v_add_co_u32 v22, vcc_lo, v26, v22
	v_add_co_ci_u32_e64 v23, null, v27, v23, vcc_lo
	flat_store_dword v[22:23], v24
.LBB14_343:
	s_or_b32 exec_lo, exec_lo, s4
	v_add_nc_u32_e32 v26, 0x78, v89
	v_mad_i64_i32 v[22:23], null, v26, s6, 0
	v_mad_i64_i32 v[24:25], null, v26, s5, 0
	v_cmp_gt_i32_e64 s4, s9, v26
	v_lshlrev_b64 v[22:23], 2, v[22:23]
	s_and_b32 s5, s0, s4
	v_lshlrev_b64 v[26:27], 2, v[24:25]
	v_add_co_u32 v24, vcc_lo, s12, v22
	v_add_co_ci_u32_e64 v25, null, s13, v23, vcc_lo
	v_add_co_u32 v22, vcc_lo, s10, v26
	v_add_co_ci_u32_e64 v23, null, s11, v27, vcc_lo
	s_and_saveexec_b32 s0, s5
	s_cbranch_execnz .LBB14_348
; %bb.344:
	s_or_b32 exec_lo, exec_lo, s0
	s_and_b32 s1, s1, s4
	s_and_saveexec_b32 s0, s1
	s_cbranch_execnz .LBB14_352
.LBB14_345:
	s_or_b32 exec_lo, exec_lo, s0
	s_and_b32 s1, s2, s4
	s_and_saveexec_b32 s0, s1
	s_cbranch_execnz .LBB14_356
.LBB14_346:
	s_or_b32 exec_lo, exec_lo, s0
	s_and_b32 s0, s3, s4
	s_and_saveexec_b32 s1, s0
	s_cbranch_execnz .LBB14_360
.LBB14_347:
	s_endpgm
.LBB14_348:
	v_cmp_ne_u32_e32 vcc_lo, 1, v88
	v_lshlrev_b64 v[0:1], 2, v[0:1]
	s_cbranch_vccnz .LBB14_350
; %bb.349:
	v_add_co_u32 v26, vcc_lo, v24, v0
	v_add_co_ci_u32_e64 v27, null, v25, v1, vcc_lo
	flat_load_dword v26, v[26:27]
	s_waitcnt vmcnt(0) lgkmcnt(0)
	v_mul_f32_e32 v26, s7, v26
	s_branch .LBB14_351
.LBB14_350:
	v_mov_b32_e32 v26, 0
.LBB14_351:
	v_add_f32_e32 v19, v19, v7
	v_add_f32_e32 v18, v18, v6
	;; [unrolled: 1-line block ×4, first 2 shown]
	v_add_co_u32 v0, vcc_lo, v22, v0
	v_min3_f32 v18, v18, v19, v94
	v_add_co_ci_u32_e64 v1, null, v23, v1, vcc_lo
	v_min_f32_e32 v19, v20, v21
	v_min3_f32 v18, v26, v19, v18
	flat_store_dword v[0:1], v18
	s_or_b32 exec_lo, exec_lo, s0
	s_and_b32 s1, s1, s4
	s_and_saveexec_b32 s0, s1
	s_cbranch_execz .LBB14_345
.LBB14_352:
	v_cmp_ne_u32_e32 vcc_lo, 1, v88
	v_lshlrev_b64 v[0:1], 2, v[82:83]
	s_cbranch_vccnz .LBB14_354
; %bb.353:
	v_add_co_u32 v18, vcc_lo, v24, v0
	v_add_co_ci_u32_e64 v19, null, v25, v1, vcc_lo
	flat_load_dword v18, v[18:19]
	s_waitcnt vmcnt(0) lgkmcnt(0)
	v_mul_f32_e32 v18, s7, v18
	s_branch .LBB14_355
.LBB14_354:
	v_mov_b32_e32 v18, 0
.LBB14_355:
	v_add_f32_e32 v15, v15, v7
	v_add_f32_e32 v14, v14, v6
	;; [unrolled: 1-line block ×4, first 2 shown]
	v_add_co_u32 v0, vcc_lo, v22, v0
	v_min3_f32 v14, v14, v15, v93
	v_add_co_ci_u32_e64 v1, null, v23, v1, vcc_lo
	v_min_f32_e32 v15, v16, v17
	v_min3_f32 v14, v18, v15, v14
	flat_store_dword v[0:1], v14
	s_or_b32 exec_lo, exec_lo, s0
	s_and_b32 s1, s2, s4
	s_and_saveexec_b32 s0, s1
	s_cbranch_execz .LBB14_346
.LBB14_356:
	v_cmp_ne_u32_e32 vcc_lo, 1, v88
	v_lshlrev_b64 v[0:1], 2, v[84:85]
	s_cbranch_vccnz .LBB14_358
; %bb.357:
	v_add_co_u32 v14, vcc_lo, v24, v0
	v_add_co_ci_u32_e64 v15, null, v25, v1, vcc_lo
	flat_load_dword v14, v[14:15]
	s_waitcnt vmcnt(0) lgkmcnt(0)
	v_mul_f32_e32 v14, s7, v14
	s_branch .LBB14_359
.LBB14_358:
	v_mov_b32_e32 v14, 0
.LBB14_359:
	v_add_f32_e32 v11, v11, v7
	v_add_f32_e32 v10, v10, v6
	;; [unrolled: 1-line block ×4, first 2 shown]
	v_add_co_u32 v0, vcc_lo, v22, v0
	v_min3_f32 v10, v10, v11, v92
	v_add_co_ci_u32_e64 v1, null, v23, v1, vcc_lo
	v_min_f32_e32 v11, v12, v13
	v_min3_f32 v10, v14, v11, v10
	flat_store_dword v[0:1], v10
	s_or_b32 exec_lo, exec_lo, s0
	s_and_b32 s0, s3, s4
	s_and_saveexec_b32 s1, s0
	s_cbranch_execz .LBB14_347
.LBB14_360:
	v_cmp_ne_u32_e32 vcc_lo, 1, v88
	v_lshlrev_b64 v[0:1], 2, v[86:87]
	s_cbranch_vccnz .LBB14_362
; %bb.361:
	v_add_co_u32 v10, vcc_lo, v24, v0
	v_add_co_ci_u32_e64 v11, null, v25, v1, vcc_lo
	flat_load_dword v10, v[10:11]
	s_waitcnt vmcnt(0) lgkmcnt(0)
	v_mul_f32_e32 v10, s7, v10
	s_branch .LBB14_363
.LBB14_362:
	v_mov_b32_e32 v10, 0
.LBB14_363:
	v_add_f32_e32 v3, v3, v7
	v_add_f32_e32 v2, v2, v6
	;; [unrolled: 1-line block ×4, first 2 shown]
	v_add_co_u32 v0, vcc_lo, v22, v0
	v_min3_f32 v2, v2, v3, v102
	v_add_co_ci_u32_e64 v1, null, v23, v1, vcc_lo
	v_min_f32_e32 v3, v4, v5
	v_min3_f32 v2, v10, v3, v2
	flat_store_dword v[0:1], v2
	s_endpgm
	.section	.rodata,"a",@progbits
	.p2align	6, 0x0
	.amdhsa_kernel _ZN12_GLOBAL__N_120geam_min_plus_kernelIf15HIP_vector_typeIfLj2EEfLi32ELi8ELi128ELi128ELi4ELi4ELi64ELi4ELi64ELc84ELc78ELb0ELb1ELb1EfKPKfKPfEEviiiT16_PT17_ilSA_ilS8_SA_ilPT18_ili26rocblas_geam_ex_operation_
		.amdhsa_group_segment_fixed_size 8192
		.amdhsa_private_segment_fixed_size 0
		.amdhsa_kernarg_size 128
		.amdhsa_user_sgpr_count 6
		.amdhsa_user_sgpr_private_segment_buffer 1
		.amdhsa_user_sgpr_dispatch_ptr 0
		.amdhsa_user_sgpr_queue_ptr 0
		.amdhsa_user_sgpr_kernarg_segment_ptr 1
		.amdhsa_user_sgpr_dispatch_id 0
		.amdhsa_user_sgpr_flat_scratch_init 0
		.amdhsa_user_sgpr_private_segment_size 0
		.amdhsa_wavefront_size32 1
		.amdhsa_uses_dynamic_stack 0
		.amdhsa_system_sgpr_private_segment_wavefront_offset 0
		.amdhsa_system_sgpr_workgroup_id_x 1
		.amdhsa_system_sgpr_workgroup_id_y 0
		.amdhsa_system_sgpr_workgroup_id_z 1
		.amdhsa_system_sgpr_workgroup_info 0
		.amdhsa_system_vgpr_workitem_id 1
		.amdhsa_next_free_vgpr 176
		.amdhsa_next_free_sgpr 28
		.amdhsa_reserve_vcc 1
		.amdhsa_reserve_flat_scratch 0
		.amdhsa_float_round_mode_32 0
		.amdhsa_float_round_mode_16_64 0
		.amdhsa_float_denorm_mode_32 3
		.amdhsa_float_denorm_mode_16_64 3
		.amdhsa_dx10_clamp 1
		.amdhsa_ieee_mode 1
		.amdhsa_fp16_overflow 0
		.amdhsa_workgroup_processor_mode 1
		.amdhsa_memory_ordered 1
		.amdhsa_forward_progress 1
		.amdhsa_shared_vgpr_count 0
		.amdhsa_exception_fp_ieee_invalid_op 0
		.amdhsa_exception_fp_denorm_src 0
		.amdhsa_exception_fp_ieee_div_zero 0
		.amdhsa_exception_fp_ieee_overflow 0
		.amdhsa_exception_fp_ieee_underflow 0
		.amdhsa_exception_fp_ieee_inexact 0
		.amdhsa_exception_int_div_zero 0
	.end_amdhsa_kernel
	.section	.text._ZN12_GLOBAL__N_120geam_min_plus_kernelIf15HIP_vector_typeIfLj2EEfLi32ELi8ELi128ELi128ELi4ELi4ELi64ELi4ELi64ELc84ELc78ELb0ELb1ELb1EfKPKfKPfEEviiiT16_PT17_ilSA_ilS8_SA_ilPT18_ili26rocblas_geam_ex_operation_,"axG",@progbits,_ZN12_GLOBAL__N_120geam_min_plus_kernelIf15HIP_vector_typeIfLj2EEfLi32ELi8ELi128ELi128ELi4ELi4ELi64ELi4ELi64ELc84ELc78ELb0ELb1ELb1EfKPKfKPfEEviiiT16_PT17_ilSA_ilS8_SA_ilPT18_ili26rocblas_geam_ex_operation_,comdat
.Lfunc_end14:
	.size	_ZN12_GLOBAL__N_120geam_min_plus_kernelIf15HIP_vector_typeIfLj2EEfLi32ELi8ELi128ELi128ELi4ELi4ELi64ELi4ELi64ELc84ELc78ELb0ELb1ELb1EfKPKfKPfEEviiiT16_PT17_ilSA_ilS8_SA_ilPT18_ili26rocblas_geam_ex_operation_, .Lfunc_end14-_ZN12_GLOBAL__N_120geam_min_plus_kernelIf15HIP_vector_typeIfLj2EEfLi32ELi8ELi128ELi128ELi4ELi4ELi64ELi4ELi64ELc84ELc78ELb0ELb1ELb1EfKPKfKPfEEviiiT16_PT17_ilSA_ilS8_SA_ilPT18_ili26rocblas_geam_ex_operation_
                                        ; -- End function
	.set _ZN12_GLOBAL__N_120geam_min_plus_kernelIf15HIP_vector_typeIfLj2EEfLi32ELi8ELi128ELi128ELi4ELi4ELi64ELi4ELi64ELc84ELc78ELb0ELb1ELb1EfKPKfKPfEEviiiT16_PT17_ilSA_ilS8_SA_ilPT18_ili26rocblas_geam_ex_operation_.num_vgpr, 176
	.set _ZN12_GLOBAL__N_120geam_min_plus_kernelIf15HIP_vector_typeIfLj2EEfLi32ELi8ELi128ELi128ELi4ELi4ELi64ELi4ELi64ELc84ELc78ELb0ELb1ELb1EfKPKfKPfEEviiiT16_PT17_ilSA_ilS8_SA_ilPT18_ili26rocblas_geam_ex_operation_.num_agpr, 0
	.set _ZN12_GLOBAL__N_120geam_min_plus_kernelIf15HIP_vector_typeIfLj2EEfLi32ELi8ELi128ELi128ELi4ELi4ELi64ELi4ELi64ELc84ELc78ELb0ELb1ELb1EfKPKfKPfEEviiiT16_PT17_ilSA_ilS8_SA_ilPT18_ili26rocblas_geam_ex_operation_.numbered_sgpr, 28
	.set _ZN12_GLOBAL__N_120geam_min_plus_kernelIf15HIP_vector_typeIfLj2EEfLi32ELi8ELi128ELi128ELi4ELi4ELi64ELi4ELi64ELc84ELc78ELb0ELb1ELb1EfKPKfKPfEEviiiT16_PT17_ilSA_ilS8_SA_ilPT18_ili26rocblas_geam_ex_operation_.num_named_barrier, 0
	.set _ZN12_GLOBAL__N_120geam_min_plus_kernelIf15HIP_vector_typeIfLj2EEfLi32ELi8ELi128ELi128ELi4ELi4ELi64ELi4ELi64ELc84ELc78ELb0ELb1ELb1EfKPKfKPfEEviiiT16_PT17_ilSA_ilS8_SA_ilPT18_ili26rocblas_geam_ex_operation_.private_seg_size, 0
	.set _ZN12_GLOBAL__N_120geam_min_plus_kernelIf15HIP_vector_typeIfLj2EEfLi32ELi8ELi128ELi128ELi4ELi4ELi64ELi4ELi64ELc84ELc78ELb0ELb1ELb1EfKPKfKPfEEviiiT16_PT17_ilSA_ilS8_SA_ilPT18_ili26rocblas_geam_ex_operation_.uses_vcc, 1
	.set _ZN12_GLOBAL__N_120geam_min_plus_kernelIf15HIP_vector_typeIfLj2EEfLi32ELi8ELi128ELi128ELi4ELi4ELi64ELi4ELi64ELc84ELc78ELb0ELb1ELb1EfKPKfKPfEEviiiT16_PT17_ilSA_ilS8_SA_ilPT18_ili26rocblas_geam_ex_operation_.uses_flat_scratch, 0
	.set _ZN12_GLOBAL__N_120geam_min_plus_kernelIf15HIP_vector_typeIfLj2EEfLi32ELi8ELi128ELi128ELi4ELi4ELi64ELi4ELi64ELc84ELc78ELb0ELb1ELb1EfKPKfKPfEEviiiT16_PT17_ilSA_ilS8_SA_ilPT18_ili26rocblas_geam_ex_operation_.has_dyn_sized_stack, 0
	.set _ZN12_GLOBAL__N_120geam_min_plus_kernelIf15HIP_vector_typeIfLj2EEfLi32ELi8ELi128ELi128ELi4ELi4ELi64ELi4ELi64ELc84ELc78ELb0ELb1ELb1EfKPKfKPfEEviiiT16_PT17_ilSA_ilS8_SA_ilPT18_ili26rocblas_geam_ex_operation_.has_recursion, 0
	.set _ZN12_GLOBAL__N_120geam_min_plus_kernelIf15HIP_vector_typeIfLj2EEfLi32ELi8ELi128ELi128ELi4ELi4ELi64ELi4ELi64ELc84ELc78ELb0ELb1ELb1EfKPKfKPfEEviiiT16_PT17_ilSA_ilS8_SA_ilPT18_ili26rocblas_geam_ex_operation_.has_indirect_call, 0
	.section	.AMDGPU.csdata,"",@progbits
; Kernel info:
; codeLenInByte = 20372
; TotalNumSgprs: 30
; NumVgprs: 176
; ScratchSize: 0
; MemoryBound: 0
; FloatMode: 240
; IeeeMode: 1
; LDSByteSize: 8192 bytes/workgroup (compile time only)
; SGPRBlocks: 0
; VGPRBlocks: 21
; NumSGPRsForWavesPerEU: 30
; NumVGPRsForWavesPerEU: 176
; Occupancy: 5
; WaveLimiterHint : 1
; COMPUTE_PGM_RSRC2:SCRATCH_EN: 0
; COMPUTE_PGM_RSRC2:USER_SGPR: 6
; COMPUTE_PGM_RSRC2:TRAP_HANDLER: 0
; COMPUTE_PGM_RSRC2:TGID_X_EN: 1
; COMPUTE_PGM_RSRC2:TGID_Y_EN: 0
; COMPUTE_PGM_RSRC2:TGID_Z_EN: 1
; COMPUTE_PGM_RSRC2:TIDIG_COMP_CNT: 1
	.section	.text._ZN12_GLOBAL__N_120geam_min_plus_kernelIf15HIP_vector_typeIfLj2EEfLi8ELi32ELi64ELi256ELi4ELi64ELi4ELi64ELi4ELc78ELc84ELb0ELb0ELb1EPKfKS4_KPfEEviiiT16_PT17_ilSA_ilS8_SA_ilPT18_ili26rocblas_geam_ex_operation_,"axG",@progbits,_ZN12_GLOBAL__N_120geam_min_plus_kernelIf15HIP_vector_typeIfLj2EEfLi8ELi32ELi64ELi256ELi4ELi64ELi4ELi64ELi4ELc78ELc84ELb0ELb0ELb1EPKfKS4_KPfEEviiiT16_PT17_ilSA_ilS8_SA_ilPT18_ili26rocblas_geam_ex_operation_,comdat
	.globl	_ZN12_GLOBAL__N_120geam_min_plus_kernelIf15HIP_vector_typeIfLj2EEfLi8ELi32ELi64ELi256ELi4ELi64ELi4ELi64ELi4ELc78ELc84ELb0ELb0ELb1EPKfKS4_KPfEEviiiT16_PT17_ilSA_ilS8_SA_ilPT18_ili26rocblas_geam_ex_operation_ ; -- Begin function _ZN12_GLOBAL__N_120geam_min_plus_kernelIf15HIP_vector_typeIfLj2EEfLi8ELi32ELi64ELi256ELi4ELi64ELi4ELi64ELi4ELc78ELc84ELb0ELb0ELb1EPKfKS4_KPfEEviiiT16_PT17_ilSA_ilS8_SA_ilPT18_ili26rocblas_geam_ex_operation_
	.p2align	8
	.type	_ZN12_GLOBAL__N_120geam_min_plus_kernelIf15HIP_vector_typeIfLj2EEfLi8ELi32ELi64ELi256ELi4ELi64ELi4ELi64ELi4ELc78ELc84ELb0ELb0ELb1EPKfKS4_KPfEEviiiT16_PT17_ilSA_ilS8_SA_ilPT18_ili26rocblas_geam_ex_operation_,@function
_ZN12_GLOBAL__N_120geam_min_plus_kernelIf15HIP_vector_typeIfLj2EEfLi8ELi32ELi64ELi256ELi4ELi64ELi4ELi64ELi4ELc78ELc84ELb0ELb0ELb1EPKfKS4_KPfEEviiiT16_PT17_ilSA_ilS8_SA_ilPT18_ili26rocblas_geam_ex_operation_: ; @_ZN12_GLOBAL__N_120geam_min_plus_kernelIf15HIP_vector_typeIfLj2EEfLi8ELi32ELi64ELi256ELi4ELi64ELi4ELi64ELi4ELc78ELc84ELb0ELb0ELb1EPKfKS4_KPfEEviiiT16_PT17_ilSA_ilS8_SA_ilPT18_ili26rocblas_geam_ex_operation_
; %bb.0:
	s_clause 0x1
	s_load_dwordx4 s[0:3], s[4:5], 0x10
	s_load_dwordx4 s[8:11], s[4:5], 0x28
	s_mov_b32 s18, s7
	s_mov_b32 s19, 0
	s_lshl_b64 s[16:17], s[18:19], 2
	s_waitcnt lgkmcnt(0)
	s_add_u32 s0, s0, s16
	s_addc_u32 s1, s1, s17
	s_load_dword s24, s[0:1], 0x0
	s_clause 0x1
	s_load_dwordx4 s[12:15], s[4:5], 0x40
	s_load_dwordx2 s[20:21], s[4:5], 0x50
	s_waitcnt lgkmcnt(0)
	v_cmp_eq_f32_e64 s1, s24, 0
	s_add_u32 s22, s14, s16
	v_cmp_neq_f32_e64 s0, s24, 0
	s_addc_u32 s23, s15, s17
	s_mov_b64 s[14:15], 0
	s_and_b32 s1, exec_lo, s1
	s_mov_b64 s[16:17], 0
	s_mov_b32 vcc_lo, s1
	s_cbranch_vccnz .LBB15_2
; %bb.1:
	s_lshl_b64 s[16:17], s[18:19], 3
	s_add_u32 s2, s2, s16
	s_addc_u32 s3, s3, s17
	s_lshl_b64 s[8:9], s[8:9], 2
	s_load_dwordx2 s[2:3], s[2:3], 0x0
	s_waitcnt lgkmcnt(0)
	s_add_u32 s16, s2, s8
	s_addc_u32 s17, s3, s9
.LBB15_2:
	s_load_dword s3, s[22:23], 0x0
	v_cndmask_b32_e64 v2, 0, 1, s0
	s_andn2_b32 vcc_lo, exec_lo, s0
	v_cmp_ne_u32_e64 s2, 1, v2
	s_cbranch_vccnz .LBB15_4
; %bb.3:
	s_lshl_b64 s[8:9], s[18:19], 3
	s_add_u32 s8, s10, s8
	s_addc_u32 s9, s11, s9
	s_lshl_b64 s[10:11], s[12:13], 2
	s_load_dwordx2 s[8:9], s[8:9], 0x0
	s_waitcnt lgkmcnt(0)
	s_add_u32 s14, s8, s10
	s_addc_u32 s15, s9, s11
.LBB15_4:
	s_load_dwordx4 s[8:11], s[4:5], 0x60
	s_waitcnt lgkmcnt(0)
	v_cmp_eq_f32_e64 s0, s3, 0
	s_and_b32 s0, exec_lo, s0
	s_mov_b32 vcc_lo, s0
	s_cbranch_vccnz .LBB15_6
; %bb.5:
	s_lshl_b64 s[12:13], s[18:19], 3
	s_add_u32 s12, s20, s12
	s_addc_u32 s13, s21, s13
	s_lshl_b64 s[8:9], s[8:9], 2
	s_load_dwordx2 s[12:13], s[12:13], 0x0
	s_waitcnt lgkmcnt(0)
	s_add_u32 s8, s12, s8
	s_addc_u32 s9, s13, s9
	s_branch .LBB15_7
.LBB15_6:
	s_mov_b64 s[8:9], 0
.LBB15_7:
	s_clause 0x1
	s_load_dword s12, s[4:5], 0x20
	s_load_dword s7, s[4:5], 0x0
	s_lshl_b64 s[18:19], s[18:19], 3
	v_mov_b32_e32 v6, 0
	v_mov_b32_e32 v7, 0
	s_waitcnt lgkmcnt(0)
	s_ashr_i32 s13, s12, 31
	s_add_u32 s10, s10, s18
	s_addc_u32 s11, s11, s19
	s_add_i32 s7, s7, -1
	s_ashr_i32 s18, s7, 31
	s_lshr_b32 s18, s18, 26
	s_add_i32 s7, s7, s18
	s_ashr_i32 s7, s7, 6
	s_add_i32 s18, s7, 1
	s_not_b32 s7, s7
	v_cvt_f32_u32_e32 v2, s18
	v_rcp_iflag_f32_e32 v2, v2
	v_mul_f32_e32 v2, 0x4f7ffffe, v2
	v_cvt_u32_f32_e32 v2, v2
	v_readfirstlane_b32 s19, v2
	v_lshl_add_u32 v2, v1, 3, v0
	s_mul_i32 s7, s7, s19
	v_and_b32_e32 v67, 63, v2
	s_mul_hi_u32 s7, s19, s7
	v_lshrrev_b32_e32 v66, 6, v2
	s_add_i32 s19, s19, s7
	s_mul_hi_u32 s7, s6, s19
	s_mul_i32 s19, s7, s18
	s_add_i32 s20, s7, 1
	s_sub_i32 s19, s6, s19
	s_sub_i32 s21, s19, s18
	s_cmp_ge_u32 s19, s18
	s_cselect_b32 s7, s20, s7
	s_cselect_b32 s19, s21, s19
	s_add_i32 s20, s7, 1
	s_cmp_ge_u32 s19, s18
	s_cselect_b32 s19, s20, s7
	s_and_b32 vcc_lo, exec_lo, s2
	s_mul_i32 s7, s19, s18
	s_sub_i32 s18, s6, s7
	s_lshl_b32 s20, s18, 6
	v_or_b32_e32 v4, s20, v67
	v_ashrrev_i32_e32 v5, 31, v4
	s_cbranch_vccnz .LBB15_9
; %bb.8:
	v_mad_i64_i32 v[2:3], null, s12, v66, 0
	v_lshlrev_b64 v[7:8], 2, v[4:5]
	v_lshlrev_b64 v[2:3], 2, v[2:3]
	v_add_co_u32 v2, vcc_lo, s16, v2
	v_add_co_ci_u32_e64 v3, null, s17, v3, vcc_lo
	v_add_co_u32 v2, vcc_lo, v2, v7
	v_add_co_ci_u32_e64 v3, null, v3, v8, vcc_lo
	flat_load_dword v2, v[2:3]
	s_waitcnt vmcnt(0) lgkmcnt(0)
	v_mul_f32_e32 v7, s24, v2
.LBB15_9:
	s_load_dword s18, s[4:5], 0x38
	s_lshl_b32 s21, s19, 8
	v_or_b32_e32 v2, s21, v67
	v_ashrrev_i32_e32 v3, 31, v2
	s_waitcnt lgkmcnt(0)
	v_mad_i64_i32 v[8:9], null, v66, s18, 0
	v_lshlrev_b64 v[8:9], 2, v[8:9]
	v_add_co_u32 v11, vcc_lo, s14, v8
	v_add_co_ci_u32_e64 v12, null, s15, v9, vcc_lo
	v_mov_b32_e32 v8, 0
	s_and_b32 vcc_lo, exec_lo, s2
	s_cbranch_vccnz .LBB15_11
; %bb.10:
	v_lshlrev_b64 v[8:9], 2, v[2:3]
	v_add_co_u32 v8, vcc_lo, v11, v8
	v_add_co_ci_u32_e64 v9, null, v12, v9, vcc_lo
	s_clause 0x1
	flat_load_dword v6, v[8:9]
	flat_load_dword v9, v[8:9] offset:256
	s_waitcnt vmcnt(1) lgkmcnt(1)
	v_mul_f32_e32 v8, s24, v6
	s_waitcnt vmcnt(0) lgkmcnt(0)
	v_mul_f32_e32 v6, s24, v9
.LBB15_11:
	v_mov_b32_e32 v9, 0
	s_ashr_i32 s19, s18, 31
	s_mov_b32 vcc_lo, s1
	s_cbranch_vccz .LBB15_13
; %bb.12:
	s_mov_b32 s22, 0
	v_mov_b32_e32 v10, s22
	s_cbranch_execz .LBB15_14
	s_branch .LBB15_15
.LBB15_13:
                                        ; implicit-def: $vgpr10
.LBB15_14:
	v_lshlrev_b64 v[9:10], 2, v[2:3]
	v_add_co_u32 v9, vcc_lo, v11, v9
	v_add_co_ci_u32_e64 v10, null, v12, v10, vcc_lo
	s_clause 0x1
	flat_load_dword v11, v[9:10] offset:512
	flat_load_dword v9, v[9:10] offset:768
	s_waitcnt vmcnt(1) lgkmcnt(1)
	v_mul_f32_e32 v10, s24, v11
	s_waitcnt vmcnt(0) lgkmcnt(0)
	v_mul_f32_e32 v9, s24, v9
.LBB15_15:
	v_add_nc_u32_e32 v11, 4, v66
	v_mov_b32_e32 v68, 0
	v_mov_b32_e32 v69, 0
	s_and_b32 vcc_lo, exec_lo, s2
	s_cbranch_vccnz .LBB15_17
; %bb.16:
	v_mad_i64_i32 v[12:13], null, s12, v11, 0
	v_lshlrev_b64 v[4:5], 2, v[4:5]
	v_lshlrev_b64 v[12:13], 2, v[12:13]
	v_add_co_u32 v12, vcc_lo, s16, v12
	v_add_co_ci_u32_e64 v13, null, s17, v13, vcc_lo
	v_add_co_u32 v4, vcc_lo, v12, v4
	v_add_co_ci_u32_e64 v5, null, v13, v5, vcc_lo
	flat_load_dword v4, v[4:5]
	s_waitcnt vmcnt(0) lgkmcnt(0)
	v_mul_f32_e32 v69, s24, v4
.LBB15_17:
	v_mad_i64_i32 v[4:5], null, v11, s18, 0
	v_mov_b32_e32 v70, 0
	v_lshlrev_b64 v[4:5], 2, v[4:5]
	v_add_co_u32 v4, vcc_lo, s14, v4
	v_add_co_ci_u32_e64 v5, null, s15, v5, vcc_lo
	s_and_b32 vcc_lo, exec_lo, s2
	s_cbranch_vccnz .LBB15_19
; %bb.18:
	v_lshlrev_b64 v[11:12], 2, v[2:3]
	v_add_co_u32 v11, vcc_lo, v4, v11
	v_add_co_ci_u32_e64 v12, null, v5, v12, vcc_lo
	s_clause 0x1
	flat_load_dword v13, v[11:12]
	flat_load_dword v11, v[11:12] offset:256
	s_waitcnt vmcnt(1) lgkmcnt(1)
	v_mul_f32_e32 v70, s24, v13
	s_waitcnt vmcnt(0) lgkmcnt(0)
	v_mul_f32_e32 v68, s24, v11
.LBB15_19:
	v_mov_b32_e32 v71, 0
	s_mov_b32 vcc_lo, s1
	s_cbranch_vccz .LBB15_21
; %bb.20:
	s_mov_b32 s22, 0
	v_mov_b32_e32 v72, s22
	s_cbranch_execz .LBB15_22
	s_branch .LBB15_23
.LBB15_21:
                                        ; implicit-def: $vgpr72
.LBB15_22:
	v_lshlrev_b64 v[2:3], 2, v[2:3]
	v_add_co_u32 v2, vcc_lo, v4, v2
	v_add_co_ci_u32_e64 v3, null, v5, v3, vcc_lo
	s_clause 0x1
	flat_load_dword v4, v[2:3] offset:512
	flat_load_dword v2, v[2:3] offset:768
	s_waitcnt vmcnt(1) lgkmcnt(1)
	v_mul_f32_e32 v72, s24, v4
	s_waitcnt vmcnt(0) lgkmcnt(0)
	v_mul_f32_e32 v71, s24, v2
.LBB15_23:
	v_lshlrev_b32_e32 v2, 4, v67
	v_lshlrev_b32_e32 v79, 4, v0
	s_load_dwordx2 s[10:11], s[10:11], 0x0
	s_load_dword s22, s[4:5], 0x8
	v_lshlrev_b32_e32 v78, 4, v1
	v_lshl_add_u32 v80, v66, 2, v2
	ds_write_b32 v80, v7 offset:8192
	ds_write2st64_b32 v80, v8, v6 offset1:4
	ds_write2st64_b32 v80, v10, v9 offset0:8 offset1:12
	s_waitcnt lgkmcnt(0)
	s_barrier
	buffer_gl0_inv
	ds_read_b128 v[34:37], v79 offset:8192
	ds_read_b128 v[30:33], v79 offset:8320
	;; [unrolled: 1-line block ×8, first 2 shown]
	ds_read_b128 v[62:65], v78
	ds_read_b128 v[58:61], v78 offset:512
	ds_read_b128 v[54:57], v78 offset:1024
	;; [unrolled: 1-line block ×7, first 2 shown]
	ds_write_b32 v80, v69 offset:9216
	ds_write2st64_b32 v80, v70, v68 offset0:16 offset1:20
	ds_write2st64_b32 v80, v72, v71 offset0:24 offset1:28
	s_waitcnt lgkmcnt(0)
	s_barrier
	buffer_gl0_inv
	s_cmp_lt_i32 s22, 9
	v_add_f32_e32 v73, v35, v63
	v_add_f32_e32 v74, v34, v62
	v_min3_f32 v111, v74, v73, 0x7f7fffff
	v_add_f32_e32 v73, v31, v63
	v_add_f32_e32 v74, v30, v62
	;; [unrolled: 1-line block ×3, first 2 shown]
	v_min3_f32 v112, v74, v73, 0x7f7fffff
	v_add_f32_e32 v73, v27, v63
	v_add_f32_e32 v74, v26, v62
	v_min3_f32 v113, v74, v73, 0x7f7fffff
	v_add_f32_e32 v73, v19, v63
	v_add_f32_e32 v74, v18, v62
	v_min3_f32 v114, v74, v73, 0x7f7fffff
	v_add_f32_e32 v73, v15, v63
	v_add_f32_e32 v74, v14, v62
	v_min3_f32 v115, v74, v73, 0x7f7fffff
	v_add_f32_e32 v73, v11, v63
	v_add_f32_e32 v74, v10, v62
	v_min3_f32 v116, v74, v73, 0x7f7fffff
	v_add_f32_e32 v73, v7, v63
	v_add_f32_e32 v74, v6, v62
	v_add_f32_e32 v63, v3, v63
	v_add_f32_e32 v62, v2, v62
	v_min3_f32 v117, v74, v73, 0x7f7fffff
	v_min3_f32 v118, v62, v63, 0x7f7fffff
	v_add_f32_e32 v62, v35, v59
	v_add_f32_e32 v63, v34, v58
	v_min3_f32 v110, v63, v62, 0x7f7fffff
	v_add_f32_e32 v62, v31, v59
	v_add_f32_e32 v63, v30, v58
	v_min3_f32 v109, v63, v62, 0x7f7fffff
	v_add_f32_e32 v62, v27, v59
	v_add_f32_e32 v63, v26, v58
	v_min3_f32 v108, v63, v62, 0x7f7fffff
	v_add_f32_e32 v62, v19, v59
	v_add_f32_e32 v63, v18, v58
	v_min3_f32 v107, v63, v62, 0x7f7fffff
	v_add_f32_e32 v62, v15, v59
	v_add_f32_e32 v63, v14, v58
	v_min3_f32 v106, v63, v62, 0x7f7fffff
	v_add_f32_e32 v62, v11, v59
	v_add_f32_e32 v63, v10, v58
	v_min3_f32 v105, v63, v62, 0x7f7fffff
	v_add_f32_e32 v62, v7, v59
	v_add_f32_e32 v63, v6, v58
	v_add_f32_e32 v59, v3, v59
	v_add_f32_e32 v58, v2, v58
	v_min3_f32 v104, v63, v62, 0x7f7fffff
	v_min3_f32 v103, v58, v59, 0x7f7fffff
	v_add_f32_e32 v58, v35, v55
	v_add_f32_e32 v59, v34, v54
	v_min3_f32 v102, v59, v58, 0x7f7fffff
	v_add_f32_e32 v58, v31, v55
	v_add_f32_e32 v59, v30, v54
	;; [unrolled: 24-line block ×5, first 2 shown]
	v_min3_f32 v74, v47, v46, 0x7f7fffff
	v_add_f32_e32 v46, v27, v43
	v_add_f32_e32 v47, v26, v42
	v_min3_f32 v73, v47, v46, 0x7f7fffff
	v_add_f32_e32 v46, v19, v43
	v_add_f32_e32 v47, v18, v42
	;; [unrolled: 3-line block ×5, first 2 shown]
	v_add_f32_e32 v43, v3, v43
	v_add_f32_e32 v42, v2, v42
	;; [unrolled: 1-line block ×3, first 2 shown]
	v_min3_f32 v58, v47, v46, 0x7f7fffff
	v_min3_f32 v55, v42, v43, 0x7f7fffff
	v_add_f32_e32 v42, v35, v39
	v_add_f32_e32 v43, v34, v38
	;; [unrolled: 1-line block ×4, first 2 shown]
	v_min3_f32 v54, v43, v42, 0x7f7fffff
	v_add_f32_e32 v42, v31, v39
	v_add_f32_e32 v43, v30, v38
	v_min3_f32 v34, v34, v35, 0x7f7fffff
	v_add_f32_e32 v31, v31, v23
	v_add_f32_e32 v30, v30, v22
	v_min3_f32 v51, v43, v42, 0x7f7fffff
	v_add_f32_e32 v42, v27, v39
	v_add_f32_e32 v43, v26, v38
	v_min3_f32 v30, v30, v31, 0x7f7fffff
	v_add_f32_e32 v27, v27, v23
	v_add_f32_e32 v26, v26, v22
	v_min3_f32 v50, v43, v42, 0x7f7fffff
	v_add_f32_e32 v42, v19, v39
	v_add_f32_e32 v43, v18, v38
	v_min3_f32 v26, v26, v27, 0x7f7fffff
	v_add_f32_e32 v19, v19, v23
	v_add_f32_e32 v18, v18, v22
	v_min3_f32 v47, v43, v42, 0x7f7fffff
	v_add_f32_e32 v42, v15, v39
	v_add_f32_e32 v43, v14, v38
	v_min3_f32 v18, v18, v19, 0x7f7fffff
	v_add_f32_e32 v15, v15, v23
	v_add_f32_e32 v14, v14, v22
	v_min3_f32 v46, v43, v42, 0x7f7fffff
	v_add_f32_e32 v42, v11, v39
	v_add_f32_e32 v43, v10, v38
	v_add_f32_e32 v38, v2, v38
	v_add_f32_e32 v2, v2, v22
	v_min3_f32 v14, v14, v15, 0x7f7fffff
	v_add_f32_e32 v11, v11, v23
	v_min3_f32 v43, v43, v42, 0x7f7fffff
	v_add_f32_e32 v42, v7, v39
	v_add_f32_e32 v39, v3, v39
	v_add_f32_e32 v7, v7, v23
	v_add_f32_e32 v3, v3, v23
	v_add_f32_e32 v10, v10, v22
	v_min3_f32 v42, v119, v42, 0x7f7fffff
	v_min3_f32 v38, v38, v39, 0x7f7fffff
	;; [unrolled: 1-line block ×4, first 2 shown]
	v_add_f32_e32 v3, v37, v65
	v_add_f32_e32 v7, v36, v64
	v_min3_f32 v10, v10, v11, 0x7f7fffff
	v_min3_f32 v144, v7, v3, v111
	v_add_f32_e32 v3, v33, v65
	v_add_f32_e32 v7, v32, v64
	v_min3_f32 v141, v7, v3, v112
	v_add_f32_e32 v3, v29, v65
	v_add_f32_e32 v7, v28, v64
	;; [unrolled: 3-line block ×55, first 2 shown]
	v_add_f32_e32 v4, v4, v24
	v_min3_f32 v88, v7, v3, v38
	v_add_f32_e32 v3, v37, v25
	v_add_f32_e32 v7, v36, v24
	v_min3_f32 v89, v7, v3, v34
	v_add_f32_e32 v3, v33, v25
	;; [unrolled: 3-line block ×8, first 2 shown]
	v_min3_f32 v85, v4, v3, v2
	s_cbranch_scc1 .LBB15_46
; %bb.24:
	v_add_nc_u32_e32 v6, 12, v66
	v_lshl_or_b32 v4, s6, 6, v67
	s_lshl_b32 s6, s7, 6
	v_add_nc_u32_e32 v10, 8, v66
	v_or_b32_e32 v145, 0x2000, v80
	v_mad_i64_i32 v[2:3], null, v6, s12, 0
	v_subrev_nc_u32_e32 v4, s6, v4
	v_mad_i64_i32 v[6:7], null, v6, s18, 0
	v_mad_i64_i32 v[8:9], null, v10, s12, 0
	v_ashrrev_i32_e32 v5, 31, v4
	v_lshlrev_b64 v[70:71], 2, v[2:3]
	v_add_nc_u32_e32 v2, s21, v67
	v_mad_i64_i32 v[10:11], null, v10, s18, 0
	v_lshlrev_b64 v[4:5], 2, v[4:5]
	v_lshlrev_b64 v[72:73], 2, v[6:7]
	v_ashrrev_i32_e32 v3, 31, v2
	v_lshlrev_b64 v[74:75], 2, v[8:9]
	v_or_b32_e32 v146, 0x2000, v79
	v_add_nc_u32_e32 v147, 0x2400, v80
	v_add_co_u32 v151, vcc_lo, s16, v4
	v_lshlrev_b64 v[2:3], 2, v[2:3]
	v_add_co_ci_u32_e64 v152, null, s17, v5, vcc_lo
	v_lshlrev_b64 v[76:77], 2, v[10:11]
	v_or_b32_e32 v148, 0x1000, v80
	v_lshl_add_u32 v149, v0, 4, 0x2400
	v_add_co_u32 v153, vcc_lo, s14, v2
	v_lshl_or_b32 v150, v1, 4, 0x1000
	v_add_co_ci_u32_e64 v154, null, s15, v3, vcc_lo
	s_add_i32 s22, s22, -8
	s_lshl_b64 s[6:7], s[12:13], 5
	s_lshl_b64 s[12:13], s[18:19], 5
	s_mov_b32 s14, 0
	s_mov_b32 s15, 0
	s_branch .LBB15_26
.LBB15_25:                              ;   in Loop: Header=BB15_26 Depth=1
	v_add_f32_e32 v3, v39, v67
	v_add_f32_e32 v4, v38, v66
	;; [unrolled: 1-line block ×6, first 2 shown]
	v_min3_f32 v144, v4, v3, v144
	v_add_f32_e32 v3, v27, v67
	v_min3_f32 v159, v159, v5, v141
	v_add_f32_e32 v4, v26, v66
	;; [unrolled: 2-line block ×3, first 2 shown]
	v_add_f32_e32 v141, v22, v66
	v_add_f32_e32 v160, v19, v67
	;; [unrolled: 1-line block ×7, first 2 shown]
	v_min3_f32 v164, v4, v3, v138
	v_min3_f32 v141, v141, v5, v143
	;; [unrolled: 1-line block ×5, first 2 shown]
	v_add_f32_e32 v3, v39, v63
	v_add_f32_e32 v4, v38, v62
	;; [unrolled: 1-line block ×10, first 2 shown]
	v_min3_f32 v137, v4, v3, v137
	v_min3_f32 v136, v66, v5, v134
	v_add_f32_e32 v3, v19, v63
	v_add_f32_e32 v4, v18, v62
	;; [unrolled: 1-line block ×6, first 2 shown]
	v_min3_f32 v134, v143, v67, v135
	v_min3_f32 v132, v161, v160, v132
	v_add_f32_e32 v67, v39, v59
	v_add_f32_e32 v143, v38, v58
	v_add_f32_e32 v160, v35, v59
	v_add_f32_e32 v161, v34, v58
	v_min3_f32 v135, v4, v3, v129
	v_min3_f32 v129, v66, v5, v131
	;; [unrolled: 1-line block ×3, first 2 shown]
	v_add_f32_e32 v3, v31, v59
	v_add_f32_e32 v4, v30, v58
	v_add_f32_e32 v5, v27, v59
	v_add_f32_e32 v62, v26, v58
	v_min3_f32 v130, v143, v67, v130
	v_min3_f32 v127, v161, v160, v127
	v_add_f32_e32 v63, v23, v59
	v_add_f32_e32 v66, v22, v58
	v_add_f32_e32 v67, v19, v59
	v_add_f32_e32 v143, v18, v58
	v_add_f32_e32 v160, v15, v59
	v_add_f32_e32 v161, v14, v58
	v_min3_f32 v131, v4, v3, v126
	v_min3_f32 v124, v62, v5, v124
	v_add_f32_e32 v3, v7, v59
	v_add_f32_e32 v4, v6, v58
	;; [unrolled: 8-line block ×3, first 2 shown]
	v_add_f32_e32 v67, v27, v55
	v_add_f32_e32 v143, v26, v54
	v_min3_f32 v126, v4, v3, v120
	v_min3_f32 v120, v58, v5, v121
	;; [unrolled: 1-line block ×3, first 2 shown]
	v_add_f32_e32 v3, v23, v55
	v_add_f32_e32 v4, v22, v54
	;; [unrolled: 1-line block ×8, first 2 shown]
	v_min3_f32 v119, v66, v63, v119
	v_add_f32_e32 v63, v39, v51
	v_add_f32_e32 v66, v38, v50
	v_min3_f32 v121, v4, v3, v116
	v_min3_f32 v114, v58, v5, v114
	;; [unrolled: 1-line block ×4, first 2 shown]
	v_add_f32_e32 v3, v35, v51
	v_add_f32_e32 v4, v34, v50
	;; [unrolled: 1-line block ×8, first 2 shown]
	v_min3_f32 v117, v143, v67, v117
	v_min3_f32 v113, v66, v63, v113
	v_add_f32_e32 v63, v19, v51
	v_add_f32_e32 v66, v18, v50
	v_min3_f32 v116, v4, v3, v110
	v_min3_f32 v110, v54, v5, v111
	;; [unrolled: 1-line block ×4, first 2 shown]
	v_add_f32_e32 v3, v15, v51
	v_add_f32_e32 v4, v14, v50
	;; [unrolled: 1-line block ×10, first 2 shown]
	v_min3_f32 v107, v66, v63, v107
	v_min3_f32 v106, v4, v3, v106
	;; [unrolled: 1-line block ×6, first 2 shown]
	v_add_f32_e32 v3, v27, v47
	v_add_f32_e32 v4, v26, v46
	;; [unrolled: 1-line block ×10, first 2 shown]
	v_min3_f32 v100, v4, v3, v100
	v_min3_f32 v54, v50, v5, v101
	;; [unrolled: 1-line block ×5, first 2 shown]
	v_add_f32_e32 v3, v39, v43
	v_add_f32_e32 v4, v38, v42
	;; [unrolled: 1-line block ×10, first 2 shown]
	v_min3_f32 v96, v4, v3, v97
	v_min3_f32 v46, v46, v5, v94
	;; [unrolled: 1-line block ×4, first 2 shown]
	v_add_f32_e32 v3, v19, v43
	v_add_f32_e32 v4, v18, v42
	;; [unrolled: 1-line block ×6, first 2 shown]
	v_min3_f32 v51, v101, v99, v93
	v_add_f32_e32 v93, v35, v11
	v_min3_f32 v35, v4, v3, v90
	v_min3_f32 v3, v92, v5, v91
	v_min3_f32 v5, v38, v39, v89
	v_add_f32_e32 v31, v31, v11
	v_add_f32_e32 v30, v30, v10
	;; [unrolled: 1-line block ×13, first 2 shown]
	v_min3_f32 v14, v30, v31, v86
	v_min3_f32 v22, v26, v27, v83
	;; [unrolled: 1-line block ×5, first 2 shown]
	v_add_f32_e32 v7, v7, v11
	v_add_f32_e32 v6, v6, v10
	;; [unrolled: 1-line block ×10, first 2 shown]
	v_min3_f32 v4, v42, v43, v88
	v_min3_f32 v7, v6, v7, v85
	;; [unrolled: 1-line block ×6, first 2 shown]
	v_add_f32_e32 v6, v25, v69
	v_add_f32_e32 v10, v24, v68
	;; [unrolled: 1-line block ×10, first 2 shown]
	v_min3_f32 v133, v163, v162, v133
	v_min3_f32 v34, v34, v93, v87
	v_min3_f32 v69, v10, v6, v141
	v_min3_f32 v84, v18, v15, v138
	v_min3_f32 v85, v30, v19, v139
	v_min3_f32 v86, v38, v31, v140
	v_min3_f32 v87, v42, v39, v137
	v_add_f32_e32 v6, v37, v65
	v_add_f32_e32 v10, v36, v64
	;; [unrolled: 1-line block ×10, first 2 shown]
	v_min3_f32 v88, v10, v6, v136
	v_min3_f32 v89, v18, v15, v134
	;; [unrolled: 1-line block ×5, first 2 shown]
	v_add_f32_e32 v6, v17, v65
	v_add_f32_e32 v10, v16, v64
	;; [unrolled: 1-line block ×10, first 2 shown]
	v_min3_f32 v123, v161, v160, v123
	v_min3_f32 v93, v10, v6, v129
	;; [unrolled: 1-line block ×6, first 2 shown]
	v_add_f32_e32 v6, v29, v61
	v_add_f32_e32 v10, v28, v60
	v_add_f32_e32 v15, v25, v61
	v_add_f32_e32 v18, v24, v60
	v_add_f32_e32 v19, v21, v61
	v_add_f32_e32 v30, v20, v60
	v_add_f32_e32 v31, v17, v61
	v_add_f32_e32 v38, v16, v60
	v_add_f32_e32 v39, v9, v61
	v_add_f32_e32 v42, v8, v60
	v_min3_f32 v99, v10, v6, v124
	v_min3_f32 v101, v18, v15, v125
	v_min3_f32 v102, v30, v19, v122
	v_min3_f32 v103, v38, v31, v123
	v_min3_f32 v104, v42, v39, v126
	v_add_f32_e32 v6, v41, v57
	v_add_f32_e32 v10, v40, v56
	v_add_f32_e32 v15, v37, v57
	v_add_f32_e32 v18, v36, v56
	v_add_f32_e32 v19, v33, v57
	v_add_f32_e32 v30, v32, v56
	v_add_f32_e32 v31, v29, v57
	v_add_f32_e32 v38, v28, v56
	v_add_f32_e32 v39, v25, v57
	v_add_f32_e32 v42, v24, v56
	v_min3_f32 v105, v10, v6, v120
	v_min3_f32 v111, v18, v15, v118
	v_min3_f32 v118, v30, v19, v119
	v_min3_f32 v117, v38, v31, v117
	v_min3_f32 v119, v42, v39, v121
	;; [unrolled: 15-line block ×8, first 2 shown]
	v_add_f32_e32 v10, v29, v13
	v_add_f32_e32 v25, v25, v13
	;; [unrolled: 1-line block ×6, first 2 shown]
	ds_read_b128 v[3:6], v146
	ds_read_b128 v[61:64], v78
	v_add_f32_e32 v9, v9, v13
	ds_read_b128 v[13:16], v146 offset:128
	ds_read_b128 v[17:20], v146 offset:256
	v_add_f32_e32 v28, v28, v12
	v_add_f32_e32 v24, v24, v12
	;; [unrolled: 1-line block ×3, first 2 shown]
	v_min3_f32 v139, v29, v21, v26
	v_min3_f32 v140, v31, v30, v27
	;; [unrolled: 1-line block ×5, first 2 shown]
	ds_read_b128 v[33:36], v146 offset:384
	ds_read_b128 v[29:32], v146 offset:512
	;; [unrolled: 1-line block ×12, first 2 shown]
	v_add_co_u32 v151, vcc_lo, v151, s6
	v_add_co_ci_u32_e64 v152, null, s7, v152, vcc_lo
	v_add_co_u32 v153, vcc_lo, v153, s12
	s_waitcnt lgkmcnt(14)
	v_add_f32_e32 v142, v4, v62
	v_add_f32_e32 v143, v3, v61
	s_waitcnt lgkmcnt(13)
	v_add_f32_e32 v144, v14, v62
	v_add_f32_e32 v159, v13, v61
	;; [unrolled: 3-line block ×3, first 2 shown]
	v_min3_f32 v11, v143, v142, v11
	s_waitcnt lgkmcnt(11)
	v_add_f32_e32 v142, v34, v62
	v_min3_f32 v81, v159, v144, v81
	v_add_f32_e32 v143, v33, v61
	v_min3_f32 v82, v161, v160, v82
	s_waitcnt lgkmcnt(10)
	v_add_f32_e32 v144, v30, v62
	v_add_f32_e32 v159, v29, v61
	s_waitcnt lgkmcnt(9)
	v_add_f32_e32 v160, v26, v62
	v_add_f32_e32 v161, v25, v61
	;; [unrolled: 3-line block ×4, first 2 shown]
	v_min3_f32 v83, v143, v142, v83
	v_min3_f32 v69, v159, v144, v69
	;; [unrolled: 1-line block ×5, first 2 shown]
	s_waitcnt lgkmcnt(6)
	v_add_f32_e32 v62, v4, v66
	v_add_f32_e32 v86, v3, v65
	;; [unrolled: 1-line block ×10, first 2 shown]
	v_min3_f32 v62, v86, v62, v87
	v_min3_f32 v86, v143, v142, v88
	;; [unrolled: 1-line block ×5, first 2 shown]
	v_add_f32_e32 v90, v26, v66
	v_add_f32_e32 v91, v25, v65
	;; [unrolled: 1-line block ×6, first 2 shown]
	s_waitcnt lgkmcnt(5)
	v_add_f32_e32 v144, v4, v58
	v_add_f32_e32 v159, v3, v57
	;; [unrolled: 1-line block ×4, first 2 shown]
	v_min3_f32 v90, v91, v90, v92
	v_min3_f32 v91, v143, v142, v93
	;; [unrolled: 1-line block ×5, first 2 shown]
	v_add_f32_e32 v93, v18, v58
	v_add_f32_e32 v94, v17, v57
	;; [unrolled: 1-line block ×10, first 2 shown]
	v_min3_f32 v93, v94, v93, v98
	v_min3_f32 v94, v97, v95, v99
	;; [unrolled: 1-line block ×5, first 2 shown]
	v_add_f32_e32 v58, v8, v58
	v_add_f32_e32 v57, v7, v57
	s_waitcnt lgkmcnt(4)
	v_add_f32_e32 v99, v4, v54
	v_add_f32_e32 v101, v3, v53
	;; [unrolled: 1-line block ×8, first 2 shown]
	v_min3_f32 v57, v57, v58, v104
	v_min3_f32 v58, v101, v99, v105
	;; [unrolled: 1-line block ×5, first 2 shown]
	v_add_f32_e32 v103, v30, v54
	v_add_f32_e32 v104, v29, v53
	;; [unrolled: 1-line block ×8, first 2 shown]
	s_waitcnt lgkmcnt(3)
	v_add_f32_e32 v142, v4, v50
	v_add_f32_e32 v143, v3, v49
	v_min3_f32 v103, v104, v103, v119
	v_min3_f32 v104, v111, v105, v114
	;; [unrolled: 1-line block ×5, first 2 shown]
	v_add_f32_e32 v111, v14, v50
	v_add_f32_e32 v112, v13, v49
	;; [unrolled: 1-line block ×10, first 2 shown]
	v_min3_f32 v111, v112, v111, v116
	v_min3_f32 v159, v114, v113, v110
	;; [unrolled: 1-line block ×4, first 2 shown]
	v_add_f32_e32 v110, v22, v50
	v_add_f32_e32 v112, v21, v49
	;; [unrolled: 1-line block ×4, first 2 shown]
	s_waitcnt lgkmcnt(2)
	v_add_f32_e32 v113, v4, v46
	v_add_f32_e32 v114, v3, v45
	;; [unrolled: 1-line block ×6, first 2 shown]
	v_min3_f32 v106, v112, v110, v106
	v_min3_f32 v49, v49, v50, v120
	;; [unrolled: 1-line block ×5, first 2 shown]
	v_add_f32_e32 v110, v34, v46
	v_add_f32_e32 v112, v33, v45
	;; [unrolled: 1-line block ×10, first 2 shown]
	v_min3_f32 v100, v112, v110, v100
	v_min3_f32 v162, v114, v113, v124
	s_waitcnt lgkmcnt(1)
	v_add_f32_e32 v110, v3, v41
	v_add_f32_e32 v112, v14, v42
	v_min3_f32 v45, v45, v46, v127
	v_add_f32_e32 v46, v4, v42
	v_add_f32_e32 v113, v13, v41
	s_waitcnt lgkmcnt(0)
	v_add_f32_e32 v4, v4, v38
	v_add_f32_e32 v3, v3, v37
	v_add_f32_e32 v14, v14, v38
	v_add_f32_e32 v13, v13, v37
	v_min3_f32 v163, v116, v115, v125
	v_add_f32_e32 v114, v18, v42
	v_add_f32_e32 v115, v17, v41
	v_min3_f32 v165, v113, v112, v128
	v_add_f32_e32 v112, v22, v42
	v_add_f32_e32 v113, v21, v41
	v_min3_f32 v3, v3, v4, v135
	v_min3_f32 v4, v13, v14, v136
	v_add_f32_e32 v13, v18, v38
	v_add_f32_e32 v14, v17, v37
	;; [unrolled: 1-line block ×6, first 2 shown]
	v_min3_f32 v164, v118, v117, v126
	v_add_f32_e32 v116, v34, v42
	v_add_f32_e32 v117, v33, v41
	;; [unrolled: 1-line block ×4, first 2 shown]
	v_min3_f32 v46, v110, v46, v96
	v_add_f32_e32 v96, v26, v42
	v_add_f32_e32 v110, v25, v41
	;; [unrolled: 1-line block ×4, first 2 shown]
	v_min3_f32 v12, v18, v17, v12
	v_min3_f32 v18, v21, v22, v140
	v_add_f32_e32 v8, v8, v38
	v_add_f32_e32 v7, v7, v37
	;; [unrolled: 1-line block ×10, first 2 shown]
	v_min3_f32 v7, v7, v8, v141
	v_min3_f32 v144, v22, v21, v11
	v_add_f32_e32 v8, v32, v64
	v_add_f32_e32 v11, v31, v63
	v_min3_f32 v107, v143, v142, v107
	v_min3_f32 v13, v14, v13, v137
	;; [unrolled: 1-line block ×4, first 2 shown]
	v_add_f32_e32 v25, v16, v64
	v_add_f32_e32 v26, v15, v63
	;; [unrolled: 1-line block ×4, first 2 shown]
	v_min3_f32 v138, v34, v33, v83
	v_add_f32_e32 v21, v28, v64
	v_add_f32_e32 v22, v27, v63
	;; [unrolled: 1-line block ×4, first 2 shown]
	v_min3_f32 v143, v11, v8, v69
	v_add_f32_e32 v8, v16, v68
	v_add_f32_e32 v11, v15, v67
	v_min3_f32 v41, v41, v42, v134
	v_min3_f32 v141, v26, v25, v81
	v_min3_f32 v142, v30, v29, v82
	v_add_f32_e32 v25, v24, v64
	v_add_f32_e32 v26, v23, v63
	v_add_f32_e32 v29, v10, v64
	v_add_f32_e32 v30, v9, v63
	v_min3_f32 v139, v22, v21, v84
	v_min3_f32 v137, v34, v33, v62
	v_add_f32_e32 v21, v20, v68
	v_add_f32_e32 v22, v19, v67
	v_add_f32_e32 v33, v28, v68
	v_add_f32_e32 v34, v27, v67
	v_min3_f32 v134, v11, v8, v86
	v_add_f32_e32 v8, v24, v68
	v_add_f32_e32 v11, v23, v67
	v_min3_f32 v166, v115, v114, v129
	v_min3_f32 v168, v119, v118, v131
	v_min3_f32 v140, v26, v25, v85
	v_min3_f32 v136, v30, v29, v61
	v_add_f32_e32 v25, v36, v68
	v_add_f32_e32 v26, v35, v67
	v_add_f32_e32 v29, v32, v68
	v_add_f32_e32 v30, v31, v67
	v_min3_f32 v135, v22, v21, v87
	v_min3_f32 v129, v34, v33, v90
	v_add_f32_e32 v21, v10, v68
	v_add_f32_e32 v22, v9, v67
	v_add_f32_e32 v33, v20, v60
	v_add_f32_e32 v34, v19, v59
	v_min3_f32 v131, v11, v8, v91
	v_add_f32_e32 v8, v36, v60
	v_add_f32_e32 v11, v35, v59
	v_min3_f32 v169, v110, v96, v132
	;; [unrolled: 17-line block ×3, first 2 shown]
	v_min3_f32 v130, v26, v25, v66
	v_min3_f32 v127, v30, v29, v92
	v_add_f32_e32 v25, v28, v60
	v_add_f32_e32 v26, v27, v59
	;; [unrolled: 1-line block ×4, first 2 shown]
	v_min3_f32 v125, v22, v21, v95
	v_min3_f32 v120, v34, v33, v57
	v_add_f32_e32 v21, v16, v56
	v_add_f32_e32 v22, v15, v55
	;; [unrolled: 1-line block ×4, first 2 shown]
	v_min3_f32 v121, v11, v8, v58
	v_add_f32_e32 v8, v28, v56
	v_add_f32_e32 v11, v27, v55
	v_min3_f32 v122, v26, v25, v97
	v_min3_f32 v123, v30, v29, v98
	v_add_f32_e32 v25, v20, v56
	v_add_f32_e32 v26, v19, v55
	;; [unrolled: 1-line block ×4, first 2 shown]
	v_min3_f32 v118, v22, v21, v99
	v_min3_f32 v116, v34, v33, v103
	v_add_f32_e32 v21, v24, v56
	v_add_f32_e32 v22, v23, v55
	v_add_f32_e32 v33, v16, v52
	v_add_f32_e32 v34, v15, v51
	v_min3_f32 v114, v11, v8, v104
	v_add_f32_e32 v8, v20, v52
	v_add_f32_e32 v11, v19, v51
	v_min3_f32 v119, v26, v25, v101
	v_min3_f32 v117, v30, v29, v102
	v_add_f32_e32 v25, v10, v56
	v_add_f32_e32 v26, v9, v55
	v_add_f32_e32 v29, v6, v52
	v_add_f32_e32 v30, v5, v51
	v_min3_f32 v115, v22, v21, v105
	v_min3_f32 v110, v34, v33, v111
	v_add_f32_e32 v21, v36, v52
	v_add_f32_e32 v22, v35, v51
	v_min3_f32 v111, v11, v8, v159
	v_add_f32_e32 v8, v10, v52
	v_add_f32_e32 v11, v9, v51
	v_min3_f32 v112, v26, v25, v53
	v_min3_f32 v113, v30, v29, v54
	v_add_f32_e32 v25, v32, v52
	v_add_f32_e32 v26, v31, v51
	;; [unrolled: 1-line block ×6, first 2 shown]
	v_min3_f32 v108, v22, v21, v108
	v_add_f32_e32 v21, v6, v48
	v_add_f32_e32 v22, v5, v47
	v_min3_f32 v104, v11, v8, v49
	v_add_f32_e32 v8, v32, v48
	v_add_f32_e32 v11, v31, v47
	v_min3_f32 v109, v26, v25, v109
	v_min3_f32 v107, v30, v29, v107
	;; [unrolled: 1-line block ×3, first 2 shown]
	v_add_f32_e32 v25, v16, v48
	v_add_f32_e32 v26, v15, v47
	;; [unrolled: 1-line block ×6, first 2 shown]
	v_min3_f32 v105, v22, v21, v50
	v_add_f32_e32 v21, v28, v48
	v_add_f32_e32 v22, v27, v47
	v_min3_f32 v101, v11, v8, v162
	v_add_f32_e32 v8, v16, v44
	v_add_f32_e32 v11, v15, v43
	v_min3_f32 v102, v26, v25, v160
	v_min3_f32 v103, v30, v29, v161
	;; [unrolled: 1-line block ×3, first 2 shown]
	v_add_f32_e32 v25, v24, v48
	v_add_f32_e32 v26, v23, v47
	;; [unrolled: 1-line block ×6, first 2 shown]
	v_min3_f32 v98, v22, v21, v163
	v_add_f32_e32 v21, v20, v44
	v_add_f32_e32 v22, v19, v43
	v_min3_f32 v94, v11, v8, v165
	v_add_f32_e32 v8, v24, v44
	v_add_f32_e32 v11, v23, v43
	;; [unrolled: 1-line block ×8, first 2 shown]
	v_min3_f32 v99, v26, v25, v164
	v_min3_f32 v96, v30, v29, v45
	;; [unrolled: 1-line block ×3, first 2 shown]
	v_add_f32_e32 v25, v36, v44
	v_add_f32_e32 v26, v35, v43
	;; [unrolled: 1-line block ×6, first 2 shown]
	v_min3_f32 v95, v22, v21, v166
	v_add_f32_e32 v21, v10, v44
	v_add_f32_e32 v22, v9, v43
	v_min3_f32 v91, v11, v8, v170
	v_min3_f32 v89, v5, v6, v3
	;; [unrolled: 1-line block ×4, first 2 shown]
	v_add_f32_e32 v3, v36, v40
	v_add_f32_e32 v4, v35, v39
	v_add_f32_e32 v5, v32, v40
	v_add_f32_e32 v6, v31, v39
	v_add_f32_e32 v8, v28, v40
	v_add_f32_e32 v11, v27, v39
	v_add_f32_e32 v13, v24, v40
	v_add_f32_e32 v15, v23, v39
	v_add_f32_e32 v10, v10, v40
	v_add_f32_e32 v9, v9, v39
	v_min3_f32 v92, v26, v25, v167
	v_min3_f32 v93, v30, v29, v168
	;; [unrolled: 1-line block ×9, first 2 shown]
	v_add_co_ci_u32_e64 v154, null, s13, v154, vcc_lo
	s_add_i32 s15, s15, 8
	ds_write_b32 v147, v155
	ds_write2st64_b32 v148, v2, v156 offset1:4
	ds_write2st64_b32 v148, v157, v158 offset0:8 offset1:12
	s_cmp_ge_i32 s15, s22
	s_waitcnt lgkmcnt(0)
	s_barrier
	buffer_gl0_inv
	s_cbranch_scc1 .LBB15_46
.LBB15_26:                              ; =>This Inner Loop Header: Depth=1
	s_and_b32 vcc_lo, exec_lo, s2
	s_cbranch_vccnz .LBB15_45
; %bb.27:                               ;   in Loop: Header=BB15_26 Depth=1
	v_add_co_u32 v2, vcc_lo, v151, v74
	v_add_co_ci_u32_e64 v3, null, v152, v75, vcc_lo
	flat_load_dword v2, v[2:3]
	s_waitcnt vmcnt(0) lgkmcnt(0)
	v_mul_f32_e32 v156, s24, v2
	s_mov_b32 s16, -1
	s_mov_b32 vcc_lo, s1
                                        ; implicit-def: $vgpr2_vgpr3_vgpr4_vgpr5
	s_cbranch_vccz .LBB15_29
.LBB15_28:                              ;   in Loop: Header=BB15_26 Depth=1
	v_mov_b32_e32 v2, s14
	s_mov_b32 s16, 0
.LBB15_29:                              ;   in Loop: Header=BB15_26 Depth=1
	v_mov_b32_e32 v3, 0
	s_andn2_b32 vcc_lo, exec_lo, s16
	s_cbranch_vccz .LBB15_39
; %bb.30:                               ;   in Loop: Header=BB15_26 Depth=1
	s_mov_b32 s16, -1
	s_mov_b32 vcc_lo, s1
                                        ; implicit-def: $vgpr4
	s_cbranch_vccnz .LBB15_40
.LBB15_31:                              ;   in Loop: Header=BB15_26 Depth=1
	v_mov_b32_e32 v155, 0
	v_mov_b32_e32 v5, 0
	s_andn2_b32 vcc_lo, exec_lo, s16
	s_cbranch_vccnz .LBB15_33
.LBB15_32:                              ;   in Loop: Header=BB15_26 Depth=1
	v_add_co_u32 v4, vcc_lo, v153, v76
	v_add_co_ci_u32_e64 v5, null, v154, v77, vcc_lo
	s_clause 0x1
	flat_load_dword v6, v[4:5] offset:512
	flat_load_dword v5, v[4:5] offset:768
	s_waitcnt vmcnt(1) lgkmcnt(1)
	v_mul_f32_e32 v4, s24, v6
	s_waitcnt vmcnt(0) lgkmcnt(0)
	v_mul_f32_e32 v5, s24, v5
.LBB15_33:                              ;   in Loop: Header=BB15_26 Depth=1
	ds_read_b128 v[38:41], v149
	ds_read_b128 v[34:37], v149 offset:128
	ds_read_b128 v[30:33], v149 offset:256
	;; [unrolled: 1-line block ×7, first 2 shown]
	ds_read_b128 v[66:69], v150
	ds_read_b128 v[62:65], v150 offset:512
	ds_read_b128 v[58:61], v150 offset:1024
	;; [unrolled: 1-line block ×7, first 2 shown]
	s_and_b32 vcc_lo, exec_lo, s2
	ds_write_b32 v145, v156
	ds_write2st64_b32 v80, v2, v3 offset1:4
	ds_write2st64_b32 v80, v4, v5 offset0:8 offset1:12
	s_waitcnt lgkmcnt(0)
	s_barrier
	buffer_gl0_inv
	s_cbranch_vccnz .LBB15_35
; %bb.34:                               ;   in Loop: Header=BB15_26 Depth=1
	v_add_co_u32 v2, vcc_lo, v151, v70
	v_add_co_ci_u32_e64 v3, null, v152, v71, vcc_lo
	flat_load_dword v2, v[2:3]
	s_waitcnt vmcnt(0) lgkmcnt(0)
	v_mul_f32_e32 v155, s24, v2
.LBB15_35:                              ;   in Loop: Header=BB15_26 Depth=1
	s_mov_b32 s16, -1
	s_mov_b32 vcc_lo, s1
                                        ; implicit-def: $vgpr2_vgpr3_vgpr4_vgpr5
	s_cbranch_vccnz .LBB15_41
; %bb.36:                               ;   in Loop: Header=BB15_26 Depth=1
	v_mov_b32_e32 v156, 0
	s_andn2_b32 vcc_lo, exec_lo, s16
	s_cbranch_vccz .LBB15_42
.LBB15_37:                              ;   in Loop: Header=BB15_26 Depth=1
	s_mov_b32 s16, -1
	s_mov_b32 vcc_lo, s1
                                        ; implicit-def: $vgpr157
	s_cbranch_vccnz .LBB15_43
.LBB15_38:                              ;   in Loop: Header=BB15_26 Depth=1
	v_mov_b32_e32 v158, 0
	s_andn2_b32 vcc_lo, exec_lo, s16
	s_cbranch_vccnz .LBB15_25
	s_branch .LBB15_44
.LBB15_39:                              ;   in Loop: Header=BB15_26 Depth=1
	v_add_co_u32 v2, vcc_lo, v153, v76
	v_add_co_ci_u32_e64 v3, null, v154, v77, vcc_lo
	s_clause 0x1
	flat_load_dword v4, v[2:3]
	flat_load_dword v3, v[2:3] offset:256
	s_waitcnt vmcnt(1) lgkmcnt(1)
	v_mul_f32_e32 v2, s24, v4
	s_waitcnt vmcnt(0) lgkmcnt(0)
	v_mul_f32_e32 v3, s24, v3
	s_mov_b32 s16, -1
	s_mov_b32 vcc_lo, s1
                                        ; implicit-def: $vgpr4
	s_cbranch_vccz .LBB15_31
.LBB15_40:                              ;   in Loop: Header=BB15_26 Depth=1
	v_mov_b32_e32 v4, s14
	v_mov_b32_e32 v155, 0
	;; [unrolled: 1-line block ×3, first 2 shown]
	s_cbranch_execz .LBB15_32
	s_branch .LBB15_33
.LBB15_41:                              ;   in Loop: Header=BB15_26 Depth=1
	v_mov_b32_e32 v2, s14
	v_mov_b32_e32 v156, 0
	s_cbranch_execnz .LBB15_37
.LBB15_42:                              ;   in Loop: Header=BB15_26 Depth=1
	v_add_co_u32 v2, vcc_lo, v153, v72
	v_add_co_ci_u32_e64 v3, null, v154, v73, vcc_lo
	s_clause 0x1
	flat_load_dword v4, v[2:3]
	flat_load_dword v3, v[2:3] offset:256
	s_waitcnt vmcnt(1) lgkmcnt(1)
	v_mul_f32_e32 v2, s24, v4
	s_waitcnt vmcnt(0) lgkmcnt(0)
	v_mul_f32_e32 v156, s24, v3
	s_mov_b32 s16, -1
	s_mov_b32 vcc_lo, s1
                                        ; implicit-def: $vgpr157
	s_cbranch_vccz .LBB15_38
.LBB15_43:                              ;   in Loop: Header=BB15_26 Depth=1
	v_mov_b32_e32 v157, s14
	v_mov_b32_e32 v158, 0
	s_cbranch_execnz .LBB15_25
.LBB15_44:                              ;   in Loop: Header=BB15_26 Depth=1
	v_add_co_u32 v3, vcc_lo, v153, v72
	v_add_co_ci_u32_e64 v4, null, v154, v73, vcc_lo
	s_clause 0x1
	flat_load_dword v5, v[3:4] offset:512
	flat_load_dword v3, v[3:4] offset:768
	s_waitcnt vmcnt(1) lgkmcnt(1)
	v_mul_f32_e32 v157, s24, v5
	s_waitcnt vmcnt(0) lgkmcnt(0)
	v_mul_f32_e32 v158, s24, v3
	s_branch .LBB15_25
.LBB15_45:                              ;   in Loop: Header=BB15_26 Depth=1
	v_mov_b32_e32 v156, 0
	s_mov_b32 s16, -1
	s_mov_b32 vcc_lo, s1
                                        ; implicit-def: $vgpr2_vgpr3_vgpr4_vgpr5
	s_cbranch_vccnz .LBB15_28
	s_branch .LBB15_29
.LBB15_46:
	ds_read_b128 v[34:37], v79 offset:9216
	ds_read_b128 v[62:65], v78 offset:4096
	s_clause 0x2
	s_load_dwordx2 s[6:7], s[4:5], 0x78
	s_load_dword s1, s[4:5], 0x58
	s_load_dword s2, s[4:5], 0x70
	ds_read_b128 v[30:33], v79 offset:9344
	ds_read_b128 v[26:29], v79 offset:9472
	;; [unrolled: 1-line block ×12, first 2 shown]
	v_add_nc_u32_e32 v80, s21, v1
	v_add_nc_u32_e32 v76, s20, v0
	v_ashrrev_i32_e32 v77, 31, v76
	s_waitcnt lgkmcnt(0)
	s_lshl_b64 s[4:5], s[6:7], 2
	v_add_f32_e32 v0, v35, v63
	v_add_f32_e32 v6, v34, v62
	v_mad_i64_i32 v[66:67], null, v80, s2, 0
	v_mad_i64_i32 v[68:69], null, v80, s1, 0
	v_min3_f32 v1, v6, v0, v144
	ds_read_b128 v[38:41], v78 offset:7168
	ds_read_b128 v[6:9], v78 offset:7680
	v_add_f32_e32 v70, v37, v65
	v_add_f32_e32 v71, v36, v64
	v_lshlrev_b64 v[66:67], 2, v[66:67]
	s_add_u32 s4, s10, s4
	v_lshlrev_b64 v[68:69], 2, v[68:69]
	v_add_nc_u32_e32 v0, 8, v76
	v_min3_f32 v70, v71, v70, v1
	s_addc_u32 s5, s11, s5
	v_add_co_u32 v144, vcc_lo, s4, v66
	v_add_co_ci_u32_e64 v145, null, s5, v67, vcc_lo
	v_add_co_u32 v146, vcc_lo, s8, v68
	v_lshlrev_b64 v[66:67], 2, v[76:77]
	v_ashrrev_i32_e32 v1, 31, v0
	v_add_co_ci_u32_e64 v147, null, s9, v69, vcc_lo
	v_max_f32_e32 v68, v70, v70
	s_mov_b32 s6, -1
	s_mov_b32 vcc_lo, s0
	s_cbranch_vccz .LBB15_48
; %bb.47:
	v_add_co_u32 v69, vcc_lo, v144, v66
	v_min_f32_e32 v71, 0, v68
	v_add_co_ci_u32_e64 v70, null, v145, v67, vcc_lo
	s_mov_b32 s6, 0
	flat_store_dword v[69:70], v71
.LBB15_48:
	v_lshlrev_b64 v[0:1], 2, v[0:1]
	v_mov_b32_e32 v69, 0
	s_andn2_b32 vcc_lo, exec_lo, s6
	s_cbranch_vccnz .LBB15_50
; %bb.49:
	v_add_co_u32 v69, vcc_lo, v146, v66
	v_add_co_ci_u32_e64 v70, null, v147, v67, vcc_lo
	flat_load_dword v69, v[69:70]
	s_waitcnt vmcnt(0) lgkmcnt(0)
	v_mul_f32_e32 v71, s3, v69
	v_add_co_u32 v69, vcc_lo, v144, v66
	v_add_co_ci_u32_e64 v70, null, v145, v67, vcc_lo
	v_min_f32_e32 v68, v71, v68
	v_add_co_u32 v71, vcc_lo, v146, v0
	v_add_co_ci_u32_e64 v72, null, v147, v1, vcc_lo
	flat_store_dword v[69:70], v68
	flat_load_dword v68, v[71:72]
	s_waitcnt vmcnt(0) lgkmcnt(0)
	v_mul_f32_e32 v69, s3, v68
.LBB15_50:
	v_add_f32_e32 v68, v31, v63
	v_add_f32_e32 v70, v30, v62
	;; [unrolled: 1-line block ×6, first 2 shown]
	v_min3_f32 v75, v70, v68, v141
	v_add_nc_u32_e32 v70, 16, v76
	v_min3_f32 v77, v72, v71, v142
	v_add_f32_e32 v78, v28, v64
	v_min_f32_e32 v71, v74, v73
	v_add_f32_e32 v74, v29, v65
	v_add_co_u32 v72, vcc_lo, v144, v0
	v_add_nc_u32_e32 v68, 24, v76
	v_min3_f32 v75, v69, v71, v75
	v_ashrrev_i32_e32 v71, 31, v70
	v_add_co_ci_u32_e64 v73, null, v145, v1, vcc_lo
	v_min3_f32 v74, v78, v74, v77
	v_ashrrev_i32_e32 v69, 31, v68
	v_lshlrev_b64 v[70:71], 2, v[70:71]
	flat_store_dword v[72:73], v75
	s_mov_b32 s6, -1
	v_max_f32_e32 v72, v74, v74
	s_mov_b32 vcc_lo, s0
	s_cbranch_vccz .LBB15_52
; %bb.51:
	v_add_co_u32 v73, vcc_lo, v144, v70
	v_min_f32_e32 v75, 0, v72
	v_add_co_ci_u32_e64 v74, null, v145, v71, vcc_lo
	s_mov_b32 s6, 0
	flat_store_dword v[73:74], v75
.LBB15_52:
	v_lshlrev_b64 v[68:69], 2, v[68:69]
	v_mov_b32_e32 v73, 0
	s_andn2_b32 vcc_lo, exec_lo, s6
	s_cbranch_vccnz .LBB15_54
; %bb.53:
	v_add_co_u32 v73, vcc_lo, v146, v70
	v_add_co_ci_u32_e64 v74, null, v147, v71, vcc_lo
	flat_load_dword v73, v[73:74]
	s_waitcnt vmcnt(0) lgkmcnt(0)
	v_mul_f32_e32 v75, s3, v73
	v_add_co_u32 v73, vcc_lo, v144, v70
	v_add_co_ci_u32_e64 v74, null, v145, v71, vcc_lo
	v_add_co_u32 v77, vcc_lo, v146, v68
	v_min_f32_e32 v72, v75, v72
	v_add_co_ci_u32_e64 v78, null, v147, v69, vcc_lo
	flat_store_dword v[73:74], v72
	flat_load_dword v72, v[77:78]
	s_waitcnt vmcnt(0) lgkmcnt(0)
	v_mul_f32_e32 v73, s3, v72
.LBB15_54:
	v_add_f32_e32 v72, v23, v63
	v_add_f32_e32 v74, v22, v62
	;; [unrolled: 1-line block ×6, first 2 shown]
	v_min3_f32 v138, v74, v72, v138
	v_add_nc_u32_e32 v74, 32, v76
	v_min3_f32 v141, v77, v75, v143
	v_add_f32_e32 v142, v20, v64
	v_min_f32_e32 v75, v79, v78
	v_add_f32_e32 v79, v21, v65
	v_add_co_u32 v77, vcc_lo, v144, v68
	v_add_nc_u32_e32 v72, 40, v76
	v_min3_f32 v138, v73, v75, v138
	v_ashrrev_i32_e32 v75, 31, v74
	v_add_co_ci_u32_e64 v78, null, v145, v69, vcc_lo
	v_min3_f32 v79, v142, v79, v141
	v_ashrrev_i32_e32 v73, 31, v72
	v_lshlrev_b64 v[74:75], 2, v[74:75]
	flat_store_dword v[77:78], v138
	s_mov_b32 s6, -1
	v_max_f32_e32 v77, v79, v79
	s_mov_b32 vcc_lo, s0
	s_cbranch_vccz .LBB15_56
; %bb.55:
	v_add_co_u32 v78, vcc_lo, v144, v74
	v_min_f32_e32 v138, 0, v77
	v_add_co_ci_u32_e64 v79, null, v145, v75, vcc_lo
	s_mov_b32 s6, 0
	flat_store_dword v[78:79], v138
.LBB15_56:
	v_lshlrev_b64 v[72:73], 2, v[72:73]
	v_mov_b32_e32 v79, 0
	s_andn2_b32 vcc_lo, exec_lo, s6
	s_cbranch_vccnz .LBB15_58
; %bb.57:
	v_add_co_u32 v78, vcc_lo, v146, v74
	v_add_co_ci_u32_e64 v79, null, v147, v75, vcc_lo
	flat_load_dword v78, v[78:79]
	s_waitcnt vmcnt(0) lgkmcnt(0)
	v_mul_f32_e32 v138, s3, v78
	v_add_co_u32 v78, vcc_lo, v144, v74
	v_add_co_ci_u32_e64 v79, null, v145, v75, vcc_lo
	v_add_co_u32 v141, vcc_lo, v146, v72
	v_min_f32_e32 v77, v138, v77
	v_add_co_ci_u32_e64 v142, null, v147, v73, vcc_lo
	flat_store_dword v[78:79], v77
	flat_load_dword v77, v[141:142]
	s_waitcnt vmcnt(0) lgkmcnt(0)
	v_mul_f32_e32 v79, s3, v77
.LBB15_58:
	v_add_f32_e32 v77, v15, v63
	v_add_f32_e32 v78, v14, v62
	;; [unrolled: 1-line block ×6, first 2 shown]
	v_min3_f32 v77, v78, v77, v139
	v_add_nc_u32_e32 v78, 56, v76
	v_min3_f32 v140, v141, v138, v140
	v_add_nc_u32_e32 v138, 48, v76
	v_min_f32_e32 v139, v143, v142
	v_add_f32_e32 v141, v13, v65
	v_add_f32_e32 v142, v12, v64
	v_add_co_u32 v76, vcc_lo, v144, v72
	v_min3_f32 v143, v79, v139, v77
	v_add_co_ci_u32_e64 v77, null, v145, v73, vcc_lo
	v_ashrrev_i32_e32 v139, 31, v138
	v_min3_f32 v140, v142, v141, v140
	v_ashrrev_i32_e32 v79, 31, v78
	flat_store_dword v[76:77], v143
	s_mov_b32 s6, -1
	v_lshlrev_b64 v[76:77], 2, v[138:139]
	v_max_f32_e32 v138, v140, v140
	s_mov_b32 vcc_lo, s0
	s_cbranch_vccz .LBB15_60
; %bb.59:
	v_add_co_u32 v139, vcc_lo, v144, v76
	v_min_f32_e32 v141, 0, v138
	v_add_co_ci_u32_e64 v140, null, v145, v77, vcc_lo
	s_mov_b32 s6, 0
	flat_store_dword v[139:140], v141
.LBB15_60:
	v_lshlrev_b64 v[78:79], 2, v[78:79]
	v_mov_b32_e32 v139, 0
	s_andn2_b32 vcc_lo, exec_lo, s6
	s_cbranch_vccnz .LBB15_62
; %bb.61:
	v_add_co_u32 v139, vcc_lo, v146, v76
	v_add_co_ci_u32_e64 v140, null, v147, v77, vcc_lo
	flat_load_dword v139, v[139:140]
	s_waitcnt vmcnt(0) lgkmcnt(0)
	v_mul_f32_e32 v141, s3, v139
	v_add_co_u32 v139, vcc_lo, v144, v76
	v_add_co_ci_u32_e64 v140, null, v145, v77, vcc_lo
	v_min_f32_e32 v138, v141, v138
	v_add_co_u32 v141, vcc_lo, v146, v78
	v_add_co_ci_u32_e64 v142, null, v147, v79, vcc_lo
	flat_store_dword v[139:140], v138
	flat_load_dword v138, v[141:142]
	s_waitcnt vmcnt(0) lgkmcnt(0)
	v_mul_f32_e32 v139, s3, v138
.LBB15_62:
	v_add_f32_e32 v63, v3, v63
	v_add_f32_e32 v62, v2, v62
	;; [unrolled: 1-line block ×6, first 2 shown]
	v_min3_f32 v62, v62, v63, v136
	v_add_f32_e32 v141, v36, v60
	v_min_f32_e32 v63, v64, v65
	v_add_nc_u32_e32 v64, 32, v80
	v_min3_f32 v138, v140, v138, v137
	v_add_f32_e32 v140, v37, v61
	v_add_co_u32 v136, vcc_lo, v144, v78
	v_min3_f32 v139, v139, v63, v62
	v_mad_i64_i32 v[62:63], null, v64, s2, 0
	v_mad_i64_i32 v[64:65], null, v64, s1, 0
	v_add_co_ci_u32_e64 v137, null, v145, v79, vcc_lo
	v_min3_f32 v138, v141, v140, v138
	s_mov_b32 s6, -1
	v_lshlrev_b64 v[62:63], 2, v[62:63]
	flat_store_dword v[136:137], v139
	v_lshlrev_b64 v[64:65], 2, v[64:65]
	v_max_f32_e32 v136, v138, v138
	v_add_co_u32 v62, vcc_lo, s4, v62
	v_add_co_ci_u32_e64 v63, null, s5, v63, vcc_lo
	v_add_co_u32 v64, vcc_lo, s8, v64
	v_add_co_ci_u32_e64 v65, null, s9, v65, vcc_lo
	s_mov_b32 vcc_lo, s0
	s_cbranch_vccz .LBB15_64
; %bb.63:
	v_add_co_u32 v137, vcc_lo, v62, v66
	v_min_f32_e32 v139, 0, v136
	v_add_co_ci_u32_e64 v138, null, v63, v67, vcc_lo
	s_mov_b32 s6, 0
	flat_store_dword v[137:138], v139
.LBB15_64:
	v_mov_b32_e32 v137, 0
	s_andn2_b32 vcc_lo, exec_lo, s6
	s_cbranch_vccnz .LBB15_66
; %bb.65:
	v_add_co_u32 v137, vcc_lo, v64, v66
	v_add_co_ci_u32_e64 v138, null, v65, v67, vcc_lo
	flat_load_dword v137, v[137:138]
	s_waitcnt vmcnt(0) lgkmcnt(0)
	v_mul_f32_e32 v139, s3, v137
	v_add_co_u32 v137, vcc_lo, v62, v66
	v_add_co_ci_u32_e64 v138, null, v63, v67, vcc_lo
	v_min_f32_e32 v136, v139, v136
	v_add_co_u32 v139, vcc_lo, v64, v0
	v_add_co_ci_u32_e64 v140, null, v65, v1, vcc_lo
	flat_store_dword v[137:138], v136
	flat_load_dword v136, v[139:140]
	s_waitcnt vmcnt(0) lgkmcnt(0)
	v_mul_f32_e32 v137, s3, v136
.LBB15_66:
	v_add_f32_e32 v136, v31, v59
	v_add_f32_e32 v138, v30, v58
	v_add_f32_e32 v139, v33, v61
	v_add_f32_e32 v140, v32, v60
	v_add_f32_e32 v141, v27, v59
	v_add_f32_e32 v142, v26, v58
	v_min3_f32 v134, v138, v136, v134
	s_mov_b32 s6, -1
	v_min_f32_e32 v136, v140, v139
	v_add_f32_e32 v139, v29, v61
	v_min3_f32 v138, v142, v141, v135
	v_add_f32_e32 v140, v28, v60
	v_min3_f32 v136, v137, v136, v134
	v_add_co_u32 v134, vcc_lo, v62, v0
	v_add_co_ci_u32_e64 v135, null, v63, v1, vcc_lo
	v_min3_f32 v137, v140, v139, v138
	s_mov_b32 vcc_lo, s0
	flat_store_dword v[134:135], v136
	v_max_f32_e32 v134, v137, v137
	s_cbranch_vccz .LBB15_68
; %bb.67:
	v_add_co_u32 v135, vcc_lo, v62, v70
	v_min_f32_e32 v137, 0, v134
	v_add_co_ci_u32_e64 v136, null, v63, v71, vcc_lo
	s_mov_b32 s6, 0
	flat_store_dword v[135:136], v137
.LBB15_68:
	v_mov_b32_e32 v135, 0
	s_andn2_b32 vcc_lo, exec_lo, s6
	s_cbranch_vccnz .LBB15_70
; %bb.69:
	v_add_co_u32 v135, vcc_lo, v64, v70
	v_add_co_ci_u32_e64 v136, null, v65, v71, vcc_lo
	flat_load_dword v135, v[135:136]
	s_waitcnt vmcnt(0) lgkmcnt(0)
	v_mul_f32_e32 v137, s3, v135
	v_add_co_u32 v135, vcc_lo, v62, v70
	v_add_co_ci_u32_e64 v136, null, v63, v71, vcc_lo
	v_min_f32_e32 v134, v137, v134
	v_add_co_u32 v137, vcc_lo, v64, v68
	v_add_co_ci_u32_e64 v138, null, v65, v69, vcc_lo
	flat_store_dword v[135:136], v134
	flat_load_dword v134, v[137:138]
	s_waitcnt vmcnt(0) lgkmcnt(0)
	v_mul_f32_e32 v135, s3, v134
.LBB15_70:
	v_add_f32_e32 v134, v23, v59
	v_add_f32_e32 v136, v22, v58
	;; [unrolled: 1-line block ×6, first 2 shown]
	v_min3_f32 v132, v136, v134, v132
	s_mov_b32 s6, -1
	v_min_f32_e32 v134, v138, v137
	v_add_f32_e32 v137, v21, v61
	v_min3_f32 v136, v140, v139, v133
	v_add_f32_e32 v138, v20, v60
	v_min3_f32 v134, v135, v134, v132
	v_add_co_u32 v132, vcc_lo, v62, v68
	v_add_co_ci_u32_e64 v133, null, v63, v69, vcc_lo
	v_min3_f32 v135, v138, v137, v136
	s_mov_b32 vcc_lo, s0
	flat_store_dword v[132:133], v134
	v_max_f32_e32 v132, v135, v135
	s_cbranch_vccz .LBB15_72
; %bb.71:
	v_add_co_u32 v133, vcc_lo, v62, v74
	v_min_f32_e32 v135, 0, v132
	v_add_co_ci_u32_e64 v134, null, v63, v75, vcc_lo
	s_mov_b32 s6, 0
	flat_store_dword v[133:134], v135
.LBB15_72:
	v_mov_b32_e32 v133, 0
	s_andn2_b32 vcc_lo, exec_lo, s6
	s_cbranch_vccnz .LBB15_74
; %bb.73:
	v_add_co_u32 v133, vcc_lo, v64, v74
	v_add_co_ci_u32_e64 v134, null, v65, v75, vcc_lo
	flat_load_dword v133, v[133:134]
	s_waitcnt vmcnt(0) lgkmcnt(0)
	v_mul_f32_e32 v135, s3, v133
	v_add_co_u32 v133, vcc_lo, v62, v74
	v_add_co_ci_u32_e64 v134, null, v63, v75, vcc_lo
	v_min_f32_e32 v132, v135, v132
	v_add_co_u32 v135, vcc_lo, v64, v72
	v_add_co_ci_u32_e64 v136, null, v65, v73, vcc_lo
	flat_store_dword v[133:134], v132
	flat_load_dword v132, v[135:136]
	s_waitcnt vmcnt(0) lgkmcnt(0)
	v_mul_f32_e32 v133, s3, v132
.LBB15_74:
	v_add_f32_e32 v132, v15, v59
	v_add_f32_e32 v134, v14, v58
	;; [unrolled: 1-line block ×6, first 2 shown]
	v_min3_f32 v129, v134, v132, v129
	s_mov_b32 s6, -1
	v_min_f32_e32 v132, v136, v135
	v_add_f32_e32 v135, v13, v61
	v_min3_f32 v134, v138, v137, v131
	v_add_f32_e32 v136, v12, v60
	v_add_co_u32 v131, vcc_lo, v62, v72
	v_min3_f32 v129, v133, v132, v129
	v_add_co_ci_u32_e64 v132, null, v63, v73, vcc_lo
	v_min3_f32 v133, v136, v135, v134
	s_mov_b32 vcc_lo, s0
	flat_store_dword v[131:132], v129
	v_max_f32_e32 v129, v133, v133
	s_cbranch_vccz .LBB15_76
; %bb.75:
	v_add_co_u32 v131, vcc_lo, v62, v76
	v_min_f32_e32 v133, 0, v129
	v_add_co_ci_u32_e64 v132, null, v63, v77, vcc_lo
	s_mov_b32 s6, 0
	flat_store_dword v[131:132], v133
.LBB15_76:
	v_mov_b32_e32 v131, 0
	s_andn2_b32 vcc_lo, exec_lo, s6
	s_cbranch_vccnz .LBB15_78
; %bb.77:
	v_add_co_u32 v131, vcc_lo, v64, v76
	v_add_co_ci_u32_e64 v132, null, v65, v77, vcc_lo
	flat_load_dword v131, v[131:132]
	s_waitcnt vmcnt(0) lgkmcnt(0)
	v_mul_f32_e32 v133, s3, v131
	v_add_co_u32 v131, vcc_lo, v62, v76
	v_add_co_ci_u32_e64 v132, null, v63, v77, vcc_lo
	v_add_co_u32 v64, vcc_lo, v64, v78
	v_min_f32_e32 v129, v133, v129
	v_add_co_ci_u32_e64 v65, null, v65, v79, vcc_lo
	flat_store_dword v[131:132], v129
	flat_load_dword v64, v[64:65]
	s_waitcnt vmcnt(0) lgkmcnt(0)
	v_mul_f32_e32 v131, s3, v64
.LBB15_78:
	v_add_f32_e32 v59, v3, v59
	v_add_f32_e32 v58, v2, v58
	;; [unrolled: 1-line block ×6, first 2 shown]
	v_min3_f32 v58, v58, v59, v128
	v_add_f32_e32 v128, v36, v56
	v_min_f32_e32 v59, v60, v61
	v_add_nc_u32_e32 v60, 64, v80
	v_min3_f32 v64, v65, v64, v130
	v_add_f32_e32 v65, v37, v57
	v_add_co_u32 v62, vcc_lo, v62, v78
	v_min3_f32 v129, v131, v59, v58
	v_mad_i64_i32 v[58:59], null, v60, s2, 0
	v_mad_i64_i32 v[60:61], null, v60, s1, 0
	v_add_co_ci_u32_e64 v63, null, v63, v79, vcc_lo
	v_min3_f32 v64, v128, v65, v64
	s_mov_b32 s6, -1
	v_lshlrev_b64 v[58:59], 2, v[58:59]
	flat_store_dword v[62:63], v129
	v_lshlrev_b64 v[60:61], 2, v[60:61]
	v_max_f32_e32 v62, v64, v64
	v_add_co_u32 v58, vcc_lo, s4, v58
	v_add_co_ci_u32_e64 v59, null, s5, v59, vcc_lo
	v_add_co_u32 v60, vcc_lo, s8, v60
	v_add_co_ci_u32_e64 v61, null, s9, v61, vcc_lo
	s_mov_b32 vcc_lo, s0
	s_cbranch_vccz .LBB15_80
; %bb.79:
	v_add_co_u32 v63, vcc_lo, v58, v66
	v_min_f32_e32 v65, 0, v62
	v_add_co_ci_u32_e64 v64, null, v59, v67, vcc_lo
	s_mov_b32 s6, 0
	flat_store_dword v[63:64], v65
.LBB15_80:
	v_mov_b32_e32 v63, 0
	s_andn2_b32 vcc_lo, exec_lo, s6
	s_cbranch_vccnz .LBB15_82
; %bb.81:
	v_add_co_u32 v63, vcc_lo, v60, v66
	v_add_co_ci_u32_e64 v64, null, v61, v67, vcc_lo
	flat_load_dword v63, v[63:64]
	s_waitcnt vmcnt(0) lgkmcnt(0)
	v_mul_f32_e32 v65, s3, v63
	v_add_co_u32 v63, vcc_lo, v58, v66
	v_add_co_ci_u32_e64 v64, null, v59, v67, vcc_lo
	v_add_co_u32 v128, vcc_lo, v60, v0
	v_min_f32_e32 v62, v65, v62
	v_add_co_ci_u32_e64 v129, null, v61, v1, vcc_lo
	flat_store_dword v[63:64], v62
	flat_load_dword v62, v[128:129]
	s_waitcnt vmcnt(0) lgkmcnt(0)
	v_mul_f32_e32 v63, s3, v62
.LBB15_82:
	v_add_f32_e32 v62, v31, v55
	v_add_f32_e32 v64, v30, v54
	v_add_f32_e32 v65, v33, v57
	v_add_f32_e32 v128, v32, v56
	v_add_f32_e32 v129, v27, v55
	v_add_f32_e32 v130, v26, v54
	v_min3_f32 v62, v64, v62, v127
	v_add_f32_e32 v127, v28, v56
	v_min_f32_e32 v64, v128, v65
	s_mov_b32 s6, -1
	v_min3_f32 v65, v130, v129, v126
	v_add_f32_e32 v126, v29, v57
	v_min3_f32 v64, v63, v64, v62
	v_add_co_u32 v62, vcc_lo, v58, v0
	v_add_co_ci_u32_e64 v63, null, v59, v1, vcc_lo
	v_min3_f32 v65, v127, v126, v65
	s_mov_b32 vcc_lo, s0
	flat_store_dword v[62:63], v64
	v_max_f32_e32 v62, v65, v65
	s_cbranch_vccz .LBB15_84
; %bb.83:
	v_add_co_u32 v63, vcc_lo, v58, v70
	v_min_f32_e32 v65, 0, v62
	v_add_co_ci_u32_e64 v64, null, v59, v71, vcc_lo
	s_mov_b32 s6, 0
	flat_store_dword v[63:64], v65
.LBB15_84:
	v_mov_b32_e32 v63, 0
	s_andn2_b32 vcc_lo, exec_lo, s6
	s_cbranch_vccnz .LBB15_86
; %bb.85:
	v_add_co_u32 v63, vcc_lo, v60, v70
	v_add_co_ci_u32_e64 v64, null, v61, v71, vcc_lo
	flat_load_dword v63, v[63:64]
	s_waitcnt vmcnt(0) lgkmcnt(0)
	v_mul_f32_e32 v65, s3, v63
	v_add_co_u32 v63, vcc_lo, v58, v70
	v_add_co_ci_u32_e64 v64, null, v59, v71, vcc_lo
	v_add_co_u32 v126, vcc_lo, v60, v68
	v_min_f32_e32 v62, v65, v62
	v_add_co_ci_u32_e64 v127, null, v61, v69, vcc_lo
	flat_store_dword v[63:64], v62
	flat_load_dword v62, v[126:127]
	s_waitcnt vmcnt(0) lgkmcnt(0)
	v_mul_f32_e32 v63, s3, v62
.LBB15_86:
	v_add_f32_e32 v62, v23, v55
	v_add_f32_e32 v64, v22, v54
	v_add_f32_e32 v65, v25, v57
	v_add_f32_e32 v126, v24, v56
	v_add_f32_e32 v127, v19, v55
	v_add_f32_e32 v128, v18, v54
	v_min3_f32 v62, v64, v62, v124
	v_add_f32_e32 v124, v21, v57
	v_min_f32_e32 v64, v126, v65
	s_mov_b32 s6, -1
	v_min3_f32 v65, v128, v127, v125
	v_add_f32_e32 v125, v20, v56
	v_min3_f32 v64, v63, v64, v62
	v_add_co_u32 v62, vcc_lo, v58, v68
	v_add_co_ci_u32_e64 v63, null, v59, v69, vcc_lo
	v_min3_f32 v65, v125, v124, v65
	s_mov_b32 vcc_lo, s0
	flat_store_dword v[62:63], v64
	v_max_f32_e32 v62, v65, v65
	;; [unrolled: 46-line block ×3, first 2 shown]
	s_cbranch_vccz .LBB15_92
; %bb.91:
	v_add_co_u32 v63, vcc_lo, v58, v76
	v_min_f32_e32 v65, 0, v62
	v_add_co_ci_u32_e64 v64, null, v59, v77, vcc_lo
	s_mov_b32 s6, 0
	flat_store_dword v[63:64], v65
.LBB15_92:
	v_mov_b32_e32 v63, 0
	s_andn2_b32 vcc_lo, exec_lo, s6
	s_cbranch_vccnz .LBB15_94
; %bb.93:
	v_add_co_u32 v63, vcc_lo, v60, v76
	v_add_co_ci_u32_e64 v64, null, v61, v77, vcc_lo
	flat_load_dword v63, v[63:64]
	s_waitcnt vmcnt(0) lgkmcnt(0)
	v_mul_f32_e32 v65, s3, v63
	v_add_co_u32 v63, vcc_lo, v58, v76
	v_add_co_ci_u32_e64 v64, null, v59, v77, vcc_lo
	v_add_co_u32 v60, vcc_lo, v60, v78
	v_min_f32_e32 v62, v65, v62
	v_add_co_ci_u32_e64 v61, null, v61, v79, vcc_lo
	flat_store_dword v[63:64], v62
	flat_load_dword v60, v[60:61]
	s_waitcnt vmcnt(0) lgkmcnt(0)
	v_mul_f32_e32 v63, s3, v60
.LBB15_94:
	v_add_f32_e32 v55, v3, v55
	v_add_f32_e32 v54, v2, v54
	;; [unrolled: 1-line block ×6, first 2 shown]
	v_min3_f32 v54, v54, v55, v120
	v_add_f32_e32 v62, v36, v52
	v_min_f32_e32 v55, v56, v57
	v_add_nc_u32_e32 v56, 0x60, v80
	v_min3_f32 v60, v61, v60, v121
	v_add_f32_e32 v61, v37, v53
	v_add_co_u32 v58, vcc_lo, v58, v78
	v_min3_f32 v63, v63, v55, v54
	v_mad_i64_i32 v[54:55], null, v56, s2, 0
	v_mad_i64_i32 v[56:57], null, v56, s1, 0
	v_add_co_ci_u32_e64 v59, null, v59, v79, vcc_lo
	v_min3_f32 v60, v62, v61, v60
	s_mov_b32 s6, -1
	v_lshlrev_b64 v[54:55], 2, v[54:55]
	flat_store_dword v[58:59], v63
	v_lshlrev_b64 v[56:57], 2, v[56:57]
	v_max_f32_e32 v58, v60, v60
	v_add_co_u32 v54, vcc_lo, s4, v54
	v_add_co_ci_u32_e64 v55, null, s5, v55, vcc_lo
	v_add_co_u32 v56, vcc_lo, s8, v56
	v_add_co_ci_u32_e64 v57, null, s9, v57, vcc_lo
	s_mov_b32 vcc_lo, s0
	s_cbranch_vccz .LBB15_96
; %bb.95:
	v_add_co_u32 v59, vcc_lo, v54, v66
	v_min_f32_e32 v61, 0, v58
	v_add_co_ci_u32_e64 v60, null, v55, v67, vcc_lo
	s_mov_b32 s6, 0
	flat_store_dword v[59:60], v61
.LBB15_96:
	v_mov_b32_e32 v59, 0
	s_andn2_b32 vcc_lo, exec_lo, s6
	s_cbranch_vccnz .LBB15_98
; %bb.97:
	v_add_co_u32 v59, vcc_lo, v56, v66
	v_add_co_ci_u32_e64 v60, null, v57, v67, vcc_lo
	flat_load_dword v59, v[59:60]
	s_waitcnt vmcnt(0) lgkmcnt(0)
	v_mul_f32_e32 v61, s3, v59
	v_add_co_u32 v59, vcc_lo, v54, v66
	v_add_co_ci_u32_e64 v60, null, v55, v67, vcc_lo
	v_min_f32_e32 v58, v61, v58
	v_add_co_u32 v61, vcc_lo, v56, v0
	v_add_co_ci_u32_e64 v62, null, v57, v1, vcc_lo
	flat_store_dword v[59:60], v58
	flat_load_dword v58, v[61:62]
	s_waitcnt vmcnt(0) lgkmcnt(0)
	v_mul_f32_e32 v59, s3, v58
.LBB15_98:
	v_add_f32_e32 v58, v31, v51
	v_add_f32_e32 v60, v30, v50
	v_add_f32_e32 v61, v33, v53
	v_add_f32_e32 v62, v32, v52
	v_add_f32_e32 v63, v27, v51
	v_add_f32_e32 v64, v26, v50
	v_min3_f32 v58, v60, v58, v118
	s_mov_b32 s6, -1
	v_min_f32_e32 v60, v62, v61
	v_add_f32_e32 v62, v29, v53
	v_min3_f32 v61, v64, v63, v119
	v_add_f32_e32 v63, v28, v52
	v_min3_f32 v60, v59, v60, v58
	v_add_co_u32 v58, vcc_lo, v54, v0
	v_add_co_ci_u32_e64 v59, null, v55, v1, vcc_lo
	v_min3_f32 v61, v63, v62, v61
	s_mov_b32 vcc_lo, s0
	flat_store_dword v[58:59], v60
	v_max_f32_e32 v58, v61, v61
	s_cbranch_vccz .LBB15_100
; %bb.99:
	v_add_co_u32 v59, vcc_lo, v54, v70
	v_min_f32_e32 v61, 0, v58
	v_add_co_ci_u32_e64 v60, null, v55, v71, vcc_lo
	s_mov_b32 s6, 0
	flat_store_dword v[59:60], v61
.LBB15_100:
	v_mov_b32_e32 v59, 0
	s_andn2_b32 vcc_lo, exec_lo, s6
	s_cbranch_vccnz .LBB15_102
; %bb.101:
	v_add_co_u32 v59, vcc_lo, v56, v70
	v_add_co_ci_u32_e64 v60, null, v57, v71, vcc_lo
	flat_load_dword v59, v[59:60]
	s_waitcnt vmcnt(0) lgkmcnt(0)
	v_mul_f32_e32 v61, s3, v59
	v_add_co_u32 v59, vcc_lo, v54, v70
	v_add_co_ci_u32_e64 v60, null, v55, v71, vcc_lo
	v_min_f32_e32 v58, v61, v58
	v_add_co_u32 v61, vcc_lo, v56, v68
	v_add_co_ci_u32_e64 v62, null, v57, v69, vcc_lo
	flat_store_dword v[59:60], v58
	flat_load_dword v58, v[61:62]
	s_waitcnt vmcnt(0) lgkmcnt(0)
	v_mul_f32_e32 v59, s3, v58
.LBB15_102:
	v_add_f32_e32 v58, v23, v51
	v_add_f32_e32 v60, v22, v50
	v_add_f32_e32 v61, v25, v53
	v_add_f32_e32 v62, v24, v52
	v_add_f32_e32 v63, v19, v51
	v_add_f32_e32 v64, v18, v50
	v_min3_f32 v58, v60, v58, v117
	s_mov_b32 s6, -1
	v_min_f32_e32 v60, v62, v61
	v_add_f32_e32 v62, v21, v53
	v_min3_f32 v61, v64, v63, v116
	v_add_f32_e32 v63, v20, v52
	v_min3_f32 v60, v59, v60, v58
	v_add_co_u32 v58, vcc_lo, v54, v68
	v_add_co_ci_u32_e64 v59, null, v55, v69, vcc_lo
	v_min3_f32 v61, v63, v62, v61
	s_mov_b32 vcc_lo, s0
	flat_store_dword v[58:59], v60
	v_max_f32_e32 v58, v61, v61
	;; [unrolled: 46-line block ×3, first 2 shown]
	s_cbranch_vccz .LBB15_108
; %bb.107:
	v_add_co_u32 v59, vcc_lo, v54, v76
	v_min_f32_e32 v61, 0, v58
	v_add_co_ci_u32_e64 v60, null, v55, v77, vcc_lo
	s_mov_b32 s6, 0
	flat_store_dword v[59:60], v61
.LBB15_108:
	v_mov_b32_e32 v59, 0
	s_andn2_b32 vcc_lo, exec_lo, s6
	s_cbranch_vccnz .LBB15_110
; %bb.109:
	v_add_co_u32 v59, vcc_lo, v56, v76
	v_add_co_ci_u32_e64 v60, null, v57, v77, vcc_lo
	flat_load_dword v59, v[59:60]
	s_waitcnt vmcnt(0) lgkmcnt(0)
	v_mul_f32_e32 v61, s3, v59
	v_add_co_u32 v59, vcc_lo, v54, v76
	v_add_co_ci_u32_e64 v60, null, v55, v77, vcc_lo
	v_add_co_u32 v56, vcc_lo, v56, v78
	v_min_f32_e32 v58, v61, v58
	v_add_co_ci_u32_e64 v57, null, v57, v79, vcc_lo
	flat_store_dword v[59:60], v58
	flat_load_dword v56, v[56:57]
	s_waitcnt vmcnt(0) lgkmcnt(0)
	v_mul_f32_e32 v59, s3, v56
.LBB15_110:
	v_add_f32_e32 v51, v3, v51
	v_add_f32_e32 v50, v2, v50
	;; [unrolled: 1-line block ×6, first 2 shown]
	v_min3_f32 v50, v50, v51, v112
	v_add_f32_e32 v58, v36, v48
	v_min_f32_e32 v51, v52, v53
	v_add_nc_u32_e32 v52, 0x80, v80
	v_min3_f32 v56, v57, v56, v113
	v_add_f32_e32 v57, v37, v49
	v_add_co_u32 v54, vcc_lo, v54, v78
	v_min3_f32 v59, v59, v51, v50
	v_mad_i64_i32 v[50:51], null, v52, s2, 0
	v_mad_i64_i32 v[52:53], null, v52, s1, 0
	v_add_co_ci_u32_e64 v55, null, v55, v79, vcc_lo
	v_min3_f32 v56, v58, v57, v56
	s_mov_b32 s6, -1
	v_lshlrev_b64 v[50:51], 2, v[50:51]
	flat_store_dword v[54:55], v59
	v_lshlrev_b64 v[52:53], 2, v[52:53]
	v_max_f32_e32 v54, v56, v56
	v_add_co_u32 v50, vcc_lo, s4, v50
	v_add_co_ci_u32_e64 v51, null, s5, v51, vcc_lo
	v_add_co_u32 v52, vcc_lo, s8, v52
	v_add_co_ci_u32_e64 v53, null, s9, v53, vcc_lo
	s_mov_b32 vcc_lo, s0
	s_cbranch_vccz .LBB15_112
; %bb.111:
	v_add_co_u32 v55, vcc_lo, v50, v66
	v_min_f32_e32 v57, 0, v54
	v_add_co_ci_u32_e64 v56, null, v51, v67, vcc_lo
	s_mov_b32 s6, 0
	flat_store_dword v[55:56], v57
.LBB15_112:
	v_mov_b32_e32 v55, 0
	s_andn2_b32 vcc_lo, exec_lo, s6
	s_cbranch_vccnz .LBB15_114
; %bb.113:
	v_add_co_u32 v55, vcc_lo, v52, v66
	v_add_co_ci_u32_e64 v56, null, v53, v67, vcc_lo
	flat_load_dword v55, v[55:56]
	s_waitcnt vmcnt(0) lgkmcnt(0)
	v_mul_f32_e32 v57, s3, v55
	v_add_co_u32 v55, vcc_lo, v50, v66
	v_add_co_ci_u32_e64 v56, null, v51, v67, vcc_lo
	v_min_f32_e32 v54, v57, v54
	v_add_co_u32 v57, vcc_lo, v52, v0
	v_add_co_ci_u32_e64 v58, null, v53, v1, vcc_lo
	flat_store_dword v[55:56], v54
	flat_load_dword v54, v[57:58]
	s_waitcnt vmcnt(0) lgkmcnt(0)
	v_mul_f32_e32 v55, s3, v54
.LBB15_114:
	v_add_f32_e32 v54, v31, v47
	v_add_f32_e32 v56, v30, v46
	v_add_f32_e32 v57, v33, v49
	v_add_f32_e32 v58, v32, v48
	v_add_f32_e32 v59, v27, v47
	v_add_f32_e32 v60, v26, v46
	v_min3_f32 v54, v56, v54, v110
	s_mov_b32 s6, -1
	v_min_f32_e32 v56, v58, v57
	v_add_f32_e32 v58, v29, v49
	v_min3_f32 v57, v60, v59, v111
	v_add_f32_e32 v59, v28, v48
	v_min3_f32 v56, v55, v56, v54
	v_add_co_u32 v54, vcc_lo, v50, v0
	v_add_co_ci_u32_e64 v55, null, v51, v1, vcc_lo
	v_min3_f32 v57, v59, v58, v57
	s_mov_b32 vcc_lo, s0
	flat_store_dword v[54:55], v56
	v_max_f32_e32 v54, v57, v57
	s_cbranch_vccz .LBB15_116
; %bb.115:
	v_add_co_u32 v55, vcc_lo, v50, v70
	v_min_f32_e32 v57, 0, v54
	v_add_co_ci_u32_e64 v56, null, v51, v71, vcc_lo
	s_mov_b32 s6, 0
	flat_store_dword v[55:56], v57
.LBB15_116:
	v_mov_b32_e32 v55, 0
	s_andn2_b32 vcc_lo, exec_lo, s6
	s_cbranch_vccnz .LBB15_118
; %bb.117:
	v_add_co_u32 v55, vcc_lo, v52, v70
	v_add_co_ci_u32_e64 v56, null, v53, v71, vcc_lo
	flat_load_dword v55, v[55:56]
	s_waitcnt vmcnt(0) lgkmcnt(0)
	v_mul_f32_e32 v57, s3, v55
	v_add_co_u32 v55, vcc_lo, v50, v70
	v_add_co_ci_u32_e64 v56, null, v51, v71, vcc_lo
	v_min_f32_e32 v54, v57, v54
	v_add_co_u32 v57, vcc_lo, v52, v68
	v_add_co_ci_u32_e64 v58, null, v53, v69, vcc_lo
	flat_store_dword v[55:56], v54
	flat_load_dword v54, v[57:58]
	s_waitcnt vmcnt(0) lgkmcnt(0)
	v_mul_f32_e32 v55, s3, v54
.LBB15_118:
	v_add_f32_e32 v54, v23, v47
	v_add_f32_e32 v56, v22, v46
	v_add_f32_e32 v57, v25, v49
	v_add_f32_e32 v58, v24, v48
	v_add_f32_e32 v59, v19, v47
	v_add_f32_e32 v60, v18, v46
	v_min3_f32 v54, v56, v54, v108
	s_mov_b32 s6, -1
	v_min_f32_e32 v56, v58, v57
	v_add_f32_e32 v58, v21, v49
	v_min3_f32 v57, v60, v59, v109
	v_add_f32_e32 v59, v20, v48
	v_min3_f32 v56, v55, v56, v54
	v_add_co_u32 v54, vcc_lo, v50, v68
	v_add_co_ci_u32_e64 v55, null, v51, v69, vcc_lo
	v_min3_f32 v57, v59, v58, v57
	s_mov_b32 vcc_lo, s0
	flat_store_dword v[54:55], v56
	v_max_f32_e32 v54, v57, v57
	;; [unrolled: 46-line block ×3, first 2 shown]
	s_cbranch_vccz .LBB15_124
; %bb.123:
	v_add_co_u32 v55, vcc_lo, v50, v76
	v_min_f32_e32 v57, 0, v54
	v_add_co_ci_u32_e64 v56, null, v51, v77, vcc_lo
	s_mov_b32 s6, 0
	flat_store_dword v[55:56], v57
.LBB15_124:
	v_mov_b32_e32 v55, 0
	s_andn2_b32 vcc_lo, exec_lo, s6
	s_cbranch_vccnz .LBB15_126
; %bb.125:
	v_add_co_u32 v55, vcc_lo, v52, v76
	v_add_co_ci_u32_e64 v56, null, v53, v77, vcc_lo
	flat_load_dword v55, v[55:56]
	s_waitcnt vmcnt(0) lgkmcnt(0)
	v_mul_f32_e32 v57, s3, v55
	v_add_co_u32 v55, vcc_lo, v50, v76
	v_add_co_ci_u32_e64 v56, null, v51, v77, vcc_lo
	v_add_co_u32 v52, vcc_lo, v52, v78
	v_min_f32_e32 v54, v57, v54
	v_add_co_ci_u32_e64 v53, null, v53, v79, vcc_lo
	flat_store_dword v[55:56], v54
	flat_load_dword v52, v[52:53]
	s_waitcnt vmcnt(0) lgkmcnt(0)
	v_mul_f32_e32 v55, s3, v52
.LBB15_126:
	v_add_f32_e32 v47, v3, v47
	v_add_f32_e32 v46, v2, v46
	;; [unrolled: 1-line block ×6, first 2 shown]
	v_min3_f32 v46, v46, v47, v104
	v_add_f32_e32 v54, v36, v44
	v_min_f32_e32 v47, v48, v49
	v_add_nc_u32_e32 v48, 0xa0, v80
	v_min3_f32 v52, v53, v52, v105
	v_add_f32_e32 v53, v37, v45
	v_add_co_u32 v50, vcc_lo, v50, v78
	v_min3_f32 v55, v55, v47, v46
	v_mad_i64_i32 v[46:47], null, v48, s2, 0
	v_mad_i64_i32 v[48:49], null, v48, s1, 0
	v_add_co_ci_u32_e64 v51, null, v51, v79, vcc_lo
	v_min3_f32 v52, v54, v53, v52
	s_mov_b32 s6, -1
	v_lshlrev_b64 v[46:47], 2, v[46:47]
	flat_store_dword v[50:51], v55
	v_lshlrev_b64 v[48:49], 2, v[48:49]
	v_max_f32_e32 v50, v52, v52
	v_add_co_u32 v46, vcc_lo, s4, v46
	v_add_co_ci_u32_e64 v47, null, s5, v47, vcc_lo
	v_add_co_u32 v48, vcc_lo, s8, v48
	v_add_co_ci_u32_e64 v49, null, s9, v49, vcc_lo
	s_mov_b32 vcc_lo, s0
	s_cbranch_vccz .LBB15_128
; %bb.127:
	v_add_co_u32 v51, vcc_lo, v46, v66
	v_min_f32_e32 v53, 0, v50
	v_add_co_ci_u32_e64 v52, null, v47, v67, vcc_lo
	s_mov_b32 s6, 0
	flat_store_dword v[51:52], v53
.LBB15_128:
	v_mov_b32_e32 v51, 0
	s_andn2_b32 vcc_lo, exec_lo, s6
	s_cbranch_vccnz .LBB15_130
; %bb.129:
	v_add_co_u32 v51, vcc_lo, v48, v66
	v_add_co_ci_u32_e64 v52, null, v49, v67, vcc_lo
	flat_load_dword v51, v[51:52]
	s_waitcnt vmcnt(0) lgkmcnt(0)
	v_mul_f32_e32 v53, s3, v51
	v_add_co_u32 v51, vcc_lo, v46, v66
	v_add_co_ci_u32_e64 v52, null, v47, v67, vcc_lo
	v_min_f32_e32 v50, v53, v50
	v_add_co_u32 v53, vcc_lo, v48, v0
	v_add_co_ci_u32_e64 v54, null, v49, v1, vcc_lo
	flat_store_dword v[51:52], v50
	flat_load_dword v50, v[53:54]
	s_waitcnt vmcnt(0) lgkmcnt(0)
	v_mul_f32_e32 v51, s3, v50
.LBB15_130:
	v_add_f32_e32 v50, v31, v43
	v_add_f32_e32 v52, v30, v42
	v_add_f32_e32 v53, v33, v45
	v_add_f32_e32 v54, v32, v44
	v_add_f32_e32 v55, v27, v43
	v_add_f32_e32 v56, v26, v42
	v_min3_f32 v50, v52, v50, v102
	s_mov_b32 s6, -1
	v_min_f32_e32 v52, v54, v53
	v_add_f32_e32 v54, v29, v45
	v_min3_f32 v53, v56, v55, v103
	v_add_f32_e32 v55, v28, v44
	v_min3_f32 v52, v51, v52, v50
	v_add_co_u32 v50, vcc_lo, v46, v0
	v_add_co_ci_u32_e64 v51, null, v47, v1, vcc_lo
	v_min3_f32 v53, v55, v54, v53
	s_mov_b32 vcc_lo, s0
	flat_store_dword v[50:51], v52
	v_max_f32_e32 v50, v53, v53
	s_cbranch_vccz .LBB15_132
; %bb.131:
	v_add_co_u32 v51, vcc_lo, v46, v70
	v_min_f32_e32 v53, 0, v50
	v_add_co_ci_u32_e64 v52, null, v47, v71, vcc_lo
	s_mov_b32 s6, 0
	flat_store_dword v[51:52], v53
.LBB15_132:
	v_mov_b32_e32 v51, 0
	s_andn2_b32 vcc_lo, exec_lo, s6
	s_cbranch_vccnz .LBB15_134
; %bb.133:
	v_add_co_u32 v51, vcc_lo, v48, v70
	v_add_co_ci_u32_e64 v52, null, v49, v71, vcc_lo
	flat_load_dword v51, v[51:52]
	s_waitcnt vmcnt(0) lgkmcnt(0)
	v_mul_f32_e32 v53, s3, v51
	v_add_co_u32 v51, vcc_lo, v46, v70
	v_add_co_ci_u32_e64 v52, null, v47, v71, vcc_lo
	v_min_f32_e32 v50, v53, v50
	v_add_co_u32 v53, vcc_lo, v48, v68
	v_add_co_ci_u32_e64 v54, null, v49, v69, vcc_lo
	flat_store_dword v[51:52], v50
	flat_load_dword v50, v[53:54]
	s_waitcnt vmcnt(0) lgkmcnt(0)
	v_mul_f32_e32 v51, s3, v50
.LBB15_134:
	v_add_f32_e32 v50, v23, v43
	v_add_f32_e32 v52, v22, v42
	v_add_f32_e32 v53, v25, v45
	v_add_f32_e32 v54, v24, v44
	v_add_f32_e32 v55, v19, v43
	v_add_f32_e32 v56, v18, v42
	v_min3_f32 v50, v52, v50, v100
	s_mov_b32 s6, -1
	v_min_f32_e32 v52, v54, v53
	v_add_f32_e32 v54, v21, v45
	v_min3_f32 v53, v56, v55, v101
	v_add_f32_e32 v55, v20, v44
	v_min3_f32 v52, v51, v52, v50
	v_add_co_u32 v50, vcc_lo, v46, v68
	v_add_co_ci_u32_e64 v51, null, v47, v69, vcc_lo
	v_min3_f32 v53, v55, v54, v53
	s_mov_b32 vcc_lo, s0
	flat_store_dword v[50:51], v52
	v_max_f32_e32 v50, v53, v53
	;; [unrolled: 46-line block ×3, first 2 shown]
	s_cbranch_vccz .LBB15_140
; %bb.139:
	v_add_co_u32 v51, vcc_lo, v46, v76
	v_min_f32_e32 v53, 0, v50
	v_add_co_ci_u32_e64 v52, null, v47, v77, vcc_lo
	s_mov_b32 s6, 0
	flat_store_dword v[51:52], v53
.LBB15_140:
	v_mov_b32_e32 v51, 0
	s_andn2_b32 vcc_lo, exec_lo, s6
	s_cbranch_vccnz .LBB15_142
; %bb.141:
	v_add_co_u32 v51, vcc_lo, v48, v76
	v_add_co_ci_u32_e64 v52, null, v49, v77, vcc_lo
	flat_load_dword v51, v[51:52]
	s_waitcnt vmcnt(0) lgkmcnt(0)
	v_mul_f32_e32 v53, s3, v51
	v_add_co_u32 v51, vcc_lo, v46, v76
	v_add_co_ci_u32_e64 v52, null, v47, v77, vcc_lo
	v_add_co_u32 v48, vcc_lo, v48, v78
	v_min_f32_e32 v50, v53, v50
	v_add_co_ci_u32_e64 v49, null, v49, v79, vcc_lo
	flat_store_dword v[51:52], v50
	flat_load_dword v48, v[48:49]
	s_waitcnt vmcnt(0) lgkmcnt(0)
	v_mul_f32_e32 v51, s3, v48
.LBB15_142:
	v_add_f32_e32 v43, v3, v43
	v_add_f32_e32 v42, v2, v42
	;; [unrolled: 1-line block ×4, first 2 shown]
	s_waitcnt lgkmcnt(24)
	v_add_f32_e32 v48, v35, v39
	v_add_f32_e32 v49, v34, v38
	v_min3_f32 v42, v42, v43, v96
	v_add_f32_e32 v50, v36, v40
	v_min_f32_e32 v43, v44, v45
	v_add_nc_u32_e32 v44, 0xc0, v80
	v_min3_f32 v48, v49, v48, v97
	v_add_f32_e32 v49, v37, v41
	v_add_co_u32 v46, vcc_lo, v46, v78
	v_min3_f32 v51, v51, v43, v42
	v_mad_i64_i32 v[42:43], null, v44, s2, 0
	v_mad_i64_i32 v[44:45], null, v44, s1, 0
	v_add_co_ci_u32_e64 v47, null, v47, v79, vcc_lo
	v_min3_f32 v48, v50, v49, v48
	s_mov_b32 s6, -1
	v_lshlrev_b64 v[42:43], 2, v[42:43]
	flat_store_dword v[46:47], v51
	v_lshlrev_b64 v[44:45], 2, v[44:45]
	v_max_f32_e32 v46, v48, v48
	v_add_co_u32 v42, vcc_lo, s4, v42
	v_add_co_ci_u32_e64 v43, null, s5, v43, vcc_lo
	v_add_co_u32 v44, vcc_lo, s8, v44
	v_add_co_ci_u32_e64 v45, null, s9, v45, vcc_lo
	s_mov_b32 vcc_lo, s0
	s_cbranch_vccz .LBB15_144
; %bb.143:
	v_add_co_u32 v47, vcc_lo, v42, v66
	v_min_f32_e32 v49, 0, v46
	v_add_co_ci_u32_e64 v48, null, v43, v67, vcc_lo
	s_mov_b32 s6, 0
	flat_store_dword v[47:48], v49
.LBB15_144:
	v_mov_b32_e32 v47, 0
	s_andn2_b32 vcc_lo, exec_lo, s6
	s_cbranch_vccnz .LBB15_146
; %bb.145:
	v_add_co_u32 v47, vcc_lo, v44, v66
	v_add_co_ci_u32_e64 v48, null, v45, v67, vcc_lo
	flat_load_dword v47, v[47:48]
	s_waitcnt vmcnt(0) lgkmcnt(0)
	v_mul_f32_e32 v49, s3, v47
	v_add_co_u32 v47, vcc_lo, v42, v66
	v_add_co_ci_u32_e64 v48, null, v43, v67, vcc_lo
	v_min_f32_e32 v46, v49, v46
	v_add_co_u32 v49, vcc_lo, v44, v0
	v_add_co_ci_u32_e64 v50, null, v45, v1, vcc_lo
	flat_store_dword v[47:48], v46
	flat_load_dword v46, v[49:50]
	s_waitcnt vmcnt(0) lgkmcnt(0)
	v_mul_f32_e32 v47, s3, v46
.LBB15_146:
	v_add_f32_e32 v46, v31, v39
	v_add_f32_e32 v48, v30, v38
	v_add_f32_e32 v49, v33, v41
	v_add_f32_e32 v50, v32, v40
	v_add_f32_e32 v51, v27, v39
	v_add_f32_e32 v52, v26, v38
	v_min3_f32 v46, v48, v46, v94
	s_mov_b32 s6, -1
	v_min_f32_e32 v48, v50, v49
	v_add_f32_e32 v50, v29, v41
	v_min3_f32 v49, v52, v51, v95
	v_add_f32_e32 v51, v28, v40
	v_min3_f32 v48, v47, v48, v46
	v_add_co_u32 v46, vcc_lo, v42, v0
	v_add_co_ci_u32_e64 v47, null, v43, v1, vcc_lo
	v_min3_f32 v49, v51, v50, v49
	s_mov_b32 vcc_lo, s0
	flat_store_dword v[46:47], v48
	v_max_f32_e32 v46, v49, v49
	s_cbranch_vccz .LBB15_148
; %bb.147:
	v_add_co_u32 v47, vcc_lo, v42, v70
	v_min_f32_e32 v49, 0, v46
	v_add_co_ci_u32_e64 v48, null, v43, v71, vcc_lo
	s_mov_b32 s6, 0
	flat_store_dword v[47:48], v49
.LBB15_148:
	v_mov_b32_e32 v47, 0
	s_andn2_b32 vcc_lo, exec_lo, s6
	s_cbranch_vccnz .LBB15_150
; %bb.149:
	v_add_co_u32 v47, vcc_lo, v44, v70
	v_add_co_ci_u32_e64 v48, null, v45, v71, vcc_lo
	flat_load_dword v47, v[47:48]
	s_waitcnt vmcnt(0) lgkmcnt(0)
	v_mul_f32_e32 v49, s3, v47
	v_add_co_u32 v47, vcc_lo, v42, v70
	v_add_co_ci_u32_e64 v48, null, v43, v71, vcc_lo
	v_min_f32_e32 v46, v49, v46
	v_add_co_u32 v49, vcc_lo, v44, v68
	v_add_co_ci_u32_e64 v50, null, v45, v69, vcc_lo
	flat_store_dword v[47:48], v46
	flat_load_dword v46, v[49:50]
	s_waitcnt vmcnt(0) lgkmcnt(0)
	v_mul_f32_e32 v47, s3, v46
.LBB15_150:
	v_add_f32_e32 v46, v23, v39
	v_add_f32_e32 v48, v22, v38
	v_add_f32_e32 v49, v25, v41
	v_add_f32_e32 v50, v24, v40
	v_add_f32_e32 v51, v19, v39
	v_add_f32_e32 v52, v18, v38
	v_min3_f32 v46, v48, v46, v92
	s_mov_b32 s6, -1
	v_min_f32_e32 v48, v50, v49
	v_add_f32_e32 v50, v21, v41
	v_min3_f32 v49, v52, v51, v93
	v_add_f32_e32 v51, v20, v40
	v_min3_f32 v48, v47, v48, v46
	v_add_co_u32 v46, vcc_lo, v42, v68
	v_add_co_ci_u32_e64 v47, null, v43, v69, vcc_lo
	v_min3_f32 v49, v51, v50, v49
	s_mov_b32 vcc_lo, s0
	flat_store_dword v[46:47], v48
	v_max_f32_e32 v46, v49, v49
	;; [unrolled: 46-line block ×3, first 2 shown]
	s_cbranch_vccz .LBB15_156
; %bb.155:
	v_add_co_u32 v47, vcc_lo, v42, v76
	v_min_f32_e32 v49, 0, v46
	v_add_co_ci_u32_e64 v48, null, v43, v77, vcc_lo
	s_mov_b32 s6, 0
	flat_store_dword v[47:48], v49
.LBB15_156:
	v_mov_b32_e32 v47, 0
	s_andn2_b32 vcc_lo, exec_lo, s6
	s_cbranch_vccnz .LBB15_158
; %bb.157:
	v_add_co_u32 v47, vcc_lo, v44, v76
	v_add_co_ci_u32_e64 v48, null, v45, v77, vcc_lo
	flat_load_dword v47, v[47:48]
	s_waitcnt vmcnt(0) lgkmcnt(0)
	v_mul_f32_e32 v49, s3, v47
	v_add_co_u32 v47, vcc_lo, v42, v76
	v_add_co_ci_u32_e64 v48, null, v43, v77, vcc_lo
	v_add_co_u32 v44, vcc_lo, v44, v78
	v_min_f32_e32 v46, v49, v46
	v_add_co_ci_u32_e64 v45, null, v45, v79, vcc_lo
	flat_store_dword v[47:48], v46
	flat_load_dword v44, v[44:45]
	s_waitcnt vmcnt(0) lgkmcnt(0)
	v_mul_f32_e32 v47, s3, v44
.LBB15_158:
	v_add_f32_e32 v39, v3, v39
	v_add_f32_e32 v38, v2, v38
	;; [unrolled: 1-line block ×4, first 2 shown]
	s_waitcnt lgkmcnt(27)
	v_add_f32_e32 v35, v35, v7
	v_add_f32_e32 v34, v34, v6
	v_min3_f32 v38, v38, v39, v88
	v_add_f32_e32 v44, v37, v9
	v_min_f32_e32 v39, v40, v41
	v_add_nc_u32_e32 v41, 0xe0, v80
	v_min3_f32 v40, v34, v35, v89
	v_add_f32_e32 v45, v36, v8
	v_min3_f32 v46, v47, v39, v38
	v_mad_i64_i32 v[34:35], null, v41, s2, 0
	v_mad_i64_i32 v[36:37], null, v41, s1, 0
	v_add_co_u32 v38, vcc_lo, v42, v78
	v_add_co_ci_u32_e64 v39, null, v43, v79, vcc_lo
	v_lshlrev_b64 v[34:35], 2, v[34:35]
	v_min3_f32 v40, v45, v44, v40
	v_lshlrev_b64 v[36:37], 2, v[36:37]
	flat_store_dword v[38:39], v46
	s_mov_b32 s1, -1
	v_add_co_u32 v34, vcc_lo, s4, v34
	v_add_co_ci_u32_e64 v35, null, s5, v35, vcc_lo
	v_add_co_u32 v36, vcc_lo, s8, v36
	v_add_co_ci_u32_e64 v37, null, s9, v37, vcc_lo
	v_max_f32_e32 v38, v40, v40
	s_mov_b32 vcc_lo, s0
	s_cbranch_vccz .LBB15_160
; %bb.159:
	v_add_co_u32 v39, vcc_lo, v34, v66
	v_min_f32_e32 v41, 0, v38
	v_add_co_ci_u32_e64 v40, null, v35, v67, vcc_lo
	s_mov_b32 s1, 0
	flat_store_dword v[39:40], v41
.LBB15_160:
	v_mov_b32_e32 v39, 0
	s_andn2_b32 vcc_lo, exec_lo, s1
	s_cbranch_vccnz .LBB15_162
; %bb.161:
	v_add_co_u32 v39, vcc_lo, v36, v66
	v_add_co_ci_u32_e64 v40, null, v37, v67, vcc_lo
	flat_load_dword v39, v[39:40]
	s_waitcnt vmcnt(0) lgkmcnt(0)
	v_mul_f32_e32 v41, s3, v39
	v_add_co_u32 v39, vcc_lo, v34, v66
	v_add_co_ci_u32_e64 v40, null, v35, v67, vcc_lo
	v_min_f32_e32 v38, v41, v38
	v_add_co_u32 v41, vcc_lo, v36, v0
	v_add_co_ci_u32_e64 v42, null, v37, v1, vcc_lo
	flat_store_dword v[39:40], v38
	flat_load_dword v38, v[41:42]
	s_waitcnt vmcnt(0) lgkmcnt(0)
	v_mul_f32_e32 v39, s3, v38
.LBB15_162:
	v_add_f32_e32 v31, v31, v7
	v_add_f32_e32 v30, v30, v6
	;; [unrolled: 1-line block ×6, first 2 shown]
	v_min3_f32 v30, v30, v31, v87
	v_add_f32_e32 v28, v28, v8
	v_min_f32_e32 v31, v32, v33
	v_add_co_u32 v0, vcc_lo, v34, v0
	v_min3_f32 v26, v26, v27, v86
	v_add_f32_e32 v27, v29, v9
	v_min3_f32 v29, v39, v31, v30
	v_add_co_ci_u32_e64 v1, null, v35, v1, vcc_lo
	s_mov_b32 s1, -1
	v_min3_f32 v26, v28, v27, v26
	s_mov_b32 vcc_lo, s0
	flat_store_dword v[0:1], v29
	v_max_f32_e32 v0, v26, v26
	s_cbranch_vccz .LBB15_164
; %bb.163:
	v_add_co_u32 v26, vcc_lo, v34, v70
	v_min_f32_e32 v1, 0, v0
	v_add_co_ci_u32_e64 v27, null, v35, v71, vcc_lo
	s_mov_b32 s1, 0
	flat_store_dword v[26:27], v1
.LBB15_164:
	v_mov_b32_e32 v1, 0
	s_andn2_b32 vcc_lo, exec_lo, s1
	s_cbranch_vccnz .LBB15_166
; %bb.165:
	v_add_co_u32 v26, vcc_lo, v36, v70
	v_add_co_ci_u32_e64 v27, null, v37, v71, vcc_lo
	flat_load_dword v1, v[26:27]
	v_add_co_u32 v26, vcc_lo, v34, v70
	v_add_co_ci_u32_e64 v27, null, v35, v71, vcc_lo
	s_waitcnt vmcnt(0) lgkmcnt(0)
	v_mul_f32_e32 v1, s3, v1
	v_min_f32_e32 v28, v1, v0
	v_add_co_u32 v0, vcc_lo, v36, v68
	v_add_co_ci_u32_e64 v1, null, v37, v69, vcc_lo
	flat_store_dword v[26:27], v28
	flat_load_dword v0, v[0:1]
	s_waitcnt vmcnt(0) lgkmcnt(0)
	v_mul_f32_e32 v1, s3, v0
.LBB15_166:
	v_add_f32_e32 v0, v23, v7
	v_add_f32_e32 v22, v22, v6
	;; [unrolled: 1-line block ×6, first 2 shown]
	v_min3_f32 v0, v22, v0, v83
	v_add_f32_e32 v20, v20, v8
	v_min_f32_e32 v22, v24, v23
	s_mov_b32 s1, -1
	v_min3_f32 v18, v18, v19, v84
	v_add_f32_e32 v19, v21, v9
	v_min3_f32 v21, v1, v22, v0
	v_add_co_u32 v0, vcc_lo, v34, v68
	v_add_co_ci_u32_e64 v1, null, v35, v69, vcc_lo
	v_min3_f32 v18, v20, v19, v18
	s_mov_b32 vcc_lo, s0
	flat_store_dword v[0:1], v21
	v_max_f32_e32 v0, v18, v18
	s_cbranch_vccz .LBB15_168
; %bb.167:
	v_add_co_u32 v18, vcc_lo, v34, v74
	v_min_f32_e32 v1, 0, v0
	v_add_co_ci_u32_e64 v19, null, v35, v75, vcc_lo
	s_mov_b32 s1, 0
	flat_store_dword v[18:19], v1
.LBB15_168:
	v_mov_b32_e32 v1, 0
	s_andn2_b32 vcc_lo, exec_lo, s1
	s_cbranch_vccnz .LBB15_170
; %bb.169:
	v_add_co_u32 v18, vcc_lo, v36, v74
	v_add_co_ci_u32_e64 v19, null, v37, v75, vcc_lo
	flat_load_dword v1, v[18:19]
	v_add_co_u32 v18, vcc_lo, v34, v74
	v_add_co_ci_u32_e64 v19, null, v35, v75, vcc_lo
	s_waitcnt vmcnt(0) lgkmcnt(0)
	v_mul_f32_e32 v1, s3, v1
	v_min_f32_e32 v20, v1, v0
	v_add_co_u32 v0, vcc_lo, v36, v72
	v_add_co_ci_u32_e64 v1, null, v37, v73, vcc_lo
	flat_store_dword v[18:19], v20
	flat_load_dword v0, v[0:1]
	s_waitcnt vmcnt(0) lgkmcnt(0)
	v_mul_f32_e32 v1, s3, v0
.LBB15_170:
	v_add_f32_e32 v0, v15, v7
	v_add_f32_e32 v14, v14, v6
	;; [unrolled: 1-line block ×6, first 2 shown]
	v_min3_f32 v0, v14, v0, v81
	v_add_f32_e32 v12, v12, v8
	v_min_f32_e32 v14, v16, v15
	s_mov_b32 s1, -1
	v_min3_f32 v10, v10, v11, v82
	v_add_f32_e32 v11, v13, v9
	v_min3_f32 v13, v1, v14, v0
	v_add_co_u32 v0, vcc_lo, v34, v72
	v_add_co_ci_u32_e64 v1, null, v35, v73, vcc_lo
	v_min3_f32 v10, v12, v11, v10
	s_mov_b32 vcc_lo, s0
	flat_store_dword v[0:1], v13
	v_max_f32_e32 v0, v10, v10
	s_cbranch_vccz .LBB15_172
; %bb.171:
	v_add_co_u32 v10, vcc_lo, v34, v76
	v_min_f32_e32 v1, 0, v0
	v_add_co_ci_u32_e64 v11, null, v35, v77, vcc_lo
	s_mov_b32 s1, 0
	flat_store_dword v[10:11], v1
.LBB15_172:
	v_mov_b32_e32 v1, 0
	s_andn2_b32 vcc_lo, exec_lo, s1
	s_cbranch_vccnz .LBB15_174
; %bb.173:
	v_add_co_u32 v10, vcc_lo, v36, v76
	v_add_co_ci_u32_e64 v11, null, v37, v77, vcc_lo
	flat_load_dword v1, v[10:11]
	v_add_co_u32 v10, vcc_lo, v34, v76
	v_add_co_ci_u32_e64 v11, null, v35, v77, vcc_lo
	s_waitcnt vmcnt(0) lgkmcnt(0)
	v_mul_f32_e32 v1, s3, v1
	v_min_f32_e32 v12, v1, v0
	v_add_co_u32 v0, vcc_lo, v36, v78
	v_add_co_ci_u32_e64 v1, null, v37, v79, vcc_lo
	flat_store_dword v[10:11], v12
	flat_load_dword v0, v[0:1]
	s_waitcnt vmcnt(0) lgkmcnt(0)
	v_mul_f32_e32 v1, s3, v0
.LBB15_174:
	v_add_f32_e32 v0, v5, v9
	v_add_f32_e32 v4, v4, v8
	;; [unrolled: 1-line block ×4, first 2 shown]
	v_min_f32_e32 v0, v4, v0
	v_min3_f32 v2, v2, v3, v85
	v_min3_f32 v2, v1, v0, v2
	v_add_co_u32 v0, vcc_lo, v34, v78
	v_add_co_ci_u32_e64 v1, null, v35, v79, vcc_lo
	flat_store_dword v[0:1], v2
	s_endpgm
	.section	.rodata,"a",@progbits
	.p2align	6, 0x0
	.amdhsa_kernel _ZN12_GLOBAL__N_120geam_min_plus_kernelIf15HIP_vector_typeIfLj2EEfLi8ELi32ELi64ELi256ELi4ELi64ELi4ELi64ELi4ELc78ELc84ELb0ELb0ELb1EPKfKS4_KPfEEviiiT16_PT17_ilSA_ilS8_SA_ilPT18_ili26rocblas_geam_ex_operation_
		.amdhsa_group_segment_fixed_size 10240
		.amdhsa_private_segment_fixed_size 0
		.amdhsa_kernarg_size 136
		.amdhsa_user_sgpr_count 6
		.amdhsa_user_sgpr_private_segment_buffer 1
		.amdhsa_user_sgpr_dispatch_ptr 0
		.amdhsa_user_sgpr_queue_ptr 0
		.amdhsa_user_sgpr_kernarg_segment_ptr 1
		.amdhsa_user_sgpr_dispatch_id 0
		.amdhsa_user_sgpr_flat_scratch_init 0
		.amdhsa_user_sgpr_private_segment_size 0
		.amdhsa_wavefront_size32 1
		.amdhsa_uses_dynamic_stack 0
		.amdhsa_system_sgpr_private_segment_wavefront_offset 0
		.amdhsa_system_sgpr_workgroup_id_x 1
		.amdhsa_system_sgpr_workgroup_id_y 0
		.amdhsa_system_sgpr_workgroup_id_z 1
		.amdhsa_system_sgpr_workgroup_info 0
		.amdhsa_system_vgpr_workitem_id 1
		.amdhsa_next_free_vgpr 171
		.amdhsa_next_free_sgpr 25
		.amdhsa_reserve_vcc 1
		.amdhsa_reserve_flat_scratch 1
		.amdhsa_float_round_mode_32 0
		.amdhsa_float_round_mode_16_64 0
		.amdhsa_float_denorm_mode_32 3
		.amdhsa_float_denorm_mode_16_64 3
		.amdhsa_dx10_clamp 1
		.amdhsa_ieee_mode 1
		.amdhsa_fp16_overflow 0
		.amdhsa_workgroup_processor_mode 1
		.amdhsa_memory_ordered 1
		.amdhsa_forward_progress 1
		.amdhsa_shared_vgpr_count 0
		.amdhsa_exception_fp_ieee_invalid_op 0
		.amdhsa_exception_fp_denorm_src 0
		.amdhsa_exception_fp_ieee_div_zero 0
		.amdhsa_exception_fp_ieee_overflow 0
		.amdhsa_exception_fp_ieee_underflow 0
		.amdhsa_exception_fp_ieee_inexact 0
		.amdhsa_exception_int_div_zero 0
	.end_amdhsa_kernel
	.section	.text._ZN12_GLOBAL__N_120geam_min_plus_kernelIf15HIP_vector_typeIfLj2EEfLi8ELi32ELi64ELi256ELi4ELi64ELi4ELi64ELi4ELc78ELc84ELb0ELb0ELb1EPKfKS4_KPfEEviiiT16_PT17_ilSA_ilS8_SA_ilPT18_ili26rocblas_geam_ex_operation_,"axG",@progbits,_ZN12_GLOBAL__N_120geam_min_plus_kernelIf15HIP_vector_typeIfLj2EEfLi8ELi32ELi64ELi256ELi4ELi64ELi4ELi64ELi4ELc78ELc84ELb0ELb0ELb1EPKfKS4_KPfEEviiiT16_PT17_ilSA_ilS8_SA_ilPT18_ili26rocblas_geam_ex_operation_,comdat
.Lfunc_end15:
	.size	_ZN12_GLOBAL__N_120geam_min_plus_kernelIf15HIP_vector_typeIfLj2EEfLi8ELi32ELi64ELi256ELi4ELi64ELi4ELi64ELi4ELc78ELc84ELb0ELb0ELb1EPKfKS4_KPfEEviiiT16_PT17_ilSA_ilS8_SA_ilPT18_ili26rocblas_geam_ex_operation_, .Lfunc_end15-_ZN12_GLOBAL__N_120geam_min_plus_kernelIf15HIP_vector_typeIfLj2EEfLi8ELi32ELi64ELi256ELi4ELi64ELi4ELi64ELi4ELc78ELc84ELb0ELb0ELb1EPKfKS4_KPfEEviiiT16_PT17_ilSA_ilS8_SA_ilPT18_ili26rocblas_geam_ex_operation_
                                        ; -- End function
	.set _ZN12_GLOBAL__N_120geam_min_plus_kernelIf15HIP_vector_typeIfLj2EEfLi8ELi32ELi64ELi256ELi4ELi64ELi4ELi64ELi4ELc78ELc84ELb0ELb0ELb1EPKfKS4_KPfEEviiiT16_PT17_ilSA_ilS8_SA_ilPT18_ili26rocblas_geam_ex_operation_.num_vgpr, 171
	.set _ZN12_GLOBAL__N_120geam_min_plus_kernelIf15HIP_vector_typeIfLj2EEfLi8ELi32ELi64ELi256ELi4ELi64ELi4ELi64ELi4ELc78ELc84ELb0ELb0ELb1EPKfKS4_KPfEEviiiT16_PT17_ilSA_ilS8_SA_ilPT18_ili26rocblas_geam_ex_operation_.num_agpr, 0
	.set _ZN12_GLOBAL__N_120geam_min_plus_kernelIf15HIP_vector_typeIfLj2EEfLi8ELi32ELi64ELi256ELi4ELi64ELi4ELi64ELi4ELc78ELc84ELb0ELb0ELb1EPKfKS4_KPfEEviiiT16_PT17_ilSA_ilS8_SA_ilPT18_ili26rocblas_geam_ex_operation_.numbered_sgpr, 25
	.set _ZN12_GLOBAL__N_120geam_min_plus_kernelIf15HIP_vector_typeIfLj2EEfLi8ELi32ELi64ELi256ELi4ELi64ELi4ELi64ELi4ELc78ELc84ELb0ELb0ELb1EPKfKS4_KPfEEviiiT16_PT17_ilSA_ilS8_SA_ilPT18_ili26rocblas_geam_ex_operation_.num_named_barrier, 0
	.set _ZN12_GLOBAL__N_120geam_min_plus_kernelIf15HIP_vector_typeIfLj2EEfLi8ELi32ELi64ELi256ELi4ELi64ELi4ELi64ELi4ELc78ELc84ELb0ELb0ELb1EPKfKS4_KPfEEviiiT16_PT17_ilSA_ilS8_SA_ilPT18_ili26rocblas_geam_ex_operation_.private_seg_size, 0
	.set _ZN12_GLOBAL__N_120geam_min_plus_kernelIf15HIP_vector_typeIfLj2EEfLi8ELi32ELi64ELi256ELi4ELi64ELi4ELi64ELi4ELc78ELc84ELb0ELb0ELb1EPKfKS4_KPfEEviiiT16_PT17_ilSA_ilS8_SA_ilPT18_ili26rocblas_geam_ex_operation_.uses_vcc, 1
	.set _ZN12_GLOBAL__N_120geam_min_plus_kernelIf15HIP_vector_typeIfLj2EEfLi8ELi32ELi64ELi256ELi4ELi64ELi4ELi64ELi4ELc78ELc84ELb0ELb0ELb1EPKfKS4_KPfEEviiiT16_PT17_ilSA_ilS8_SA_ilPT18_ili26rocblas_geam_ex_operation_.uses_flat_scratch, 1
	.set _ZN12_GLOBAL__N_120geam_min_plus_kernelIf15HIP_vector_typeIfLj2EEfLi8ELi32ELi64ELi256ELi4ELi64ELi4ELi64ELi4ELc78ELc84ELb0ELb0ELb1EPKfKS4_KPfEEviiiT16_PT17_ilSA_ilS8_SA_ilPT18_ili26rocblas_geam_ex_operation_.has_dyn_sized_stack, 0
	.set _ZN12_GLOBAL__N_120geam_min_plus_kernelIf15HIP_vector_typeIfLj2EEfLi8ELi32ELi64ELi256ELi4ELi64ELi4ELi64ELi4ELc78ELc84ELb0ELb0ELb1EPKfKS4_KPfEEviiiT16_PT17_ilSA_ilS8_SA_ilPT18_ili26rocblas_geam_ex_operation_.has_recursion, 0
	.set _ZN12_GLOBAL__N_120geam_min_plus_kernelIf15HIP_vector_typeIfLj2EEfLi8ELi32ELi64ELi256ELi4ELi64ELi4ELi64ELi4ELc78ELc84ELb0ELb0ELb1EPKfKS4_KPfEEviiiT16_PT17_ilSA_ilS8_SA_ilPT18_ili26rocblas_geam_ex_operation_.has_indirect_call, 0
	.section	.AMDGPU.csdata,"",@progbits
; Kernel info:
; codeLenInByte = 17572
; TotalNumSgprs: 27
; NumVgprs: 171
; ScratchSize: 0
; MemoryBound: 0
; FloatMode: 240
; IeeeMode: 1
; LDSByteSize: 10240 bytes/workgroup (compile time only)
; SGPRBlocks: 0
; VGPRBlocks: 21
; NumSGPRsForWavesPerEU: 27
; NumVGPRsForWavesPerEU: 171
; Occupancy: 5
; WaveLimiterHint : 1
; COMPUTE_PGM_RSRC2:SCRATCH_EN: 0
; COMPUTE_PGM_RSRC2:USER_SGPR: 6
; COMPUTE_PGM_RSRC2:TRAP_HANDLER: 0
; COMPUTE_PGM_RSRC2:TGID_X_EN: 1
; COMPUTE_PGM_RSRC2:TGID_Y_EN: 0
; COMPUTE_PGM_RSRC2:TGID_Z_EN: 1
; COMPUTE_PGM_RSRC2:TIDIG_COMP_CNT: 1
	.section	.text._ZN12_GLOBAL__N_120geam_min_plus_kernelIf15HIP_vector_typeIfLj2EEfLi8ELi32ELi64ELi256ELi4ELi64ELi4ELi64ELi4ELc78ELc84ELb1ELb0ELb1EfKPKfKPfEEviiiT16_PT17_ilSA_ilS8_SA_ilPT18_ili26rocblas_geam_ex_operation_,"axG",@progbits,_ZN12_GLOBAL__N_120geam_min_plus_kernelIf15HIP_vector_typeIfLj2EEfLi8ELi32ELi64ELi256ELi4ELi64ELi4ELi64ELi4ELc78ELc84ELb1ELb0ELb1EfKPKfKPfEEviiiT16_PT17_ilSA_ilS8_SA_ilPT18_ili26rocblas_geam_ex_operation_,comdat
	.globl	_ZN12_GLOBAL__N_120geam_min_plus_kernelIf15HIP_vector_typeIfLj2EEfLi8ELi32ELi64ELi256ELi4ELi64ELi4ELi64ELi4ELc78ELc84ELb1ELb0ELb1EfKPKfKPfEEviiiT16_PT17_ilSA_ilS8_SA_ilPT18_ili26rocblas_geam_ex_operation_ ; -- Begin function _ZN12_GLOBAL__N_120geam_min_plus_kernelIf15HIP_vector_typeIfLj2EEfLi8ELi32ELi64ELi256ELi4ELi64ELi4ELi64ELi4ELc78ELc84ELb1ELb0ELb1EfKPKfKPfEEviiiT16_PT17_ilSA_ilS8_SA_ilPT18_ili26rocblas_geam_ex_operation_
	.p2align	8
	.type	_ZN12_GLOBAL__N_120geam_min_plus_kernelIf15HIP_vector_typeIfLj2EEfLi8ELi32ELi64ELi256ELi4ELi64ELi4ELi64ELi4ELc78ELc84ELb1ELb0ELb1EfKPKfKPfEEviiiT16_PT17_ilSA_ilS8_SA_ilPT18_ili26rocblas_geam_ex_operation_,@function
_ZN12_GLOBAL__N_120geam_min_plus_kernelIf15HIP_vector_typeIfLj2EEfLi8ELi32ELi64ELi256ELi4ELi64ELi4ELi64ELi4ELc78ELc84ELb1ELb0ELb1EfKPKfKPfEEviiiT16_PT17_ilSA_ilS8_SA_ilPT18_ili26rocblas_geam_ex_operation_: ; @_ZN12_GLOBAL__N_120geam_min_plus_kernelIf15HIP_vector_typeIfLj2EEfLi8ELi32ELi64ELi256ELi4ELi64ELi4ELi64ELi4ELc78ELc84ELb1ELb0ELb1EfKPKfKPfEEviiiT16_PT17_ilSA_ilS8_SA_ilPT18_ili26rocblas_geam_ex_operation_
; %bb.0:
	s_clause 0x1
	s_load_dwordx2 s[14:15], s[4:5], 0x8
	s_load_dwordx4 s[0:3], s[4:5], 0x20
	s_mov_b32 s8, s7
	s_mov_b32 s9, 0
	s_waitcnt lgkmcnt(0)
	v_cmp_eq_f32_e64 s7, s15, 0
	s_and_b32 vcc_lo, exec_lo, s7
	s_cbranch_vccnz .LBB16_3
; %bb.1:
	s_load_dwordx2 s[10:11], s[4:5], 0x10
	s_lshl_b64 s[12:13], s[8:9], 3
	s_waitcnt lgkmcnt(0)
	s_add_u32 s10, s10, s12
	s_addc_u32 s11, s11, s13
	s_lshl_b64 s[0:1], s[0:1], 2
	s_load_dwordx2 s[10:11], s[10:11], 0x0
	s_waitcnt lgkmcnt(0)
	s_add_u32 s16, s10, s0
	s_addc_u32 s17, s11, s1
	s_andn2_b32 vcc_lo, exec_lo, s7
	s_cbranch_vccnz .LBB16_4
.LBB16_2:
	s_mov_b32 s23, 0
	s_mov_b32 s22, s8
	;; [unrolled: 1-line block ×3, first 2 shown]
	s_mov_b64 s[12:13], 0
	s_andn2_b32 vcc_lo, exec_lo, s0
	s_mov_b64 s[18:19], 0
	s_cbranch_vccz .LBB16_5
	s_branch .LBB16_6
.LBB16_3:
	s_mov_b64 s[16:17], 0
	s_andn2_b32 vcc_lo, exec_lo, s7
	s_cbranch_vccz .LBB16_2
.LBB16_4:
	s_mov_b64 s[22:23], s[8:9]
	s_mov_b64 s[12:13], 0
	;; [unrolled: 1-line block ×3, first 2 shown]
.LBB16_5:
	s_lshl_b64 s[0:1], s[8:9], 3
	s_load_dwordx2 s[8:9], s[4:5], 0x38
	s_add_u32 s0, s2, s0
	s_addc_u32 s1, s3, s1
	s_load_dwordx2 s[0:1], s[0:1], 0x0
	s_waitcnt lgkmcnt(0)
	s_lshl_b64 s[2:3], s[8:9], 2
	s_add_u32 s18, s0, s2
	s_addc_u32 s19, s1, s3
.LBB16_6:
	s_clause 0x1
	s_load_dword s1, s[4:5], 0x40
	s_load_dwordx4 s[8:11], s[4:5], 0x58
	s_waitcnt lgkmcnt(0)
	v_cmp_eq_f32_e64 s0, s1, 0
	s_and_b32 s0, exec_lo, s0
	s_mov_b32 vcc_lo, s0
	s_cbranch_vccnz .LBB16_8
; %bb.7:
	s_load_dwordx2 s[2:3], s[4:5], 0x48
	s_lshl_b64 s[12:13], s[22:23], 3
	s_waitcnt lgkmcnt(0)
	s_add_u32 s2, s2, s12
	s_addc_u32 s3, s3, s13
	s_lshl_b64 s[8:9], s[8:9], 2
	s_load_dwordx2 s[2:3], s[2:3], 0x0
	s_waitcnt lgkmcnt(0)
	s_add_u32 s12, s2, s8
	s_addc_u32 s13, s3, s9
.LBB16_8:
	s_clause 0x2
	s_load_dword s7, s[4:5], 0x0
	s_load_dword s8, s[4:5], 0x18
	;; [unrolled: 1-line block ×3, first 2 shown]
	s_lshl_b64 s[2:3], s[22:23], 3
	v_lshlrev_b32_e32 v76, 4, v0
	s_add_u32 s2, s10, s2
	s_addc_u32 s3, s11, s3
	v_lshlrev_b32_e32 v77, 4, v1
	s_load_dwordx2 s[2:3], s[2:3], 0x0
	s_waitcnt lgkmcnt(0)
	s_add_i32 s7, s7, -1
	s_ashr_i32 s9, s7, 31
	s_lshr_b32 s9, s9, 26
	s_add_i32 s7, s7, s9
	s_ashr_i32 s7, s7, 6
	s_add_i32 s9, s7, 1
	s_not_b32 s7, s7
	v_cvt_f32_u32_e32 v2, s9
	v_rcp_iflag_f32_e32 v2, v2
	v_mul_f32_e32 v2, 0x4f7ffffe, v2
	v_cvt_u32_f32_e32 v2, v2
	v_readfirstlane_b32 s10, v2
	v_lshl_add_u32 v2, v1, 3, v0
	s_mul_i32 s7, s7, s10
	v_lshrrev_b32_e32 v68, 6, v2
	s_mul_hi_u32 s7, s10, s7
	v_and_b32_e32 v6, 63, v2
	s_add_i32 s10, s10, s7
	v_mad_i64_i32 v[4:5], null, s8, v68, 0
	s_mul_hi_u32 s7, s6, s10
	v_add_nc_u32_e32 v10, 4, v68
	s_mul_i32 s10, s7, s9
	s_add_i32 s11, s7, 1
	s_sub_i32 s10, s6, s10
	s_sub_i32 s15, s10, s9
	s_cmp_ge_u32 s10, s9
	v_lshlrev_b64 v[4:5], 2, v[4:5]
	s_cselect_b32 s7, s11, s7
	s_cselect_b32 s10, s15, s10
	s_add_i32 s11, s7, 1
	s_cmp_ge_u32 s10, s9
	s_cselect_b32 s7, s11, s7
	v_add_co_u32 v4, vcc_lo, s16, v4
	s_mul_i32 s9, s7, s9
	v_add_co_ci_u32_e64 v5, null, s17, v5, vcc_lo
	s_sub_i32 s6, s6, s9
	s_lshl_b32 s10, s7, 8
	s_lshl_b32 s11, s6, 6
	s_cmp_lt_i32 s14, 9
	v_or_b32_e32 v2, s11, v6
	v_ashrrev_i32_e32 v3, 31, v2
	v_lshlrev_b64 v[66:67], 2, v[2:3]
	v_add_co_u32 v2, vcc_lo, v4, v66
	v_add_co_ci_u32_e64 v3, null, v5, v67, vcc_lo
	flat_load_dword v5, v[2:3]
	v_mad_i64_i32 v[3:4], null, s20, v68, 0
	v_or_b32_e32 v2, s10, v6
	v_lshlrev_b64 v[3:4], 2, v[3:4]
	v_add_co_u32 v7, vcc_lo, s18, v3
	v_ashrrev_i32_e32 v3, 31, v2
	v_add_co_ci_u32_e64 v4, null, s19, v4, vcc_lo
	v_lshlrev_b64 v[74:75], 2, v[2:3]
	v_add_co_u32 v2, vcc_lo, v7, v74
	v_add_co_ci_u32_e64 v3, null, v4, v75, vcc_lo
	s_clause 0x3
	flat_load_dword v4, v[2:3]
	flat_load_dword v7, v[2:3] offset:256
	flat_load_dword v8, v[2:3] offset:512
	;; [unrolled: 1-line block ×3, first 2 shown]
	v_mad_i64_i32 v[2:3], null, s8, v10, 0
	v_lshlrev_b64 v[2:3], 2, v[2:3]
	v_add_co_u32 v2, vcc_lo, s16, v2
	v_add_co_ci_u32_e64 v3, null, s17, v3, vcc_lo
	v_add_co_u32 v2, vcc_lo, v2, v66
	v_add_co_ci_u32_e64 v3, null, v3, v67, vcc_lo
	flat_load_dword v69, v[2:3]
	v_mad_i64_i32 v[2:3], null, s20, v10, 0
	v_lshlrev_b64 v[2:3], 2, v[2:3]
	v_add_co_u32 v2, vcc_lo, s18, v2
	v_add_co_ci_u32_e64 v3, null, s19, v3, vcc_lo
	v_add_co_u32 v2, vcc_lo, v2, v74
	v_add_co_ci_u32_e64 v3, null, v3, v75, vcc_lo
	s_clause 0x3
	flat_load_dword v70, v[2:3]
	flat_load_dword v71, v[2:3] offset:256
	flat_load_dword v72, v[2:3] offset:512
	;; [unrolled: 1-line block ×3, first 2 shown]
	v_lshlrev_b32_e32 v2, 4, v6
	v_lshl_add_u32 v78, v68, 2, v2
	s_waitcnt vmcnt(9) lgkmcnt(9)
	ds_write_b32 v78, v5 offset:8192
	s_waitcnt vmcnt(7) lgkmcnt(8)
	ds_write2st64_b32 v78, v4, v7 offset1:4
	s_waitcnt vmcnt(5) lgkmcnt(7)
	ds_write2st64_b32 v78, v8, v9 offset0:8 offset1:12
	s_waitcnt vmcnt(0) lgkmcnt(0)
	s_barrier
	buffer_gl0_inv
	ds_read_b128 v[30:33], v76 offset:8192
	ds_read_b128 v[26:29], v76 offset:8320
	ds_read_b128 v[22:25], v76 offset:8448
	ds_read_b128 v[18:21], v76 offset:8576
	ds_read_b128 v[14:17], v76 offset:8704
	ds_read_b128 v[10:13], v76 offset:8832
	ds_read_b128 v[6:9], v76 offset:8960
	ds_read_b128 v[2:5], v76 offset:9088
	ds_read_b128 v[62:65], v77
	ds_read_b128 v[58:61], v77 offset:512
	ds_read_b128 v[54:57], v77 offset:1024
	;; [unrolled: 1-line block ×7, first 2 shown]
	ds_write_b32 v78, v69 offset:9216
	ds_write2st64_b32 v78, v70, v71 offset0:16 offset1:20
	ds_write2st64_b32 v78, v72, v73 offset0:24 offset1:28
	s_waitcnt lgkmcnt(10)
	v_add_f32_e32 v79, v31, v63
	v_add_f32_e32 v80, v30, v62
	s_waitcnt lgkmcnt(4)
	v_add_f32_e32 v122, v6, v38
	s_waitcnt lgkmcnt(0)
	s_barrier
	buffer_gl0_inv
	v_min3_f32 v114, v80, v79, 0x7f7fffff
	v_add_f32_e32 v79, v27, v63
	v_add_f32_e32 v80, v26, v62
	v_min3_f32 v115, v80, v79, 0x7f7fffff
	v_add_f32_e32 v79, v23, v63
	v_add_f32_e32 v80, v22, v62
	v_min3_f32 v116, v80, v79, 0x7f7fffff
	v_add_f32_e32 v79, v19, v63
	v_add_f32_e32 v80, v18, v62
	v_min3_f32 v117, v80, v79, 0x7f7fffff
	v_add_f32_e32 v79, v15, v63
	v_add_f32_e32 v80, v14, v62
	v_min3_f32 v118, v80, v79, 0x7f7fffff
	v_add_f32_e32 v79, v11, v63
	v_add_f32_e32 v80, v10, v62
	v_min3_f32 v119, v80, v79, 0x7f7fffff
	v_add_f32_e32 v79, v7, v63
	v_add_f32_e32 v80, v6, v62
	v_add_f32_e32 v63, v3, v63
	v_add_f32_e32 v62, v2, v62
	v_min3_f32 v120, v80, v79, 0x7f7fffff
	v_min3_f32 v121, v62, v63, 0x7f7fffff
	v_add_f32_e32 v62, v31, v59
	v_add_f32_e32 v63, v30, v58
	v_min3_f32 v113, v63, v62, 0x7f7fffff
	v_add_f32_e32 v62, v27, v59
	v_add_f32_e32 v63, v26, v58
	v_min3_f32 v112, v63, v62, 0x7f7fffff
	v_add_f32_e32 v62, v23, v59
	v_add_f32_e32 v63, v22, v58
	v_min3_f32 v111, v63, v62, 0x7f7fffff
	v_add_f32_e32 v62, v19, v59
	v_add_f32_e32 v63, v18, v58
	v_min3_f32 v110, v63, v62, 0x7f7fffff
	v_add_f32_e32 v62, v15, v59
	v_add_f32_e32 v63, v14, v58
	v_min3_f32 v109, v63, v62, 0x7f7fffff
	v_add_f32_e32 v62, v11, v59
	v_add_f32_e32 v63, v10, v58
	v_min3_f32 v108, v63, v62, 0x7f7fffff
	v_add_f32_e32 v62, v7, v59
	v_add_f32_e32 v63, v6, v58
	v_add_f32_e32 v59, v3, v59
	v_add_f32_e32 v58, v2, v58
	v_min3_f32 v107, v63, v62, 0x7f7fffff
	v_min3_f32 v106, v58, v59, 0x7f7fffff
	v_add_f32_e32 v58, v31, v55
	v_add_f32_e32 v59, v30, v54
	;; [unrolled: 24-line block ×5, first 2 shown]
	v_min3_f32 v81, v47, v46, 0x7f7fffff
	v_add_f32_e32 v46, v27, v43
	v_add_f32_e32 v47, v26, v42
	v_min3_f32 v80, v47, v46, 0x7f7fffff
	v_add_f32_e32 v46, v23, v43
	v_add_f32_e32 v47, v22, v42
	;; [unrolled: 3-line block ×6, first 2 shown]
	v_add_f32_e32 v43, v3, v43
	v_add_f32_e32 v42, v2, v42
	;; [unrolled: 1-line block ×3, first 2 shown]
	v_min3_f32 v58, v47, v46, 0x7f7fffff
	v_min3_f32 v55, v42, v43, 0x7f7fffff
	v_add_f32_e32 v42, v31, v39
	v_add_f32_e32 v43, v30, v38
	;; [unrolled: 1-line block ×4, first 2 shown]
	v_min3_f32 v54, v43, v42, 0x7f7fffff
	v_add_f32_e32 v42, v27, v39
	v_add_f32_e32 v43, v26, v38
	v_min3_f32 v30, v30, v31, 0x7f7fffff
	v_add_f32_e32 v27, v27, v35
	v_add_f32_e32 v26, v26, v34
	;; [unrolled: 3-line block ×9, first 2 shown]
	v_add_f32_e32 v38, v2, v38
	v_add_f32_e32 v2, v2, v34
	v_min3_f32 v14, v14, v15, 0x7f7fffff
	v_add_f32_e32 v11, v11, v35
	v_min3_f32 v43, v43, v42, 0x7f7fffff
	v_add_f32_e32 v42, v7, v39
	v_add_f32_e32 v39, v3, v39
	;; [unrolled: 1-line block ×5, first 2 shown]
	v_min3_f32 v42, v122, v42, 0x7f7fffff
	v_min3_f32 v38, v38, v39, 0x7f7fffff
	;; [unrolled: 1-line block ×4, first 2 shown]
	v_add_f32_e32 v3, v33, v65
	v_add_f32_e32 v7, v32, v64
	v_min3_f32 v10, v10, v11, 0x7f7fffff
	v_min3_f32 v150, v7, v3, v114
	v_add_f32_e32 v3, v29, v65
	v_add_f32_e32 v7, v28, v64
	v_min3_f32 v147, v7, v3, v115
	v_add_f32_e32 v3, v25, v65
	v_add_f32_e32 v7, v24, v64
	;; [unrolled: 3-line block ×55, first 2 shown]
	v_add_f32_e32 v4, v4, v36
	v_min3_f32 v86, v7, v3, v38
	v_add_f32_e32 v3, v33, v37
	v_add_f32_e32 v7, v32, v36
	v_min3_f32 v87, v7, v3, v30
	v_add_f32_e32 v3, v29, v37
	;; [unrolled: 3-line block ×8, first 2 shown]
	v_min3_f32 v127, v4, v3, v2
	s_cbranch_scc1 .LBB16_11
; %bb.9:
	v_add_nc_u32_e32 v8, 8, v68
	v_add_nc_u32_e32 v6, 12, v68
	v_add_co_u32 v95, vcc_lo, s16, v66
	v_add_co_ci_u32_e64 v96, null, s17, v67, vcc_lo
	v_mad_i64_i32 v[2:3], null, v8, s20, 0
	v_mad_i64_i32 v[4:5], null, v6, s8, 0
	;; [unrolled: 1-line block ×4, first 2 shown]
	v_add_co_u32 v74, vcc_lo, s18, v74
	v_lshlrev_b64 v[66:67], 2, v[2:3]
	v_lshlrev_b64 v[68:69], 2, v[4:5]
	;; [unrolled: 1-line block ×3, first 2 shown]
	v_or_b32_e32 v79, 0x2000, v78
	v_lshlrev_b64 v[72:73], 2, v[8:9]
	v_or_b32_e32 v90, 0x2000, v76
	v_add_nc_u32_e32 v91, 0x2400, v78
	v_or_b32_e32 v93, 0x1000, v78
	v_lshl_add_u32 v97, v0, 4, 0x2400
	v_lshl_or_b32 v98, v1, 4, 0x1000
	v_add_co_ci_u32_e64 v75, null, s19, v75, vcc_lo
	s_ashr_i32 s9, s8, 31
	s_ashr_i32 s21, s20, 31
	s_add_i32 s14, s14, -8
	s_lshl_b64 s[6:7], s[20:21], 5
	s_lshl_b64 s[8:9], s[8:9], 5
	s_mov_b32 s15, 0
.LBB16_10:                              ; =>This Inner Loop Header: Depth=1
	v_add_co_u32 v2, vcc_lo, v95, v72
	v_add_co_ci_u32_e64 v3, null, v96, v73, vcc_lo
	s_add_i32 s15, s15, 8
	s_cmp_ge_i32 s15, s14
	flat_load_dword v155, v[2:3]
	v_add_co_u32 v2, vcc_lo, v74, v66
	v_add_co_ci_u32_e64 v3, null, v75, v67, vcc_lo
	s_clause 0x3
	flat_load_dword v151, v[2:3]
	flat_load_dword v152, v[2:3] offset:256
	flat_load_dword v153, v[2:3] offset:512
	;; [unrolled: 1-line block ×3, first 2 shown]
	ds_read_b128 v[30:33], v97
	ds_read_b128 v[26:29], v97 offset:128
	ds_read_b128 v[22:25], v97 offset:256
	;; [unrolled: 1-line block ×7, first 2 shown]
	ds_read_b128 v[62:65], v98
	ds_read_b128 v[58:61], v98 offset:512
	ds_read_b128 v[54:57], v98 offset:1024
	ds_read_b128 v[50:53], v98 offset:1536
	ds_read_b128 v[46:49], v98 offset:2048
	ds_read_b128 v[42:45], v98 offset:2560
	ds_read_b128 v[38:41], v98 offset:3072
	ds_read_b128 v[34:37], v98 offset:3584
	s_waitcnt vmcnt(4) lgkmcnt(20)
	ds_write_b32 v79, v155
	s_waitcnt vmcnt(2) lgkmcnt(19)
	ds_write2st64_b32 v78, v151, v152 offset1:4
	s_waitcnt vmcnt(0) lgkmcnt(18)
	ds_write2st64_b32 v78, v153, v154 offset0:8 offset1:12
	s_waitcnt lgkmcnt(10)
	v_add_f32_e32 v156, v31, v63
	v_add_f32_e32 v157, v30, v62
	s_waitcnt lgkmcnt(0)
	s_barrier
	buffer_gl0_inv
	v_min3_f32 v150, v157, v156, v150
	v_add_f32_e32 v156, v27, v63
	v_add_f32_e32 v157, v26, v62
	v_min3_f32 v156, v157, v156, v147
	v_add_f32_e32 v147, v23, v63
	v_add_f32_e32 v157, v22, v62
	v_min3_f32 v157, v157, v147, v148
	v_add_f32_e32 v147, v19, v63
	v_add_f32_e32 v148, v18, v62
	v_min3_f32 v158, v148, v147, v144
	v_add_f32_e32 v144, v15, v63
	v_add_f32_e32 v147, v14, v62
	v_min3_f32 v159, v147, v144, v145
	v_add_f32_e32 v144, v11, v63
	v_add_f32_e32 v145, v10, v62
	v_min3_f32 v160, v145, v144, v139
	v_add_f32_e32 v139, v7, v63
	v_add_f32_e32 v144, v6, v62
	v_add_f32_e32 v63, v3, v63
	v_add_f32_e32 v62, v2, v62
	v_min3_f32 v161, v144, v139, v140
	v_min3_f32 v162, v62, v63, v135
	v_add_f32_e32 v62, v31, v59
	v_add_f32_e32 v63, v30, v58
	v_min3_f32 v148, v63, v62, v149
	v_add_f32_e32 v62, v27, v59
	v_add_f32_e32 v63, v26, v58
	v_min3_f32 v147, v63, v62, v143
	v_add_f32_e32 v62, v23, v59
	v_add_f32_e32 v63, v22, v58
	v_min3_f32 v145, v63, v62, v146
	v_add_f32_e32 v62, v19, v59
	v_add_f32_e32 v63, v18, v58
	v_min3_f32 v144, v63, v62, v141
	v_add_f32_e32 v62, v15, v59
	v_add_f32_e32 v63, v14, v58
	v_min3_f32 v143, v63, v62, v142
	v_add_f32_e32 v62, v11, v59
	v_add_f32_e32 v63, v10, v58
	v_min3_f32 v142, v63, v62, v136
	v_add_f32_e32 v62, v7, v59
	v_add_f32_e32 v63, v6, v58
	v_add_f32_e32 v59, v3, v59
	v_add_f32_e32 v58, v2, v58
	v_min3_f32 v141, v63, v62, v137
	v_min3_f32 v140, v58, v59, v133
	v_add_f32_e32 v58, v31, v55
	v_add_f32_e32 v59, v30, v54
	v_min3_f32 v139, v59, v58, v138
	v_add_f32_e32 v58, v27, v55
	v_add_f32_e32 v59, v26, v54
	v_min3_f32 v138, v59, v58, v132
	v_add_f32_e32 v58, v23, v55
	v_add_f32_e32 v59, v22, v54
	v_min3_f32 v137, v59, v58, v134
	v_add_f32_e32 v58, v19, v55
	v_add_f32_e32 v59, v18, v54
	v_min3_f32 v136, v59, v58, v130
	v_add_f32_e32 v58, v15, v55
	v_add_f32_e32 v59, v14, v54
	v_min3_f32 v135, v59, v58, v131
	v_add_f32_e32 v58, v11, v55
	v_add_f32_e32 v59, v10, v54
	v_min3_f32 v134, v59, v58, v126
	v_add_f32_e32 v58, v7, v55
	v_add_f32_e32 v59, v6, v54
	v_add_f32_e32 v55, v3, v55
	v_add_f32_e32 v54, v2, v54
	v_min3_f32 v133, v59, v58, v128
	v_min3_f32 v132, v54, v55, v123
	v_add_f32_e32 v54, v31, v51
	v_add_f32_e32 v55, v30, v50
	v_min3_f32 v131, v55, v54, v129
	v_add_f32_e32 v54, v27, v51
	v_add_f32_e32 v55, v26, v50
	v_min3_f32 v130, v55, v54, v122
	v_add_f32_e32 v54, v23, v51
	v_add_f32_e32 v55, v22, v50
	v_min3_f32 v129, v55, v54, v124
	v_add_f32_e32 v54, v19, v51
	v_add_f32_e32 v55, v18, v50
	v_min3_f32 v128, v55, v54, v118
	v_add_f32_e32 v54, v15, v51
	v_add_f32_e32 v55, v14, v50
	v_min3_f32 v126, v55, v54, v120
	v_add_f32_e32 v54, v11, v51
	v_add_f32_e32 v55, v10, v50
	v_min3_f32 v124, v55, v54, v114
	v_add_f32_e32 v54, v7, v51
	v_add_f32_e32 v55, v6, v50
	v_add_f32_e32 v51, v3, v51
	v_add_f32_e32 v50, v2, v50
	v_min3_f32 v123, v55, v54, v116
	v_min3_f32 v122, v50, v51, v110
	v_add_f32_e32 v50, v31, v47
	v_add_f32_e32 v51, v30, v46
	v_min3_f32 v120, v51, v50, v125
	v_add_f32_e32 v50, v27, v47
	v_add_f32_e32 v51, v26, v46
	v_min3_f32 v119, v51, v50, v119
	v_add_f32_e32 v50, v23, v47
	v_add_f32_e32 v51, v22, v46
	v_min3_f32 v118, v51, v50, v121
	v_add_f32_e32 v50, v19, v47
	v_add_f32_e32 v51, v18, v46
	v_min3_f32 v116, v51, v50, v115
	v_add_f32_e32 v50, v15, v47
	v_add_f32_e32 v51, v14, v46
	v_min3_f32 v115, v51, v50, v117
	v_add_f32_e32 v50, v11, v47
	v_add_f32_e32 v51, v10, v46
	v_min3_f32 v114, v51, v50, v111
	v_add_f32_e32 v50, v7, v47
	v_add_f32_e32 v51, v6, v46
	v_add_f32_e32 v47, v3, v47
	v_add_f32_e32 v46, v2, v46
	v_min3_f32 v112, v51, v50, v112
	v_min3_f32 v111, v46, v47, v107
	v_add_f32_e32 v46, v31, v43
	v_add_f32_e32 v47, v30, v42
	v_min3_f32 v110, v47, v46, v113
	v_add_f32_e32 v46, v27, v43
	v_add_f32_e32 v47, v26, v42
	v_min3_f32 v108, v47, v46, v108
	v_add_f32_e32 v46, v23, v43
	v_add_f32_e32 v47, v22, v42
	v_min3_f32 v107, v47, v46, v109
	v_add_f32_e32 v46, v19, v43
	v_add_f32_e32 v47, v18, v42
	v_min3_f32 v63, v47, v46, v105
	v_add_f32_e32 v46, v15, v43
	v_add_f32_e32 v47, v14, v42
	v_min3_f32 v62, v47, v46, v106
	v_add_f32_e32 v46, v11, v43
	v_add_f32_e32 v47, v10, v42
	v_min3_f32 v59, v47, v46, v102
	v_add_f32_e32 v46, v7, v43
	v_add_f32_e32 v47, v6, v42
	v_add_f32_e32 v43, v3, v43
	v_add_f32_e32 v42, v2, v42
	v_min3_f32 v58, v47, v46, v103
	v_min3_f32 v55, v42, v43, v99
	v_add_f32_e32 v42, v31, v39
	v_add_f32_e32 v43, v30, v38
	v_add_f32_e32 v31, v31, v35
	v_add_f32_e32 v30, v30, v34
	v_min3_f32 v54, v43, v42, v104
	v_add_f32_e32 v42, v27, v39
	v_add_f32_e32 v43, v26, v38
	v_min3_f32 v30, v30, v31, v87
	;; [unrolled: 3-line block ×3, first 2 shown]
	v_add_f32_e32 v42, v23, v39
	v_add_f32_e32 v43, v22, v38
	;; [unrolled: 1-line block ×4, first 2 shown]
	v_min3_f32 v26, v26, v27, v84
	v_min3_f32 v50, v43, v42, v101
	v_add_f32_e32 v42, v19, v39
	v_add_f32_e32 v43, v18, v38
	v_min3_f32 v22, v22, v23, v85
	v_add_f32_e32 v19, v19, v35
	v_add_f32_e32 v18, v18, v34
	;; [unrolled: 3-line block ×3, first 2 shown]
	v_add_f32_e32 v15, v15, v35
	v_add_f32_e32 v14, v14, v34
	v_min3_f32 v18, v18, v19, v82
	v_min3_f32 v46, v43, v42, v94
	v_add_f32_e32 v42, v11, v39
	v_add_f32_e32 v43, v10, v38
	v_min3_f32 v14, v14, v15, v83
	v_add_f32_e32 v11, v11, v35
	v_add_f32_e32 v10, v10, v34
	;; [unrolled: 3-line block ×3, first 2 shown]
	v_add_f32_e32 v39, v3, v39
	v_add_f32_e32 v38, v2, v38
	;; [unrolled: 1-line block ×6, first 2 shown]
	v_min3_f32 v38, v38, v39, v86
	v_min3_f32 v10, v10, v11, v80
	;; [unrolled: 1-line block ×3, first 2 shown]
	v_add_f32_e32 v7, v32, v64
	v_min3_f32 v2, v2, v3, v127
	v_add_f32_e32 v3, v33, v65
	v_min3_f32 v42, v88, v42, v89
	v_min3_f32 v87, v7, v3, v150
	v_add_f32_e32 v3, v29, v65
	v_add_f32_e32 v7, v28, v64
	v_min3_f32 v86, v7, v3, v156
	v_add_f32_e32 v3, v25, v65
	v_add_f32_e32 v7, v24, v64
	;; [unrolled: 3-line block ×55, first 2 shown]
	v_add_f32_e32 v4, v4, v36
	v_min3_f32 v169, v7, v3, v38
	v_add_f32_e32 v3, v33, v37
	v_add_f32_e32 v7, v32, v36
	v_min3_f32 v170, v7, v3, v30
	v_add_f32_e32 v3, v29, v37
	;; [unrolled: 3-line block ×8, first 2 shown]
	v_min3_f32 v177, v4, v3, v2
	v_add_co_u32 v2, vcc_lo, v95, v68
	v_add_co_ci_u32_e64 v3, null, v96, v69, vcc_lo
	flat_load_dword v155, v[2:3]
	v_add_co_u32 v2, vcc_lo, v74, v70
	v_add_co_ci_u32_e64 v3, null, v75, v71, vcc_lo
	s_clause 0x3
	flat_load_dword v151, v[2:3]
	flat_load_dword v152, v[2:3] offset:256
	flat_load_dword v153, v[2:3] offset:512
	;; [unrolled: 1-line block ×3, first 2 shown]
	ds_read_b128 v[34:37], v90
	ds_read_b128 v[30:33], v90 offset:128
	ds_read_b128 v[26:29], v90 offset:256
	;; [unrolled: 1-line block ×7, first 2 shown]
	ds_read_b128 v[62:65], v77
	ds_read_b128 v[58:61], v77 offset:512
	ds_read_b128 v[54:57], v77 offset:1024
	ds_read_b128 v[50:53], v77 offset:1536
	ds_read_b128 v[46:49], v77 offset:2048
	ds_read_b128 v[42:45], v77 offset:2560
	ds_read_b128 v[38:41], v77 offset:3072
	ds_read_b128 v[14:17], v77 offset:3584
	v_add_co_u32 v74, vcc_lo, v74, s6
	v_add_co_ci_u32_e64 v75, null, s7, v75, vcc_lo
	v_add_co_u32 v95, vcc_lo, v95, s8
	v_add_co_ci_u32_e64 v96, null, s9, v96, vcc_lo
	s_waitcnt vmcnt(4) lgkmcnt(20)
	ds_write_b32 v91, v155
	s_waitcnt vmcnt(2) lgkmcnt(19)
	ds_write2st64_b32 v93, v151, v152 offset1:4
	s_waitcnt vmcnt(0) lgkmcnt(18)
	ds_write2st64_b32 v93, v153, v154 offset0:8 offset1:12
	s_waitcnt lgkmcnt(10)
	v_add_f32_e32 v107, v35, v63
	v_add_f32_e32 v108, v34, v62
	s_waitcnt lgkmcnt(0)
	s_barrier
	buffer_gl0_inv
	v_min3_f32 v122, v108, v107, v87
	v_add_f32_e32 v87, v31, v63
	v_add_f32_e32 v107, v30, v62
	v_min3_f32 v123, v107, v87, v86
	v_add_f32_e32 v86, v27, v63
	v_add_f32_e32 v87, v26, v62
	;; [unrolled: 3-line block ×6, first 2 shown]
	v_add_f32_e32 v63, v3, v63
	v_add_f32_e32 v62, v2, v62
	v_min3_f32 v130, v83, v82, v81
	v_min3_f32 v131, v62, v63, v80
	v_add_f32_e32 v62, v35, v59
	v_add_f32_e32 v63, v34, v58
	v_min3_f32 v121, v63, v62, v88
	v_add_f32_e32 v62, v31, v59
	v_add_f32_e32 v63, v30, v58
	;; [unrolled: 3-line block ×7, first 2 shown]
	v_add_f32_e32 v59, v3, v59
	v_add_f32_e32 v58, v2, v58
	v_min3_f32 v115, v63, v62, v101
	v_min3_f32 v114, v58, v59, v102
	v_add_f32_e32 v58, v35, v55
	v_add_f32_e32 v59, v34, v54
	v_min3_f32 v113, v59, v58, v103
	v_add_f32_e32 v58, v31, v55
	v_add_f32_e32 v59, v30, v54
	;; [unrolled: 3-line block ×7, first 2 shown]
	v_add_f32_e32 v55, v3, v55
	v_add_f32_e32 v54, v2, v54
	v_add_f32_e32 v125, v6, v38
	v_min3_f32 v107, v59, v58, v127
	v_min3_f32 v106, v54, v55, v132
	v_add_f32_e32 v54, v35, v51
	v_add_f32_e32 v55, v34, v50
	v_min3_f32 v105, v55, v54, v133
	v_add_f32_e32 v54, v31, v51
	v_add_f32_e32 v55, v30, v50
	v_min3_f32 v104, v55, v54, v134
	v_add_f32_e32 v54, v27, v51
	v_add_f32_e32 v55, v26, v50
	v_min3_f32 v103, v55, v54, v135
	v_add_f32_e32 v54, v23, v51
	v_add_f32_e32 v55, v22, v50
	v_min3_f32 v102, v55, v54, v136
	v_add_f32_e32 v54, v19, v51
	v_add_f32_e32 v55, v18, v50
	v_min3_f32 v101, v55, v54, v137
	v_add_f32_e32 v54, v11, v51
	v_add_f32_e32 v55, v10, v50
	v_min3_f32 v100, v55, v54, v138
	v_add_f32_e32 v54, v7, v51
	v_add_f32_e32 v55, v6, v50
	v_add_f32_e32 v51, v3, v51
	v_add_f32_e32 v50, v2, v50
	v_min3_f32 v99, v55, v54, v139
	v_min3_f32 v94, v50, v51, v140
	v_add_f32_e32 v50, v35, v47
	v_add_f32_e32 v51, v34, v46
	v_min3_f32 v92, v51, v50, v141
	v_add_f32_e32 v50, v31, v47
	v_add_f32_e32 v51, v30, v46
	v_min3_f32 v89, v51, v50, v142
	v_add_f32_e32 v50, v27, v47
	v_add_f32_e32 v51, v26, v46
	v_min3_f32 v88, v51, v50, v143
	v_add_f32_e32 v50, v23, v47
	v_add_f32_e32 v51, v22, v46
	v_min3_f32 v87, v51, v50, v144
	v_add_f32_e32 v50, v19, v47
	v_add_f32_e32 v51, v18, v46
	v_min3_f32 v86, v51, v50, v145
	v_add_f32_e32 v50, v11, v47
	v_add_f32_e32 v51, v10, v46
	v_min3_f32 v85, v51, v50, v146
	v_add_f32_e32 v50, v7, v47
	;; [unrolled: 24-line block ×3, first 2 shown]
	v_add_f32_e32 v47, v6, v42
	v_add_f32_e32 v43, v3, v43
	;; [unrolled: 1-line block ×4, first 2 shown]
	v_min3_f32 v58, v47, v46, v160
	v_min3_f32 v55, v42, v43, v161
	v_add_f32_e32 v42, v35, v39
	v_add_f32_e32 v43, v34, v38
	;; [unrolled: 1-line block ×4, first 2 shown]
	v_min3_f32 v54, v43, v42, v162
	v_add_f32_e32 v42, v31, v39
	v_add_f32_e32 v43, v30, v38
	v_min3_f32 v34, v34, v35, v170
	v_add_f32_e32 v31, v31, v15
	v_add_f32_e32 v30, v30, v14
	;; [unrolled: 3-line block ×9, first 2 shown]
	v_add_f32_e32 v38, v2, v38
	v_add_f32_e32 v2, v2, v14
	v_min3_f32 v18, v18, v19, v174
	v_add_f32_e32 v11, v11, v15
	v_min3_f32 v43, v43, v42, v167
	v_add_f32_e32 v42, v7, v39
	v_add_f32_e32 v39, v3, v39
	;; [unrolled: 1-line block ×5, first 2 shown]
	v_min3_f32 v42, v125, v42, v168
	v_min3_f32 v38, v38, v39, v169
	;; [unrolled: 1-line block ×4, first 2 shown]
	v_add_f32_e32 v3, v37, v65
	v_add_f32_e32 v7, v36, v64
	v_min3_f32 v10, v10, v11, v175
	v_min3_f32 v150, v7, v3, v122
	v_add_f32_e32 v3, v33, v65
	v_add_f32_e32 v7, v32, v64
	v_min3_f32 v147, v7, v3, v123
	v_add_f32_e32 v3, v29, v65
	v_add_f32_e32 v7, v28, v64
	;; [unrolled: 3-line block ×55, first 2 shown]
	v_add_f32_e32 v4, v4, v16
	v_min3_f32 v86, v7, v3, v38
	v_add_f32_e32 v3, v37, v17
	v_add_f32_e32 v7, v36, v16
	v_min3_f32 v87, v7, v3, v34
	v_add_f32_e32 v3, v33, v17
	;; [unrolled: 3-line block ×8, first 2 shown]
	v_min3_f32 v127, v4, v3, v2
	s_cbranch_scc0 .LBB16_10
.LBB16_11:
	ds_read_b128 v[34:37], v76 offset:9216
	ds_read_b128 v[62:65], v77 offset:4096
	s_clause 0x2
	s_load_dwordx2 s[8:9], s[4:5], 0x70
	s_load_dword s6, s[4:5], 0x50
	s_load_dword s4, s[4:5], 0x68
	ds_read_b128 v[30:33], v76 offset:9344
	ds_read_b128 v[26:29], v76 offset:9472
	;; [unrolled: 1-line block ×12, first 2 shown]
	v_add_nc_u32_e32 v90, s10, v1
	v_add_nc_u32_e32 v76, s11, v0
	s_mov_b32 s5, -1
	s_waitcnt lgkmcnt(0)
	s_lshl_b64 s[8:9], s[8:9], 2
	v_add_f32_e32 v0, v35, v63
	v_add_f32_e32 v6, v34, v62
	v_mad_i64_i32 v[66:67], null, v90, s4, 0
	v_mad_i64_i32 v[68:69], null, v90, s6, 0
	v_min3_f32 v1, v6, v0, v150
	ds_read_b128 v[38:41], v77 offset:7168
	ds_read_b128 v[6:9], v77 offset:7680
	v_add_f32_e32 v70, v37, v65
	v_add_f32_e32 v71, v36, v64
	v_lshlrev_b64 v[66:67], 2, v[66:67]
	s_add_u32 s2, s2, s8
	v_lshlrev_b64 v[68:69], 2, v[68:69]
	v_ashrrev_i32_e32 v77, 31, v76
	v_add_nc_u32_e32 v0, 8, v76
	v_min3_f32 v70, v71, v70, v1
	s_addc_u32 s3, s3, s9
	v_add_co_u32 v91, vcc_lo, s2, v66
	v_add_co_ci_u32_e64 v93, null, s3, v67, vcc_lo
	v_add_co_u32 v95, vcc_lo, s12, v68
	v_lshlrev_b64 v[66:67], 2, v[76:77]
	v_ashrrev_i32_e32 v1, 31, v0
	v_add_co_ci_u32_e64 v96, null, s13, v69, vcc_lo
	v_max_f32_e32 v68, v70, v70
	s_mov_b32 vcc_lo, s0
	s_cbranch_vccz .LBB16_13
; %bb.12:
	v_add_co_u32 v69, vcc_lo, v91, v66
	v_min_f32_e32 v71, 0, v68
	v_add_co_ci_u32_e64 v70, null, v93, v67, vcc_lo
	s_mov_b32 s5, 0
	flat_store_dword v[69:70], v71
.LBB16_13:
	v_lshlrev_b64 v[0:1], 2, v[0:1]
	v_mov_b32_e32 v69, 0
	s_andn2_b32 vcc_lo, exec_lo, s5
	s_cbranch_vccnz .LBB16_15
; %bb.14:
	v_add_co_u32 v69, vcc_lo, v95, v66
	v_add_co_ci_u32_e64 v70, null, v96, v67, vcc_lo
	flat_load_dword v69, v[69:70]
	s_waitcnt vmcnt(0) lgkmcnt(0)
	v_mul_f32_e32 v71, s1, v69
	v_add_co_u32 v69, vcc_lo, v91, v66
	v_add_co_ci_u32_e64 v70, null, v93, v67, vcc_lo
	v_min_f32_e32 v68, v71, v68
	v_add_co_u32 v71, vcc_lo, v95, v0
	v_add_co_ci_u32_e64 v72, null, v96, v1, vcc_lo
	flat_store_dword v[69:70], v68
	flat_load_dword v68, v[71:72]
	s_waitcnt vmcnt(0) lgkmcnt(0)
	v_mul_f32_e32 v69, s1, v68
.LBB16_15:
	v_add_f32_e32 v68, v31, v63
	v_add_f32_e32 v70, v30, v62
	;; [unrolled: 1-line block ×6, first 2 shown]
	v_min3_f32 v75, v70, v68, v147
	v_add_nc_u32_e32 v70, 16, v76
	v_min3_f32 v77, v72, v71, v148
	v_add_f32_e32 v78, v28, v64
	v_min_f32_e32 v71, v74, v73
	v_add_f32_e32 v74, v29, v65
	v_add_co_u32 v72, vcc_lo, v91, v0
	v_add_nc_u32_e32 v68, 24, v76
	v_min3_f32 v75, v69, v71, v75
	v_ashrrev_i32_e32 v71, 31, v70
	v_add_co_ci_u32_e64 v73, null, v93, v1, vcc_lo
	v_min3_f32 v74, v78, v74, v77
	v_ashrrev_i32_e32 v69, 31, v68
	v_lshlrev_b64 v[70:71], 2, v[70:71]
	flat_store_dword v[72:73], v75
	s_mov_b32 s5, -1
	v_max_f32_e32 v72, v74, v74
	s_mov_b32 vcc_lo, s0
	s_cbranch_vccz .LBB16_17
; %bb.16:
	v_add_co_u32 v73, vcc_lo, v91, v70
	v_min_f32_e32 v75, 0, v72
	v_add_co_ci_u32_e64 v74, null, v93, v71, vcc_lo
	s_mov_b32 s5, 0
	flat_store_dword v[73:74], v75
.LBB16_17:
	v_lshlrev_b64 v[68:69], 2, v[68:69]
	v_mov_b32_e32 v73, 0
	s_andn2_b32 vcc_lo, exec_lo, s5
	s_cbranch_vccnz .LBB16_19
; %bb.18:
	v_add_co_u32 v73, vcc_lo, v95, v70
	v_add_co_ci_u32_e64 v74, null, v96, v71, vcc_lo
	flat_load_dword v73, v[73:74]
	s_waitcnt vmcnt(0) lgkmcnt(0)
	v_mul_f32_e32 v75, s1, v73
	v_add_co_u32 v73, vcc_lo, v91, v70
	v_add_co_ci_u32_e64 v74, null, v93, v71, vcc_lo
	v_add_co_u32 v77, vcc_lo, v95, v68
	v_min_f32_e32 v72, v75, v72
	v_add_co_ci_u32_e64 v78, null, v96, v69, vcc_lo
	flat_store_dword v[73:74], v72
	flat_load_dword v72, v[77:78]
	s_waitcnt vmcnt(0) lgkmcnt(0)
	v_mul_f32_e32 v73, s1, v72
.LBB16_19:
	v_add_f32_e32 v72, v23, v63
	v_add_f32_e32 v74, v22, v62
	;; [unrolled: 1-line block ×6, first 2 shown]
	v_min3_f32 v97, v74, v72, v144
	v_add_nc_u32_e32 v74, 32, v76
	v_min3_f32 v98, v77, v75, v145
	v_add_f32_e32 v144, v20, v64
	v_min_f32_e32 v75, v79, v78
	v_add_f32_e32 v79, v21, v65
	v_add_co_u32 v77, vcc_lo, v91, v68
	v_add_nc_u32_e32 v72, 40, v76
	v_min3_f32 v97, v73, v75, v97
	v_ashrrev_i32_e32 v75, 31, v74
	v_add_co_ci_u32_e64 v78, null, v93, v69, vcc_lo
	v_min3_f32 v79, v144, v79, v98
	v_ashrrev_i32_e32 v73, 31, v72
	v_lshlrev_b64 v[74:75], 2, v[74:75]
	flat_store_dword v[77:78], v97
	s_mov_b32 s5, -1
	v_max_f32_e32 v77, v79, v79
	s_mov_b32 vcc_lo, s0
	s_cbranch_vccz .LBB16_21
; %bb.20:
	v_add_co_u32 v78, vcc_lo, v91, v74
	v_min_f32_e32 v97, 0, v77
	v_add_co_ci_u32_e64 v79, null, v93, v75, vcc_lo
	s_mov_b32 s5, 0
	flat_store_dword v[78:79], v97
.LBB16_21:
	v_lshlrev_b64 v[72:73], 2, v[72:73]
	v_mov_b32_e32 v79, 0
	s_andn2_b32 vcc_lo, exec_lo, s5
	s_cbranch_vccnz .LBB16_23
; %bb.22:
	v_add_co_u32 v78, vcc_lo, v95, v74
	v_add_co_ci_u32_e64 v79, null, v96, v75, vcc_lo
	flat_load_dword v78, v[78:79]
	s_waitcnt vmcnt(0) lgkmcnt(0)
	v_mul_f32_e32 v97, s1, v78
	v_add_co_u32 v78, vcc_lo, v91, v74
	v_add_co_ci_u32_e64 v79, null, v93, v75, vcc_lo
	v_min_f32_e32 v77, v97, v77
	v_add_co_u32 v97, vcc_lo, v95, v72
	v_add_co_ci_u32_e64 v98, null, v96, v73, vcc_lo
	flat_store_dword v[78:79], v77
	flat_load_dword v77, v[97:98]
	s_waitcnt vmcnt(0) lgkmcnt(0)
	v_mul_f32_e32 v79, s1, v77
.LBB16_23:
	v_add_f32_e32 v77, v15, v63
	v_add_f32_e32 v78, v14, v62
	;; [unrolled: 1-line block ×6, first 2 shown]
	v_min3_f32 v77, v78, v77, v139
	v_add_nc_u32_e32 v78, 56, v76
	v_min3_f32 v139, v98, v97, v140
	v_add_nc_u32_e32 v97, 48, v76
	v_min_f32_e32 v98, v145, v144
	v_add_f32_e32 v140, v13, v65
	v_add_f32_e32 v144, v12, v64
	v_add_co_u32 v76, vcc_lo, v91, v72
	v_min3_f32 v145, v79, v98, v77
	v_add_co_ci_u32_e64 v77, null, v93, v73, vcc_lo
	v_ashrrev_i32_e32 v98, 31, v97
	v_min3_f32 v139, v144, v140, v139
	v_ashrrev_i32_e32 v79, 31, v78
	flat_store_dword v[76:77], v145
	s_mov_b32 s5, -1
	v_lshlrev_b64 v[76:77], 2, v[97:98]
	v_max_f32_e32 v97, v139, v139
	s_mov_b32 vcc_lo, s0
	s_cbranch_vccz .LBB16_25
; %bb.24:
	v_add_co_u32 v139, vcc_lo, v91, v76
	v_min_f32_e32 v98, 0, v97
	v_add_co_ci_u32_e64 v140, null, v93, v77, vcc_lo
	s_mov_b32 s5, 0
	flat_store_dword v[139:140], v98
.LBB16_25:
	v_lshlrev_b64 v[78:79], 2, v[78:79]
	v_mov_b32_e32 v98, 0
	s_andn2_b32 vcc_lo, exec_lo, s5
	s_cbranch_vccnz .LBB16_27
; %bb.26:
	v_add_co_u32 v139, vcc_lo, v95, v76
	v_add_co_ci_u32_e64 v140, null, v96, v77, vcc_lo
	flat_load_dword v98, v[139:140]
	v_add_co_u32 v139, vcc_lo, v91, v76
	v_add_co_ci_u32_e64 v140, null, v93, v77, vcc_lo
	v_add_co_u32 v95, vcc_lo, v95, v78
	v_add_co_ci_u32_e64 v96, null, v96, v79, vcc_lo
	s_waitcnt vmcnt(0) lgkmcnt(0)
	v_mul_f32_e32 v98, s1, v98
	v_min_f32_e32 v97, v98, v97
	flat_store_dword v[139:140], v97
	flat_load_dword v95, v[95:96]
	s_waitcnt vmcnt(0) lgkmcnt(0)
	v_mul_f32_e32 v98, s1, v95
.LBB16_27:
	v_add_f32_e32 v63, v3, v63
	v_add_f32_e32 v62, v2, v62
	;; [unrolled: 1-line block ×6, first 2 shown]
	v_min3_f32 v62, v62, v63, v135
	v_add_f32_e32 v135, v37, v61
	v_min_f32_e32 v63, v64, v65
	v_add_nc_u32_e32 v64, 32, v90
	v_min3_f32 v97, v96, v95, v149
	v_add_f32_e32 v139, v36, v60
	v_add_co_u32 v95, vcc_lo, v91, v78
	v_min3_f32 v98, v98, v63, v62
	v_mad_i64_i32 v[62:63], null, v64, s4, 0
	v_mad_i64_i32 v[64:65], null, v64, s6, 0
	v_min3_f32 v91, v139, v135, v97
	v_add_co_ci_u32_e64 v96, null, v93, v79, vcc_lo
	s_mov_b32 s5, -1
	v_lshlrev_b64 v[62:63], 2, v[62:63]
	v_max_f32_e32 v91, v91, v91
	v_lshlrev_b64 v[64:65], 2, v[64:65]
	flat_store_dword v[95:96], v98
	v_add_co_u32 v62, vcc_lo, s2, v62
	v_add_co_ci_u32_e64 v63, null, s3, v63, vcc_lo
	v_add_co_u32 v64, vcc_lo, s12, v64
	v_add_co_ci_u32_e64 v65, null, s13, v65, vcc_lo
	s_mov_b32 vcc_lo, s0
	s_cbranch_vccz .LBB16_29
; %bb.28:
	v_add_co_u32 v95, vcc_lo, v62, v66
	v_min_f32_e32 v93, 0, v91
	v_add_co_ci_u32_e64 v96, null, v63, v67, vcc_lo
	s_mov_b32 s5, 0
	flat_store_dword v[95:96], v93
.LBB16_29:
	v_mov_b32_e32 v93, 0
	s_andn2_b32 vcc_lo, exec_lo, s5
	s_cbranch_vccnz .LBB16_31
; %bb.30:
	v_add_co_u32 v95, vcc_lo, v64, v66
	v_add_co_ci_u32_e64 v96, null, v65, v67, vcc_lo
	flat_load_dword v93, v[95:96]
	v_add_co_u32 v95, vcc_lo, v62, v66
	v_add_co_ci_u32_e64 v96, null, v63, v67, vcc_lo
	v_add_co_u32 v97, vcc_lo, v64, v0
	v_add_co_ci_u32_e64 v98, null, v65, v1, vcc_lo
	s_waitcnt vmcnt(0) lgkmcnt(0)
	v_mul_f32_e32 v93, s1, v93
	v_min_f32_e32 v91, v93, v91
	flat_store_dword v[95:96], v91
	flat_load_dword v91, v[97:98]
	s_waitcnt vmcnt(0) lgkmcnt(0)
	v_mul_f32_e32 v93, s1, v91
.LBB16_31:
	v_add_f32_e32 v91, v31, v59
	v_add_f32_e32 v95, v30, v58
	v_add_f32_e32 v96, v33, v61
	v_add_f32_e32 v97, v32, v60
	v_add_f32_e32 v98, v27, v59
	v_add_f32_e32 v135, v26, v58
	v_min3_f32 v91, v95, v91, v143
	s_mov_b32 s5, -1
	v_min_f32_e32 v95, v97, v96
	v_min3_f32 v97, v135, v98, v146
	v_add_f32_e32 v98, v29, v61
	v_add_f32_e32 v135, v28, v60
	v_min3_f32 v91, v93, v95, v91
	v_add_co_u32 v95, vcc_lo, v62, v0
	v_add_co_ci_u32_e64 v96, null, v63, v1, vcc_lo
	v_min3_f32 v93, v135, v98, v97
	s_mov_b32 vcc_lo, s0
	flat_store_dword v[95:96], v91
	v_max_f32_e32 v91, v93, v93
	s_cbranch_vccz .LBB16_33
; %bb.32:
	v_add_co_u32 v95, vcc_lo, v62, v70
	v_min_f32_e32 v93, 0, v91
	v_add_co_ci_u32_e64 v96, null, v63, v71, vcc_lo
	s_mov_b32 s5, 0
	flat_store_dword v[95:96], v93
.LBB16_33:
	v_mov_b32_e32 v93, 0
	s_andn2_b32 vcc_lo, exec_lo, s5
	s_cbranch_vccnz .LBB16_35
; %bb.34:
	v_add_co_u32 v95, vcc_lo, v64, v70
	v_add_co_ci_u32_e64 v96, null, v65, v71, vcc_lo
	flat_load_dword v93, v[95:96]
	v_add_co_u32 v95, vcc_lo, v62, v70
	v_add_co_ci_u32_e64 v96, null, v63, v71, vcc_lo
	v_add_co_u32 v97, vcc_lo, v64, v68
	v_add_co_ci_u32_e64 v98, null, v65, v69, vcc_lo
	s_waitcnt vmcnt(0) lgkmcnt(0)
	v_mul_f32_e32 v93, s1, v93
	v_min_f32_e32 v91, v93, v91
	flat_store_dword v[95:96], v91
	flat_load_dword v91, v[97:98]
	s_waitcnt vmcnt(0) lgkmcnt(0)
	v_mul_f32_e32 v93, s1, v91
.LBB16_35:
	v_add_f32_e32 v91, v23, v59
	v_add_f32_e32 v95, v22, v58
	v_add_f32_e32 v96, v25, v61
	v_add_f32_e32 v97, v24, v60
	v_add_f32_e32 v98, v19, v59
	v_add_f32_e32 v135, v18, v58
	v_min3_f32 v91, v95, v91, v141
	s_mov_b32 s5, -1
	v_min_f32_e32 v95, v97, v96
	v_min3_f32 v97, v135, v98, v142
	v_add_f32_e32 v98, v21, v61
	v_add_f32_e32 v135, v20, v60
	v_min3_f32 v91, v93, v95, v91
	v_add_co_u32 v95, vcc_lo, v62, v68
	v_add_co_ci_u32_e64 v96, null, v63, v69, vcc_lo
	v_min3_f32 v93, v135, v98, v97
	s_mov_b32 vcc_lo, s0
	flat_store_dword v[95:96], v91
	v_max_f32_e32 v91, v93, v93
	;; [unrolled: 46-line block ×3, first 2 shown]
	s_cbranch_vccz .LBB16_41
; %bb.40:
	v_add_co_u32 v95, vcc_lo, v62, v76
	v_min_f32_e32 v93, 0, v91
	v_add_co_ci_u32_e64 v96, null, v63, v77, vcc_lo
	s_mov_b32 s5, 0
	flat_store_dword v[95:96], v93
.LBB16_41:
	v_mov_b32_e32 v93, 0
	s_andn2_b32 vcc_lo, exec_lo, s5
	s_cbranch_vccnz .LBB16_43
; %bb.42:
	v_add_co_u32 v95, vcc_lo, v64, v76
	v_add_co_ci_u32_e64 v96, null, v65, v77, vcc_lo
	flat_load_dword v93, v[95:96]
	v_add_co_u32 v95, vcc_lo, v62, v76
	v_add_co_ci_u32_e64 v96, null, v63, v77, vcc_lo
	v_add_co_u32 v64, vcc_lo, v64, v78
	v_add_co_ci_u32_e64 v65, null, v65, v79, vcc_lo
	s_waitcnt vmcnt(0) lgkmcnt(0)
	v_mul_f32_e32 v93, s1, v93
	v_min_f32_e32 v91, v93, v91
	flat_store_dword v[95:96], v91
	flat_load_dword v64, v[64:65]
	s_waitcnt vmcnt(0) lgkmcnt(0)
	v_mul_f32_e32 v93, s1, v64
.LBB16_43:
	v_add_f32_e32 v59, v3, v59
	v_add_f32_e32 v58, v2, v58
	;; [unrolled: 1-line block ×6, first 2 shown]
	v_min3_f32 v58, v58, v59, v133
	v_add_f32_e32 v91, v36, v56
	v_min_f32_e32 v59, v60, v61
	v_add_nc_u32_e32 v60, 64, v90
	v_min3_f32 v64, v65, v64, v138
	v_add_f32_e32 v65, v37, v57
	v_add_co_u32 v62, vcc_lo, v62, v78
	v_min3_f32 v93, v93, v59, v58
	v_mad_i64_i32 v[58:59], null, v60, s4, 0
	v_mad_i64_i32 v[60:61], null, v60, s6, 0
	v_add_co_ci_u32_e64 v63, null, v63, v79, vcc_lo
	v_min3_f32 v64, v91, v65, v64
	s_mov_b32 s5, -1
	v_lshlrev_b64 v[58:59], 2, v[58:59]
	flat_store_dword v[62:63], v93
	v_lshlrev_b64 v[60:61], 2, v[60:61]
	v_max_f32_e32 v62, v64, v64
	v_add_co_u32 v58, vcc_lo, s2, v58
	v_add_co_ci_u32_e64 v59, null, s3, v59, vcc_lo
	v_add_co_u32 v60, vcc_lo, s12, v60
	v_add_co_ci_u32_e64 v61, null, s13, v61, vcc_lo
	s_mov_b32 vcc_lo, s0
	s_cbranch_vccz .LBB16_45
; %bb.44:
	v_add_co_u32 v63, vcc_lo, v58, v66
	v_min_f32_e32 v65, 0, v62
	v_add_co_ci_u32_e64 v64, null, v59, v67, vcc_lo
	s_mov_b32 s5, 0
	flat_store_dword v[63:64], v65
.LBB16_45:
	v_mov_b32_e32 v63, 0
	s_andn2_b32 vcc_lo, exec_lo, s5
	s_cbranch_vccnz .LBB16_47
; %bb.46:
	v_add_co_u32 v63, vcc_lo, v60, v66
	v_add_co_ci_u32_e64 v64, null, v61, v67, vcc_lo
	flat_load_dword v63, v[63:64]
	s_waitcnt vmcnt(0) lgkmcnt(0)
	v_mul_f32_e32 v65, s1, v63
	v_add_co_u32 v63, vcc_lo, v58, v66
	v_add_co_ci_u32_e64 v64, null, v59, v67, vcc_lo
	v_add_co_u32 v95, vcc_lo, v60, v0
	v_min_f32_e32 v62, v65, v62
	v_add_co_ci_u32_e64 v96, null, v61, v1, vcc_lo
	flat_store_dword v[63:64], v62
	flat_load_dword v62, v[95:96]
	s_waitcnt vmcnt(0) lgkmcnt(0)
	v_mul_f32_e32 v63, s1, v62
.LBB16_47:
	v_add_f32_e32 v62, v31, v55
	v_add_f32_e32 v64, v30, v54
	v_add_f32_e32 v65, v33, v57
	v_add_f32_e32 v91, v32, v56
	v_add_f32_e32 v93, v27, v55
	v_add_f32_e32 v95, v26, v54
	v_min3_f32 v62, v64, v62, v132
	s_mov_b32 s5, -1
	v_min_f32_e32 v64, v91, v65
	v_add_f32_e32 v91, v29, v57
	v_min3_f32 v65, v95, v93, v134
	v_add_f32_e32 v93, v28, v56
	v_min3_f32 v64, v63, v64, v62
	v_add_co_u32 v62, vcc_lo, v58, v0
	v_add_co_ci_u32_e64 v63, null, v59, v1, vcc_lo
	v_min3_f32 v65, v93, v91, v65
	s_mov_b32 vcc_lo, s0
	flat_store_dword v[62:63], v64
	v_max_f32_e32 v62, v65, v65
	s_cbranch_vccz .LBB16_49
; %bb.48:
	v_add_co_u32 v63, vcc_lo, v58, v70
	v_min_f32_e32 v65, 0, v62
	v_add_co_ci_u32_e64 v64, null, v59, v71, vcc_lo
	s_mov_b32 s5, 0
	flat_store_dword v[63:64], v65
.LBB16_49:
	v_mov_b32_e32 v63, 0
	s_andn2_b32 vcc_lo, exec_lo, s5
	s_cbranch_vccnz .LBB16_51
; %bb.50:
	v_add_co_u32 v63, vcc_lo, v60, v70
	v_add_co_ci_u32_e64 v64, null, v61, v71, vcc_lo
	flat_load_dword v63, v[63:64]
	s_waitcnt vmcnt(0) lgkmcnt(0)
	v_mul_f32_e32 v65, s1, v63
	v_add_co_u32 v63, vcc_lo, v58, v70
	v_add_co_ci_u32_e64 v64, null, v59, v71, vcc_lo
	v_add_co_u32 v95, vcc_lo, v60, v68
	v_min_f32_e32 v62, v65, v62
	v_add_co_ci_u32_e64 v96, null, v61, v69, vcc_lo
	flat_store_dword v[63:64], v62
	flat_load_dword v62, v[95:96]
	s_waitcnt vmcnt(0) lgkmcnt(0)
	v_mul_f32_e32 v63, s1, v62
.LBB16_51:
	v_add_f32_e32 v62, v23, v55
	v_add_f32_e32 v64, v22, v54
	v_add_f32_e32 v65, v25, v57
	v_add_f32_e32 v91, v24, v56
	v_add_f32_e32 v93, v19, v55
	v_add_f32_e32 v95, v18, v54
	v_min3_f32 v62, v64, v62, v130
	s_mov_b32 s5, -1
	v_min_f32_e32 v64, v91, v65
	v_add_f32_e32 v91, v21, v57
	v_min3_f32 v65, v95, v93, v131
	v_add_f32_e32 v93, v20, v56
	v_min3_f32 v64, v63, v64, v62
	v_add_co_u32 v62, vcc_lo, v58, v68
	v_add_co_ci_u32_e64 v63, null, v59, v69, vcc_lo
	v_min3_f32 v65, v93, v91, v65
	s_mov_b32 vcc_lo, s0
	flat_store_dword v[62:63], v64
	v_max_f32_e32 v62, v65, v65
	;; [unrolled: 46-line block ×3, first 2 shown]
	s_cbranch_vccz .LBB16_57
; %bb.56:
	v_add_co_u32 v63, vcc_lo, v58, v76
	v_min_f32_e32 v65, 0, v62
	v_add_co_ci_u32_e64 v64, null, v59, v77, vcc_lo
	s_mov_b32 s5, 0
	flat_store_dword v[63:64], v65
.LBB16_57:
	v_mov_b32_e32 v63, 0
	s_andn2_b32 vcc_lo, exec_lo, s5
	s_cbranch_vccnz .LBB16_59
; %bb.58:
	v_add_co_u32 v63, vcc_lo, v60, v76
	v_add_co_ci_u32_e64 v64, null, v61, v77, vcc_lo
	flat_load_dword v63, v[63:64]
	s_waitcnt vmcnt(0) lgkmcnt(0)
	v_mul_f32_e32 v65, s1, v63
	v_add_co_u32 v63, vcc_lo, v58, v76
	v_add_co_ci_u32_e64 v64, null, v59, v77, vcc_lo
	v_add_co_u32 v60, vcc_lo, v60, v78
	v_min_f32_e32 v62, v65, v62
	v_add_co_ci_u32_e64 v61, null, v61, v79, vcc_lo
	flat_store_dword v[63:64], v62
	flat_load_dword v60, v[60:61]
	s_waitcnt vmcnt(0) lgkmcnt(0)
	v_mul_f32_e32 v63, s1, v60
.LBB16_59:
	v_add_f32_e32 v55, v3, v55
	v_add_f32_e32 v54, v2, v54
	v_add_f32_e32 v57, v5, v57
	v_add_f32_e32 v56, v4, v56
	v_add_f32_e32 v60, v35, v51
	v_add_f32_e32 v61, v34, v50
	v_min3_f32 v54, v54, v55, v123
	v_add_f32_e32 v62, v36, v52
	v_min_f32_e32 v55, v56, v57
	v_add_nc_u32_e32 v56, 0x60, v90
	v_min3_f32 v60, v61, v60, v129
	v_add_f32_e32 v61, v37, v53
	v_add_co_u32 v58, vcc_lo, v58, v78
	v_min3_f32 v63, v63, v55, v54
	v_mad_i64_i32 v[54:55], null, v56, s4, 0
	v_mad_i64_i32 v[56:57], null, v56, s6, 0
	v_add_co_ci_u32_e64 v59, null, v59, v79, vcc_lo
	v_min3_f32 v60, v62, v61, v60
	s_mov_b32 s5, -1
	v_lshlrev_b64 v[54:55], 2, v[54:55]
	flat_store_dword v[58:59], v63
	v_lshlrev_b64 v[56:57], 2, v[56:57]
	v_max_f32_e32 v58, v60, v60
	v_add_co_u32 v54, vcc_lo, s2, v54
	v_add_co_ci_u32_e64 v55, null, s3, v55, vcc_lo
	v_add_co_u32 v56, vcc_lo, s12, v56
	v_add_co_ci_u32_e64 v57, null, s13, v57, vcc_lo
	s_mov_b32 vcc_lo, s0
	s_cbranch_vccz .LBB16_61
; %bb.60:
	v_add_co_u32 v59, vcc_lo, v54, v66
	v_min_f32_e32 v61, 0, v58
	v_add_co_ci_u32_e64 v60, null, v55, v67, vcc_lo
	s_mov_b32 s5, 0
	flat_store_dword v[59:60], v61
.LBB16_61:
	v_mov_b32_e32 v59, 0
	s_andn2_b32 vcc_lo, exec_lo, s5
	s_cbranch_vccnz .LBB16_63
; %bb.62:
	v_add_co_u32 v59, vcc_lo, v56, v66
	v_add_co_ci_u32_e64 v60, null, v57, v67, vcc_lo
	flat_load_dword v59, v[59:60]
	s_waitcnt vmcnt(0) lgkmcnt(0)
	v_mul_f32_e32 v61, s1, v59
	v_add_co_u32 v59, vcc_lo, v54, v66
	v_add_co_ci_u32_e64 v60, null, v55, v67, vcc_lo
	v_min_f32_e32 v58, v61, v58
	v_add_co_u32 v61, vcc_lo, v56, v0
	v_add_co_ci_u32_e64 v62, null, v57, v1, vcc_lo
	flat_store_dword v[59:60], v58
	flat_load_dword v58, v[61:62]
	s_waitcnt vmcnt(0) lgkmcnt(0)
	v_mul_f32_e32 v59, s1, v58
.LBB16_63:
	v_add_f32_e32 v58, v31, v51
	v_add_f32_e32 v60, v30, v50
	v_add_f32_e32 v61, v33, v53
	v_add_f32_e32 v62, v32, v52
	v_add_f32_e32 v63, v27, v51
	v_add_f32_e32 v64, v26, v50
	v_min3_f32 v58, v60, v58, v122
	s_mov_b32 s5, -1
	v_min_f32_e32 v60, v62, v61
	v_add_f32_e32 v62, v29, v53
	v_min3_f32 v61, v64, v63, v124
	v_add_f32_e32 v63, v28, v52
	v_min3_f32 v60, v59, v60, v58
	v_add_co_u32 v58, vcc_lo, v54, v0
	v_add_co_ci_u32_e64 v59, null, v55, v1, vcc_lo
	v_min3_f32 v61, v63, v62, v61
	s_mov_b32 vcc_lo, s0
	flat_store_dword v[58:59], v60
	v_max_f32_e32 v58, v61, v61
	s_cbranch_vccz .LBB16_65
; %bb.64:
	v_add_co_u32 v59, vcc_lo, v54, v70
	v_min_f32_e32 v61, 0, v58
	v_add_co_ci_u32_e64 v60, null, v55, v71, vcc_lo
	s_mov_b32 s5, 0
	flat_store_dword v[59:60], v61
.LBB16_65:
	v_mov_b32_e32 v59, 0
	s_andn2_b32 vcc_lo, exec_lo, s5
	s_cbranch_vccnz .LBB16_67
; %bb.66:
	v_add_co_u32 v59, vcc_lo, v56, v70
	v_add_co_ci_u32_e64 v60, null, v57, v71, vcc_lo
	flat_load_dword v59, v[59:60]
	s_waitcnt vmcnt(0) lgkmcnt(0)
	v_mul_f32_e32 v61, s1, v59
	v_add_co_u32 v59, vcc_lo, v54, v70
	v_add_co_ci_u32_e64 v60, null, v55, v71, vcc_lo
	v_min_f32_e32 v58, v61, v58
	v_add_co_u32 v61, vcc_lo, v56, v68
	v_add_co_ci_u32_e64 v62, null, v57, v69, vcc_lo
	flat_store_dword v[59:60], v58
	flat_load_dword v58, v[61:62]
	s_waitcnt vmcnt(0) lgkmcnt(0)
	v_mul_f32_e32 v59, s1, v58
.LBB16_67:
	v_add_f32_e32 v58, v23, v51
	v_add_f32_e32 v60, v22, v50
	v_add_f32_e32 v61, v25, v53
	v_add_f32_e32 v62, v24, v52
	v_add_f32_e32 v63, v19, v51
	v_add_f32_e32 v64, v18, v50
	v_min3_f32 v58, v60, v58, v118
	s_mov_b32 s5, -1
	v_min_f32_e32 v60, v62, v61
	v_add_f32_e32 v62, v21, v53
	v_min3_f32 v61, v64, v63, v120
	v_add_f32_e32 v63, v20, v52
	v_min3_f32 v60, v59, v60, v58
	v_add_co_u32 v58, vcc_lo, v54, v68
	v_add_co_ci_u32_e64 v59, null, v55, v69, vcc_lo
	v_min3_f32 v61, v63, v62, v61
	s_mov_b32 vcc_lo, s0
	flat_store_dword v[58:59], v60
	v_max_f32_e32 v58, v61, v61
	;; [unrolled: 46-line block ×3, first 2 shown]
	s_cbranch_vccz .LBB16_73
; %bb.72:
	v_add_co_u32 v59, vcc_lo, v54, v76
	v_min_f32_e32 v61, 0, v58
	v_add_co_ci_u32_e64 v60, null, v55, v77, vcc_lo
	s_mov_b32 s5, 0
	flat_store_dword v[59:60], v61
.LBB16_73:
	v_mov_b32_e32 v59, 0
	s_andn2_b32 vcc_lo, exec_lo, s5
	s_cbranch_vccnz .LBB16_75
; %bb.74:
	v_add_co_u32 v59, vcc_lo, v56, v76
	v_add_co_ci_u32_e64 v60, null, v57, v77, vcc_lo
	flat_load_dword v59, v[59:60]
	s_waitcnt vmcnt(0) lgkmcnt(0)
	v_mul_f32_e32 v61, s1, v59
	v_add_co_u32 v59, vcc_lo, v54, v76
	v_add_co_ci_u32_e64 v60, null, v55, v77, vcc_lo
	v_add_co_u32 v56, vcc_lo, v56, v78
	v_min_f32_e32 v58, v61, v58
	v_add_co_ci_u32_e64 v57, null, v57, v79, vcc_lo
	flat_store_dword v[59:60], v58
	flat_load_dword v56, v[56:57]
	s_waitcnt vmcnt(0) lgkmcnt(0)
	v_mul_f32_e32 v59, s1, v56
.LBB16_75:
	v_add_f32_e32 v51, v3, v51
	v_add_f32_e32 v50, v2, v50
	v_add_f32_e32 v53, v5, v53
	v_add_f32_e32 v52, v4, v52
	v_add_f32_e32 v56, v35, v47
	v_add_f32_e32 v57, v34, v46
	v_min3_f32 v50, v50, v51, v110
	v_add_f32_e32 v58, v36, v48
	v_min_f32_e32 v51, v52, v53
	v_add_nc_u32_e32 v52, 0x80, v90
	v_min3_f32 v56, v57, v56, v125
	v_add_f32_e32 v57, v37, v49
	v_add_co_u32 v54, vcc_lo, v54, v78
	v_min3_f32 v59, v59, v51, v50
	v_mad_i64_i32 v[50:51], null, v52, s4, 0
	v_mad_i64_i32 v[52:53], null, v52, s6, 0
	v_add_co_ci_u32_e64 v55, null, v55, v79, vcc_lo
	v_min3_f32 v56, v58, v57, v56
	s_mov_b32 s5, -1
	v_lshlrev_b64 v[50:51], 2, v[50:51]
	flat_store_dword v[54:55], v59
	v_lshlrev_b64 v[52:53], 2, v[52:53]
	v_max_f32_e32 v54, v56, v56
	v_add_co_u32 v50, vcc_lo, s2, v50
	v_add_co_ci_u32_e64 v51, null, s3, v51, vcc_lo
	v_add_co_u32 v52, vcc_lo, s12, v52
	v_add_co_ci_u32_e64 v53, null, s13, v53, vcc_lo
	s_mov_b32 vcc_lo, s0
	s_cbranch_vccz .LBB16_77
; %bb.76:
	v_add_co_u32 v55, vcc_lo, v50, v66
	v_min_f32_e32 v57, 0, v54
	v_add_co_ci_u32_e64 v56, null, v51, v67, vcc_lo
	s_mov_b32 s5, 0
	flat_store_dword v[55:56], v57
.LBB16_77:
	v_mov_b32_e32 v55, 0
	s_andn2_b32 vcc_lo, exec_lo, s5
	s_cbranch_vccnz .LBB16_79
; %bb.78:
	v_add_co_u32 v55, vcc_lo, v52, v66
	v_add_co_ci_u32_e64 v56, null, v53, v67, vcc_lo
	flat_load_dword v55, v[55:56]
	s_waitcnt vmcnt(0) lgkmcnt(0)
	v_mul_f32_e32 v57, s1, v55
	v_add_co_u32 v55, vcc_lo, v50, v66
	v_add_co_ci_u32_e64 v56, null, v51, v67, vcc_lo
	v_min_f32_e32 v54, v57, v54
	v_add_co_u32 v57, vcc_lo, v52, v0
	v_add_co_ci_u32_e64 v58, null, v53, v1, vcc_lo
	flat_store_dword v[55:56], v54
	flat_load_dword v54, v[57:58]
	s_waitcnt vmcnt(0) lgkmcnt(0)
	v_mul_f32_e32 v55, s1, v54
.LBB16_79:
	v_add_f32_e32 v54, v31, v47
	v_add_f32_e32 v56, v30, v46
	v_add_f32_e32 v57, v33, v49
	v_add_f32_e32 v58, v32, v48
	v_add_f32_e32 v59, v27, v47
	v_add_f32_e32 v60, v26, v46
	v_min3_f32 v54, v56, v54, v119
	s_mov_b32 s5, -1
	v_min_f32_e32 v56, v58, v57
	v_add_f32_e32 v58, v29, v49
	v_min3_f32 v57, v60, v59, v121
	v_add_f32_e32 v59, v28, v48
	v_min3_f32 v56, v55, v56, v54
	v_add_co_u32 v54, vcc_lo, v50, v0
	v_add_co_ci_u32_e64 v55, null, v51, v1, vcc_lo
	v_min3_f32 v57, v59, v58, v57
	s_mov_b32 vcc_lo, s0
	flat_store_dword v[54:55], v56
	v_max_f32_e32 v54, v57, v57
	s_cbranch_vccz .LBB16_81
; %bb.80:
	v_add_co_u32 v55, vcc_lo, v50, v70
	v_min_f32_e32 v57, 0, v54
	v_add_co_ci_u32_e64 v56, null, v51, v71, vcc_lo
	s_mov_b32 s5, 0
	flat_store_dword v[55:56], v57
.LBB16_81:
	v_mov_b32_e32 v55, 0
	s_andn2_b32 vcc_lo, exec_lo, s5
	s_cbranch_vccnz .LBB16_83
; %bb.82:
	v_add_co_u32 v55, vcc_lo, v52, v70
	v_add_co_ci_u32_e64 v56, null, v53, v71, vcc_lo
	flat_load_dword v55, v[55:56]
	s_waitcnt vmcnt(0) lgkmcnt(0)
	v_mul_f32_e32 v57, s1, v55
	v_add_co_u32 v55, vcc_lo, v50, v70
	v_add_co_ci_u32_e64 v56, null, v51, v71, vcc_lo
	v_min_f32_e32 v54, v57, v54
	v_add_co_u32 v57, vcc_lo, v52, v68
	v_add_co_ci_u32_e64 v58, null, v53, v69, vcc_lo
	flat_store_dword v[55:56], v54
	flat_load_dword v54, v[57:58]
	s_waitcnt vmcnt(0) lgkmcnt(0)
	v_mul_f32_e32 v55, s1, v54
.LBB16_83:
	v_add_f32_e32 v54, v23, v47
	v_add_f32_e32 v56, v22, v46
	v_add_f32_e32 v57, v25, v49
	v_add_f32_e32 v58, v24, v48
	v_add_f32_e32 v59, v19, v47
	v_add_f32_e32 v60, v18, v46
	v_min3_f32 v54, v56, v54, v115
	s_mov_b32 s5, -1
	v_min_f32_e32 v56, v58, v57
	v_add_f32_e32 v58, v21, v49
	v_min3_f32 v57, v60, v59, v117
	v_add_f32_e32 v59, v20, v48
	v_min3_f32 v56, v55, v56, v54
	v_add_co_u32 v54, vcc_lo, v50, v68
	v_add_co_ci_u32_e64 v55, null, v51, v69, vcc_lo
	v_min3_f32 v57, v59, v58, v57
	s_mov_b32 vcc_lo, s0
	flat_store_dword v[54:55], v56
	v_max_f32_e32 v54, v57, v57
	;; [unrolled: 46-line block ×3, first 2 shown]
	s_cbranch_vccz .LBB16_89
; %bb.88:
	v_add_co_u32 v55, vcc_lo, v50, v76
	v_min_f32_e32 v57, 0, v54
	v_add_co_ci_u32_e64 v56, null, v51, v77, vcc_lo
	s_mov_b32 s5, 0
	flat_store_dword v[55:56], v57
.LBB16_89:
	v_mov_b32_e32 v55, 0
	s_andn2_b32 vcc_lo, exec_lo, s5
	s_cbranch_vccnz .LBB16_91
; %bb.90:
	v_add_co_u32 v55, vcc_lo, v52, v76
	v_add_co_ci_u32_e64 v56, null, v53, v77, vcc_lo
	flat_load_dword v55, v[55:56]
	s_waitcnt vmcnt(0) lgkmcnt(0)
	v_mul_f32_e32 v57, s1, v55
	v_add_co_u32 v55, vcc_lo, v50, v76
	v_add_co_ci_u32_e64 v56, null, v51, v77, vcc_lo
	v_add_co_u32 v52, vcc_lo, v52, v78
	v_min_f32_e32 v54, v57, v54
	v_add_co_ci_u32_e64 v53, null, v53, v79, vcc_lo
	flat_store_dword v[55:56], v54
	flat_load_dword v52, v[52:53]
	s_waitcnt vmcnt(0) lgkmcnt(0)
	v_mul_f32_e32 v55, s1, v52
.LBB16_91:
	v_add_f32_e32 v47, v3, v47
	v_add_f32_e32 v46, v2, v46
	;; [unrolled: 1-line block ×6, first 2 shown]
	v_min3_f32 v46, v46, v47, v107
	v_add_f32_e32 v54, v36, v44
	v_min_f32_e32 v47, v48, v49
	v_add_nc_u32_e32 v48, 0xa0, v90
	v_min3_f32 v52, v53, v52, v113
	v_add_f32_e32 v53, v37, v45
	v_add_co_u32 v50, vcc_lo, v50, v78
	v_min3_f32 v55, v55, v47, v46
	v_mad_i64_i32 v[46:47], null, v48, s4, 0
	v_mad_i64_i32 v[48:49], null, v48, s6, 0
	v_add_co_ci_u32_e64 v51, null, v51, v79, vcc_lo
	v_min3_f32 v52, v54, v53, v52
	s_mov_b32 s5, -1
	v_lshlrev_b64 v[46:47], 2, v[46:47]
	flat_store_dword v[50:51], v55
	v_lshlrev_b64 v[48:49], 2, v[48:49]
	v_max_f32_e32 v50, v52, v52
	v_add_co_u32 v46, vcc_lo, s2, v46
	v_add_co_ci_u32_e64 v47, null, s3, v47, vcc_lo
	v_add_co_u32 v48, vcc_lo, s12, v48
	v_add_co_ci_u32_e64 v49, null, s13, v49, vcc_lo
	s_mov_b32 vcc_lo, s0
	s_cbranch_vccz .LBB16_93
; %bb.92:
	v_add_co_u32 v51, vcc_lo, v46, v66
	v_min_f32_e32 v53, 0, v50
	v_add_co_ci_u32_e64 v52, null, v47, v67, vcc_lo
	s_mov_b32 s5, 0
	flat_store_dword v[51:52], v53
.LBB16_93:
	v_mov_b32_e32 v51, 0
	s_andn2_b32 vcc_lo, exec_lo, s5
	s_cbranch_vccnz .LBB16_95
; %bb.94:
	v_add_co_u32 v51, vcc_lo, v48, v66
	v_add_co_ci_u32_e64 v52, null, v49, v67, vcc_lo
	flat_load_dword v51, v[51:52]
	s_waitcnt vmcnt(0) lgkmcnt(0)
	v_mul_f32_e32 v53, s1, v51
	v_add_co_u32 v51, vcc_lo, v46, v66
	v_add_co_ci_u32_e64 v52, null, v47, v67, vcc_lo
	v_min_f32_e32 v50, v53, v50
	v_add_co_u32 v53, vcc_lo, v48, v0
	v_add_co_ci_u32_e64 v54, null, v49, v1, vcc_lo
	flat_store_dword v[51:52], v50
	flat_load_dword v50, v[53:54]
	s_waitcnt vmcnt(0) lgkmcnt(0)
	v_mul_f32_e32 v51, s1, v50
.LBB16_95:
	v_add_f32_e32 v50, v31, v43
	v_add_f32_e32 v52, v30, v42
	v_add_f32_e32 v53, v33, v45
	v_add_f32_e32 v54, v32, v44
	v_add_f32_e32 v55, v27, v43
	v_add_f32_e32 v56, v26, v42
	v_min3_f32 v50, v52, v50, v108
	s_mov_b32 s5, -1
	v_min_f32_e32 v52, v54, v53
	v_add_f32_e32 v54, v29, v45
	v_min3_f32 v53, v56, v55, v109
	v_add_f32_e32 v55, v28, v44
	v_min3_f32 v52, v51, v52, v50
	v_add_co_u32 v50, vcc_lo, v46, v0
	v_add_co_ci_u32_e64 v51, null, v47, v1, vcc_lo
	v_min3_f32 v53, v55, v54, v53
	s_mov_b32 vcc_lo, s0
	flat_store_dword v[50:51], v52
	v_max_f32_e32 v50, v53, v53
	s_cbranch_vccz .LBB16_97
; %bb.96:
	v_add_co_u32 v51, vcc_lo, v46, v70
	v_min_f32_e32 v53, 0, v50
	v_add_co_ci_u32_e64 v52, null, v47, v71, vcc_lo
	s_mov_b32 s5, 0
	flat_store_dword v[51:52], v53
.LBB16_97:
	v_mov_b32_e32 v51, 0
	s_andn2_b32 vcc_lo, exec_lo, s5
	s_cbranch_vccnz .LBB16_99
; %bb.98:
	v_add_co_u32 v51, vcc_lo, v48, v70
	v_add_co_ci_u32_e64 v52, null, v49, v71, vcc_lo
	flat_load_dword v51, v[51:52]
	s_waitcnt vmcnt(0) lgkmcnt(0)
	v_mul_f32_e32 v53, s1, v51
	v_add_co_u32 v51, vcc_lo, v46, v70
	v_add_co_ci_u32_e64 v52, null, v47, v71, vcc_lo
	v_min_f32_e32 v50, v53, v50
	v_add_co_u32 v53, vcc_lo, v48, v68
	v_add_co_ci_u32_e64 v54, null, v49, v69, vcc_lo
	flat_store_dword v[51:52], v50
	flat_load_dword v50, v[53:54]
	s_waitcnt vmcnt(0) lgkmcnt(0)
	v_mul_f32_e32 v51, s1, v50
.LBB16_99:
	v_add_f32_e32 v50, v23, v43
	v_add_f32_e32 v52, v22, v42
	v_add_f32_e32 v53, v25, v45
	v_add_f32_e32 v54, v24, v44
	v_add_f32_e32 v55, v19, v43
	v_add_f32_e32 v56, v18, v42
	v_min3_f32 v50, v52, v50, v105
	s_mov_b32 s5, -1
	v_min_f32_e32 v52, v54, v53
	v_add_f32_e32 v54, v21, v45
	v_min3_f32 v53, v56, v55, v106
	v_add_f32_e32 v55, v20, v44
	v_min3_f32 v52, v51, v52, v50
	v_add_co_u32 v50, vcc_lo, v46, v68
	v_add_co_ci_u32_e64 v51, null, v47, v69, vcc_lo
	v_min3_f32 v53, v55, v54, v53
	s_mov_b32 vcc_lo, s0
	flat_store_dword v[50:51], v52
	v_max_f32_e32 v50, v53, v53
	;; [unrolled: 46-line block ×3, first 2 shown]
	s_cbranch_vccz .LBB16_105
; %bb.104:
	v_add_co_u32 v51, vcc_lo, v46, v76
	v_min_f32_e32 v53, 0, v50
	v_add_co_ci_u32_e64 v52, null, v47, v77, vcc_lo
	s_mov_b32 s5, 0
	flat_store_dword v[51:52], v53
.LBB16_105:
	v_mov_b32_e32 v51, 0
	s_andn2_b32 vcc_lo, exec_lo, s5
	s_cbranch_vccnz .LBB16_107
; %bb.106:
	v_add_co_u32 v51, vcc_lo, v48, v76
	v_add_co_ci_u32_e64 v52, null, v49, v77, vcc_lo
	flat_load_dword v51, v[51:52]
	s_waitcnt vmcnt(0) lgkmcnt(0)
	v_mul_f32_e32 v53, s1, v51
	v_add_co_u32 v51, vcc_lo, v46, v76
	v_add_co_ci_u32_e64 v52, null, v47, v77, vcc_lo
	v_add_co_u32 v48, vcc_lo, v48, v78
	v_min_f32_e32 v50, v53, v50
	v_add_co_ci_u32_e64 v49, null, v49, v79, vcc_lo
	flat_store_dword v[51:52], v50
	flat_load_dword v48, v[48:49]
	s_waitcnt vmcnt(0) lgkmcnt(0)
	v_mul_f32_e32 v51, s1, v48
.LBB16_107:
	v_add_f32_e32 v43, v3, v43
	v_add_f32_e32 v42, v2, v42
	v_add_f32_e32 v45, v5, v45
	v_add_f32_e32 v44, v4, v44
	s_waitcnt lgkmcnt(24)
	v_add_f32_e32 v48, v35, v39
	v_add_f32_e32 v49, v34, v38
	v_min3_f32 v42, v42, v43, v99
	v_add_f32_e32 v50, v36, v40
	v_min_f32_e32 v43, v44, v45
	v_add_nc_u32_e32 v44, 0xc0, v90
	v_min3_f32 v48, v49, v48, v104
	v_add_f32_e32 v49, v37, v41
	v_add_co_u32 v46, vcc_lo, v46, v78
	v_min3_f32 v51, v51, v43, v42
	v_mad_i64_i32 v[42:43], null, v44, s4, 0
	v_mad_i64_i32 v[44:45], null, v44, s6, 0
	v_add_co_ci_u32_e64 v47, null, v47, v79, vcc_lo
	v_min3_f32 v48, v50, v49, v48
	s_mov_b32 s5, -1
	v_lshlrev_b64 v[42:43], 2, v[42:43]
	flat_store_dword v[46:47], v51
	v_lshlrev_b64 v[44:45], 2, v[44:45]
	v_max_f32_e32 v46, v48, v48
	v_add_co_u32 v42, vcc_lo, s2, v42
	v_add_co_ci_u32_e64 v43, null, s3, v43, vcc_lo
	v_add_co_u32 v44, vcc_lo, s12, v44
	v_add_co_ci_u32_e64 v45, null, s13, v45, vcc_lo
	s_mov_b32 vcc_lo, s0
	s_cbranch_vccz .LBB16_109
; %bb.108:
	v_add_co_u32 v47, vcc_lo, v42, v66
	v_min_f32_e32 v49, 0, v46
	v_add_co_ci_u32_e64 v48, null, v43, v67, vcc_lo
	s_mov_b32 s5, 0
	flat_store_dword v[47:48], v49
.LBB16_109:
	v_mov_b32_e32 v47, 0
	s_andn2_b32 vcc_lo, exec_lo, s5
	s_cbranch_vccnz .LBB16_111
; %bb.110:
	v_add_co_u32 v47, vcc_lo, v44, v66
	v_add_co_ci_u32_e64 v48, null, v45, v67, vcc_lo
	flat_load_dword v47, v[47:48]
	s_waitcnt vmcnt(0) lgkmcnt(0)
	v_mul_f32_e32 v49, s1, v47
	v_add_co_u32 v47, vcc_lo, v42, v66
	v_add_co_ci_u32_e64 v48, null, v43, v67, vcc_lo
	v_min_f32_e32 v46, v49, v46
	v_add_co_u32 v49, vcc_lo, v44, v0
	v_add_co_ci_u32_e64 v50, null, v45, v1, vcc_lo
	flat_store_dword v[47:48], v46
	flat_load_dword v46, v[49:50]
	s_waitcnt vmcnt(0) lgkmcnt(0)
	v_mul_f32_e32 v47, s1, v46
.LBB16_111:
	v_add_f32_e32 v46, v31, v39
	v_add_f32_e32 v48, v30, v38
	v_add_f32_e32 v49, v33, v41
	v_add_f32_e32 v50, v32, v40
	v_add_f32_e32 v51, v27, v39
	v_add_f32_e32 v52, v26, v38
	v_min3_f32 v46, v48, v46, v100
	s_mov_b32 s5, -1
	v_min_f32_e32 v48, v50, v49
	v_add_f32_e32 v50, v29, v41
	v_min3_f32 v49, v52, v51, v101
	v_add_f32_e32 v51, v28, v40
	v_min3_f32 v48, v47, v48, v46
	v_add_co_u32 v46, vcc_lo, v42, v0
	v_add_co_ci_u32_e64 v47, null, v43, v1, vcc_lo
	v_min3_f32 v49, v51, v50, v49
	s_mov_b32 vcc_lo, s0
	flat_store_dword v[46:47], v48
	v_max_f32_e32 v46, v49, v49
	s_cbranch_vccz .LBB16_113
; %bb.112:
	v_add_co_u32 v47, vcc_lo, v42, v70
	v_min_f32_e32 v49, 0, v46
	v_add_co_ci_u32_e64 v48, null, v43, v71, vcc_lo
	s_mov_b32 s5, 0
	flat_store_dword v[47:48], v49
.LBB16_113:
	v_mov_b32_e32 v47, 0
	s_andn2_b32 vcc_lo, exec_lo, s5
	s_cbranch_vccnz .LBB16_115
; %bb.114:
	v_add_co_u32 v47, vcc_lo, v44, v70
	v_add_co_ci_u32_e64 v48, null, v45, v71, vcc_lo
	flat_load_dword v47, v[47:48]
	s_waitcnt vmcnt(0) lgkmcnt(0)
	v_mul_f32_e32 v49, s1, v47
	v_add_co_u32 v47, vcc_lo, v42, v70
	v_add_co_ci_u32_e64 v48, null, v43, v71, vcc_lo
	v_min_f32_e32 v46, v49, v46
	v_add_co_u32 v49, vcc_lo, v44, v68
	v_add_co_ci_u32_e64 v50, null, v45, v69, vcc_lo
	flat_store_dword v[47:48], v46
	flat_load_dword v46, v[49:50]
	s_waitcnt vmcnt(0) lgkmcnt(0)
	v_mul_f32_e32 v47, s1, v46
.LBB16_115:
	v_add_f32_e32 v46, v23, v39
	v_add_f32_e32 v48, v22, v38
	v_add_f32_e32 v49, v25, v41
	v_add_f32_e32 v50, v24, v40
	v_add_f32_e32 v51, v19, v39
	v_add_f32_e32 v52, v18, v38
	v_min3_f32 v46, v48, v46, v92
	s_mov_b32 s5, -1
	v_min_f32_e32 v48, v50, v49
	v_add_f32_e32 v50, v21, v41
	v_min3_f32 v49, v52, v51, v94
	v_add_f32_e32 v51, v20, v40
	v_min3_f32 v48, v47, v48, v46
	v_add_co_u32 v46, vcc_lo, v42, v68
	v_add_co_ci_u32_e64 v47, null, v43, v69, vcc_lo
	v_min3_f32 v49, v51, v50, v49
	s_mov_b32 vcc_lo, s0
	flat_store_dword v[46:47], v48
	v_max_f32_e32 v46, v49, v49
	;; [unrolled: 46-line block ×3, first 2 shown]
	s_cbranch_vccz .LBB16_121
; %bb.120:
	v_add_co_u32 v47, vcc_lo, v42, v76
	v_min_f32_e32 v49, 0, v46
	v_add_co_ci_u32_e64 v48, null, v43, v77, vcc_lo
	s_mov_b32 s5, 0
	flat_store_dword v[47:48], v49
.LBB16_121:
	v_mov_b32_e32 v47, 0
	s_andn2_b32 vcc_lo, exec_lo, s5
	s_cbranch_vccnz .LBB16_123
; %bb.122:
	v_add_co_u32 v47, vcc_lo, v44, v76
	v_add_co_ci_u32_e64 v48, null, v45, v77, vcc_lo
	flat_load_dword v47, v[47:48]
	s_waitcnt vmcnt(0) lgkmcnt(0)
	v_mul_f32_e32 v49, s1, v47
	v_add_co_u32 v47, vcc_lo, v42, v76
	v_add_co_ci_u32_e64 v48, null, v43, v77, vcc_lo
	v_add_co_u32 v44, vcc_lo, v44, v78
	v_min_f32_e32 v46, v49, v46
	v_add_co_ci_u32_e64 v45, null, v45, v79, vcc_lo
	flat_store_dword v[47:48], v46
	flat_load_dword v44, v[44:45]
	s_waitcnt vmcnt(0) lgkmcnt(0)
	v_mul_f32_e32 v47, s1, v44
.LBB16_123:
	v_add_f32_e32 v39, v3, v39
	v_add_f32_e32 v38, v2, v38
	;; [unrolled: 1-line block ×4, first 2 shown]
	s_waitcnt lgkmcnt(27)
	v_add_f32_e32 v35, v35, v7
	v_add_f32_e32 v34, v34, v6
	v_min3_f32 v38, v38, v39, v86
	v_add_f32_e32 v44, v37, v9
	v_min_f32_e32 v39, v40, v41
	v_add_nc_u32_e32 v41, 0xe0, v90
	v_min3_f32 v40, v34, v35, v87
	v_add_f32_e32 v45, v36, v8
	v_min3_f32 v46, v47, v39, v38
	v_mad_i64_i32 v[34:35], null, v41, s4, 0
	v_mad_i64_i32 v[36:37], null, v41, s6, 0
	v_add_co_u32 v38, vcc_lo, v42, v78
	v_add_co_ci_u32_e64 v39, null, v43, v79, vcc_lo
	v_lshlrev_b64 v[34:35], 2, v[34:35]
	v_min3_f32 v40, v45, v44, v40
	v_lshlrev_b64 v[36:37], 2, v[36:37]
	flat_store_dword v[38:39], v46
	v_add_co_u32 v34, vcc_lo, s2, v34
	v_add_co_ci_u32_e64 v35, null, s3, v35, vcc_lo
	v_add_co_u32 v36, vcc_lo, s12, v36
	v_add_co_ci_u32_e64 v37, null, s13, v37, vcc_lo
	v_max_f32_e32 v38, v40, v40
	s_mov_b32 s2, -1
	s_mov_b32 vcc_lo, s0
	s_cbranch_vccz .LBB16_125
; %bb.124:
	v_add_co_u32 v39, vcc_lo, v34, v66
	v_min_f32_e32 v41, 0, v38
	v_add_co_ci_u32_e64 v40, null, v35, v67, vcc_lo
	s_mov_b32 s2, 0
	flat_store_dword v[39:40], v41
.LBB16_125:
	v_mov_b32_e32 v39, 0
	s_andn2_b32 vcc_lo, exec_lo, s2
	s_cbranch_vccnz .LBB16_127
; %bb.126:
	v_add_co_u32 v39, vcc_lo, v36, v66
	v_add_co_ci_u32_e64 v40, null, v37, v67, vcc_lo
	flat_load_dword v39, v[39:40]
	s_waitcnt vmcnt(0) lgkmcnt(0)
	v_mul_f32_e32 v41, s1, v39
	v_add_co_u32 v39, vcc_lo, v34, v66
	v_add_co_ci_u32_e64 v40, null, v35, v67, vcc_lo
	v_min_f32_e32 v38, v41, v38
	v_add_co_u32 v41, vcc_lo, v36, v0
	v_add_co_ci_u32_e64 v42, null, v37, v1, vcc_lo
	flat_store_dword v[39:40], v38
	flat_load_dword v38, v[41:42]
	s_waitcnt vmcnt(0) lgkmcnt(0)
	v_mul_f32_e32 v39, s1, v38
.LBB16_127:
	v_add_f32_e32 v31, v31, v7
	v_add_f32_e32 v30, v30, v6
	v_add_f32_e32 v33, v33, v9
	v_add_f32_e32 v32, v32, v8
	v_add_f32_e32 v27, v27, v7
	v_add_f32_e32 v26, v26, v6
	v_min3_f32 v30, v30, v31, v84
	v_add_f32_e32 v28, v28, v8
	v_min_f32_e32 v31, v32, v33
	v_add_co_u32 v0, vcc_lo, v34, v0
	v_min3_f32 v26, v26, v27, v85
	v_add_f32_e32 v27, v29, v9
	v_min3_f32 v29, v39, v31, v30
	v_add_co_ci_u32_e64 v1, null, v35, v1, vcc_lo
	s_mov_b32 s2, -1
	v_min3_f32 v26, v28, v27, v26
	s_mov_b32 vcc_lo, s0
	flat_store_dword v[0:1], v29
	v_max_f32_e32 v0, v26, v26
	s_cbranch_vccz .LBB16_129
; %bb.128:
	v_add_co_u32 v26, vcc_lo, v34, v70
	v_min_f32_e32 v1, 0, v0
	v_add_co_ci_u32_e64 v27, null, v35, v71, vcc_lo
	s_mov_b32 s2, 0
	flat_store_dword v[26:27], v1
.LBB16_129:
	v_mov_b32_e32 v1, 0
	s_andn2_b32 vcc_lo, exec_lo, s2
	s_cbranch_vccnz .LBB16_131
; %bb.130:
	v_add_co_u32 v26, vcc_lo, v36, v70
	v_add_co_ci_u32_e64 v27, null, v37, v71, vcc_lo
	flat_load_dword v1, v[26:27]
	v_add_co_u32 v26, vcc_lo, v34, v70
	v_add_co_ci_u32_e64 v27, null, v35, v71, vcc_lo
	s_waitcnt vmcnt(0) lgkmcnt(0)
	v_mul_f32_e32 v1, s1, v1
	v_min_f32_e32 v28, v1, v0
	v_add_co_u32 v0, vcc_lo, v36, v68
	v_add_co_ci_u32_e64 v1, null, v37, v69, vcc_lo
	flat_store_dword v[26:27], v28
	flat_load_dword v0, v[0:1]
	s_waitcnt vmcnt(0) lgkmcnt(0)
	v_mul_f32_e32 v1, s1, v0
.LBB16_131:
	v_add_f32_e32 v0, v23, v7
	v_add_f32_e32 v22, v22, v6
	;; [unrolled: 1-line block ×6, first 2 shown]
	v_min3_f32 v0, v22, v0, v82
	v_add_f32_e32 v20, v20, v8
	v_min_f32_e32 v22, v24, v23
	s_mov_b32 s2, -1
	v_min3_f32 v18, v18, v19, v83
	v_add_f32_e32 v19, v21, v9
	v_min3_f32 v21, v1, v22, v0
	v_add_co_u32 v0, vcc_lo, v34, v68
	v_add_co_ci_u32_e64 v1, null, v35, v69, vcc_lo
	v_min3_f32 v18, v20, v19, v18
	s_mov_b32 vcc_lo, s0
	flat_store_dword v[0:1], v21
	v_max_f32_e32 v0, v18, v18
	s_cbranch_vccz .LBB16_133
; %bb.132:
	v_add_co_u32 v18, vcc_lo, v34, v74
	v_min_f32_e32 v1, 0, v0
	v_add_co_ci_u32_e64 v19, null, v35, v75, vcc_lo
	s_mov_b32 s2, 0
	flat_store_dword v[18:19], v1
.LBB16_133:
	v_mov_b32_e32 v1, 0
	s_andn2_b32 vcc_lo, exec_lo, s2
	s_cbranch_vccnz .LBB16_135
; %bb.134:
	v_add_co_u32 v18, vcc_lo, v36, v74
	v_add_co_ci_u32_e64 v19, null, v37, v75, vcc_lo
	flat_load_dword v1, v[18:19]
	v_add_co_u32 v18, vcc_lo, v34, v74
	v_add_co_ci_u32_e64 v19, null, v35, v75, vcc_lo
	s_waitcnt vmcnt(0) lgkmcnt(0)
	v_mul_f32_e32 v1, s1, v1
	v_min_f32_e32 v20, v1, v0
	v_add_co_u32 v0, vcc_lo, v36, v72
	v_add_co_ci_u32_e64 v1, null, v37, v73, vcc_lo
	flat_store_dword v[18:19], v20
	flat_load_dword v0, v[0:1]
	s_waitcnt vmcnt(0) lgkmcnt(0)
	v_mul_f32_e32 v1, s1, v0
.LBB16_135:
	v_add_f32_e32 v0, v15, v7
	v_add_f32_e32 v14, v14, v6
	;; [unrolled: 1-line block ×6, first 2 shown]
	v_min3_f32 v0, v14, v0, v80
	v_add_f32_e32 v12, v12, v8
	v_min_f32_e32 v14, v16, v15
	s_mov_b32 s2, -1
	v_min3_f32 v10, v10, v11, v81
	v_add_f32_e32 v11, v13, v9
	v_min3_f32 v13, v1, v14, v0
	v_add_co_u32 v0, vcc_lo, v34, v72
	v_add_co_ci_u32_e64 v1, null, v35, v73, vcc_lo
	v_min3_f32 v10, v12, v11, v10
	s_mov_b32 vcc_lo, s0
	flat_store_dword v[0:1], v13
	v_max_f32_e32 v0, v10, v10
	s_cbranch_vccz .LBB16_137
; %bb.136:
	v_add_co_u32 v10, vcc_lo, v34, v76
	v_min_f32_e32 v1, 0, v0
	v_add_co_ci_u32_e64 v11, null, v35, v77, vcc_lo
	s_mov_b32 s2, 0
	flat_store_dword v[10:11], v1
.LBB16_137:
	v_mov_b32_e32 v1, 0
	s_andn2_b32 vcc_lo, exec_lo, s2
	s_cbranch_vccnz .LBB16_139
; %bb.138:
	v_add_co_u32 v10, vcc_lo, v36, v76
	v_add_co_ci_u32_e64 v11, null, v37, v77, vcc_lo
	flat_load_dword v1, v[10:11]
	v_add_co_u32 v10, vcc_lo, v34, v76
	v_add_co_ci_u32_e64 v11, null, v35, v77, vcc_lo
	s_waitcnt vmcnt(0) lgkmcnt(0)
	v_mul_f32_e32 v1, s1, v1
	v_min_f32_e32 v12, v1, v0
	v_add_co_u32 v0, vcc_lo, v36, v78
	v_add_co_ci_u32_e64 v1, null, v37, v79, vcc_lo
	flat_store_dword v[10:11], v12
	flat_load_dword v0, v[0:1]
	s_waitcnt vmcnt(0) lgkmcnt(0)
	v_mul_f32_e32 v1, s1, v0
.LBB16_139:
	v_add_f32_e32 v0, v5, v9
	v_add_f32_e32 v4, v4, v8
	;; [unrolled: 1-line block ×4, first 2 shown]
	v_min_f32_e32 v0, v4, v0
	v_min3_f32 v2, v2, v3, v127
	v_min3_f32 v2, v1, v0, v2
	v_add_co_u32 v0, vcc_lo, v34, v78
	v_add_co_ci_u32_e64 v1, null, v35, v79, vcc_lo
	flat_store_dword v[0:1], v2
	s_endpgm
	.section	.rodata,"a",@progbits
	.p2align	6, 0x0
	.amdhsa_kernel _ZN12_GLOBAL__N_120geam_min_plus_kernelIf15HIP_vector_typeIfLj2EEfLi8ELi32ELi64ELi256ELi4ELi64ELi4ELi64ELi4ELc78ELc84ELb1ELb0ELb1EfKPKfKPfEEviiiT16_PT17_ilSA_ilS8_SA_ilPT18_ili26rocblas_geam_ex_operation_
		.amdhsa_group_segment_fixed_size 10240
		.amdhsa_private_segment_fixed_size 0
		.amdhsa_kernarg_size 128
		.amdhsa_user_sgpr_count 6
		.amdhsa_user_sgpr_private_segment_buffer 1
		.amdhsa_user_sgpr_dispatch_ptr 0
		.amdhsa_user_sgpr_queue_ptr 0
		.amdhsa_user_sgpr_kernarg_segment_ptr 1
		.amdhsa_user_sgpr_dispatch_id 0
		.amdhsa_user_sgpr_flat_scratch_init 0
		.amdhsa_user_sgpr_private_segment_size 0
		.amdhsa_wavefront_size32 1
		.amdhsa_uses_dynamic_stack 0
		.amdhsa_system_sgpr_private_segment_wavefront_offset 0
		.amdhsa_system_sgpr_workgroup_id_x 1
		.amdhsa_system_sgpr_workgroup_id_y 0
		.amdhsa_system_sgpr_workgroup_id_z 1
		.amdhsa_system_sgpr_workgroup_info 0
		.amdhsa_system_vgpr_workitem_id 1
		.amdhsa_next_free_vgpr 178
		.amdhsa_next_free_sgpr 24
		.amdhsa_reserve_vcc 1
		.amdhsa_reserve_flat_scratch 1
		.amdhsa_float_round_mode_32 0
		.amdhsa_float_round_mode_16_64 0
		.amdhsa_float_denorm_mode_32 3
		.amdhsa_float_denorm_mode_16_64 3
		.amdhsa_dx10_clamp 1
		.amdhsa_ieee_mode 1
		.amdhsa_fp16_overflow 0
		.amdhsa_workgroup_processor_mode 1
		.amdhsa_memory_ordered 1
		.amdhsa_forward_progress 1
		.amdhsa_shared_vgpr_count 0
		.amdhsa_exception_fp_ieee_invalid_op 0
		.amdhsa_exception_fp_denorm_src 0
		.amdhsa_exception_fp_ieee_div_zero 0
		.amdhsa_exception_fp_ieee_overflow 0
		.amdhsa_exception_fp_ieee_underflow 0
		.amdhsa_exception_fp_ieee_inexact 0
		.amdhsa_exception_int_div_zero 0
	.end_amdhsa_kernel
	.section	.text._ZN12_GLOBAL__N_120geam_min_plus_kernelIf15HIP_vector_typeIfLj2EEfLi8ELi32ELi64ELi256ELi4ELi64ELi4ELi64ELi4ELc78ELc84ELb1ELb0ELb1EfKPKfKPfEEviiiT16_PT17_ilSA_ilS8_SA_ilPT18_ili26rocblas_geam_ex_operation_,"axG",@progbits,_ZN12_GLOBAL__N_120geam_min_plus_kernelIf15HIP_vector_typeIfLj2EEfLi8ELi32ELi64ELi256ELi4ELi64ELi4ELi64ELi4ELc78ELc84ELb1ELb0ELb1EfKPKfKPfEEviiiT16_PT17_ilSA_ilS8_SA_ilPT18_ili26rocblas_geam_ex_operation_,comdat
.Lfunc_end16:
	.size	_ZN12_GLOBAL__N_120geam_min_plus_kernelIf15HIP_vector_typeIfLj2EEfLi8ELi32ELi64ELi256ELi4ELi64ELi4ELi64ELi4ELc78ELc84ELb1ELb0ELb1EfKPKfKPfEEviiiT16_PT17_ilSA_ilS8_SA_ilPT18_ili26rocblas_geam_ex_operation_, .Lfunc_end16-_ZN12_GLOBAL__N_120geam_min_plus_kernelIf15HIP_vector_typeIfLj2EEfLi8ELi32ELi64ELi256ELi4ELi64ELi4ELi64ELi4ELc78ELc84ELb1ELb0ELb1EfKPKfKPfEEviiiT16_PT17_ilSA_ilS8_SA_ilPT18_ili26rocblas_geam_ex_operation_
                                        ; -- End function
	.set _ZN12_GLOBAL__N_120geam_min_plus_kernelIf15HIP_vector_typeIfLj2EEfLi8ELi32ELi64ELi256ELi4ELi64ELi4ELi64ELi4ELc78ELc84ELb1ELb0ELb1EfKPKfKPfEEviiiT16_PT17_ilSA_ilS8_SA_ilPT18_ili26rocblas_geam_ex_operation_.num_vgpr, 178
	.set _ZN12_GLOBAL__N_120geam_min_plus_kernelIf15HIP_vector_typeIfLj2EEfLi8ELi32ELi64ELi256ELi4ELi64ELi4ELi64ELi4ELc78ELc84ELb1ELb0ELb1EfKPKfKPfEEviiiT16_PT17_ilSA_ilS8_SA_ilPT18_ili26rocblas_geam_ex_operation_.num_agpr, 0
	.set _ZN12_GLOBAL__N_120geam_min_plus_kernelIf15HIP_vector_typeIfLj2EEfLi8ELi32ELi64ELi256ELi4ELi64ELi4ELi64ELi4ELc78ELc84ELb1ELb0ELb1EfKPKfKPfEEviiiT16_PT17_ilSA_ilS8_SA_ilPT18_ili26rocblas_geam_ex_operation_.numbered_sgpr, 24
	.set _ZN12_GLOBAL__N_120geam_min_plus_kernelIf15HIP_vector_typeIfLj2EEfLi8ELi32ELi64ELi256ELi4ELi64ELi4ELi64ELi4ELc78ELc84ELb1ELb0ELb1EfKPKfKPfEEviiiT16_PT17_ilSA_ilS8_SA_ilPT18_ili26rocblas_geam_ex_operation_.num_named_barrier, 0
	.set _ZN12_GLOBAL__N_120geam_min_plus_kernelIf15HIP_vector_typeIfLj2EEfLi8ELi32ELi64ELi256ELi4ELi64ELi4ELi64ELi4ELc78ELc84ELb1ELb0ELb1EfKPKfKPfEEviiiT16_PT17_ilSA_ilS8_SA_ilPT18_ili26rocblas_geam_ex_operation_.private_seg_size, 0
	.set _ZN12_GLOBAL__N_120geam_min_plus_kernelIf15HIP_vector_typeIfLj2EEfLi8ELi32ELi64ELi256ELi4ELi64ELi4ELi64ELi4ELc78ELc84ELb1ELb0ELb1EfKPKfKPfEEviiiT16_PT17_ilSA_ilS8_SA_ilPT18_ili26rocblas_geam_ex_operation_.uses_vcc, 1
	.set _ZN12_GLOBAL__N_120geam_min_plus_kernelIf15HIP_vector_typeIfLj2EEfLi8ELi32ELi64ELi256ELi4ELi64ELi4ELi64ELi4ELc78ELc84ELb1ELb0ELb1EfKPKfKPfEEviiiT16_PT17_ilSA_ilS8_SA_ilPT18_ili26rocblas_geam_ex_operation_.uses_flat_scratch, 1
	.set _ZN12_GLOBAL__N_120geam_min_plus_kernelIf15HIP_vector_typeIfLj2EEfLi8ELi32ELi64ELi256ELi4ELi64ELi4ELi64ELi4ELc78ELc84ELb1ELb0ELb1EfKPKfKPfEEviiiT16_PT17_ilSA_ilS8_SA_ilPT18_ili26rocblas_geam_ex_operation_.has_dyn_sized_stack, 0
	.set _ZN12_GLOBAL__N_120geam_min_plus_kernelIf15HIP_vector_typeIfLj2EEfLi8ELi32ELi64ELi256ELi4ELi64ELi4ELi64ELi4ELc78ELc84ELb1ELb0ELb1EfKPKfKPfEEviiiT16_PT17_ilSA_ilS8_SA_ilPT18_ili26rocblas_geam_ex_operation_.has_recursion, 0
	.set _ZN12_GLOBAL__N_120geam_min_plus_kernelIf15HIP_vector_typeIfLj2EEfLi8ELi32ELi64ELi256ELi4ELi64ELi4ELi64ELi4ELc78ELc84ELb1ELb0ELb1EfKPKfKPfEEviiiT16_PT17_ilSA_ilS8_SA_ilPT18_ili26rocblas_geam_ex_operation_.has_indirect_call, 0
	.section	.AMDGPU.csdata,"",@progbits
; Kernel info:
; codeLenInByte = 16892
; TotalNumSgprs: 26
; NumVgprs: 178
; ScratchSize: 0
; MemoryBound: 0
; FloatMode: 240
; IeeeMode: 1
; LDSByteSize: 10240 bytes/workgroup (compile time only)
; SGPRBlocks: 0
; VGPRBlocks: 22
; NumSGPRsForWavesPerEU: 26
; NumVGPRsForWavesPerEU: 178
; Occupancy: 5
; WaveLimiterHint : 1
; COMPUTE_PGM_RSRC2:SCRATCH_EN: 0
; COMPUTE_PGM_RSRC2:USER_SGPR: 6
; COMPUTE_PGM_RSRC2:TRAP_HANDLER: 0
; COMPUTE_PGM_RSRC2:TGID_X_EN: 1
; COMPUTE_PGM_RSRC2:TGID_Y_EN: 0
; COMPUTE_PGM_RSRC2:TGID_Z_EN: 1
; COMPUTE_PGM_RSRC2:TIDIG_COMP_CNT: 1
	.section	.text._ZN12_GLOBAL__N_120geam_min_plus_kernelIf15HIP_vector_typeIfLj2EEfLi8ELi32ELi64ELi256ELi4ELi64ELi4ELi64ELi4ELc78ELc84ELb0ELb0ELb1EfKPKfKPfEEviiiT16_PT17_ilSA_ilS8_SA_ilPT18_ili26rocblas_geam_ex_operation_,"axG",@progbits,_ZN12_GLOBAL__N_120geam_min_plus_kernelIf15HIP_vector_typeIfLj2EEfLi8ELi32ELi64ELi256ELi4ELi64ELi4ELi64ELi4ELc78ELc84ELb0ELb0ELb1EfKPKfKPfEEviiiT16_PT17_ilSA_ilS8_SA_ilPT18_ili26rocblas_geam_ex_operation_,comdat
	.globl	_ZN12_GLOBAL__N_120geam_min_plus_kernelIf15HIP_vector_typeIfLj2EEfLi8ELi32ELi64ELi256ELi4ELi64ELi4ELi64ELi4ELc78ELc84ELb0ELb0ELb1EfKPKfKPfEEviiiT16_PT17_ilSA_ilS8_SA_ilPT18_ili26rocblas_geam_ex_operation_ ; -- Begin function _ZN12_GLOBAL__N_120geam_min_plus_kernelIf15HIP_vector_typeIfLj2EEfLi8ELi32ELi64ELi256ELi4ELi64ELi4ELi64ELi4ELc78ELc84ELb0ELb0ELb1EfKPKfKPfEEviiiT16_PT17_ilSA_ilS8_SA_ilPT18_ili26rocblas_geam_ex_operation_
	.p2align	8
	.type	_ZN12_GLOBAL__N_120geam_min_plus_kernelIf15HIP_vector_typeIfLj2EEfLi8ELi32ELi64ELi256ELi4ELi64ELi4ELi64ELi4ELc78ELc84ELb0ELb0ELb1EfKPKfKPfEEviiiT16_PT17_ilSA_ilS8_SA_ilPT18_ili26rocblas_geam_ex_operation_,@function
_ZN12_GLOBAL__N_120geam_min_plus_kernelIf15HIP_vector_typeIfLj2EEfLi8ELi32ELi64ELi256ELi4ELi64ELi4ELi64ELi4ELc78ELc84ELb0ELb0ELb1EfKPKfKPfEEviiiT16_PT17_ilSA_ilS8_SA_ilPT18_ili26rocblas_geam_ex_operation_: ; @_ZN12_GLOBAL__N_120geam_min_plus_kernelIf15HIP_vector_typeIfLj2EEfLi8ELi32ELi64ELi256ELi4ELi64ELi4ELi64ELi4ELc78ELc84ELb0ELb0ELb1EfKPKfKPfEEviiiT16_PT17_ilSA_ilS8_SA_ilPT18_ili26rocblas_geam_ex_operation_
; %bb.0:
	s_clause 0x1
	s_load_dwordx2 s[14:15], s[4:5], 0x8
	s_load_dwordx4 s[8:11], s[4:5], 0x20
	s_mov_b32 s2, s7
	s_mov_b32 s3, 0
	s_waitcnt lgkmcnt(0)
	v_cmp_eq_f32_e64 s0, s15, 0
	s_and_b32 s1, exec_lo, s0
	s_mov_b32 vcc_lo, s1
	s_cbranch_vccnz .LBB17_3
; %bb.1:
	s_load_dwordx2 s[12:13], s[4:5], 0x10
	s_lshl_b64 s[16:17], s[2:3], 3
	s_waitcnt lgkmcnt(0)
	s_add_u32 s12, s12, s16
	s_addc_u32 s13, s13, s17
	s_lshl_b64 s[8:9], s[8:9], 2
	s_load_dwordx2 s[12:13], s[12:13], 0x0
	s_waitcnt lgkmcnt(0)
	s_add_u32 s16, s12, s8
	s_addc_u32 s17, s13, s9
	s_andn2_b32 vcc_lo, exec_lo, s0
	s_cbranch_vccnz .LBB17_4
.LBB17_2:
	s_mov_b32 s23, 0
	s_mov_b32 s22, s2
	;; [unrolled: 1-line block ×3, first 2 shown]
	s_mov_b64 s[12:13], 0
	s_andn2_b32 vcc_lo, exec_lo, s0
	s_mov_b64 s[18:19], 0
	s_cbranch_vccz .LBB17_5
	s_branch .LBB17_6
.LBB17_3:
	s_mov_b64 s[16:17], 0
	s_andn2_b32 vcc_lo, exec_lo, s0
	s_cbranch_vccz .LBB17_2
.LBB17_4:
	s_mov_b64 s[22:23], s[2:3]
	s_mov_b64 s[12:13], 0
	;; [unrolled: 1-line block ×3, first 2 shown]
.LBB17_5:
	s_lshl_b64 s[2:3], s[2:3], 3
	s_load_dwordx2 s[8:9], s[4:5], 0x38
	s_add_u32 s2, s10, s2
	s_addc_u32 s3, s11, s3
	s_load_dwordx2 s[2:3], s[2:3], 0x0
	s_waitcnt lgkmcnt(0)
	s_lshl_b64 s[8:9], s[8:9], 2
	s_add_u32 s18, s2, s8
	s_addc_u32 s19, s3, s9
.LBB17_6:
	s_clause 0x1
	s_load_dword s3, s[4:5], 0x40
	s_load_dwordx4 s[8:11], s[4:5], 0x58
	v_cmp_neq_f32_e64 s24, s15, 0
	s_waitcnt lgkmcnt(0)
	v_cmp_eq_f32_e64 s0, s3, 0
	s_and_b32 s0, exec_lo, s0
	s_mov_b32 vcc_lo, s0
	s_cbranch_vccnz .LBB17_8
; %bb.7:
	s_load_dwordx2 s[12:13], s[4:5], 0x48
	s_lshl_b64 s[20:21], s[22:23], 3
	s_waitcnt lgkmcnt(0)
	s_add_u32 s12, s12, s20
	s_addc_u32 s13, s13, s21
	s_lshl_b64 s[8:9], s[8:9], 2
	s_load_dwordx2 s[12:13], s[12:13], 0x0
	s_waitcnt lgkmcnt(0)
	s_add_u32 s12, s12, s8
	s_addc_u32 s13, s13, s9
.LBB17_8:
	s_clause 0x1
	s_load_dword s20, s[4:5], 0x18
	s_load_dword s2, s[4:5], 0x0
	s_lshl_b64 s[8:9], s[22:23], 3
	v_cndmask_b32_e64 v3, 0, 1, s24
	v_mov_b32_e32 v6, 0
	v_mov_b32_e32 v7, 0
	s_waitcnt lgkmcnt(0)
	s_ashr_i32 s21, s20, 31
	s_add_u32 s8, s10, s8
	s_addc_u32 s9, s11, s9
	s_add_i32 s2, s2, -1
	s_ashr_i32 s7, s2, 31
	s_lshr_b32 s7, s7, 26
	s_add_i32 s2, s2, s7
	s_ashr_i32 s2, s2, 6
	s_add_i32 s7, s2, 1
	s_not_b32 s2, s2
	v_cvt_f32_u32_e32 v2, s7
	v_rcp_iflag_f32_e32 v2, v2
	v_mul_f32_e32 v2, 0x4f7ffffe, v2
	v_cvt_u32_f32_e32 v2, v2
	v_readfirstlane_b32 s10, v2
	v_lshl_add_u32 v2, v1, 3, v0
	s_mul_i32 s2, s2, s10
	v_and_b32_e32 v66, 63, v2
	s_mul_hi_u32 s2, s10, s2
	v_lshrrev_b32_e32 v67, 6, v2
	s_add_i32 s10, s10, s2
	s_mul_hi_u32 s2, s6, s10
	s_mul_i32 s10, s2, s7
	s_add_i32 s11, s2, 1
	s_sub_i32 s10, s6, s10
	s_sub_i32 s22, s10, s7
	s_cmp_ge_u32 s10, s7
	s_cselect_b32 s2, s11, s2
	s_cselect_b32 s10, s22, s10
	s_add_i32 s11, s2, 1
	s_cmp_ge_u32 s10, s7
	s_cselect_b32 s11, s11, s2
	s_andn2_b32 vcc_lo, exec_lo, s24
	s_mul_i32 s7, s11, s7
	s_sub_i32 s2, s6, s7
	s_lshl_b32 s22, s2, 6
	v_cmp_ne_u32_e64 s2, 1, v3
	v_or_b32_e32 v4, s22, v66
	v_ashrrev_i32_e32 v5, 31, v4
	s_cbranch_vccnz .LBB17_10
; %bb.9:
	v_mad_i64_i32 v[2:3], null, s20, v67, 0
	v_lshlrev_b64 v[7:8], 2, v[4:5]
	v_lshlrev_b64 v[2:3], 2, v[2:3]
	v_add_co_u32 v2, vcc_lo, s16, v2
	v_add_co_ci_u32_e64 v3, null, s17, v3, vcc_lo
	v_add_co_u32 v2, vcc_lo, v2, v7
	v_add_co_ci_u32_e64 v3, null, v3, v8, vcc_lo
	flat_load_dword v2, v[2:3]
	s_waitcnt vmcnt(0) lgkmcnt(0)
	v_mul_f32_e32 v7, s15, v2
.LBB17_10:
	s_load_dword s10, s[4:5], 0x30
	s_lshl_b32 s23, s11, 8
	v_or_b32_e32 v2, s23, v66
	v_ashrrev_i32_e32 v3, 31, v2
	s_waitcnt lgkmcnt(0)
	v_mad_i64_i32 v[8:9], null, v67, s10, 0
	v_lshlrev_b64 v[8:9], 2, v[8:9]
	v_add_co_u32 v11, vcc_lo, s18, v8
	v_add_co_ci_u32_e64 v12, null, s19, v9, vcc_lo
	v_mov_b32_e32 v8, 0
	s_and_b32 vcc_lo, exec_lo, s2
	s_cbranch_vccnz .LBB17_12
; %bb.11:
	v_lshlrev_b64 v[8:9], 2, v[2:3]
	v_add_co_u32 v8, vcc_lo, v11, v8
	v_add_co_ci_u32_e64 v9, null, v12, v9, vcc_lo
	s_clause 0x1
	flat_load_dword v6, v[8:9]
	flat_load_dword v9, v[8:9] offset:256
	s_waitcnt vmcnt(1) lgkmcnt(1)
	v_mul_f32_e32 v8, s15, v6
	s_waitcnt vmcnt(0) lgkmcnt(0)
	v_mul_f32_e32 v6, s15, v9
.LBB17_12:
	v_mov_b32_e32 v9, 0
	s_ashr_i32 s11, s10, 31
	s_mov_b32 vcc_lo, s1
	s_cbranch_vccz .LBB17_14
; %bb.13:
	s_mov_b32 s24, 0
	v_mov_b32_e32 v10, s24
	s_cbranch_execz .LBB17_15
	s_branch .LBB17_16
.LBB17_14:
                                        ; implicit-def: $vgpr10
.LBB17_15:
	v_lshlrev_b64 v[9:10], 2, v[2:3]
	v_add_co_u32 v9, vcc_lo, v11, v9
	v_add_co_ci_u32_e64 v10, null, v12, v10, vcc_lo
	s_clause 0x1
	flat_load_dword v11, v[9:10] offset:512
	flat_load_dword v9, v[9:10] offset:768
	s_waitcnt vmcnt(1) lgkmcnt(1)
	v_mul_f32_e32 v10, s15, v11
	s_waitcnt vmcnt(0) lgkmcnt(0)
	v_mul_f32_e32 v9, s15, v9
.LBB17_16:
	v_add_nc_u32_e32 v11, 4, v67
	v_mov_b32_e32 v68, 0
	v_mov_b32_e32 v69, 0
	s_and_b32 vcc_lo, exec_lo, s2
	s_cbranch_vccnz .LBB17_18
; %bb.17:
	v_mad_i64_i32 v[12:13], null, s20, v11, 0
	v_lshlrev_b64 v[4:5], 2, v[4:5]
	v_lshlrev_b64 v[12:13], 2, v[12:13]
	v_add_co_u32 v12, vcc_lo, s16, v12
	v_add_co_ci_u32_e64 v13, null, s17, v13, vcc_lo
	v_add_co_u32 v4, vcc_lo, v12, v4
	v_add_co_ci_u32_e64 v5, null, v13, v5, vcc_lo
	flat_load_dword v4, v[4:5]
	s_waitcnt vmcnt(0) lgkmcnt(0)
	v_mul_f32_e32 v69, s15, v4
.LBB17_18:
	v_mad_i64_i32 v[4:5], null, v11, s10, 0
	v_mov_b32_e32 v70, 0
	v_lshlrev_b64 v[4:5], 2, v[4:5]
	v_add_co_u32 v4, vcc_lo, s18, v4
	v_add_co_ci_u32_e64 v5, null, s19, v5, vcc_lo
	s_and_b32 vcc_lo, exec_lo, s2
	s_cbranch_vccnz .LBB17_20
; %bb.19:
	v_lshlrev_b64 v[11:12], 2, v[2:3]
	v_add_co_u32 v11, vcc_lo, v4, v11
	v_add_co_ci_u32_e64 v12, null, v5, v12, vcc_lo
	s_clause 0x1
	flat_load_dword v13, v[11:12]
	flat_load_dword v11, v[11:12] offset:256
	s_waitcnt vmcnt(1) lgkmcnt(1)
	v_mul_f32_e32 v70, s15, v13
	s_waitcnt vmcnt(0) lgkmcnt(0)
	v_mul_f32_e32 v68, s15, v11
.LBB17_20:
	v_mov_b32_e32 v71, 0
	s_mov_b32 vcc_lo, s1
	s_cbranch_vccz .LBB17_22
; %bb.21:
	s_mov_b32 s24, 0
	v_mov_b32_e32 v72, s24
	s_cbranch_execz .LBB17_23
	s_branch .LBB17_24
.LBB17_22:
                                        ; implicit-def: $vgpr72
.LBB17_23:
	v_lshlrev_b64 v[2:3], 2, v[2:3]
	v_add_co_u32 v2, vcc_lo, v4, v2
	v_add_co_ci_u32_e64 v3, null, v5, v3, vcc_lo
	s_clause 0x1
	flat_load_dword v4, v[2:3] offset:512
	flat_load_dword v2, v[2:3] offset:768
	s_waitcnt vmcnt(1) lgkmcnt(1)
	v_mul_f32_e32 v72, s15, v4
	s_waitcnt vmcnt(0) lgkmcnt(0)
	v_mul_f32_e32 v71, s15, v2
.LBB17_24:
	v_lshlrev_b32_e32 v2, 4, v66
	v_lshlrev_b32_e32 v79, 4, v0
	s_load_dwordx2 s[8:9], s[8:9], 0x0
	v_lshlrev_b32_e32 v78, 4, v1
	s_cmp_lt_i32 s14, 9
	v_lshl_add_u32 v80, v67, 2, v2
	ds_write_b32 v80, v7 offset:8192
	ds_write2st64_b32 v80, v8, v6 offset1:4
	ds_write2st64_b32 v80, v10, v9 offset0:8 offset1:12
	s_waitcnt lgkmcnt(0)
	s_barrier
	buffer_gl0_inv
	ds_read_b128 v[34:37], v79 offset:8192
	ds_read_b128 v[30:33], v79 offset:8320
	;; [unrolled: 1-line block ×8, first 2 shown]
	ds_read_b128 v[62:65], v78
	ds_read_b128 v[58:61], v78 offset:512
	ds_read_b128 v[54:57], v78 offset:1024
	;; [unrolled: 1-line block ×7, first 2 shown]
	ds_write_b32 v80, v69 offset:9216
	ds_write2st64_b32 v80, v70, v68 offset0:16 offset1:20
	ds_write2st64_b32 v80, v72, v71 offset0:24 offset1:28
	s_waitcnt lgkmcnt(0)
	s_barrier
	buffer_gl0_inv
	v_add_f32_e32 v73, v35, v63
	v_add_f32_e32 v74, v34, v62
	v_min3_f32 v111, v74, v73, 0x7f7fffff
	v_add_f32_e32 v73, v31, v63
	v_add_f32_e32 v74, v30, v62
	;; [unrolled: 1-line block ×3, first 2 shown]
	v_min3_f32 v112, v74, v73, 0x7f7fffff
	v_add_f32_e32 v73, v27, v63
	v_add_f32_e32 v74, v26, v62
	v_min3_f32 v113, v74, v73, 0x7f7fffff
	v_add_f32_e32 v73, v19, v63
	v_add_f32_e32 v74, v18, v62
	v_min3_f32 v114, v74, v73, 0x7f7fffff
	v_add_f32_e32 v73, v15, v63
	v_add_f32_e32 v74, v14, v62
	v_min3_f32 v115, v74, v73, 0x7f7fffff
	v_add_f32_e32 v73, v11, v63
	v_add_f32_e32 v74, v10, v62
	v_min3_f32 v116, v74, v73, 0x7f7fffff
	v_add_f32_e32 v73, v7, v63
	v_add_f32_e32 v74, v6, v62
	v_add_f32_e32 v63, v3, v63
	v_add_f32_e32 v62, v2, v62
	v_min3_f32 v117, v74, v73, 0x7f7fffff
	v_min3_f32 v118, v62, v63, 0x7f7fffff
	v_add_f32_e32 v62, v35, v59
	v_add_f32_e32 v63, v34, v58
	v_min3_f32 v110, v63, v62, 0x7f7fffff
	v_add_f32_e32 v62, v31, v59
	v_add_f32_e32 v63, v30, v58
	v_min3_f32 v109, v63, v62, 0x7f7fffff
	v_add_f32_e32 v62, v27, v59
	v_add_f32_e32 v63, v26, v58
	v_min3_f32 v108, v63, v62, 0x7f7fffff
	v_add_f32_e32 v62, v19, v59
	v_add_f32_e32 v63, v18, v58
	v_min3_f32 v107, v63, v62, 0x7f7fffff
	v_add_f32_e32 v62, v15, v59
	v_add_f32_e32 v63, v14, v58
	v_min3_f32 v106, v63, v62, 0x7f7fffff
	v_add_f32_e32 v62, v11, v59
	v_add_f32_e32 v63, v10, v58
	v_min3_f32 v105, v63, v62, 0x7f7fffff
	v_add_f32_e32 v62, v7, v59
	v_add_f32_e32 v63, v6, v58
	v_add_f32_e32 v59, v3, v59
	v_add_f32_e32 v58, v2, v58
	v_min3_f32 v104, v63, v62, 0x7f7fffff
	v_min3_f32 v103, v58, v59, 0x7f7fffff
	v_add_f32_e32 v58, v35, v55
	v_add_f32_e32 v59, v34, v54
	v_min3_f32 v102, v59, v58, 0x7f7fffff
	v_add_f32_e32 v58, v31, v55
	v_add_f32_e32 v59, v30, v54
	;; [unrolled: 24-line block ×5, first 2 shown]
	v_min3_f32 v74, v47, v46, 0x7f7fffff
	v_add_f32_e32 v46, v27, v43
	v_add_f32_e32 v47, v26, v42
	v_min3_f32 v73, v47, v46, 0x7f7fffff
	v_add_f32_e32 v46, v19, v43
	v_add_f32_e32 v47, v18, v42
	;; [unrolled: 3-line block ×5, first 2 shown]
	v_add_f32_e32 v43, v3, v43
	v_add_f32_e32 v42, v2, v42
	;; [unrolled: 1-line block ×3, first 2 shown]
	v_min3_f32 v58, v47, v46, 0x7f7fffff
	v_min3_f32 v55, v42, v43, 0x7f7fffff
	v_add_f32_e32 v42, v35, v39
	v_add_f32_e32 v43, v34, v38
	v_add_f32_e32 v35, v35, v23
	v_add_f32_e32 v34, v34, v22
	v_min3_f32 v54, v43, v42, 0x7f7fffff
	v_add_f32_e32 v42, v31, v39
	v_add_f32_e32 v43, v30, v38
	v_min3_f32 v34, v34, v35, 0x7f7fffff
	v_add_f32_e32 v31, v31, v23
	v_add_f32_e32 v30, v30, v22
	;; [unrolled: 3-line block ×9, first 2 shown]
	v_add_f32_e32 v38, v2, v38
	v_add_f32_e32 v2, v2, v22
	v_min3_f32 v14, v14, v15, 0x7f7fffff
	v_add_f32_e32 v11, v11, v23
	v_min3_f32 v43, v43, v42, 0x7f7fffff
	v_add_f32_e32 v42, v7, v39
	v_add_f32_e32 v39, v3, v39
	;; [unrolled: 1-line block ×5, first 2 shown]
	v_min3_f32 v42, v119, v42, 0x7f7fffff
	v_min3_f32 v38, v38, v39, 0x7f7fffff
	;; [unrolled: 1-line block ×4, first 2 shown]
	v_add_f32_e32 v3, v37, v65
	v_add_f32_e32 v7, v36, v64
	v_min3_f32 v10, v10, v11, 0x7f7fffff
	v_min3_f32 v144, v7, v3, v111
	v_add_f32_e32 v3, v33, v65
	v_add_f32_e32 v7, v32, v64
	v_min3_f32 v141, v7, v3, v112
	v_add_f32_e32 v3, v29, v65
	v_add_f32_e32 v7, v28, v64
	;; [unrolled: 3-line block ×55, first 2 shown]
	v_add_f32_e32 v4, v4, v24
	v_min3_f32 v88, v7, v3, v38
	v_add_f32_e32 v3, v37, v25
	v_add_f32_e32 v7, v36, v24
	v_min3_f32 v89, v7, v3, v34
	v_add_f32_e32 v3, v33, v25
	;; [unrolled: 3-line block ×8, first 2 shown]
	v_min3_f32 v85, v4, v3, v2
	s_cbranch_scc1 .LBB17_47
; %bb.25:
	v_add_nc_u32_e32 v6, 12, v67
	v_lshl_or_b32 v4, s6, 6, v66
	s_lshl_b32 s6, s7, 6
	v_add_nc_u32_e32 v10, 8, v67
	v_or_b32_e32 v145, 0x2000, v80
	v_mad_i64_i32 v[2:3], null, v6, s20, 0
	v_subrev_nc_u32_e32 v4, s6, v4
	v_mad_i64_i32 v[6:7], null, v6, s10, 0
	v_mad_i64_i32 v[8:9], null, v10, s20, 0
	v_ashrrev_i32_e32 v5, 31, v4
	v_lshlrev_b64 v[70:71], 2, v[2:3]
	v_add_nc_u32_e32 v2, s23, v66
	v_mad_i64_i32 v[10:11], null, v10, s10, 0
	v_lshlrev_b64 v[4:5], 2, v[4:5]
	v_lshlrev_b64 v[72:73], 2, v[6:7]
	v_ashrrev_i32_e32 v3, 31, v2
	v_lshlrev_b64 v[74:75], 2, v[8:9]
	v_or_b32_e32 v146, 0x2000, v79
	v_add_nc_u32_e32 v147, 0x2400, v80
	v_add_co_u32 v151, vcc_lo, s16, v4
	v_lshlrev_b64 v[2:3], 2, v[2:3]
	v_add_co_ci_u32_e64 v152, null, s17, v5, vcc_lo
	v_lshlrev_b64 v[76:77], 2, v[10:11]
	v_or_b32_e32 v148, 0x1000, v80
	v_lshl_add_u32 v149, v0, 4, 0x2400
	v_add_co_u32 v153, vcc_lo, s18, v2
	v_lshl_or_b32 v150, v1, 4, 0x1000
	v_add_co_ci_u32_e64 v154, null, s19, v3, vcc_lo
	s_add_i32 s14, s14, -8
	s_lshl_b64 s[6:7], s[20:21], 5
	s_lshl_b64 s[10:11], s[10:11], 5
	s_mov_b32 s16, 0
	s_mov_b32 s17, 0
	s_branch .LBB17_27
.LBB17_26:                              ;   in Loop: Header=BB17_27 Depth=1
	v_add_f32_e32 v3, v39, v67
	v_add_f32_e32 v4, v38, v66
	;; [unrolled: 1-line block ×6, first 2 shown]
	v_min3_f32 v144, v4, v3, v144
	v_add_f32_e32 v3, v27, v67
	v_min3_f32 v159, v159, v5, v141
	v_add_f32_e32 v4, v26, v66
	;; [unrolled: 2-line block ×3, first 2 shown]
	v_add_f32_e32 v141, v22, v66
	v_add_f32_e32 v160, v19, v67
	;; [unrolled: 1-line block ×7, first 2 shown]
	v_min3_f32 v164, v4, v3, v138
	v_min3_f32 v141, v141, v5, v143
	;; [unrolled: 1-line block ×5, first 2 shown]
	v_add_f32_e32 v3, v39, v63
	v_add_f32_e32 v4, v38, v62
	;; [unrolled: 1-line block ×10, first 2 shown]
	v_min3_f32 v137, v4, v3, v137
	v_min3_f32 v136, v66, v5, v134
	v_add_f32_e32 v3, v19, v63
	v_add_f32_e32 v4, v18, v62
	;; [unrolled: 1-line block ×6, first 2 shown]
	v_min3_f32 v134, v143, v67, v135
	v_min3_f32 v132, v161, v160, v132
	v_add_f32_e32 v67, v39, v59
	v_add_f32_e32 v143, v38, v58
	;; [unrolled: 1-line block ×4, first 2 shown]
	v_min3_f32 v135, v4, v3, v129
	v_min3_f32 v129, v66, v5, v131
	;; [unrolled: 1-line block ×3, first 2 shown]
	v_add_f32_e32 v3, v31, v59
	v_add_f32_e32 v4, v30, v58
	v_add_f32_e32 v5, v27, v59
	v_add_f32_e32 v62, v26, v58
	v_min3_f32 v130, v143, v67, v130
	v_min3_f32 v127, v161, v160, v127
	v_add_f32_e32 v63, v23, v59
	v_add_f32_e32 v66, v22, v58
	v_add_f32_e32 v67, v19, v59
	v_add_f32_e32 v143, v18, v58
	v_add_f32_e32 v160, v15, v59
	v_add_f32_e32 v161, v14, v58
	v_min3_f32 v131, v4, v3, v126
	v_min3_f32 v124, v62, v5, v124
	v_add_f32_e32 v3, v7, v59
	v_add_f32_e32 v4, v6, v58
	v_add_f32_e32 v5, v39, v55
	v_add_f32_e32 v58, v38, v54
	v_add_f32_e32 v59, v35, v55
	v_add_f32_e32 v62, v34, v54
	v_min3_f32 v125, v66, v63, v125
	v_min3_f32 v122, v143, v67, v122
	v_add_f32_e32 v63, v31, v55
	v_add_f32_e32 v66, v30, v54
	v_add_f32_e32 v67, v27, v55
	v_add_f32_e32 v143, v26, v54
	v_min3_f32 v126, v4, v3, v120
	v_min3_f32 v120, v58, v5, v121
	;; [unrolled: 1-line block ×3, first 2 shown]
	v_add_f32_e32 v3, v23, v55
	v_add_f32_e32 v4, v22, v54
	;; [unrolled: 1-line block ×8, first 2 shown]
	v_min3_f32 v119, v66, v63, v119
	v_add_f32_e32 v63, v39, v51
	v_add_f32_e32 v66, v38, v50
	v_min3_f32 v121, v4, v3, v116
	v_min3_f32 v114, v58, v5, v114
	;; [unrolled: 1-line block ×4, first 2 shown]
	v_add_f32_e32 v3, v35, v51
	v_add_f32_e32 v4, v34, v50
	;; [unrolled: 1-line block ×8, first 2 shown]
	v_min3_f32 v117, v143, v67, v117
	v_min3_f32 v113, v66, v63, v113
	v_add_f32_e32 v63, v19, v51
	v_add_f32_e32 v66, v18, v50
	v_min3_f32 v116, v4, v3, v110
	v_min3_f32 v110, v54, v5, v111
	;; [unrolled: 1-line block ×4, first 2 shown]
	v_add_f32_e32 v3, v15, v51
	v_add_f32_e32 v4, v14, v50
	;; [unrolled: 1-line block ×10, first 2 shown]
	v_min3_f32 v107, v66, v63, v107
	v_min3_f32 v106, v4, v3, v106
	;; [unrolled: 1-line block ×6, first 2 shown]
	v_add_f32_e32 v3, v27, v47
	v_add_f32_e32 v4, v26, v46
	;; [unrolled: 1-line block ×10, first 2 shown]
	v_min3_f32 v100, v4, v3, v100
	v_min3_f32 v54, v50, v5, v101
	;; [unrolled: 1-line block ×5, first 2 shown]
	v_add_f32_e32 v3, v39, v43
	v_add_f32_e32 v4, v38, v42
	;; [unrolled: 1-line block ×10, first 2 shown]
	v_min3_f32 v96, v4, v3, v97
	v_min3_f32 v46, v46, v5, v94
	;; [unrolled: 1-line block ×4, first 2 shown]
	v_add_f32_e32 v3, v19, v43
	v_add_f32_e32 v4, v18, v42
	;; [unrolled: 1-line block ×6, first 2 shown]
	v_min3_f32 v51, v101, v99, v93
	v_add_f32_e32 v93, v35, v11
	v_min3_f32 v35, v4, v3, v90
	v_min3_f32 v3, v92, v5, v91
	;; [unrolled: 1-line block ×3, first 2 shown]
	v_add_f32_e32 v31, v31, v11
	v_add_f32_e32 v30, v30, v10
	;; [unrolled: 1-line block ×13, first 2 shown]
	v_min3_f32 v14, v30, v31, v86
	v_min3_f32 v22, v26, v27, v83
	;; [unrolled: 1-line block ×5, first 2 shown]
	v_add_f32_e32 v7, v7, v11
	v_add_f32_e32 v6, v6, v10
	;; [unrolled: 1-line block ×10, first 2 shown]
	v_min3_f32 v4, v42, v43, v88
	v_min3_f32 v7, v6, v7, v85
	;; [unrolled: 1-line block ×6, first 2 shown]
	v_add_f32_e32 v6, v25, v69
	v_add_f32_e32 v10, v24, v68
	v_add_f32_e32 v15, v21, v69
	v_add_f32_e32 v18, v20, v68
	v_add_f32_e32 v19, v17, v69
	v_add_f32_e32 v30, v16, v68
	v_add_f32_e32 v31, v9, v69
	v_add_f32_e32 v38, v8, v68
	v_add_f32_e32 v39, v41, v65
	v_add_f32_e32 v42, v40, v64
	v_min3_f32 v133, v163, v162, v133
	v_min3_f32 v34, v34, v93, v87
	;; [unrolled: 1-line block ×7, first 2 shown]
	v_add_f32_e32 v6, v37, v65
	v_add_f32_e32 v10, v36, v64
	;; [unrolled: 1-line block ×10, first 2 shown]
	v_min3_f32 v88, v10, v6, v136
	v_min3_f32 v89, v18, v15, v134
	;; [unrolled: 1-line block ×5, first 2 shown]
	v_add_f32_e32 v6, v17, v65
	v_add_f32_e32 v10, v16, v64
	;; [unrolled: 1-line block ×10, first 2 shown]
	v_min3_f32 v123, v161, v160, v123
	v_min3_f32 v93, v10, v6, v129
	;; [unrolled: 1-line block ×6, first 2 shown]
	v_add_f32_e32 v6, v29, v61
	v_add_f32_e32 v10, v28, v60
	v_add_f32_e32 v15, v25, v61
	v_add_f32_e32 v18, v24, v60
	v_add_f32_e32 v19, v21, v61
	v_add_f32_e32 v30, v20, v60
	v_add_f32_e32 v31, v17, v61
	v_add_f32_e32 v38, v16, v60
	v_add_f32_e32 v39, v9, v61
	v_add_f32_e32 v42, v8, v60
	v_min3_f32 v99, v10, v6, v124
	v_min3_f32 v101, v18, v15, v125
	v_min3_f32 v102, v30, v19, v122
	v_min3_f32 v103, v38, v31, v123
	v_min3_f32 v104, v42, v39, v126
	v_add_f32_e32 v6, v41, v57
	v_add_f32_e32 v10, v40, v56
	v_add_f32_e32 v15, v37, v57
	v_add_f32_e32 v18, v36, v56
	v_add_f32_e32 v19, v33, v57
	v_add_f32_e32 v30, v32, v56
	v_add_f32_e32 v31, v29, v57
	v_add_f32_e32 v38, v28, v56
	v_add_f32_e32 v39, v25, v57
	v_add_f32_e32 v42, v24, v56
	v_min3_f32 v105, v10, v6, v120
	v_min3_f32 v111, v18, v15, v118
	v_min3_f32 v118, v30, v19, v119
	v_min3_f32 v117, v38, v31, v117
	v_min3_f32 v119, v42, v39, v121
	;; [unrolled: 15-line block ×8, first 2 shown]
	v_add_f32_e32 v10, v29, v13
	v_add_f32_e32 v25, v25, v13
	;; [unrolled: 1-line block ×6, first 2 shown]
	ds_read_b128 v[3:6], v146
	ds_read_b128 v[61:64], v78
	v_add_f32_e32 v9, v9, v13
	ds_read_b128 v[13:16], v146 offset:128
	ds_read_b128 v[17:20], v146 offset:256
	v_add_f32_e32 v28, v28, v12
	v_add_f32_e32 v24, v24, v12
	;; [unrolled: 1-line block ×3, first 2 shown]
	v_min3_f32 v139, v29, v21, v26
	v_min3_f32 v140, v31, v30, v27
	;; [unrolled: 1-line block ×5, first 2 shown]
	ds_read_b128 v[33:36], v146 offset:384
	ds_read_b128 v[29:32], v146 offset:512
	;; [unrolled: 1-line block ×12, first 2 shown]
	v_add_co_u32 v151, vcc_lo, v151, s6
	v_add_co_ci_u32_e64 v152, null, s7, v152, vcc_lo
	v_add_co_u32 v153, vcc_lo, v153, s10
	s_waitcnt lgkmcnt(14)
	v_add_f32_e32 v142, v4, v62
	v_add_f32_e32 v143, v3, v61
	s_waitcnt lgkmcnt(13)
	v_add_f32_e32 v144, v14, v62
	v_add_f32_e32 v159, v13, v61
	;; [unrolled: 3-line block ×3, first 2 shown]
	v_min3_f32 v11, v143, v142, v11
	s_waitcnt lgkmcnt(11)
	v_add_f32_e32 v142, v34, v62
	v_min3_f32 v81, v159, v144, v81
	v_add_f32_e32 v143, v33, v61
	v_min3_f32 v82, v161, v160, v82
	s_waitcnt lgkmcnt(10)
	v_add_f32_e32 v144, v30, v62
	v_add_f32_e32 v159, v29, v61
	s_waitcnt lgkmcnt(9)
	v_add_f32_e32 v160, v26, v62
	v_add_f32_e32 v161, v25, v61
	;; [unrolled: 3-line block ×4, first 2 shown]
	v_min3_f32 v83, v143, v142, v83
	v_min3_f32 v69, v159, v144, v69
	;; [unrolled: 1-line block ×5, first 2 shown]
	s_waitcnt lgkmcnt(6)
	v_add_f32_e32 v62, v4, v66
	v_add_f32_e32 v86, v3, v65
	;; [unrolled: 1-line block ×10, first 2 shown]
	v_min3_f32 v62, v86, v62, v87
	v_min3_f32 v86, v143, v142, v88
	;; [unrolled: 1-line block ×5, first 2 shown]
	v_add_f32_e32 v90, v26, v66
	v_add_f32_e32 v91, v25, v65
	;; [unrolled: 1-line block ×6, first 2 shown]
	s_waitcnt lgkmcnt(5)
	v_add_f32_e32 v144, v4, v58
	v_add_f32_e32 v159, v3, v57
	;; [unrolled: 1-line block ×4, first 2 shown]
	v_min3_f32 v90, v91, v90, v92
	v_min3_f32 v91, v143, v142, v93
	;; [unrolled: 1-line block ×5, first 2 shown]
	v_add_f32_e32 v93, v18, v58
	v_add_f32_e32 v94, v17, v57
	v_add_f32_e32 v95, v34, v58
	v_add_f32_e32 v97, v33, v57
	v_add_f32_e32 v142, v30, v58
	v_add_f32_e32 v143, v29, v57
	v_add_f32_e32 v144, v26, v58
	v_add_f32_e32 v159, v25, v57
	v_add_f32_e32 v160, v22, v58
	v_add_f32_e32 v161, v21, v57
	v_min3_f32 v93, v94, v93, v98
	v_min3_f32 v94, v97, v95, v99
	;; [unrolled: 1-line block ×5, first 2 shown]
	v_add_f32_e32 v58, v8, v58
	v_add_f32_e32 v57, v7, v57
	s_waitcnt lgkmcnt(4)
	v_add_f32_e32 v99, v4, v54
	v_add_f32_e32 v101, v3, v53
	;; [unrolled: 1-line block ×8, first 2 shown]
	v_min3_f32 v57, v57, v58, v104
	v_min3_f32 v58, v101, v99, v105
	;; [unrolled: 1-line block ×5, first 2 shown]
	v_add_f32_e32 v103, v30, v54
	v_add_f32_e32 v104, v29, v53
	;; [unrolled: 1-line block ×8, first 2 shown]
	s_waitcnt lgkmcnt(3)
	v_add_f32_e32 v142, v4, v50
	v_add_f32_e32 v143, v3, v49
	v_min3_f32 v103, v104, v103, v119
	v_min3_f32 v104, v111, v105, v114
	;; [unrolled: 1-line block ×5, first 2 shown]
	v_add_f32_e32 v111, v14, v50
	v_add_f32_e32 v112, v13, v49
	;; [unrolled: 1-line block ×10, first 2 shown]
	v_min3_f32 v111, v112, v111, v116
	v_min3_f32 v159, v114, v113, v110
	;; [unrolled: 1-line block ×4, first 2 shown]
	v_add_f32_e32 v110, v22, v50
	v_add_f32_e32 v112, v21, v49
	;; [unrolled: 1-line block ×4, first 2 shown]
	s_waitcnt lgkmcnt(2)
	v_add_f32_e32 v113, v4, v46
	v_add_f32_e32 v114, v3, v45
	;; [unrolled: 1-line block ×6, first 2 shown]
	v_min3_f32 v106, v112, v110, v106
	v_min3_f32 v49, v49, v50, v120
	;; [unrolled: 1-line block ×5, first 2 shown]
	v_add_f32_e32 v110, v34, v46
	v_add_f32_e32 v112, v33, v45
	v_add_f32_e32 v113, v30, v46
	v_add_f32_e32 v114, v29, v45
	v_add_f32_e32 v115, v26, v46
	v_add_f32_e32 v116, v25, v45
	v_add_f32_e32 v117, v22, v46
	v_add_f32_e32 v118, v21, v45
	v_add_f32_e32 v46, v8, v46
	v_add_f32_e32 v45, v7, v45
	v_min3_f32 v100, v112, v110, v100
	v_min3_f32 v162, v114, v113, v124
	s_waitcnt lgkmcnt(1)
	v_add_f32_e32 v110, v3, v41
	v_add_f32_e32 v112, v14, v42
	v_min3_f32 v45, v45, v46, v127
	v_add_f32_e32 v46, v4, v42
	v_add_f32_e32 v113, v13, v41
	s_waitcnt lgkmcnt(0)
	v_add_f32_e32 v4, v4, v38
	v_add_f32_e32 v3, v3, v37
	;; [unrolled: 1-line block ×4, first 2 shown]
	v_min3_f32 v163, v116, v115, v125
	v_add_f32_e32 v114, v18, v42
	v_add_f32_e32 v115, v17, v41
	v_min3_f32 v165, v113, v112, v128
	v_add_f32_e32 v112, v22, v42
	v_add_f32_e32 v113, v21, v41
	v_min3_f32 v3, v3, v4, v135
	v_min3_f32 v4, v13, v14, v136
	v_add_f32_e32 v13, v18, v38
	v_add_f32_e32 v14, v17, v37
	v_add_f32_e32 v17, v34, v38
	v_add_f32_e32 v18, v33, v37
	v_add_f32_e32 v22, v22, v38
	v_add_f32_e32 v21, v21, v37
	v_min3_f32 v164, v118, v117, v126
	v_add_f32_e32 v116, v34, v42
	v_add_f32_e32 v117, v33, v41
	v_add_f32_e32 v118, v30, v42
	v_add_f32_e32 v119, v29, v41
	v_min3_f32 v46, v110, v46, v96
	v_add_f32_e32 v96, v26, v42
	v_add_f32_e32 v110, v25, v41
	;; [unrolled: 1-line block ×4, first 2 shown]
	v_min3_f32 v12, v18, v17, v12
	v_min3_f32 v18, v21, v22, v140
	v_add_f32_e32 v8, v8, v38
	v_add_f32_e32 v7, v7, v37
	v_add_f32_e32 v21, v6, v64
	v_add_f32_e32 v22, v5, v63
	v_add_f32_e32 v30, v30, v38
	v_add_f32_e32 v29, v29, v37
	v_add_f32_e32 v26, v26, v38
	v_add_f32_e32 v25, v25, v37
	v_add_f32_e32 v33, v36, v64
	v_add_f32_e32 v34, v35, v63
	v_min3_f32 v7, v7, v8, v141
	v_min3_f32 v144, v22, v21, v11
	v_add_f32_e32 v8, v32, v64
	v_add_f32_e32 v11, v31, v63
	v_min3_f32 v107, v143, v142, v107
	v_min3_f32 v13, v14, v13, v137
	;; [unrolled: 1-line block ×4, first 2 shown]
	v_add_f32_e32 v25, v16, v64
	v_add_f32_e32 v26, v15, v63
	;; [unrolled: 1-line block ×4, first 2 shown]
	v_min3_f32 v138, v34, v33, v83
	v_add_f32_e32 v21, v28, v64
	v_add_f32_e32 v22, v27, v63
	;; [unrolled: 1-line block ×4, first 2 shown]
	v_min3_f32 v143, v11, v8, v69
	v_add_f32_e32 v8, v16, v68
	v_add_f32_e32 v11, v15, v67
	v_min3_f32 v41, v41, v42, v134
	v_min3_f32 v141, v26, v25, v81
	v_min3_f32 v142, v30, v29, v82
	v_add_f32_e32 v25, v24, v64
	v_add_f32_e32 v26, v23, v63
	v_add_f32_e32 v29, v10, v64
	v_add_f32_e32 v30, v9, v63
	v_min3_f32 v139, v22, v21, v84
	v_min3_f32 v137, v34, v33, v62
	v_add_f32_e32 v21, v20, v68
	v_add_f32_e32 v22, v19, v67
	v_add_f32_e32 v33, v28, v68
	v_add_f32_e32 v34, v27, v67
	v_min3_f32 v134, v11, v8, v86
	v_add_f32_e32 v8, v24, v68
	v_add_f32_e32 v11, v23, v67
	v_min3_f32 v166, v115, v114, v129
	v_min3_f32 v168, v119, v118, v131
	v_min3_f32 v140, v26, v25, v85
	v_min3_f32 v136, v30, v29, v61
	v_add_f32_e32 v25, v36, v68
	v_add_f32_e32 v26, v35, v67
	v_add_f32_e32 v29, v32, v68
	v_add_f32_e32 v30, v31, v67
	v_min3_f32 v135, v22, v21, v87
	v_min3_f32 v129, v34, v33, v90
	v_add_f32_e32 v21, v10, v68
	v_add_f32_e32 v22, v9, v67
	v_add_f32_e32 v33, v20, v60
	v_add_f32_e32 v34, v19, v59
	v_min3_f32 v131, v11, v8, v91
	v_add_f32_e32 v8, v36, v60
	v_add_f32_e32 v11, v35, v59
	v_min3_f32 v169, v110, v96, v132
	;; [unrolled: 17-line block ×3, first 2 shown]
	v_min3_f32 v130, v26, v25, v66
	v_min3_f32 v127, v30, v29, v92
	v_add_f32_e32 v25, v28, v60
	v_add_f32_e32 v26, v27, v59
	;; [unrolled: 1-line block ×4, first 2 shown]
	v_min3_f32 v125, v22, v21, v95
	v_min3_f32 v120, v34, v33, v57
	v_add_f32_e32 v21, v16, v56
	v_add_f32_e32 v22, v15, v55
	v_add_f32_e32 v33, v32, v56
	v_add_f32_e32 v34, v31, v55
	v_min3_f32 v121, v11, v8, v58
	v_add_f32_e32 v8, v28, v56
	v_add_f32_e32 v11, v27, v55
	v_min3_f32 v122, v26, v25, v97
	v_min3_f32 v123, v30, v29, v98
	v_add_f32_e32 v25, v20, v56
	v_add_f32_e32 v26, v19, v55
	;; [unrolled: 1-line block ×4, first 2 shown]
	v_min3_f32 v118, v22, v21, v99
	v_min3_f32 v116, v34, v33, v103
	v_add_f32_e32 v21, v24, v56
	v_add_f32_e32 v22, v23, v55
	;; [unrolled: 1-line block ×4, first 2 shown]
	v_min3_f32 v114, v11, v8, v104
	v_add_f32_e32 v8, v20, v52
	v_add_f32_e32 v11, v19, v51
	v_min3_f32 v119, v26, v25, v101
	v_min3_f32 v117, v30, v29, v102
	v_add_f32_e32 v25, v10, v56
	v_add_f32_e32 v26, v9, v55
	;; [unrolled: 1-line block ×4, first 2 shown]
	v_min3_f32 v115, v22, v21, v105
	v_min3_f32 v110, v34, v33, v111
	v_add_f32_e32 v21, v36, v52
	v_add_f32_e32 v22, v35, v51
	v_min3_f32 v111, v11, v8, v159
	v_add_f32_e32 v8, v10, v52
	v_add_f32_e32 v11, v9, v51
	v_min3_f32 v112, v26, v25, v53
	v_min3_f32 v113, v30, v29, v54
	v_add_f32_e32 v25, v32, v52
	v_add_f32_e32 v26, v31, v51
	;; [unrolled: 1-line block ×6, first 2 shown]
	v_min3_f32 v108, v22, v21, v108
	v_add_f32_e32 v21, v6, v48
	v_add_f32_e32 v22, v5, v47
	v_min3_f32 v104, v11, v8, v49
	v_add_f32_e32 v8, v32, v48
	v_add_f32_e32 v11, v31, v47
	v_min3_f32 v109, v26, v25, v109
	v_min3_f32 v107, v30, v29, v107
	;; [unrolled: 1-line block ×3, first 2 shown]
	v_add_f32_e32 v25, v16, v48
	v_add_f32_e32 v26, v15, v47
	v_add_f32_e32 v29, v20, v48
	v_add_f32_e32 v30, v19, v47
	v_add_f32_e32 v33, v36, v48
	v_add_f32_e32 v34, v35, v47
	v_min3_f32 v105, v22, v21, v50
	v_add_f32_e32 v21, v28, v48
	v_add_f32_e32 v22, v27, v47
	v_min3_f32 v101, v11, v8, v162
	v_add_f32_e32 v8, v16, v44
	v_add_f32_e32 v11, v15, v43
	v_min3_f32 v102, v26, v25, v160
	v_min3_f32 v103, v30, v29, v161
	;; [unrolled: 1-line block ×3, first 2 shown]
	v_add_f32_e32 v25, v24, v48
	v_add_f32_e32 v26, v23, v47
	;; [unrolled: 1-line block ×6, first 2 shown]
	v_min3_f32 v98, v22, v21, v163
	v_add_f32_e32 v21, v20, v44
	v_add_f32_e32 v22, v19, v43
	v_min3_f32 v94, v11, v8, v165
	v_add_f32_e32 v8, v24, v44
	v_add_f32_e32 v11, v23, v43
	;; [unrolled: 1-line block ×8, first 2 shown]
	v_min3_f32 v99, v26, v25, v164
	v_min3_f32 v96, v30, v29, v45
	;; [unrolled: 1-line block ×3, first 2 shown]
	v_add_f32_e32 v25, v36, v44
	v_add_f32_e32 v26, v35, v43
	;; [unrolled: 1-line block ×6, first 2 shown]
	v_min3_f32 v95, v22, v21, v166
	v_add_f32_e32 v21, v10, v44
	v_add_f32_e32 v22, v9, v43
	v_min3_f32 v91, v11, v8, v170
	v_min3_f32 v89, v5, v6, v3
	;; [unrolled: 1-line block ×4, first 2 shown]
	v_add_f32_e32 v3, v36, v40
	v_add_f32_e32 v4, v35, v39
	;; [unrolled: 1-line block ×10, first 2 shown]
	v_min3_f32 v92, v26, v25, v167
	v_min3_f32 v93, v30, v29, v168
	v_min3_f32 v90, v34, v33, v169
	v_min3_f32 v88, v22, v21, v41
	v_min3_f32 v83, v4, v3, v12
	v_min3_f32 v84, v6, v5, v14
	v_min3_f32 v81, v11, v8, v17
	v_min3_f32 v82, v15, v13, v18
	v_min3_f32 v85, v9, v10, v7
	v_add_co_ci_u32_e64 v154, null, s11, v154, vcc_lo
	s_add_i32 s17, s17, 8
	ds_write_b32 v147, v155
	ds_write2st64_b32 v148, v2, v156 offset1:4
	ds_write2st64_b32 v148, v157, v158 offset0:8 offset1:12
	s_cmp_ge_i32 s17, s14
	s_waitcnt lgkmcnt(0)
	s_barrier
	buffer_gl0_inv
	s_cbranch_scc1 .LBB17_47
.LBB17_27:                              ; =>This Inner Loop Header: Depth=1
	s_and_b32 vcc_lo, exec_lo, s2
	s_cbranch_vccnz .LBB17_46
; %bb.28:                               ;   in Loop: Header=BB17_27 Depth=1
	v_add_co_u32 v2, vcc_lo, v151, v74
	v_add_co_ci_u32_e64 v3, null, v152, v75, vcc_lo
	flat_load_dword v2, v[2:3]
	s_waitcnt vmcnt(0) lgkmcnt(0)
	v_mul_f32_e32 v156, s15, v2
	s_mov_b32 s18, -1
	s_mov_b32 vcc_lo, s1
                                        ; implicit-def: $vgpr2_vgpr3_vgpr4_vgpr5
	s_cbranch_vccz .LBB17_30
.LBB17_29:                              ;   in Loop: Header=BB17_27 Depth=1
	v_mov_b32_e32 v2, s16
	s_mov_b32 s18, 0
.LBB17_30:                              ;   in Loop: Header=BB17_27 Depth=1
	v_mov_b32_e32 v3, 0
	s_andn2_b32 vcc_lo, exec_lo, s18
	s_cbranch_vccz .LBB17_40
; %bb.31:                               ;   in Loop: Header=BB17_27 Depth=1
	s_mov_b32 s18, -1
	s_mov_b32 vcc_lo, s1
                                        ; implicit-def: $vgpr4
	s_cbranch_vccnz .LBB17_41
.LBB17_32:                              ;   in Loop: Header=BB17_27 Depth=1
	v_mov_b32_e32 v155, 0
	v_mov_b32_e32 v5, 0
	s_andn2_b32 vcc_lo, exec_lo, s18
	s_cbranch_vccnz .LBB17_34
.LBB17_33:                              ;   in Loop: Header=BB17_27 Depth=1
	v_add_co_u32 v4, vcc_lo, v153, v76
	v_add_co_ci_u32_e64 v5, null, v154, v77, vcc_lo
	s_clause 0x1
	flat_load_dword v6, v[4:5] offset:512
	flat_load_dword v5, v[4:5] offset:768
	s_waitcnt vmcnt(1) lgkmcnt(1)
	v_mul_f32_e32 v4, s15, v6
	s_waitcnt vmcnt(0) lgkmcnt(0)
	v_mul_f32_e32 v5, s15, v5
.LBB17_34:                              ;   in Loop: Header=BB17_27 Depth=1
	ds_read_b128 v[38:41], v149
	ds_read_b128 v[34:37], v149 offset:128
	ds_read_b128 v[30:33], v149 offset:256
	;; [unrolled: 1-line block ×7, first 2 shown]
	ds_read_b128 v[66:69], v150
	ds_read_b128 v[62:65], v150 offset:512
	ds_read_b128 v[58:61], v150 offset:1024
	;; [unrolled: 1-line block ×7, first 2 shown]
	s_and_b32 vcc_lo, exec_lo, s2
	ds_write_b32 v145, v156
	ds_write2st64_b32 v80, v2, v3 offset1:4
	ds_write2st64_b32 v80, v4, v5 offset0:8 offset1:12
	s_waitcnt lgkmcnt(0)
	s_barrier
	buffer_gl0_inv
	s_cbranch_vccnz .LBB17_36
; %bb.35:                               ;   in Loop: Header=BB17_27 Depth=1
	v_add_co_u32 v2, vcc_lo, v151, v70
	v_add_co_ci_u32_e64 v3, null, v152, v71, vcc_lo
	flat_load_dword v2, v[2:3]
	s_waitcnt vmcnt(0) lgkmcnt(0)
	v_mul_f32_e32 v155, s15, v2
.LBB17_36:                              ;   in Loop: Header=BB17_27 Depth=1
	s_mov_b32 s18, -1
	s_mov_b32 vcc_lo, s1
                                        ; implicit-def: $vgpr2_vgpr3_vgpr4_vgpr5
	s_cbranch_vccnz .LBB17_42
; %bb.37:                               ;   in Loop: Header=BB17_27 Depth=1
	v_mov_b32_e32 v156, 0
	s_andn2_b32 vcc_lo, exec_lo, s18
	s_cbranch_vccz .LBB17_43
.LBB17_38:                              ;   in Loop: Header=BB17_27 Depth=1
	s_mov_b32 s18, -1
	s_mov_b32 vcc_lo, s1
                                        ; implicit-def: $vgpr157
	s_cbranch_vccnz .LBB17_44
.LBB17_39:                              ;   in Loop: Header=BB17_27 Depth=1
	v_mov_b32_e32 v158, 0
	s_andn2_b32 vcc_lo, exec_lo, s18
	s_cbranch_vccnz .LBB17_26
	s_branch .LBB17_45
.LBB17_40:                              ;   in Loop: Header=BB17_27 Depth=1
	v_add_co_u32 v2, vcc_lo, v153, v76
	v_add_co_ci_u32_e64 v3, null, v154, v77, vcc_lo
	s_clause 0x1
	flat_load_dword v4, v[2:3]
	flat_load_dword v3, v[2:3] offset:256
	s_waitcnt vmcnt(1) lgkmcnt(1)
	v_mul_f32_e32 v2, s15, v4
	s_waitcnt vmcnt(0) lgkmcnt(0)
	v_mul_f32_e32 v3, s15, v3
	s_mov_b32 s18, -1
	s_mov_b32 vcc_lo, s1
                                        ; implicit-def: $vgpr4
	s_cbranch_vccz .LBB17_32
.LBB17_41:                              ;   in Loop: Header=BB17_27 Depth=1
	v_mov_b32_e32 v4, s16
	v_mov_b32_e32 v155, 0
	;; [unrolled: 1-line block ×3, first 2 shown]
	s_cbranch_execz .LBB17_33
	s_branch .LBB17_34
.LBB17_42:                              ;   in Loop: Header=BB17_27 Depth=1
	v_mov_b32_e32 v2, s16
	v_mov_b32_e32 v156, 0
	s_cbranch_execnz .LBB17_38
.LBB17_43:                              ;   in Loop: Header=BB17_27 Depth=1
	v_add_co_u32 v2, vcc_lo, v153, v72
	v_add_co_ci_u32_e64 v3, null, v154, v73, vcc_lo
	s_clause 0x1
	flat_load_dword v4, v[2:3]
	flat_load_dword v3, v[2:3] offset:256
	s_waitcnt vmcnt(1) lgkmcnt(1)
	v_mul_f32_e32 v2, s15, v4
	s_waitcnt vmcnt(0) lgkmcnt(0)
	v_mul_f32_e32 v156, s15, v3
	s_mov_b32 s18, -1
	s_mov_b32 vcc_lo, s1
                                        ; implicit-def: $vgpr157
	s_cbranch_vccz .LBB17_39
.LBB17_44:                              ;   in Loop: Header=BB17_27 Depth=1
	v_mov_b32_e32 v157, s16
	v_mov_b32_e32 v158, 0
	s_cbranch_execnz .LBB17_26
.LBB17_45:                              ;   in Loop: Header=BB17_27 Depth=1
	v_add_co_u32 v3, vcc_lo, v153, v72
	v_add_co_ci_u32_e64 v4, null, v154, v73, vcc_lo
	s_clause 0x1
	flat_load_dword v5, v[3:4] offset:512
	flat_load_dword v3, v[3:4] offset:768
	s_waitcnt vmcnt(1) lgkmcnt(1)
	v_mul_f32_e32 v157, s15, v5
	s_waitcnt vmcnt(0) lgkmcnt(0)
	v_mul_f32_e32 v158, s15, v3
	s_branch .LBB17_26
.LBB17_46:                              ;   in Loop: Header=BB17_27 Depth=1
	v_mov_b32_e32 v156, 0
	s_mov_b32 s18, -1
	s_mov_b32 vcc_lo, s1
                                        ; implicit-def: $vgpr2_vgpr3_vgpr4_vgpr5
	s_cbranch_vccnz .LBB17_29
	s_branch .LBB17_30
.LBB17_47:
	ds_read_b128 v[34:37], v79 offset:9216
	ds_read_b128 v[62:65], v78 offset:4096
	s_clause 0x2
	s_load_dwordx2 s[6:7], s[4:5], 0x70
	s_load_dword s1, s[4:5], 0x50
	s_load_dword s2, s[4:5], 0x68
	ds_read_b128 v[30:33], v79 offset:9344
	ds_read_b128 v[26:29], v79 offset:9472
	;; [unrolled: 1-line block ×12, first 2 shown]
	v_add_nc_u32_e32 v80, s23, v1
	v_add_nc_u32_e32 v76, s22, v0
	v_ashrrev_i32_e32 v77, 31, v76
	s_waitcnt lgkmcnt(0)
	s_lshl_b64 s[4:5], s[6:7], 2
	v_add_f32_e32 v0, v35, v63
	v_add_f32_e32 v6, v34, v62
	v_mad_i64_i32 v[66:67], null, v80, s2, 0
	v_mad_i64_i32 v[68:69], null, v80, s1, 0
	v_min3_f32 v1, v6, v0, v144
	ds_read_b128 v[38:41], v78 offset:7168
	ds_read_b128 v[6:9], v78 offset:7680
	v_add_f32_e32 v70, v37, v65
	v_add_f32_e32 v71, v36, v64
	v_lshlrev_b64 v[66:67], 2, v[66:67]
	s_add_u32 s4, s8, s4
	v_lshlrev_b64 v[68:69], 2, v[68:69]
	v_add_nc_u32_e32 v0, 8, v76
	v_min3_f32 v70, v71, v70, v1
	s_addc_u32 s5, s9, s5
	v_add_co_u32 v144, vcc_lo, s4, v66
	v_add_co_ci_u32_e64 v145, null, s5, v67, vcc_lo
	v_add_co_u32 v146, vcc_lo, s12, v68
	v_lshlrev_b64 v[66:67], 2, v[76:77]
	v_ashrrev_i32_e32 v1, 31, v0
	v_add_co_ci_u32_e64 v147, null, s13, v69, vcc_lo
	v_max_f32_e32 v68, v70, v70
	s_mov_b32 s6, -1
	s_mov_b32 vcc_lo, s0
	s_cbranch_vccz .LBB17_49
; %bb.48:
	v_add_co_u32 v69, vcc_lo, v144, v66
	v_min_f32_e32 v71, 0, v68
	v_add_co_ci_u32_e64 v70, null, v145, v67, vcc_lo
	s_mov_b32 s6, 0
	flat_store_dword v[69:70], v71
.LBB17_49:
	v_lshlrev_b64 v[0:1], 2, v[0:1]
	v_mov_b32_e32 v69, 0
	s_andn2_b32 vcc_lo, exec_lo, s6
	s_cbranch_vccnz .LBB17_51
; %bb.50:
	v_add_co_u32 v69, vcc_lo, v146, v66
	v_add_co_ci_u32_e64 v70, null, v147, v67, vcc_lo
	flat_load_dword v69, v[69:70]
	s_waitcnt vmcnt(0) lgkmcnt(0)
	v_mul_f32_e32 v71, s3, v69
	v_add_co_u32 v69, vcc_lo, v144, v66
	v_add_co_ci_u32_e64 v70, null, v145, v67, vcc_lo
	v_min_f32_e32 v68, v71, v68
	v_add_co_u32 v71, vcc_lo, v146, v0
	v_add_co_ci_u32_e64 v72, null, v147, v1, vcc_lo
	flat_store_dword v[69:70], v68
	flat_load_dword v68, v[71:72]
	s_waitcnt vmcnt(0) lgkmcnt(0)
	v_mul_f32_e32 v69, s3, v68
.LBB17_51:
	v_add_f32_e32 v68, v31, v63
	v_add_f32_e32 v70, v30, v62
	;; [unrolled: 1-line block ×6, first 2 shown]
	v_min3_f32 v75, v70, v68, v141
	v_add_nc_u32_e32 v70, 16, v76
	v_min3_f32 v77, v72, v71, v142
	v_add_f32_e32 v78, v28, v64
	v_min_f32_e32 v71, v74, v73
	v_add_f32_e32 v74, v29, v65
	v_add_co_u32 v72, vcc_lo, v144, v0
	v_add_nc_u32_e32 v68, 24, v76
	v_min3_f32 v75, v69, v71, v75
	v_ashrrev_i32_e32 v71, 31, v70
	v_add_co_ci_u32_e64 v73, null, v145, v1, vcc_lo
	v_min3_f32 v74, v78, v74, v77
	v_ashrrev_i32_e32 v69, 31, v68
	v_lshlrev_b64 v[70:71], 2, v[70:71]
	flat_store_dword v[72:73], v75
	s_mov_b32 s6, -1
	v_max_f32_e32 v72, v74, v74
	s_mov_b32 vcc_lo, s0
	s_cbranch_vccz .LBB17_53
; %bb.52:
	v_add_co_u32 v73, vcc_lo, v144, v70
	v_min_f32_e32 v75, 0, v72
	v_add_co_ci_u32_e64 v74, null, v145, v71, vcc_lo
	s_mov_b32 s6, 0
	flat_store_dword v[73:74], v75
.LBB17_53:
	v_lshlrev_b64 v[68:69], 2, v[68:69]
	v_mov_b32_e32 v73, 0
	s_andn2_b32 vcc_lo, exec_lo, s6
	s_cbranch_vccnz .LBB17_55
; %bb.54:
	v_add_co_u32 v73, vcc_lo, v146, v70
	v_add_co_ci_u32_e64 v74, null, v147, v71, vcc_lo
	flat_load_dword v73, v[73:74]
	s_waitcnt vmcnt(0) lgkmcnt(0)
	v_mul_f32_e32 v75, s3, v73
	v_add_co_u32 v73, vcc_lo, v144, v70
	v_add_co_ci_u32_e64 v74, null, v145, v71, vcc_lo
	v_add_co_u32 v77, vcc_lo, v146, v68
	v_min_f32_e32 v72, v75, v72
	v_add_co_ci_u32_e64 v78, null, v147, v69, vcc_lo
	flat_store_dword v[73:74], v72
	flat_load_dword v72, v[77:78]
	s_waitcnt vmcnt(0) lgkmcnt(0)
	v_mul_f32_e32 v73, s3, v72
.LBB17_55:
	v_add_f32_e32 v72, v23, v63
	v_add_f32_e32 v74, v22, v62
	;; [unrolled: 1-line block ×6, first 2 shown]
	v_min3_f32 v138, v74, v72, v138
	v_add_nc_u32_e32 v74, 32, v76
	v_min3_f32 v141, v77, v75, v143
	v_add_f32_e32 v142, v20, v64
	v_min_f32_e32 v75, v79, v78
	v_add_f32_e32 v79, v21, v65
	v_add_co_u32 v77, vcc_lo, v144, v68
	v_add_nc_u32_e32 v72, 40, v76
	v_min3_f32 v138, v73, v75, v138
	v_ashrrev_i32_e32 v75, 31, v74
	v_add_co_ci_u32_e64 v78, null, v145, v69, vcc_lo
	v_min3_f32 v79, v142, v79, v141
	v_ashrrev_i32_e32 v73, 31, v72
	v_lshlrev_b64 v[74:75], 2, v[74:75]
	flat_store_dword v[77:78], v138
	s_mov_b32 s6, -1
	v_max_f32_e32 v77, v79, v79
	s_mov_b32 vcc_lo, s0
	s_cbranch_vccz .LBB17_57
; %bb.56:
	v_add_co_u32 v78, vcc_lo, v144, v74
	v_min_f32_e32 v138, 0, v77
	v_add_co_ci_u32_e64 v79, null, v145, v75, vcc_lo
	s_mov_b32 s6, 0
	flat_store_dword v[78:79], v138
.LBB17_57:
	v_lshlrev_b64 v[72:73], 2, v[72:73]
	v_mov_b32_e32 v79, 0
	s_andn2_b32 vcc_lo, exec_lo, s6
	s_cbranch_vccnz .LBB17_59
; %bb.58:
	v_add_co_u32 v78, vcc_lo, v146, v74
	v_add_co_ci_u32_e64 v79, null, v147, v75, vcc_lo
	flat_load_dword v78, v[78:79]
	s_waitcnt vmcnt(0) lgkmcnt(0)
	v_mul_f32_e32 v138, s3, v78
	v_add_co_u32 v78, vcc_lo, v144, v74
	v_add_co_ci_u32_e64 v79, null, v145, v75, vcc_lo
	v_add_co_u32 v141, vcc_lo, v146, v72
	v_min_f32_e32 v77, v138, v77
	v_add_co_ci_u32_e64 v142, null, v147, v73, vcc_lo
	flat_store_dword v[78:79], v77
	flat_load_dword v77, v[141:142]
	s_waitcnt vmcnt(0) lgkmcnt(0)
	v_mul_f32_e32 v79, s3, v77
.LBB17_59:
	v_add_f32_e32 v77, v15, v63
	v_add_f32_e32 v78, v14, v62
	;; [unrolled: 1-line block ×6, first 2 shown]
	v_min3_f32 v77, v78, v77, v139
	v_add_nc_u32_e32 v78, 56, v76
	v_min3_f32 v140, v141, v138, v140
	v_add_nc_u32_e32 v138, 48, v76
	v_min_f32_e32 v139, v143, v142
	v_add_f32_e32 v141, v13, v65
	v_add_f32_e32 v142, v12, v64
	v_add_co_u32 v76, vcc_lo, v144, v72
	v_min3_f32 v143, v79, v139, v77
	v_add_co_ci_u32_e64 v77, null, v145, v73, vcc_lo
	v_ashrrev_i32_e32 v139, 31, v138
	v_min3_f32 v140, v142, v141, v140
	v_ashrrev_i32_e32 v79, 31, v78
	flat_store_dword v[76:77], v143
	s_mov_b32 s6, -1
	v_lshlrev_b64 v[76:77], 2, v[138:139]
	v_max_f32_e32 v138, v140, v140
	s_mov_b32 vcc_lo, s0
	s_cbranch_vccz .LBB17_61
; %bb.60:
	v_add_co_u32 v139, vcc_lo, v144, v76
	v_min_f32_e32 v141, 0, v138
	v_add_co_ci_u32_e64 v140, null, v145, v77, vcc_lo
	s_mov_b32 s6, 0
	flat_store_dword v[139:140], v141
.LBB17_61:
	v_lshlrev_b64 v[78:79], 2, v[78:79]
	v_mov_b32_e32 v139, 0
	s_andn2_b32 vcc_lo, exec_lo, s6
	s_cbranch_vccnz .LBB17_63
; %bb.62:
	v_add_co_u32 v139, vcc_lo, v146, v76
	v_add_co_ci_u32_e64 v140, null, v147, v77, vcc_lo
	flat_load_dword v139, v[139:140]
	s_waitcnt vmcnt(0) lgkmcnt(0)
	v_mul_f32_e32 v141, s3, v139
	v_add_co_u32 v139, vcc_lo, v144, v76
	v_add_co_ci_u32_e64 v140, null, v145, v77, vcc_lo
	v_min_f32_e32 v138, v141, v138
	v_add_co_u32 v141, vcc_lo, v146, v78
	v_add_co_ci_u32_e64 v142, null, v147, v79, vcc_lo
	flat_store_dword v[139:140], v138
	flat_load_dword v138, v[141:142]
	s_waitcnt vmcnt(0) lgkmcnt(0)
	v_mul_f32_e32 v139, s3, v138
.LBB17_63:
	v_add_f32_e32 v63, v3, v63
	v_add_f32_e32 v62, v2, v62
	;; [unrolled: 1-line block ×6, first 2 shown]
	v_min3_f32 v62, v62, v63, v136
	v_add_f32_e32 v141, v36, v60
	v_min_f32_e32 v63, v64, v65
	v_add_nc_u32_e32 v64, 32, v80
	v_min3_f32 v138, v140, v138, v137
	v_add_f32_e32 v140, v37, v61
	v_add_co_u32 v136, vcc_lo, v144, v78
	v_min3_f32 v139, v139, v63, v62
	v_mad_i64_i32 v[62:63], null, v64, s2, 0
	v_mad_i64_i32 v[64:65], null, v64, s1, 0
	v_add_co_ci_u32_e64 v137, null, v145, v79, vcc_lo
	v_min3_f32 v138, v141, v140, v138
	s_mov_b32 s6, -1
	v_lshlrev_b64 v[62:63], 2, v[62:63]
	flat_store_dword v[136:137], v139
	v_lshlrev_b64 v[64:65], 2, v[64:65]
	v_max_f32_e32 v136, v138, v138
	v_add_co_u32 v62, vcc_lo, s4, v62
	v_add_co_ci_u32_e64 v63, null, s5, v63, vcc_lo
	v_add_co_u32 v64, vcc_lo, s12, v64
	v_add_co_ci_u32_e64 v65, null, s13, v65, vcc_lo
	s_mov_b32 vcc_lo, s0
	s_cbranch_vccz .LBB17_65
; %bb.64:
	v_add_co_u32 v137, vcc_lo, v62, v66
	v_min_f32_e32 v139, 0, v136
	v_add_co_ci_u32_e64 v138, null, v63, v67, vcc_lo
	s_mov_b32 s6, 0
	flat_store_dword v[137:138], v139
.LBB17_65:
	v_mov_b32_e32 v137, 0
	s_andn2_b32 vcc_lo, exec_lo, s6
	s_cbranch_vccnz .LBB17_67
; %bb.66:
	v_add_co_u32 v137, vcc_lo, v64, v66
	v_add_co_ci_u32_e64 v138, null, v65, v67, vcc_lo
	flat_load_dword v137, v[137:138]
	s_waitcnt vmcnt(0) lgkmcnt(0)
	v_mul_f32_e32 v139, s3, v137
	v_add_co_u32 v137, vcc_lo, v62, v66
	v_add_co_ci_u32_e64 v138, null, v63, v67, vcc_lo
	v_min_f32_e32 v136, v139, v136
	v_add_co_u32 v139, vcc_lo, v64, v0
	v_add_co_ci_u32_e64 v140, null, v65, v1, vcc_lo
	flat_store_dword v[137:138], v136
	flat_load_dword v136, v[139:140]
	s_waitcnt vmcnt(0) lgkmcnt(0)
	v_mul_f32_e32 v137, s3, v136
.LBB17_67:
	v_add_f32_e32 v136, v31, v59
	v_add_f32_e32 v138, v30, v58
	v_add_f32_e32 v139, v33, v61
	v_add_f32_e32 v140, v32, v60
	v_add_f32_e32 v141, v27, v59
	v_add_f32_e32 v142, v26, v58
	v_min3_f32 v134, v138, v136, v134
	s_mov_b32 s6, -1
	v_min_f32_e32 v136, v140, v139
	v_add_f32_e32 v139, v29, v61
	v_min3_f32 v138, v142, v141, v135
	v_add_f32_e32 v140, v28, v60
	v_min3_f32 v136, v137, v136, v134
	v_add_co_u32 v134, vcc_lo, v62, v0
	v_add_co_ci_u32_e64 v135, null, v63, v1, vcc_lo
	v_min3_f32 v137, v140, v139, v138
	s_mov_b32 vcc_lo, s0
	flat_store_dword v[134:135], v136
	v_max_f32_e32 v134, v137, v137
	s_cbranch_vccz .LBB17_69
; %bb.68:
	v_add_co_u32 v135, vcc_lo, v62, v70
	v_min_f32_e32 v137, 0, v134
	v_add_co_ci_u32_e64 v136, null, v63, v71, vcc_lo
	s_mov_b32 s6, 0
	flat_store_dword v[135:136], v137
.LBB17_69:
	v_mov_b32_e32 v135, 0
	s_andn2_b32 vcc_lo, exec_lo, s6
	s_cbranch_vccnz .LBB17_71
; %bb.70:
	v_add_co_u32 v135, vcc_lo, v64, v70
	v_add_co_ci_u32_e64 v136, null, v65, v71, vcc_lo
	flat_load_dword v135, v[135:136]
	s_waitcnt vmcnt(0) lgkmcnt(0)
	v_mul_f32_e32 v137, s3, v135
	v_add_co_u32 v135, vcc_lo, v62, v70
	v_add_co_ci_u32_e64 v136, null, v63, v71, vcc_lo
	v_min_f32_e32 v134, v137, v134
	v_add_co_u32 v137, vcc_lo, v64, v68
	v_add_co_ci_u32_e64 v138, null, v65, v69, vcc_lo
	flat_store_dword v[135:136], v134
	flat_load_dword v134, v[137:138]
	s_waitcnt vmcnt(0) lgkmcnt(0)
	v_mul_f32_e32 v135, s3, v134
.LBB17_71:
	v_add_f32_e32 v134, v23, v59
	v_add_f32_e32 v136, v22, v58
	;; [unrolled: 1-line block ×6, first 2 shown]
	v_min3_f32 v132, v136, v134, v132
	s_mov_b32 s6, -1
	v_min_f32_e32 v134, v138, v137
	v_add_f32_e32 v137, v21, v61
	v_min3_f32 v136, v140, v139, v133
	v_add_f32_e32 v138, v20, v60
	v_min3_f32 v134, v135, v134, v132
	v_add_co_u32 v132, vcc_lo, v62, v68
	v_add_co_ci_u32_e64 v133, null, v63, v69, vcc_lo
	v_min3_f32 v135, v138, v137, v136
	s_mov_b32 vcc_lo, s0
	flat_store_dword v[132:133], v134
	v_max_f32_e32 v132, v135, v135
	s_cbranch_vccz .LBB17_73
; %bb.72:
	v_add_co_u32 v133, vcc_lo, v62, v74
	v_min_f32_e32 v135, 0, v132
	v_add_co_ci_u32_e64 v134, null, v63, v75, vcc_lo
	s_mov_b32 s6, 0
	flat_store_dword v[133:134], v135
.LBB17_73:
	v_mov_b32_e32 v133, 0
	s_andn2_b32 vcc_lo, exec_lo, s6
	s_cbranch_vccnz .LBB17_75
; %bb.74:
	v_add_co_u32 v133, vcc_lo, v64, v74
	v_add_co_ci_u32_e64 v134, null, v65, v75, vcc_lo
	flat_load_dword v133, v[133:134]
	s_waitcnt vmcnt(0) lgkmcnt(0)
	v_mul_f32_e32 v135, s3, v133
	v_add_co_u32 v133, vcc_lo, v62, v74
	v_add_co_ci_u32_e64 v134, null, v63, v75, vcc_lo
	v_min_f32_e32 v132, v135, v132
	v_add_co_u32 v135, vcc_lo, v64, v72
	v_add_co_ci_u32_e64 v136, null, v65, v73, vcc_lo
	flat_store_dword v[133:134], v132
	flat_load_dword v132, v[135:136]
	s_waitcnt vmcnt(0) lgkmcnt(0)
	v_mul_f32_e32 v133, s3, v132
.LBB17_75:
	v_add_f32_e32 v132, v15, v59
	v_add_f32_e32 v134, v14, v58
	;; [unrolled: 1-line block ×6, first 2 shown]
	v_min3_f32 v129, v134, v132, v129
	s_mov_b32 s6, -1
	v_min_f32_e32 v132, v136, v135
	v_add_f32_e32 v135, v13, v61
	v_min3_f32 v134, v138, v137, v131
	v_add_f32_e32 v136, v12, v60
	v_add_co_u32 v131, vcc_lo, v62, v72
	v_min3_f32 v129, v133, v132, v129
	v_add_co_ci_u32_e64 v132, null, v63, v73, vcc_lo
	v_min3_f32 v133, v136, v135, v134
	s_mov_b32 vcc_lo, s0
	flat_store_dword v[131:132], v129
	v_max_f32_e32 v129, v133, v133
	s_cbranch_vccz .LBB17_77
; %bb.76:
	v_add_co_u32 v131, vcc_lo, v62, v76
	v_min_f32_e32 v133, 0, v129
	v_add_co_ci_u32_e64 v132, null, v63, v77, vcc_lo
	s_mov_b32 s6, 0
	flat_store_dword v[131:132], v133
.LBB17_77:
	v_mov_b32_e32 v131, 0
	s_andn2_b32 vcc_lo, exec_lo, s6
	s_cbranch_vccnz .LBB17_79
; %bb.78:
	v_add_co_u32 v131, vcc_lo, v64, v76
	v_add_co_ci_u32_e64 v132, null, v65, v77, vcc_lo
	flat_load_dword v131, v[131:132]
	s_waitcnt vmcnt(0) lgkmcnt(0)
	v_mul_f32_e32 v133, s3, v131
	v_add_co_u32 v131, vcc_lo, v62, v76
	v_add_co_ci_u32_e64 v132, null, v63, v77, vcc_lo
	v_add_co_u32 v64, vcc_lo, v64, v78
	v_min_f32_e32 v129, v133, v129
	v_add_co_ci_u32_e64 v65, null, v65, v79, vcc_lo
	flat_store_dword v[131:132], v129
	flat_load_dword v64, v[64:65]
	s_waitcnt vmcnt(0) lgkmcnt(0)
	v_mul_f32_e32 v131, s3, v64
.LBB17_79:
	v_add_f32_e32 v59, v3, v59
	v_add_f32_e32 v58, v2, v58
	;; [unrolled: 1-line block ×6, first 2 shown]
	v_min3_f32 v58, v58, v59, v128
	v_add_f32_e32 v128, v36, v56
	v_min_f32_e32 v59, v60, v61
	v_add_nc_u32_e32 v60, 64, v80
	v_min3_f32 v64, v65, v64, v130
	v_add_f32_e32 v65, v37, v57
	v_add_co_u32 v62, vcc_lo, v62, v78
	v_min3_f32 v129, v131, v59, v58
	v_mad_i64_i32 v[58:59], null, v60, s2, 0
	v_mad_i64_i32 v[60:61], null, v60, s1, 0
	v_add_co_ci_u32_e64 v63, null, v63, v79, vcc_lo
	v_min3_f32 v64, v128, v65, v64
	s_mov_b32 s6, -1
	v_lshlrev_b64 v[58:59], 2, v[58:59]
	flat_store_dword v[62:63], v129
	v_lshlrev_b64 v[60:61], 2, v[60:61]
	v_max_f32_e32 v62, v64, v64
	v_add_co_u32 v58, vcc_lo, s4, v58
	v_add_co_ci_u32_e64 v59, null, s5, v59, vcc_lo
	v_add_co_u32 v60, vcc_lo, s12, v60
	v_add_co_ci_u32_e64 v61, null, s13, v61, vcc_lo
	s_mov_b32 vcc_lo, s0
	s_cbranch_vccz .LBB17_81
; %bb.80:
	v_add_co_u32 v63, vcc_lo, v58, v66
	v_min_f32_e32 v65, 0, v62
	v_add_co_ci_u32_e64 v64, null, v59, v67, vcc_lo
	s_mov_b32 s6, 0
	flat_store_dword v[63:64], v65
.LBB17_81:
	v_mov_b32_e32 v63, 0
	s_andn2_b32 vcc_lo, exec_lo, s6
	s_cbranch_vccnz .LBB17_83
; %bb.82:
	v_add_co_u32 v63, vcc_lo, v60, v66
	v_add_co_ci_u32_e64 v64, null, v61, v67, vcc_lo
	flat_load_dword v63, v[63:64]
	s_waitcnt vmcnt(0) lgkmcnt(0)
	v_mul_f32_e32 v65, s3, v63
	v_add_co_u32 v63, vcc_lo, v58, v66
	v_add_co_ci_u32_e64 v64, null, v59, v67, vcc_lo
	v_add_co_u32 v128, vcc_lo, v60, v0
	v_min_f32_e32 v62, v65, v62
	v_add_co_ci_u32_e64 v129, null, v61, v1, vcc_lo
	flat_store_dword v[63:64], v62
	flat_load_dword v62, v[128:129]
	s_waitcnt vmcnt(0) lgkmcnt(0)
	v_mul_f32_e32 v63, s3, v62
.LBB17_83:
	v_add_f32_e32 v62, v31, v55
	v_add_f32_e32 v64, v30, v54
	v_add_f32_e32 v65, v33, v57
	v_add_f32_e32 v128, v32, v56
	v_add_f32_e32 v129, v27, v55
	v_add_f32_e32 v130, v26, v54
	v_min3_f32 v62, v64, v62, v127
	v_add_f32_e32 v127, v28, v56
	v_min_f32_e32 v64, v128, v65
	s_mov_b32 s6, -1
	v_min3_f32 v65, v130, v129, v126
	v_add_f32_e32 v126, v29, v57
	v_min3_f32 v64, v63, v64, v62
	v_add_co_u32 v62, vcc_lo, v58, v0
	v_add_co_ci_u32_e64 v63, null, v59, v1, vcc_lo
	v_min3_f32 v65, v127, v126, v65
	s_mov_b32 vcc_lo, s0
	flat_store_dword v[62:63], v64
	v_max_f32_e32 v62, v65, v65
	s_cbranch_vccz .LBB17_85
; %bb.84:
	v_add_co_u32 v63, vcc_lo, v58, v70
	v_min_f32_e32 v65, 0, v62
	v_add_co_ci_u32_e64 v64, null, v59, v71, vcc_lo
	s_mov_b32 s6, 0
	flat_store_dword v[63:64], v65
.LBB17_85:
	v_mov_b32_e32 v63, 0
	s_andn2_b32 vcc_lo, exec_lo, s6
	s_cbranch_vccnz .LBB17_87
; %bb.86:
	v_add_co_u32 v63, vcc_lo, v60, v70
	v_add_co_ci_u32_e64 v64, null, v61, v71, vcc_lo
	flat_load_dword v63, v[63:64]
	s_waitcnt vmcnt(0) lgkmcnt(0)
	v_mul_f32_e32 v65, s3, v63
	v_add_co_u32 v63, vcc_lo, v58, v70
	v_add_co_ci_u32_e64 v64, null, v59, v71, vcc_lo
	v_add_co_u32 v126, vcc_lo, v60, v68
	v_min_f32_e32 v62, v65, v62
	v_add_co_ci_u32_e64 v127, null, v61, v69, vcc_lo
	flat_store_dword v[63:64], v62
	flat_load_dword v62, v[126:127]
	s_waitcnt vmcnt(0) lgkmcnt(0)
	v_mul_f32_e32 v63, s3, v62
.LBB17_87:
	v_add_f32_e32 v62, v23, v55
	v_add_f32_e32 v64, v22, v54
	v_add_f32_e32 v65, v25, v57
	v_add_f32_e32 v126, v24, v56
	v_add_f32_e32 v127, v19, v55
	v_add_f32_e32 v128, v18, v54
	v_min3_f32 v62, v64, v62, v124
	v_add_f32_e32 v124, v21, v57
	v_min_f32_e32 v64, v126, v65
	s_mov_b32 s6, -1
	v_min3_f32 v65, v128, v127, v125
	v_add_f32_e32 v125, v20, v56
	v_min3_f32 v64, v63, v64, v62
	v_add_co_u32 v62, vcc_lo, v58, v68
	v_add_co_ci_u32_e64 v63, null, v59, v69, vcc_lo
	v_min3_f32 v65, v125, v124, v65
	s_mov_b32 vcc_lo, s0
	flat_store_dword v[62:63], v64
	v_max_f32_e32 v62, v65, v65
	;; [unrolled: 46-line block ×3, first 2 shown]
	s_cbranch_vccz .LBB17_93
; %bb.92:
	v_add_co_u32 v63, vcc_lo, v58, v76
	v_min_f32_e32 v65, 0, v62
	v_add_co_ci_u32_e64 v64, null, v59, v77, vcc_lo
	s_mov_b32 s6, 0
	flat_store_dword v[63:64], v65
.LBB17_93:
	v_mov_b32_e32 v63, 0
	s_andn2_b32 vcc_lo, exec_lo, s6
	s_cbranch_vccnz .LBB17_95
; %bb.94:
	v_add_co_u32 v63, vcc_lo, v60, v76
	v_add_co_ci_u32_e64 v64, null, v61, v77, vcc_lo
	flat_load_dword v63, v[63:64]
	s_waitcnt vmcnt(0) lgkmcnt(0)
	v_mul_f32_e32 v65, s3, v63
	v_add_co_u32 v63, vcc_lo, v58, v76
	v_add_co_ci_u32_e64 v64, null, v59, v77, vcc_lo
	v_add_co_u32 v60, vcc_lo, v60, v78
	v_min_f32_e32 v62, v65, v62
	v_add_co_ci_u32_e64 v61, null, v61, v79, vcc_lo
	flat_store_dword v[63:64], v62
	flat_load_dword v60, v[60:61]
	s_waitcnt vmcnt(0) lgkmcnt(0)
	v_mul_f32_e32 v63, s3, v60
.LBB17_95:
	v_add_f32_e32 v55, v3, v55
	v_add_f32_e32 v54, v2, v54
	v_add_f32_e32 v57, v5, v57
	v_add_f32_e32 v56, v4, v56
	v_add_f32_e32 v60, v35, v51
	v_add_f32_e32 v61, v34, v50
	v_min3_f32 v54, v54, v55, v120
	v_add_f32_e32 v62, v36, v52
	v_min_f32_e32 v55, v56, v57
	v_add_nc_u32_e32 v56, 0x60, v80
	v_min3_f32 v60, v61, v60, v121
	v_add_f32_e32 v61, v37, v53
	v_add_co_u32 v58, vcc_lo, v58, v78
	v_min3_f32 v63, v63, v55, v54
	v_mad_i64_i32 v[54:55], null, v56, s2, 0
	v_mad_i64_i32 v[56:57], null, v56, s1, 0
	v_add_co_ci_u32_e64 v59, null, v59, v79, vcc_lo
	v_min3_f32 v60, v62, v61, v60
	s_mov_b32 s6, -1
	v_lshlrev_b64 v[54:55], 2, v[54:55]
	flat_store_dword v[58:59], v63
	v_lshlrev_b64 v[56:57], 2, v[56:57]
	v_max_f32_e32 v58, v60, v60
	v_add_co_u32 v54, vcc_lo, s4, v54
	v_add_co_ci_u32_e64 v55, null, s5, v55, vcc_lo
	v_add_co_u32 v56, vcc_lo, s12, v56
	v_add_co_ci_u32_e64 v57, null, s13, v57, vcc_lo
	s_mov_b32 vcc_lo, s0
	s_cbranch_vccz .LBB17_97
; %bb.96:
	v_add_co_u32 v59, vcc_lo, v54, v66
	v_min_f32_e32 v61, 0, v58
	v_add_co_ci_u32_e64 v60, null, v55, v67, vcc_lo
	s_mov_b32 s6, 0
	flat_store_dword v[59:60], v61
.LBB17_97:
	v_mov_b32_e32 v59, 0
	s_andn2_b32 vcc_lo, exec_lo, s6
	s_cbranch_vccnz .LBB17_99
; %bb.98:
	v_add_co_u32 v59, vcc_lo, v56, v66
	v_add_co_ci_u32_e64 v60, null, v57, v67, vcc_lo
	flat_load_dword v59, v[59:60]
	s_waitcnt vmcnt(0) lgkmcnt(0)
	v_mul_f32_e32 v61, s3, v59
	v_add_co_u32 v59, vcc_lo, v54, v66
	v_add_co_ci_u32_e64 v60, null, v55, v67, vcc_lo
	v_min_f32_e32 v58, v61, v58
	v_add_co_u32 v61, vcc_lo, v56, v0
	v_add_co_ci_u32_e64 v62, null, v57, v1, vcc_lo
	flat_store_dword v[59:60], v58
	flat_load_dword v58, v[61:62]
	s_waitcnt vmcnt(0) lgkmcnt(0)
	v_mul_f32_e32 v59, s3, v58
.LBB17_99:
	v_add_f32_e32 v58, v31, v51
	v_add_f32_e32 v60, v30, v50
	v_add_f32_e32 v61, v33, v53
	v_add_f32_e32 v62, v32, v52
	v_add_f32_e32 v63, v27, v51
	v_add_f32_e32 v64, v26, v50
	v_min3_f32 v58, v60, v58, v118
	s_mov_b32 s6, -1
	v_min_f32_e32 v60, v62, v61
	v_add_f32_e32 v62, v29, v53
	v_min3_f32 v61, v64, v63, v119
	v_add_f32_e32 v63, v28, v52
	v_min3_f32 v60, v59, v60, v58
	v_add_co_u32 v58, vcc_lo, v54, v0
	v_add_co_ci_u32_e64 v59, null, v55, v1, vcc_lo
	v_min3_f32 v61, v63, v62, v61
	s_mov_b32 vcc_lo, s0
	flat_store_dword v[58:59], v60
	v_max_f32_e32 v58, v61, v61
	s_cbranch_vccz .LBB17_101
; %bb.100:
	v_add_co_u32 v59, vcc_lo, v54, v70
	v_min_f32_e32 v61, 0, v58
	v_add_co_ci_u32_e64 v60, null, v55, v71, vcc_lo
	s_mov_b32 s6, 0
	flat_store_dword v[59:60], v61
.LBB17_101:
	v_mov_b32_e32 v59, 0
	s_andn2_b32 vcc_lo, exec_lo, s6
	s_cbranch_vccnz .LBB17_103
; %bb.102:
	v_add_co_u32 v59, vcc_lo, v56, v70
	v_add_co_ci_u32_e64 v60, null, v57, v71, vcc_lo
	flat_load_dword v59, v[59:60]
	s_waitcnt vmcnt(0) lgkmcnt(0)
	v_mul_f32_e32 v61, s3, v59
	v_add_co_u32 v59, vcc_lo, v54, v70
	v_add_co_ci_u32_e64 v60, null, v55, v71, vcc_lo
	v_min_f32_e32 v58, v61, v58
	v_add_co_u32 v61, vcc_lo, v56, v68
	v_add_co_ci_u32_e64 v62, null, v57, v69, vcc_lo
	flat_store_dword v[59:60], v58
	flat_load_dword v58, v[61:62]
	s_waitcnt vmcnt(0) lgkmcnt(0)
	v_mul_f32_e32 v59, s3, v58
.LBB17_103:
	v_add_f32_e32 v58, v23, v51
	v_add_f32_e32 v60, v22, v50
	v_add_f32_e32 v61, v25, v53
	v_add_f32_e32 v62, v24, v52
	v_add_f32_e32 v63, v19, v51
	v_add_f32_e32 v64, v18, v50
	v_min3_f32 v58, v60, v58, v117
	s_mov_b32 s6, -1
	v_min_f32_e32 v60, v62, v61
	v_add_f32_e32 v62, v21, v53
	v_min3_f32 v61, v64, v63, v116
	v_add_f32_e32 v63, v20, v52
	v_min3_f32 v60, v59, v60, v58
	v_add_co_u32 v58, vcc_lo, v54, v68
	v_add_co_ci_u32_e64 v59, null, v55, v69, vcc_lo
	v_min3_f32 v61, v63, v62, v61
	s_mov_b32 vcc_lo, s0
	flat_store_dword v[58:59], v60
	v_max_f32_e32 v58, v61, v61
	;; [unrolled: 46-line block ×3, first 2 shown]
	s_cbranch_vccz .LBB17_109
; %bb.108:
	v_add_co_u32 v59, vcc_lo, v54, v76
	v_min_f32_e32 v61, 0, v58
	v_add_co_ci_u32_e64 v60, null, v55, v77, vcc_lo
	s_mov_b32 s6, 0
	flat_store_dword v[59:60], v61
.LBB17_109:
	v_mov_b32_e32 v59, 0
	s_andn2_b32 vcc_lo, exec_lo, s6
	s_cbranch_vccnz .LBB17_111
; %bb.110:
	v_add_co_u32 v59, vcc_lo, v56, v76
	v_add_co_ci_u32_e64 v60, null, v57, v77, vcc_lo
	flat_load_dword v59, v[59:60]
	s_waitcnt vmcnt(0) lgkmcnt(0)
	v_mul_f32_e32 v61, s3, v59
	v_add_co_u32 v59, vcc_lo, v54, v76
	v_add_co_ci_u32_e64 v60, null, v55, v77, vcc_lo
	v_add_co_u32 v56, vcc_lo, v56, v78
	v_min_f32_e32 v58, v61, v58
	v_add_co_ci_u32_e64 v57, null, v57, v79, vcc_lo
	flat_store_dword v[59:60], v58
	flat_load_dword v56, v[56:57]
	s_waitcnt vmcnt(0) lgkmcnt(0)
	v_mul_f32_e32 v59, s3, v56
.LBB17_111:
	v_add_f32_e32 v51, v3, v51
	v_add_f32_e32 v50, v2, v50
	;; [unrolled: 1-line block ×6, first 2 shown]
	v_min3_f32 v50, v50, v51, v112
	v_add_f32_e32 v58, v36, v48
	v_min_f32_e32 v51, v52, v53
	v_add_nc_u32_e32 v52, 0x80, v80
	v_min3_f32 v56, v57, v56, v113
	v_add_f32_e32 v57, v37, v49
	v_add_co_u32 v54, vcc_lo, v54, v78
	v_min3_f32 v59, v59, v51, v50
	v_mad_i64_i32 v[50:51], null, v52, s2, 0
	v_mad_i64_i32 v[52:53], null, v52, s1, 0
	v_add_co_ci_u32_e64 v55, null, v55, v79, vcc_lo
	v_min3_f32 v56, v58, v57, v56
	s_mov_b32 s6, -1
	v_lshlrev_b64 v[50:51], 2, v[50:51]
	flat_store_dword v[54:55], v59
	v_lshlrev_b64 v[52:53], 2, v[52:53]
	v_max_f32_e32 v54, v56, v56
	v_add_co_u32 v50, vcc_lo, s4, v50
	v_add_co_ci_u32_e64 v51, null, s5, v51, vcc_lo
	v_add_co_u32 v52, vcc_lo, s12, v52
	v_add_co_ci_u32_e64 v53, null, s13, v53, vcc_lo
	s_mov_b32 vcc_lo, s0
	s_cbranch_vccz .LBB17_113
; %bb.112:
	v_add_co_u32 v55, vcc_lo, v50, v66
	v_min_f32_e32 v57, 0, v54
	v_add_co_ci_u32_e64 v56, null, v51, v67, vcc_lo
	s_mov_b32 s6, 0
	flat_store_dword v[55:56], v57
.LBB17_113:
	v_mov_b32_e32 v55, 0
	s_andn2_b32 vcc_lo, exec_lo, s6
	s_cbranch_vccnz .LBB17_115
; %bb.114:
	v_add_co_u32 v55, vcc_lo, v52, v66
	v_add_co_ci_u32_e64 v56, null, v53, v67, vcc_lo
	flat_load_dword v55, v[55:56]
	s_waitcnt vmcnt(0) lgkmcnt(0)
	v_mul_f32_e32 v57, s3, v55
	v_add_co_u32 v55, vcc_lo, v50, v66
	v_add_co_ci_u32_e64 v56, null, v51, v67, vcc_lo
	v_min_f32_e32 v54, v57, v54
	v_add_co_u32 v57, vcc_lo, v52, v0
	v_add_co_ci_u32_e64 v58, null, v53, v1, vcc_lo
	flat_store_dword v[55:56], v54
	flat_load_dword v54, v[57:58]
	s_waitcnt vmcnt(0) lgkmcnt(0)
	v_mul_f32_e32 v55, s3, v54
.LBB17_115:
	v_add_f32_e32 v54, v31, v47
	v_add_f32_e32 v56, v30, v46
	v_add_f32_e32 v57, v33, v49
	v_add_f32_e32 v58, v32, v48
	v_add_f32_e32 v59, v27, v47
	v_add_f32_e32 v60, v26, v46
	v_min3_f32 v54, v56, v54, v110
	s_mov_b32 s6, -1
	v_min_f32_e32 v56, v58, v57
	v_add_f32_e32 v58, v29, v49
	v_min3_f32 v57, v60, v59, v111
	v_add_f32_e32 v59, v28, v48
	v_min3_f32 v56, v55, v56, v54
	v_add_co_u32 v54, vcc_lo, v50, v0
	v_add_co_ci_u32_e64 v55, null, v51, v1, vcc_lo
	v_min3_f32 v57, v59, v58, v57
	s_mov_b32 vcc_lo, s0
	flat_store_dword v[54:55], v56
	v_max_f32_e32 v54, v57, v57
	s_cbranch_vccz .LBB17_117
; %bb.116:
	v_add_co_u32 v55, vcc_lo, v50, v70
	v_min_f32_e32 v57, 0, v54
	v_add_co_ci_u32_e64 v56, null, v51, v71, vcc_lo
	s_mov_b32 s6, 0
	flat_store_dword v[55:56], v57
.LBB17_117:
	v_mov_b32_e32 v55, 0
	s_andn2_b32 vcc_lo, exec_lo, s6
	s_cbranch_vccnz .LBB17_119
; %bb.118:
	v_add_co_u32 v55, vcc_lo, v52, v70
	v_add_co_ci_u32_e64 v56, null, v53, v71, vcc_lo
	flat_load_dword v55, v[55:56]
	s_waitcnt vmcnt(0) lgkmcnt(0)
	v_mul_f32_e32 v57, s3, v55
	v_add_co_u32 v55, vcc_lo, v50, v70
	v_add_co_ci_u32_e64 v56, null, v51, v71, vcc_lo
	v_min_f32_e32 v54, v57, v54
	v_add_co_u32 v57, vcc_lo, v52, v68
	v_add_co_ci_u32_e64 v58, null, v53, v69, vcc_lo
	flat_store_dword v[55:56], v54
	flat_load_dword v54, v[57:58]
	s_waitcnt vmcnt(0) lgkmcnt(0)
	v_mul_f32_e32 v55, s3, v54
.LBB17_119:
	v_add_f32_e32 v54, v23, v47
	v_add_f32_e32 v56, v22, v46
	v_add_f32_e32 v57, v25, v49
	v_add_f32_e32 v58, v24, v48
	v_add_f32_e32 v59, v19, v47
	v_add_f32_e32 v60, v18, v46
	v_min3_f32 v54, v56, v54, v108
	s_mov_b32 s6, -1
	v_min_f32_e32 v56, v58, v57
	v_add_f32_e32 v58, v21, v49
	v_min3_f32 v57, v60, v59, v109
	v_add_f32_e32 v59, v20, v48
	v_min3_f32 v56, v55, v56, v54
	v_add_co_u32 v54, vcc_lo, v50, v68
	v_add_co_ci_u32_e64 v55, null, v51, v69, vcc_lo
	v_min3_f32 v57, v59, v58, v57
	s_mov_b32 vcc_lo, s0
	flat_store_dword v[54:55], v56
	v_max_f32_e32 v54, v57, v57
	;; [unrolled: 46-line block ×3, first 2 shown]
	s_cbranch_vccz .LBB17_125
; %bb.124:
	v_add_co_u32 v55, vcc_lo, v50, v76
	v_min_f32_e32 v57, 0, v54
	v_add_co_ci_u32_e64 v56, null, v51, v77, vcc_lo
	s_mov_b32 s6, 0
	flat_store_dword v[55:56], v57
.LBB17_125:
	v_mov_b32_e32 v55, 0
	s_andn2_b32 vcc_lo, exec_lo, s6
	s_cbranch_vccnz .LBB17_127
; %bb.126:
	v_add_co_u32 v55, vcc_lo, v52, v76
	v_add_co_ci_u32_e64 v56, null, v53, v77, vcc_lo
	flat_load_dword v55, v[55:56]
	s_waitcnt vmcnt(0) lgkmcnt(0)
	v_mul_f32_e32 v57, s3, v55
	v_add_co_u32 v55, vcc_lo, v50, v76
	v_add_co_ci_u32_e64 v56, null, v51, v77, vcc_lo
	v_add_co_u32 v52, vcc_lo, v52, v78
	v_min_f32_e32 v54, v57, v54
	v_add_co_ci_u32_e64 v53, null, v53, v79, vcc_lo
	flat_store_dword v[55:56], v54
	flat_load_dword v52, v[52:53]
	s_waitcnt vmcnt(0) lgkmcnt(0)
	v_mul_f32_e32 v55, s3, v52
.LBB17_127:
	v_add_f32_e32 v47, v3, v47
	v_add_f32_e32 v46, v2, v46
	;; [unrolled: 1-line block ×6, first 2 shown]
	v_min3_f32 v46, v46, v47, v104
	v_add_f32_e32 v54, v36, v44
	v_min_f32_e32 v47, v48, v49
	v_add_nc_u32_e32 v48, 0xa0, v80
	v_min3_f32 v52, v53, v52, v105
	v_add_f32_e32 v53, v37, v45
	v_add_co_u32 v50, vcc_lo, v50, v78
	v_min3_f32 v55, v55, v47, v46
	v_mad_i64_i32 v[46:47], null, v48, s2, 0
	v_mad_i64_i32 v[48:49], null, v48, s1, 0
	v_add_co_ci_u32_e64 v51, null, v51, v79, vcc_lo
	v_min3_f32 v52, v54, v53, v52
	s_mov_b32 s6, -1
	v_lshlrev_b64 v[46:47], 2, v[46:47]
	flat_store_dword v[50:51], v55
	v_lshlrev_b64 v[48:49], 2, v[48:49]
	v_max_f32_e32 v50, v52, v52
	v_add_co_u32 v46, vcc_lo, s4, v46
	v_add_co_ci_u32_e64 v47, null, s5, v47, vcc_lo
	v_add_co_u32 v48, vcc_lo, s12, v48
	v_add_co_ci_u32_e64 v49, null, s13, v49, vcc_lo
	s_mov_b32 vcc_lo, s0
	s_cbranch_vccz .LBB17_129
; %bb.128:
	v_add_co_u32 v51, vcc_lo, v46, v66
	v_min_f32_e32 v53, 0, v50
	v_add_co_ci_u32_e64 v52, null, v47, v67, vcc_lo
	s_mov_b32 s6, 0
	flat_store_dword v[51:52], v53
.LBB17_129:
	v_mov_b32_e32 v51, 0
	s_andn2_b32 vcc_lo, exec_lo, s6
	s_cbranch_vccnz .LBB17_131
; %bb.130:
	v_add_co_u32 v51, vcc_lo, v48, v66
	v_add_co_ci_u32_e64 v52, null, v49, v67, vcc_lo
	flat_load_dword v51, v[51:52]
	s_waitcnt vmcnt(0) lgkmcnt(0)
	v_mul_f32_e32 v53, s3, v51
	v_add_co_u32 v51, vcc_lo, v46, v66
	v_add_co_ci_u32_e64 v52, null, v47, v67, vcc_lo
	v_min_f32_e32 v50, v53, v50
	v_add_co_u32 v53, vcc_lo, v48, v0
	v_add_co_ci_u32_e64 v54, null, v49, v1, vcc_lo
	flat_store_dword v[51:52], v50
	flat_load_dword v50, v[53:54]
	s_waitcnt vmcnt(0) lgkmcnt(0)
	v_mul_f32_e32 v51, s3, v50
.LBB17_131:
	v_add_f32_e32 v50, v31, v43
	v_add_f32_e32 v52, v30, v42
	v_add_f32_e32 v53, v33, v45
	v_add_f32_e32 v54, v32, v44
	v_add_f32_e32 v55, v27, v43
	v_add_f32_e32 v56, v26, v42
	v_min3_f32 v50, v52, v50, v102
	s_mov_b32 s6, -1
	v_min_f32_e32 v52, v54, v53
	v_add_f32_e32 v54, v29, v45
	v_min3_f32 v53, v56, v55, v103
	v_add_f32_e32 v55, v28, v44
	v_min3_f32 v52, v51, v52, v50
	v_add_co_u32 v50, vcc_lo, v46, v0
	v_add_co_ci_u32_e64 v51, null, v47, v1, vcc_lo
	v_min3_f32 v53, v55, v54, v53
	s_mov_b32 vcc_lo, s0
	flat_store_dword v[50:51], v52
	v_max_f32_e32 v50, v53, v53
	s_cbranch_vccz .LBB17_133
; %bb.132:
	v_add_co_u32 v51, vcc_lo, v46, v70
	v_min_f32_e32 v53, 0, v50
	v_add_co_ci_u32_e64 v52, null, v47, v71, vcc_lo
	s_mov_b32 s6, 0
	flat_store_dword v[51:52], v53
.LBB17_133:
	v_mov_b32_e32 v51, 0
	s_andn2_b32 vcc_lo, exec_lo, s6
	s_cbranch_vccnz .LBB17_135
; %bb.134:
	v_add_co_u32 v51, vcc_lo, v48, v70
	v_add_co_ci_u32_e64 v52, null, v49, v71, vcc_lo
	flat_load_dword v51, v[51:52]
	s_waitcnt vmcnt(0) lgkmcnt(0)
	v_mul_f32_e32 v53, s3, v51
	v_add_co_u32 v51, vcc_lo, v46, v70
	v_add_co_ci_u32_e64 v52, null, v47, v71, vcc_lo
	v_min_f32_e32 v50, v53, v50
	v_add_co_u32 v53, vcc_lo, v48, v68
	v_add_co_ci_u32_e64 v54, null, v49, v69, vcc_lo
	flat_store_dword v[51:52], v50
	flat_load_dword v50, v[53:54]
	s_waitcnt vmcnt(0) lgkmcnt(0)
	v_mul_f32_e32 v51, s3, v50
.LBB17_135:
	v_add_f32_e32 v50, v23, v43
	v_add_f32_e32 v52, v22, v42
	v_add_f32_e32 v53, v25, v45
	v_add_f32_e32 v54, v24, v44
	v_add_f32_e32 v55, v19, v43
	v_add_f32_e32 v56, v18, v42
	v_min3_f32 v50, v52, v50, v100
	s_mov_b32 s6, -1
	v_min_f32_e32 v52, v54, v53
	v_add_f32_e32 v54, v21, v45
	v_min3_f32 v53, v56, v55, v101
	v_add_f32_e32 v55, v20, v44
	v_min3_f32 v52, v51, v52, v50
	v_add_co_u32 v50, vcc_lo, v46, v68
	v_add_co_ci_u32_e64 v51, null, v47, v69, vcc_lo
	v_min3_f32 v53, v55, v54, v53
	s_mov_b32 vcc_lo, s0
	flat_store_dword v[50:51], v52
	v_max_f32_e32 v50, v53, v53
	;; [unrolled: 46-line block ×3, first 2 shown]
	s_cbranch_vccz .LBB17_141
; %bb.140:
	v_add_co_u32 v51, vcc_lo, v46, v76
	v_min_f32_e32 v53, 0, v50
	v_add_co_ci_u32_e64 v52, null, v47, v77, vcc_lo
	s_mov_b32 s6, 0
	flat_store_dword v[51:52], v53
.LBB17_141:
	v_mov_b32_e32 v51, 0
	s_andn2_b32 vcc_lo, exec_lo, s6
	s_cbranch_vccnz .LBB17_143
; %bb.142:
	v_add_co_u32 v51, vcc_lo, v48, v76
	v_add_co_ci_u32_e64 v52, null, v49, v77, vcc_lo
	flat_load_dword v51, v[51:52]
	s_waitcnt vmcnt(0) lgkmcnt(0)
	v_mul_f32_e32 v53, s3, v51
	v_add_co_u32 v51, vcc_lo, v46, v76
	v_add_co_ci_u32_e64 v52, null, v47, v77, vcc_lo
	v_add_co_u32 v48, vcc_lo, v48, v78
	v_min_f32_e32 v50, v53, v50
	v_add_co_ci_u32_e64 v49, null, v49, v79, vcc_lo
	flat_store_dword v[51:52], v50
	flat_load_dword v48, v[48:49]
	s_waitcnt vmcnt(0) lgkmcnt(0)
	v_mul_f32_e32 v51, s3, v48
.LBB17_143:
	v_add_f32_e32 v43, v3, v43
	v_add_f32_e32 v42, v2, v42
	;; [unrolled: 1-line block ×4, first 2 shown]
	s_waitcnt lgkmcnt(24)
	v_add_f32_e32 v48, v35, v39
	v_add_f32_e32 v49, v34, v38
	v_min3_f32 v42, v42, v43, v96
	v_add_f32_e32 v50, v36, v40
	v_min_f32_e32 v43, v44, v45
	v_add_nc_u32_e32 v44, 0xc0, v80
	v_min3_f32 v48, v49, v48, v97
	v_add_f32_e32 v49, v37, v41
	v_add_co_u32 v46, vcc_lo, v46, v78
	v_min3_f32 v51, v51, v43, v42
	v_mad_i64_i32 v[42:43], null, v44, s2, 0
	v_mad_i64_i32 v[44:45], null, v44, s1, 0
	v_add_co_ci_u32_e64 v47, null, v47, v79, vcc_lo
	v_min3_f32 v48, v50, v49, v48
	s_mov_b32 s6, -1
	v_lshlrev_b64 v[42:43], 2, v[42:43]
	flat_store_dword v[46:47], v51
	v_lshlrev_b64 v[44:45], 2, v[44:45]
	v_max_f32_e32 v46, v48, v48
	v_add_co_u32 v42, vcc_lo, s4, v42
	v_add_co_ci_u32_e64 v43, null, s5, v43, vcc_lo
	v_add_co_u32 v44, vcc_lo, s12, v44
	v_add_co_ci_u32_e64 v45, null, s13, v45, vcc_lo
	s_mov_b32 vcc_lo, s0
	s_cbranch_vccz .LBB17_145
; %bb.144:
	v_add_co_u32 v47, vcc_lo, v42, v66
	v_min_f32_e32 v49, 0, v46
	v_add_co_ci_u32_e64 v48, null, v43, v67, vcc_lo
	s_mov_b32 s6, 0
	flat_store_dword v[47:48], v49
.LBB17_145:
	v_mov_b32_e32 v47, 0
	s_andn2_b32 vcc_lo, exec_lo, s6
	s_cbranch_vccnz .LBB17_147
; %bb.146:
	v_add_co_u32 v47, vcc_lo, v44, v66
	v_add_co_ci_u32_e64 v48, null, v45, v67, vcc_lo
	flat_load_dword v47, v[47:48]
	s_waitcnt vmcnt(0) lgkmcnt(0)
	v_mul_f32_e32 v49, s3, v47
	v_add_co_u32 v47, vcc_lo, v42, v66
	v_add_co_ci_u32_e64 v48, null, v43, v67, vcc_lo
	v_min_f32_e32 v46, v49, v46
	v_add_co_u32 v49, vcc_lo, v44, v0
	v_add_co_ci_u32_e64 v50, null, v45, v1, vcc_lo
	flat_store_dword v[47:48], v46
	flat_load_dword v46, v[49:50]
	s_waitcnt vmcnt(0) lgkmcnt(0)
	v_mul_f32_e32 v47, s3, v46
.LBB17_147:
	v_add_f32_e32 v46, v31, v39
	v_add_f32_e32 v48, v30, v38
	v_add_f32_e32 v49, v33, v41
	v_add_f32_e32 v50, v32, v40
	v_add_f32_e32 v51, v27, v39
	v_add_f32_e32 v52, v26, v38
	v_min3_f32 v46, v48, v46, v94
	s_mov_b32 s6, -1
	v_min_f32_e32 v48, v50, v49
	v_add_f32_e32 v50, v29, v41
	v_min3_f32 v49, v52, v51, v95
	v_add_f32_e32 v51, v28, v40
	v_min3_f32 v48, v47, v48, v46
	v_add_co_u32 v46, vcc_lo, v42, v0
	v_add_co_ci_u32_e64 v47, null, v43, v1, vcc_lo
	v_min3_f32 v49, v51, v50, v49
	s_mov_b32 vcc_lo, s0
	flat_store_dword v[46:47], v48
	v_max_f32_e32 v46, v49, v49
	s_cbranch_vccz .LBB17_149
; %bb.148:
	v_add_co_u32 v47, vcc_lo, v42, v70
	v_min_f32_e32 v49, 0, v46
	v_add_co_ci_u32_e64 v48, null, v43, v71, vcc_lo
	s_mov_b32 s6, 0
	flat_store_dword v[47:48], v49
.LBB17_149:
	v_mov_b32_e32 v47, 0
	s_andn2_b32 vcc_lo, exec_lo, s6
	s_cbranch_vccnz .LBB17_151
; %bb.150:
	v_add_co_u32 v47, vcc_lo, v44, v70
	v_add_co_ci_u32_e64 v48, null, v45, v71, vcc_lo
	flat_load_dword v47, v[47:48]
	s_waitcnt vmcnt(0) lgkmcnt(0)
	v_mul_f32_e32 v49, s3, v47
	v_add_co_u32 v47, vcc_lo, v42, v70
	v_add_co_ci_u32_e64 v48, null, v43, v71, vcc_lo
	v_min_f32_e32 v46, v49, v46
	v_add_co_u32 v49, vcc_lo, v44, v68
	v_add_co_ci_u32_e64 v50, null, v45, v69, vcc_lo
	flat_store_dword v[47:48], v46
	flat_load_dword v46, v[49:50]
	s_waitcnt vmcnt(0) lgkmcnt(0)
	v_mul_f32_e32 v47, s3, v46
.LBB17_151:
	v_add_f32_e32 v46, v23, v39
	v_add_f32_e32 v48, v22, v38
	v_add_f32_e32 v49, v25, v41
	v_add_f32_e32 v50, v24, v40
	v_add_f32_e32 v51, v19, v39
	v_add_f32_e32 v52, v18, v38
	v_min3_f32 v46, v48, v46, v92
	s_mov_b32 s6, -1
	v_min_f32_e32 v48, v50, v49
	v_add_f32_e32 v50, v21, v41
	v_min3_f32 v49, v52, v51, v93
	v_add_f32_e32 v51, v20, v40
	v_min3_f32 v48, v47, v48, v46
	v_add_co_u32 v46, vcc_lo, v42, v68
	v_add_co_ci_u32_e64 v47, null, v43, v69, vcc_lo
	v_min3_f32 v49, v51, v50, v49
	s_mov_b32 vcc_lo, s0
	flat_store_dword v[46:47], v48
	v_max_f32_e32 v46, v49, v49
	;; [unrolled: 46-line block ×3, first 2 shown]
	s_cbranch_vccz .LBB17_157
; %bb.156:
	v_add_co_u32 v47, vcc_lo, v42, v76
	v_min_f32_e32 v49, 0, v46
	v_add_co_ci_u32_e64 v48, null, v43, v77, vcc_lo
	s_mov_b32 s6, 0
	flat_store_dword v[47:48], v49
.LBB17_157:
	v_mov_b32_e32 v47, 0
	s_andn2_b32 vcc_lo, exec_lo, s6
	s_cbranch_vccnz .LBB17_159
; %bb.158:
	v_add_co_u32 v47, vcc_lo, v44, v76
	v_add_co_ci_u32_e64 v48, null, v45, v77, vcc_lo
	flat_load_dword v47, v[47:48]
	s_waitcnt vmcnt(0) lgkmcnt(0)
	v_mul_f32_e32 v49, s3, v47
	v_add_co_u32 v47, vcc_lo, v42, v76
	v_add_co_ci_u32_e64 v48, null, v43, v77, vcc_lo
	v_add_co_u32 v44, vcc_lo, v44, v78
	v_min_f32_e32 v46, v49, v46
	v_add_co_ci_u32_e64 v45, null, v45, v79, vcc_lo
	flat_store_dword v[47:48], v46
	flat_load_dword v44, v[44:45]
	s_waitcnt vmcnt(0) lgkmcnt(0)
	v_mul_f32_e32 v47, s3, v44
.LBB17_159:
	v_add_f32_e32 v39, v3, v39
	v_add_f32_e32 v38, v2, v38
	;; [unrolled: 1-line block ×4, first 2 shown]
	s_waitcnt lgkmcnt(27)
	v_add_f32_e32 v35, v35, v7
	v_add_f32_e32 v34, v34, v6
	v_min3_f32 v38, v38, v39, v88
	v_add_f32_e32 v44, v37, v9
	v_min_f32_e32 v39, v40, v41
	v_add_nc_u32_e32 v41, 0xe0, v80
	v_min3_f32 v40, v34, v35, v89
	v_add_f32_e32 v45, v36, v8
	v_min3_f32 v46, v47, v39, v38
	v_mad_i64_i32 v[34:35], null, v41, s2, 0
	v_mad_i64_i32 v[36:37], null, v41, s1, 0
	v_add_co_u32 v38, vcc_lo, v42, v78
	v_add_co_ci_u32_e64 v39, null, v43, v79, vcc_lo
	v_lshlrev_b64 v[34:35], 2, v[34:35]
	v_min3_f32 v40, v45, v44, v40
	v_lshlrev_b64 v[36:37], 2, v[36:37]
	flat_store_dword v[38:39], v46
	s_mov_b32 s1, -1
	v_add_co_u32 v34, vcc_lo, s4, v34
	v_add_co_ci_u32_e64 v35, null, s5, v35, vcc_lo
	v_add_co_u32 v36, vcc_lo, s12, v36
	v_add_co_ci_u32_e64 v37, null, s13, v37, vcc_lo
	v_max_f32_e32 v38, v40, v40
	s_mov_b32 vcc_lo, s0
	s_cbranch_vccz .LBB17_161
; %bb.160:
	v_add_co_u32 v39, vcc_lo, v34, v66
	v_min_f32_e32 v41, 0, v38
	v_add_co_ci_u32_e64 v40, null, v35, v67, vcc_lo
	s_mov_b32 s1, 0
	flat_store_dword v[39:40], v41
.LBB17_161:
	v_mov_b32_e32 v39, 0
	s_andn2_b32 vcc_lo, exec_lo, s1
	s_cbranch_vccnz .LBB17_163
; %bb.162:
	v_add_co_u32 v39, vcc_lo, v36, v66
	v_add_co_ci_u32_e64 v40, null, v37, v67, vcc_lo
	flat_load_dword v39, v[39:40]
	s_waitcnt vmcnt(0) lgkmcnt(0)
	v_mul_f32_e32 v41, s3, v39
	v_add_co_u32 v39, vcc_lo, v34, v66
	v_add_co_ci_u32_e64 v40, null, v35, v67, vcc_lo
	v_min_f32_e32 v38, v41, v38
	v_add_co_u32 v41, vcc_lo, v36, v0
	v_add_co_ci_u32_e64 v42, null, v37, v1, vcc_lo
	flat_store_dword v[39:40], v38
	flat_load_dword v38, v[41:42]
	s_waitcnt vmcnt(0) lgkmcnt(0)
	v_mul_f32_e32 v39, s3, v38
.LBB17_163:
	v_add_f32_e32 v31, v31, v7
	v_add_f32_e32 v30, v30, v6
	;; [unrolled: 1-line block ×6, first 2 shown]
	v_min3_f32 v30, v30, v31, v87
	v_add_f32_e32 v28, v28, v8
	v_min_f32_e32 v31, v32, v33
	v_add_co_u32 v0, vcc_lo, v34, v0
	v_min3_f32 v26, v26, v27, v86
	v_add_f32_e32 v27, v29, v9
	v_min3_f32 v29, v39, v31, v30
	v_add_co_ci_u32_e64 v1, null, v35, v1, vcc_lo
	s_mov_b32 s1, -1
	v_min3_f32 v26, v28, v27, v26
	s_mov_b32 vcc_lo, s0
	flat_store_dword v[0:1], v29
	v_max_f32_e32 v0, v26, v26
	s_cbranch_vccz .LBB17_165
; %bb.164:
	v_add_co_u32 v26, vcc_lo, v34, v70
	v_min_f32_e32 v1, 0, v0
	v_add_co_ci_u32_e64 v27, null, v35, v71, vcc_lo
	s_mov_b32 s1, 0
	flat_store_dword v[26:27], v1
.LBB17_165:
	v_mov_b32_e32 v1, 0
	s_andn2_b32 vcc_lo, exec_lo, s1
	s_cbranch_vccnz .LBB17_167
; %bb.166:
	v_add_co_u32 v26, vcc_lo, v36, v70
	v_add_co_ci_u32_e64 v27, null, v37, v71, vcc_lo
	flat_load_dword v1, v[26:27]
	v_add_co_u32 v26, vcc_lo, v34, v70
	v_add_co_ci_u32_e64 v27, null, v35, v71, vcc_lo
	s_waitcnt vmcnt(0) lgkmcnt(0)
	v_mul_f32_e32 v1, s3, v1
	v_min_f32_e32 v28, v1, v0
	v_add_co_u32 v0, vcc_lo, v36, v68
	v_add_co_ci_u32_e64 v1, null, v37, v69, vcc_lo
	flat_store_dword v[26:27], v28
	flat_load_dword v0, v[0:1]
	s_waitcnt vmcnt(0) lgkmcnt(0)
	v_mul_f32_e32 v1, s3, v0
.LBB17_167:
	v_add_f32_e32 v0, v23, v7
	v_add_f32_e32 v22, v22, v6
	;; [unrolled: 1-line block ×6, first 2 shown]
	v_min3_f32 v0, v22, v0, v83
	v_add_f32_e32 v20, v20, v8
	v_min_f32_e32 v22, v24, v23
	s_mov_b32 s1, -1
	v_min3_f32 v18, v18, v19, v84
	v_add_f32_e32 v19, v21, v9
	v_min3_f32 v21, v1, v22, v0
	v_add_co_u32 v0, vcc_lo, v34, v68
	v_add_co_ci_u32_e64 v1, null, v35, v69, vcc_lo
	v_min3_f32 v18, v20, v19, v18
	s_mov_b32 vcc_lo, s0
	flat_store_dword v[0:1], v21
	v_max_f32_e32 v0, v18, v18
	s_cbranch_vccz .LBB17_169
; %bb.168:
	v_add_co_u32 v18, vcc_lo, v34, v74
	v_min_f32_e32 v1, 0, v0
	v_add_co_ci_u32_e64 v19, null, v35, v75, vcc_lo
	s_mov_b32 s1, 0
	flat_store_dword v[18:19], v1
.LBB17_169:
	v_mov_b32_e32 v1, 0
	s_andn2_b32 vcc_lo, exec_lo, s1
	s_cbranch_vccnz .LBB17_171
; %bb.170:
	v_add_co_u32 v18, vcc_lo, v36, v74
	v_add_co_ci_u32_e64 v19, null, v37, v75, vcc_lo
	flat_load_dword v1, v[18:19]
	v_add_co_u32 v18, vcc_lo, v34, v74
	v_add_co_ci_u32_e64 v19, null, v35, v75, vcc_lo
	s_waitcnt vmcnt(0) lgkmcnt(0)
	v_mul_f32_e32 v1, s3, v1
	v_min_f32_e32 v20, v1, v0
	v_add_co_u32 v0, vcc_lo, v36, v72
	v_add_co_ci_u32_e64 v1, null, v37, v73, vcc_lo
	flat_store_dword v[18:19], v20
	flat_load_dword v0, v[0:1]
	s_waitcnt vmcnt(0) lgkmcnt(0)
	v_mul_f32_e32 v1, s3, v0
.LBB17_171:
	v_add_f32_e32 v0, v15, v7
	v_add_f32_e32 v14, v14, v6
	;; [unrolled: 1-line block ×6, first 2 shown]
	v_min3_f32 v0, v14, v0, v81
	v_add_f32_e32 v12, v12, v8
	v_min_f32_e32 v14, v16, v15
	s_mov_b32 s1, -1
	v_min3_f32 v10, v10, v11, v82
	v_add_f32_e32 v11, v13, v9
	v_min3_f32 v13, v1, v14, v0
	v_add_co_u32 v0, vcc_lo, v34, v72
	v_add_co_ci_u32_e64 v1, null, v35, v73, vcc_lo
	v_min3_f32 v10, v12, v11, v10
	s_mov_b32 vcc_lo, s0
	flat_store_dword v[0:1], v13
	v_max_f32_e32 v0, v10, v10
	s_cbranch_vccz .LBB17_173
; %bb.172:
	v_add_co_u32 v10, vcc_lo, v34, v76
	v_min_f32_e32 v1, 0, v0
	v_add_co_ci_u32_e64 v11, null, v35, v77, vcc_lo
	s_mov_b32 s1, 0
	flat_store_dword v[10:11], v1
.LBB17_173:
	v_mov_b32_e32 v1, 0
	s_andn2_b32 vcc_lo, exec_lo, s1
	s_cbranch_vccnz .LBB17_175
; %bb.174:
	v_add_co_u32 v10, vcc_lo, v36, v76
	v_add_co_ci_u32_e64 v11, null, v37, v77, vcc_lo
	flat_load_dword v1, v[10:11]
	v_add_co_u32 v10, vcc_lo, v34, v76
	v_add_co_ci_u32_e64 v11, null, v35, v77, vcc_lo
	s_waitcnt vmcnt(0) lgkmcnt(0)
	v_mul_f32_e32 v1, s3, v1
	v_min_f32_e32 v12, v1, v0
	v_add_co_u32 v0, vcc_lo, v36, v78
	v_add_co_ci_u32_e64 v1, null, v37, v79, vcc_lo
	flat_store_dword v[10:11], v12
	flat_load_dword v0, v[0:1]
	s_waitcnt vmcnt(0) lgkmcnt(0)
	v_mul_f32_e32 v1, s3, v0
.LBB17_175:
	v_add_f32_e32 v0, v5, v9
	v_add_f32_e32 v4, v4, v8
	;; [unrolled: 1-line block ×4, first 2 shown]
	v_min_f32_e32 v0, v4, v0
	v_min3_f32 v2, v2, v3, v85
	v_min3_f32 v2, v1, v0, v2
	v_add_co_u32 v0, vcc_lo, v34, v78
	v_add_co_ci_u32_e64 v1, null, v35, v79, vcc_lo
	flat_store_dword v[0:1], v2
	s_endpgm
	.section	.rodata,"a",@progbits
	.p2align	6, 0x0
	.amdhsa_kernel _ZN12_GLOBAL__N_120geam_min_plus_kernelIf15HIP_vector_typeIfLj2EEfLi8ELi32ELi64ELi256ELi4ELi64ELi4ELi64ELi4ELc78ELc84ELb0ELb0ELb1EfKPKfKPfEEviiiT16_PT17_ilSA_ilS8_SA_ilPT18_ili26rocblas_geam_ex_operation_
		.amdhsa_group_segment_fixed_size 10240
		.amdhsa_private_segment_fixed_size 0
		.amdhsa_kernarg_size 128
		.amdhsa_user_sgpr_count 6
		.amdhsa_user_sgpr_private_segment_buffer 1
		.amdhsa_user_sgpr_dispatch_ptr 0
		.amdhsa_user_sgpr_queue_ptr 0
		.amdhsa_user_sgpr_kernarg_segment_ptr 1
		.amdhsa_user_sgpr_dispatch_id 0
		.amdhsa_user_sgpr_flat_scratch_init 0
		.amdhsa_user_sgpr_private_segment_size 0
		.amdhsa_wavefront_size32 1
		.amdhsa_uses_dynamic_stack 0
		.amdhsa_system_sgpr_private_segment_wavefront_offset 0
		.amdhsa_system_sgpr_workgroup_id_x 1
		.amdhsa_system_sgpr_workgroup_id_y 0
		.amdhsa_system_sgpr_workgroup_id_z 1
		.amdhsa_system_sgpr_workgroup_info 0
		.amdhsa_system_vgpr_workitem_id 1
		.amdhsa_next_free_vgpr 171
		.amdhsa_next_free_sgpr 25
		.amdhsa_reserve_vcc 1
		.amdhsa_reserve_flat_scratch 1
		.amdhsa_float_round_mode_32 0
		.amdhsa_float_round_mode_16_64 0
		.amdhsa_float_denorm_mode_32 3
		.amdhsa_float_denorm_mode_16_64 3
		.amdhsa_dx10_clamp 1
		.amdhsa_ieee_mode 1
		.amdhsa_fp16_overflow 0
		.amdhsa_workgroup_processor_mode 1
		.amdhsa_memory_ordered 1
		.amdhsa_forward_progress 1
		.amdhsa_shared_vgpr_count 0
		.amdhsa_exception_fp_ieee_invalid_op 0
		.amdhsa_exception_fp_denorm_src 0
		.amdhsa_exception_fp_ieee_div_zero 0
		.amdhsa_exception_fp_ieee_overflow 0
		.amdhsa_exception_fp_ieee_underflow 0
		.amdhsa_exception_fp_ieee_inexact 0
		.amdhsa_exception_int_div_zero 0
	.end_amdhsa_kernel
	.section	.text._ZN12_GLOBAL__N_120geam_min_plus_kernelIf15HIP_vector_typeIfLj2EEfLi8ELi32ELi64ELi256ELi4ELi64ELi4ELi64ELi4ELc78ELc84ELb0ELb0ELb1EfKPKfKPfEEviiiT16_PT17_ilSA_ilS8_SA_ilPT18_ili26rocblas_geam_ex_operation_,"axG",@progbits,_ZN12_GLOBAL__N_120geam_min_plus_kernelIf15HIP_vector_typeIfLj2EEfLi8ELi32ELi64ELi256ELi4ELi64ELi4ELi64ELi4ELc78ELc84ELb0ELb0ELb1EfKPKfKPfEEviiiT16_PT17_ilSA_ilS8_SA_ilPT18_ili26rocblas_geam_ex_operation_,comdat
.Lfunc_end17:
	.size	_ZN12_GLOBAL__N_120geam_min_plus_kernelIf15HIP_vector_typeIfLj2EEfLi8ELi32ELi64ELi256ELi4ELi64ELi4ELi64ELi4ELc78ELc84ELb0ELb0ELb1EfKPKfKPfEEviiiT16_PT17_ilSA_ilS8_SA_ilPT18_ili26rocblas_geam_ex_operation_, .Lfunc_end17-_ZN12_GLOBAL__N_120geam_min_plus_kernelIf15HIP_vector_typeIfLj2EEfLi8ELi32ELi64ELi256ELi4ELi64ELi4ELi64ELi4ELc78ELc84ELb0ELb0ELb1EfKPKfKPfEEviiiT16_PT17_ilSA_ilS8_SA_ilPT18_ili26rocblas_geam_ex_operation_
                                        ; -- End function
	.set _ZN12_GLOBAL__N_120geam_min_plus_kernelIf15HIP_vector_typeIfLj2EEfLi8ELi32ELi64ELi256ELi4ELi64ELi4ELi64ELi4ELc78ELc84ELb0ELb0ELb1EfKPKfKPfEEviiiT16_PT17_ilSA_ilS8_SA_ilPT18_ili26rocblas_geam_ex_operation_.num_vgpr, 171
	.set _ZN12_GLOBAL__N_120geam_min_plus_kernelIf15HIP_vector_typeIfLj2EEfLi8ELi32ELi64ELi256ELi4ELi64ELi4ELi64ELi4ELc78ELc84ELb0ELb0ELb1EfKPKfKPfEEviiiT16_PT17_ilSA_ilS8_SA_ilPT18_ili26rocblas_geam_ex_operation_.num_agpr, 0
	.set _ZN12_GLOBAL__N_120geam_min_plus_kernelIf15HIP_vector_typeIfLj2EEfLi8ELi32ELi64ELi256ELi4ELi64ELi4ELi64ELi4ELc78ELc84ELb0ELb0ELb1EfKPKfKPfEEviiiT16_PT17_ilSA_ilS8_SA_ilPT18_ili26rocblas_geam_ex_operation_.numbered_sgpr, 25
	.set _ZN12_GLOBAL__N_120geam_min_plus_kernelIf15HIP_vector_typeIfLj2EEfLi8ELi32ELi64ELi256ELi4ELi64ELi4ELi64ELi4ELc78ELc84ELb0ELb0ELb1EfKPKfKPfEEviiiT16_PT17_ilSA_ilS8_SA_ilPT18_ili26rocblas_geam_ex_operation_.num_named_barrier, 0
	.set _ZN12_GLOBAL__N_120geam_min_plus_kernelIf15HIP_vector_typeIfLj2EEfLi8ELi32ELi64ELi256ELi4ELi64ELi4ELi64ELi4ELc78ELc84ELb0ELb0ELb1EfKPKfKPfEEviiiT16_PT17_ilSA_ilS8_SA_ilPT18_ili26rocblas_geam_ex_operation_.private_seg_size, 0
	.set _ZN12_GLOBAL__N_120geam_min_plus_kernelIf15HIP_vector_typeIfLj2EEfLi8ELi32ELi64ELi256ELi4ELi64ELi4ELi64ELi4ELc78ELc84ELb0ELb0ELb1EfKPKfKPfEEviiiT16_PT17_ilSA_ilS8_SA_ilPT18_ili26rocblas_geam_ex_operation_.uses_vcc, 1
	.set _ZN12_GLOBAL__N_120geam_min_plus_kernelIf15HIP_vector_typeIfLj2EEfLi8ELi32ELi64ELi256ELi4ELi64ELi4ELi64ELi4ELc78ELc84ELb0ELb0ELb1EfKPKfKPfEEviiiT16_PT17_ilSA_ilS8_SA_ilPT18_ili26rocblas_geam_ex_operation_.uses_flat_scratch, 1
	.set _ZN12_GLOBAL__N_120geam_min_plus_kernelIf15HIP_vector_typeIfLj2EEfLi8ELi32ELi64ELi256ELi4ELi64ELi4ELi64ELi4ELc78ELc84ELb0ELb0ELb1EfKPKfKPfEEviiiT16_PT17_ilSA_ilS8_SA_ilPT18_ili26rocblas_geam_ex_operation_.has_dyn_sized_stack, 0
	.set _ZN12_GLOBAL__N_120geam_min_plus_kernelIf15HIP_vector_typeIfLj2EEfLi8ELi32ELi64ELi256ELi4ELi64ELi4ELi64ELi4ELc78ELc84ELb0ELb0ELb1EfKPKfKPfEEviiiT16_PT17_ilSA_ilS8_SA_ilPT18_ili26rocblas_geam_ex_operation_.has_recursion, 0
	.set _ZN12_GLOBAL__N_120geam_min_plus_kernelIf15HIP_vector_typeIfLj2EEfLi8ELi32ELi64ELi256ELi4ELi64ELi4ELi64ELi4ELc78ELc84ELb0ELb0ELb1EfKPKfKPfEEviiiT16_PT17_ilSA_ilS8_SA_ilPT18_ili26rocblas_geam_ex_operation_.has_indirect_call, 0
	.section	.AMDGPU.csdata,"",@progbits
; Kernel info:
; codeLenInByte = 17588
; TotalNumSgprs: 27
; NumVgprs: 171
; ScratchSize: 0
; MemoryBound: 0
; FloatMode: 240
; IeeeMode: 1
; LDSByteSize: 10240 bytes/workgroup (compile time only)
; SGPRBlocks: 0
; VGPRBlocks: 21
; NumSGPRsForWavesPerEU: 27
; NumVGPRsForWavesPerEU: 171
; Occupancy: 5
; WaveLimiterHint : 1
; COMPUTE_PGM_RSRC2:SCRATCH_EN: 0
; COMPUTE_PGM_RSRC2:USER_SGPR: 6
; COMPUTE_PGM_RSRC2:TRAP_HANDLER: 0
; COMPUTE_PGM_RSRC2:TGID_X_EN: 1
; COMPUTE_PGM_RSRC2:TGID_Y_EN: 0
; COMPUTE_PGM_RSRC2:TGID_Z_EN: 1
; COMPUTE_PGM_RSRC2:TIDIG_COMP_CNT: 1
	.section	.text._ZN12_GLOBAL__N_120geam_min_plus_kernelIf15HIP_vector_typeIfLj2EEfLi8ELi32ELi64ELi256ELi4ELi64ELi4ELi64ELi4ELc78ELc84ELb0ELb1ELb1EPKfKS4_KPfEEviiiT16_PT17_ilSA_ilS8_SA_ilPT18_ili26rocblas_geam_ex_operation_,"axG",@progbits,_ZN12_GLOBAL__N_120geam_min_plus_kernelIf15HIP_vector_typeIfLj2EEfLi8ELi32ELi64ELi256ELi4ELi64ELi4ELi64ELi4ELc78ELc84ELb0ELb1ELb1EPKfKS4_KPfEEviiiT16_PT17_ilSA_ilS8_SA_ilPT18_ili26rocblas_geam_ex_operation_,comdat
	.globl	_ZN12_GLOBAL__N_120geam_min_plus_kernelIf15HIP_vector_typeIfLj2EEfLi8ELi32ELi64ELi256ELi4ELi64ELi4ELi64ELi4ELc78ELc84ELb0ELb1ELb1EPKfKS4_KPfEEviiiT16_PT17_ilSA_ilS8_SA_ilPT18_ili26rocblas_geam_ex_operation_ ; -- Begin function _ZN12_GLOBAL__N_120geam_min_plus_kernelIf15HIP_vector_typeIfLj2EEfLi8ELi32ELi64ELi256ELi4ELi64ELi4ELi64ELi4ELc78ELc84ELb0ELb1ELb1EPKfKS4_KPfEEviiiT16_PT17_ilSA_ilS8_SA_ilPT18_ili26rocblas_geam_ex_operation_
	.p2align	8
	.type	_ZN12_GLOBAL__N_120geam_min_plus_kernelIf15HIP_vector_typeIfLj2EEfLi8ELi32ELi64ELi256ELi4ELi64ELi4ELi64ELi4ELc78ELc84ELb0ELb1ELb1EPKfKS4_KPfEEviiiT16_PT17_ilSA_ilS8_SA_ilPT18_ili26rocblas_geam_ex_operation_,@function
_ZN12_GLOBAL__N_120geam_min_plus_kernelIf15HIP_vector_typeIfLj2EEfLi8ELi32ELi64ELi256ELi4ELi64ELi4ELi64ELi4ELc78ELc84ELb0ELb1ELb1EPKfKS4_KPfEEviiiT16_PT17_ilSA_ilS8_SA_ilPT18_ili26rocblas_geam_ex_operation_: ; @_ZN12_GLOBAL__N_120geam_min_plus_kernelIf15HIP_vector_typeIfLj2EEfLi8ELi32ELi64ELi256ELi4ELi64ELi4ELi64ELi4ELc78ELc84ELb0ELb1ELb1EPKfKS4_KPfEEviiiT16_PT17_ilSA_ilS8_SA_ilPT18_ili26rocblas_geam_ex_operation_
; %bb.0:
	s_clause 0x1
	s_load_dwordx4 s[12:15], s[4:5], 0x10
	s_load_dwordx4 s[0:3], s[4:5], 0x28
	s_mov_b32 s18, s7
	s_mov_b32 s19, 0
	s_lshl_b64 s[16:17], s[18:19], 2
	s_waitcnt lgkmcnt(0)
	s_add_u32 s8, s12, s16
	s_addc_u32 s9, s13, s17
	s_load_dword s25, s[8:9], 0x0
	s_clause 0x1
	s_load_dwordx4 s[8:11], s[4:5], 0x40
	s_load_dwordx2 s[12:13], s[4:5], 0x50
	s_waitcnt lgkmcnt(0)
	v_cmp_eq_f32_e64 s20, s25, 0
	v_cmp_neq_f32_e64 s7, s25, 0
	s_add_u32 s10, s10, s16
	s_addc_u32 s11, s11, s17
	s_mov_b64 s[16:17], 0
	s_and_b32 vcc_lo, exec_lo, s20
	s_mov_b64 s[20:21], 0
	s_cbranch_vccnz .LBB18_2
; %bb.1:
	s_lshl_b64 s[20:21], s[18:19], 3
	s_add_u32 s14, s14, s20
	s_addc_u32 s15, s15, s21
	s_lshl_b64 s[0:1], s[0:1], 2
	s_load_dwordx2 s[14:15], s[14:15], 0x0
	s_waitcnt lgkmcnt(0)
	s_add_u32 s20, s14, s0
	s_addc_u32 s21, s15, s1
.LBB18_2:
	s_load_dword s22, s[10:11], 0x0
	s_andn2_b32 vcc_lo, exec_lo, s7
	s_cbranch_vccnz .LBB18_4
; %bb.3:
	s_lshl_b64 s[0:1], s[18:19], 3
	s_add_u32 s0, s2, s0
	s_addc_u32 s1, s3, s1
	s_lshl_b64 s[2:3], s[8:9], 2
	s_load_dwordx2 s[0:1], s[0:1], 0x0
	s_waitcnt lgkmcnt(0)
	s_add_u32 s16, s0, s2
	s_addc_u32 s17, s1, s3
.LBB18_4:
	s_load_dwordx4 s[0:3], s[4:5], 0x60
	s_waitcnt lgkmcnt(0)
	v_cmp_eq_f32_e64 s7, s22, 0
	v_cmp_neq_f32_e64 s23, s22, 0
	s_and_b32 vcc_lo, exec_lo, s7
	s_cbranch_vccnz .LBB18_6
; %bb.5:
	s_lshl_b64 s[8:9], s[18:19], 3
	s_add_u32 s8, s12, s8
	s_addc_u32 s9, s13, s9
	s_lshl_b64 s[0:1], s[0:1], 2
	s_load_dwordx2 s[8:9], s[8:9], 0x0
	s_waitcnt lgkmcnt(0)
	s_add_u32 s10, s8, s0
	s_addc_u32 s11, s9, s1
	s_branch .LBB18_7
.LBB18_6:
	s_mov_b64 s[10:11], 0
.LBB18_7:
	s_clause 0x1
	s_load_dword s8, s[4:5], 0x20
	s_load_dwordx4 s[12:15], s[4:5], 0x0
	s_lshl_b64 s[0:1], s[18:19], 3
	v_lshl_add_u32 v3, v1, 3, v0
	v_cmp_eq_f32_e64 s26, s25, 0
	v_lshrrev_b32_e32 v72, 6, v3
	s_waitcnt lgkmcnt(0)
	s_ashr_i32 s9, s8, 31
	s_add_u32 s18, s2, s0
	s_addc_u32 s19, s3, s1
	s_add_i32 s0, s12, -1
	s_ashr_i32 s1, s0, 31
	s_lshr_b32 s1, s1, 26
	s_add_i32 s0, s0, s1
	s_ashr_i32 s0, s0, 6
	s_add_i32 s2, s0, 1
	s_not_b32 s0, s0
	v_cvt_f32_u32_e32 v2, s2
	v_rcp_iflag_f32_e32 v2, v2
	v_mul_f32_e32 v2, 0x4f7ffffe, v2
	v_cvt_u32_f32_e32 v2, v2
	v_readfirstlane_b32 s1, v2
	v_and_b32_e32 v2, 63, v3
                                        ; implicit-def: $vgpr3
	s_mul_i32 s0, s0, s1
	s_mul_hi_u32 s0, s1, s0
	s_add_i32 s1, s1, s0
	s_mul_hi_u32 s0, s6, s1
	s_mul_i32 s1, s0, s2
	s_add_i32 s3, s0, 1
	s_sub_i32 s1, s6, s1
	s_sub_i32 s7, s1, s2
	s_cmp_ge_u32 s1, s2
	s_cselect_b32 s0, s3, s0
	s_cselect_b32 s1, s7, s1
	s_add_i32 s3, s0, 1
	s_cmp_ge_u32 s1, s2
	s_cselect_b32 s1, s3, s0
                                        ; implicit-def: $sgpr3
	s_mul_i32 s0, s1, s2
	s_sub_i32 s0, s6, s0
	v_cmp_le_i32_e64 s6, s14, v72
	s_lshl_b32 s15, s0, 6
	v_or_b32_e32 v66, s15, v2
	v_cmp_le_i32_e32 vcc_lo, s12, v66
	v_ashrrev_i32_e32 v67, 31, v66
	s_or_b32 s2, vcc_lo, s6
	s_nor_b32 s0, s26, s2
	s_and_saveexec_b32 s7, s0
	s_xor_b32 s7, exec_lo, s7
	s_cbranch_execz .LBB18_9
; %bb.8:
	s_add_i32 s3, s14, -1
	v_lshlrev_b64 v[5:6], 2, v[66:67]
	v_min_u32_e32 v3, s3, v72
	v_mad_i64_i32 v[3:4], null, s8, v3, 0
	v_lshlrev_b64 v[3:4], 2, v[3:4]
	v_add_co_u32 v3, s0, s20, v3
	v_add_co_ci_u32_e64 v4, null, s21, v4, s0
	v_add_co_u32 v3, s0, v3, v5
	v_add_co_ci_u32_e64 v4, null, v4, v6, s0
	flat_load_dword v3, v[3:4]
	s_waitcnt vmcnt(0) lgkmcnt(0)
	v_mul_f32_e32 v3, s25, v3
.LBB18_9:
	s_or_saveexec_b32 s0, s7
	v_mov_b32_e32 v4, s3
	s_xor_b32 exec_lo, exec_lo, s0
; %bb.10:
	s_add_i32 s3, s14, -1
	v_cndmask_b32_e64 v3, 0, 0x7f7fffff, s2
	v_mov_b32_e32 v4, s3
; %bb.11:
	s_or_b32 exec_lo, exec_lo, s0
	s_load_dword s27, s[4:5], 0x38
	v_min_i32_e32 v4, v72, v4
	s_lshl_b32 s24, s1, 8
	v_or_b32_e32 v68, s24, v2
	v_cmp_le_i32_e64 s0, s13, v68
	v_ashrrev_i32_e32 v69, 31, v68
	s_or_b32 s2, s0, s6
	s_waitcnt lgkmcnt(0)
	v_mad_i64_i32 v[4:5], null, v4, s27, 0
	v_lshlrev_b64 v[5:6], 2, v[4:5]
	v_cndmask_b32_e64 v4, 0, 0x7f7fffff, s2
	v_add_co_u32 v8, s1, s16, v5
	v_add_co_ci_u32_e64 v9, null, s17, v6, s1
	s_nor_b32 s1, s26, s2
	s_and_saveexec_b32 s2, s1
	s_cbranch_execz .LBB18_13
; %bb.12:
	v_lshlrev_b64 v[4:5], 2, v[68:69]
	v_add_co_u32 v4, s1, v8, v4
	v_add_co_ci_u32_e64 v5, null, v9, v5, s1
	flat_load_dword v4, v[4:5]
	s_waitcnt vmcnt(0) lgkmcnt(0)
	v_mul_f32_e32 v4, s25, v4
.LBB18_13:
	s_or_b32 exec_lo, exec_lo, s2
	v_or_b32_e32 v5, 64, v68
	v_cmp_le_i32_e64 s1, s13, v5
	s_or_b32 s2, s1, s6
	v_cndmask_b32_e64 v5, 0, 0x7f7fffff, s2
	s_nor_b32 s2, s26, s2
	s_and_saveexec_b32 s3, s2
	s_cbranch_execz .LBB18_15
; %bb.14:
	v_lshlrev_b64 v[5:6], 2, v[68:69]
	v_add_co_u32 v5, s2, v8, v5
	v_add_co_ci_u32_e64 v6, null, v9, v6, s2
	flat_load_dword v5, v[5:6] offset:256
	s_waitcnt vmcnt(0) lgkmcnt(0)
	v_mul_f32_e32 v5, s25, v5
.LBB18_15:
	s_or_b32 exec_lo, exec_lo, s3
	v_or_b32_e32 v6, 0x80, v68
	v_cmp_le_i32_e64 s2, s13, v6
	s_or_b32 s3, s2, s6
	v_cndmask_b32_e64 v6, 0, 0x7f7fffff, s3
	s_nor_b32 s3, s26, s3
	s_and_saveexec_b32 s7, s3
	s_cbranch_execz .LBB18_17
; %bb.16:
	v_lshlrev_b64 v[6:7], 2, v[68:69]
	v_add_co_u32 v6, s3, v8, v6
	v_add_co_ci_u32_e64 v7, null, v9, v7, s3
	flat_load_dword v6, v[6:7] offset:512
	s_waitcnt vmcnt(0) lgkmcnt(0)
	v_mul_f32_e32 v6, s25, v6
.LBB18_17:
	;; [unrolled: 16-line block ×3, first 2 shown]
	s_or_b32 exec_lo, exec_lo, s7
	v_add_nc_u32_e32 v8, 4, v72
                                        ; implicit-def: $vgpr70
                                        ; implicit-def: $sgpr29
	v_cmp_le_i32_e64 s6, s14, v8
	s_or_b32 s28, vcc_lo, s6
	s_nor_b32 s7, s26, s28
	s_and_saveexec_b32 s30, s7
	s_xor_b32 s30, exec_lo, s30
	s_cbranch_execz .LBB18_21
; %bb.20:
	s_add_i32 s29, s14, -1
	v_min_u32_e32 v11, s29, v8
	v_mad_u64_u32 v[9:10], null, s8, v11, 0
	v_mad_u64_u32 v[10:11], null, s9, v11, v[10:11]
	v_lshlrev_b64 v[11:12], 2, v[66:67]
	v_lshlrev_b64 v[9:10], 2, v[9:10]
	v_add_co_u32 v9, s7, s20, v9
	v_add_co_ci_u32_e64 v10, null, s21, v10, s7
	v_add_co_u32 v9, s7, v9, v11
	v_add_co_ci_u32_e64 v10, null, v10, v12, s7
	flat_load_dword v9, v[9:10]
	s_waitcnt vmcnt(0) lgkmcnt(0)
	v_mul_f32_e32 v70, s25, v9
.LBB18_21:
	s_or_saveexec_b32 s7, s30
	v_mov_b32_e32 v9, s29
	s_xor_b32 exec_lo, exec_lo, s7
; %bb.22:
	s_add_i32 s29, s14, -1
	v_cndmask_b32_e64 v70, 0, 0x7f7fffff, s28
	v_mov_b32_e32 v9, s29
; %bb.23:
	s_or_b32 exec_lo, exec_lo, s7
	v_min_i32_e32 v8, v8, v9
	v_mad_i64_i32 v[8:9], null, v8, s27, 0
	v_lshlrev_b64 v[8:9], 2, v[8:9]
	v_add_co_u32 v8, s7, s16, v8
	v_add_co_ci_u32_e64 v9, null, s17, v9, s7
	s_or_b32 s7, s0, s6
	v_cndmask_b32_e64 v71, 0, 0x7f7fffff, s7
	s_nor_b32 s7, s26, s7
	s_and_saveexec_b32 s28, s7
	s_cbranch_execz .LBB18_25
; %bb.24:
	v_lshlrev_b64 v[10:11], 2, v[68:69]
	v_add_co_u32 v10, s7, v8, v10
	v_add_co_ci_u32_e64 v11, null, v9, v11, s7
	flat_load_dword v10, v[10:11]
	s_waitcnt vmcnt(0) lgkmcnt(0)
	v_mul_f32_e32 v71, s25, v10
.LBB18_25:
	s_or_b32 exec_lo, exec_lo, s28
	s_or_b32 s7, s1, s6
	v_cndmask_b32_e64 v123, 0, 0x7f7fffff, s7
	s_nor_b32 s7, s26, s7
	s_and_saveexec_b32 s28, s7
	s_cbranch_execz .LBB18_27
; %bb.26:
	v_lshlrev_b64 v[10:11], 2, v[68:69]
	v_add_co_u32 v10, s7, v8, v10
	v_add_co_ci_u32_e64 v11, null, v9, v11, s7
	flat_load_dword v10, v[10:11] offset:256
	s_waitcnt vmcnt(0) lgkmcnt(0)
	v_mul_f32_e32 v123, s25, v10
.LBB18_27:
	s_or_b32 exec_lo, exec_lo, s28
	s_or_b32 s7, s2, s6
	v_cndmask_b32_e64 v132, 0, 0x7f7fffff, s7
	s_nor_b32 s7, s26, s7
	s_and_saveexec_b32 s28, s7
	s_cbranch_execz .LBB18_29
; %bb.28:
	v_lshlrev_b64 v[10:11], 2, v[68:69]
	v_add_co_u32 v10, s7, v8, v10
	v_add_co_ci_u32_e64 v11, null, v9, v11, s7
	flat_load_dword v10, v[10:11] offset:512
	s_waitcnt vmcnt(0) lgkmcnt(0)
	v_mul_f32_e32 v132, s25, v10
.LBB18_29:
	;; [unrolled: 14-line block ×3, first 2 shown]
	s_or_b32 exec_lo, exec_lo, s7
	v_lshlrev_b32_e32 v2, 4, v2
	v_lshlrev_b32_e32 v74, 4, v0
	s_load_dwordx2 s[18:19], s[18:19], 0x0
	v_lshlrev_b32_e32 v73, 4, v1
	s_cmp_lt_i32 s14, 9
	v_lshl_add_u32 v75, v72, 2, v2
	ds_write_b32 v75, v3 offset:8192
	ds_write2st64_b32 v75, v4, v5 offset1:4
	ds_write2st64_b32 v75, v6, v7 offset0:8 offset1:12
	s_waitcnt lgkmcnt(0)
	s_barrier
	buffer_gl0_inv
	ds_read_b128 v[34:37], v74 offset:8192
	ds_read_b128 v[30:33], v74 offset:8320
	;; [unrolled: 1-line block ×8, first 2 shown]
	ds_read_b128 v[62:65], v73
	ds_read_b128 v[58:61], v73 offset:512
	ds_read_b128 v[54:57], v73 offset:1024
	;; [unrolled: 1-line block ×7, first 2 shown]
	ds_write_b32 v75, v70 offset:9216
	ds_write2st64_b32 v75, v71, v123 offset0:16 offset1:20
	ds_write2st64_b32 v75, v132, v142 offset0:24 offset1:28
	s_waitcnt lgkmcnt(0)
	s_barrier
	buffer_gl0_inv
	v_add_f32_e32 v76, v35, v63
	v_add_f32_e32 v77, v34, v62
	;; [unrolled: 1-line block ×6, first 2 shown]
	v_min3_f32 v76, v77, v76, 0x7f7fffff
	v_add_f32_e32 v77, v31, v63
	v_min3_f32 v77, v78, v77, 0x7f7fffff
	v_add_f32_e32 v78, v27, v63
	v_min3_f32 v78, v79, v78, 0x7f7fffff
	v_add_f32_e32 v79, v19, v63
	v_min3_f32 v80, v80, v79, 0x7f7fffff
	v_add_f32_e32 v79, v15, v63
	v_min3_f32 v117, v81, v79, 0x7f7fffff
	v_add_f32_e32 v79, v11, v63
	v_add_f32_e32 v81, v10, v62
	v_min3_f32 v118, v81, v79, 0x7f7fffff
	v_add_f32_e32 v79, v7, v63
	v_add_f32_e32 v81, v6, v62
	;; [unrolled: 1-line block ×4, first 2 shown]
	v_min3_f32 v119, v81, v79, 0x7f7fffff
	v_add_f32_e32 v79, v6, v38
	v_min3_f32 v120, v62, v63, 0x7f7fffff
	v_add_f32_e32 v62, v35, v59
	v_add_f32_e32 v63, v34, v58
	v_min3_f32 v116, v63, v62, 0x7f7fffff
	v_add_f32_e32 v62, v31, v59
	;; [unrolled: 3-line block ×7, first 2 shown]
	v_add_f32_e32 v63, v6, v58
	v_add_f32_e32 v59, v3, v59
	v_add_f32_e32 v58, v2, v58
	v_min3_f32 v110, v63, v62, 0x7f7fffff
	v_min3_f32 v109, v58, v59, 0x7f7fffff
	v_add_f32_e32 v58, v35, v55
	v_add_f32_e32 v59, v34, v54
	v_min3_f32 v108, v59, v58, 0x7f7fffff
	v_add_f32_e32 v58, v31, v55
	v_add_f32_e32 v59, v30, v54
	v_min3_f32 v107, v59, v58, 0x7f7fffff
	v_add_f32_e32 v58, v27, v55
	v_add_f32_e32 v59, v26, v54
	v_min3_f32 v106, v59, v58, 0x7f7fffff
	v_add_f32_e32 v58, v19, v55
	v_add_f32_e32 v59, v18, v54
	v_min3_f32 v105, v59, v58, 0x7f7fffff
	v_add_f32_e32 v58, v15, v55
	v_add_f32_e32 v59, v14, v54
	v_min3_f32 v104, v59, v58, 0x7f7fffff
	v_add_f32_e32 v58, v11, v55
	v_add_f32_e32 v59, v10, v54
	v_min3_f32 v103, v59, v58, 0x7f7fffff
	v_add_f32_e32 v58, v7, v55
	v_add_f32_e32 v59, v6, v54
	v_add_f32_e32 v55, v3, v55
	v_add_f32_e32 v54, v2, v54
	v_min3_f32 v102, v59, v58, 0x7f7fffff
	v_min3_f32 v101, v54, v55, 0x7f7fffff
	v_add_f32_e32 v54, v35, v51
	v_add_f32_e32 v55, v34, v50
	v_min3_f32 v100, v55, v54, 0x7f7fffff
	v_add_f32_e32 v54, v31, v51
	v_add_f32_e32 v55, v30, v50
	v_min3_f32 v99, v55, v54, 0x7f7fffff
	v_add_f32_e32 v54, v27, v51
	v_add_f32_e32 v55, v26, v50
	v_min3_f32 v98, v55, v54, 0x7f7fffff
	v_add_f32_e32 v54, v19, v51
	v_add_f32_e32 v55, v18, v50
	v_min3_f32 v97, v55, v54, 0x7f7fffff
	v_add_f32_e32 v54, v15, v51
	v_add_f32_e32 v55, v14, v50
	v_min3_f32 v96, v55, v54, 0x7f7fffff
	v_add_f32_e32 v54, v11, v51
	v_add_f32_e32 v55, v10, v50
	v_min3_f32 v95, v55, v54, 0x7f7fffff
	v_add_f32_e32 v54, v7, v51
	;; [unrolled: 24-line block ×4, first 2 shown]
	v_add_f32_e32 v47, v6, v42
	v_add_f32_e32 v43, v3, v43
	;; [unrolled: 1-line block ×4, first 2 shown]
	v_min3_f32 v58, v47, v46, 0x7f7fffff
	v_min3_f32 v55, v42, v43, 0x7f7fffff
	v_add_f32_e32 v42, v35, v39
	v_add_f32_e32 v43, v34, v38
	;; [unrolled: 1-line block ×4, first 2 shown]
	v_min3_f32 v54, v43, v42, 0x7f7fffff
	v_add_f32_e32 v42, v31, v39
	v_add_f32_e32 v43, v30, v38
	v_min3_f32 v34, v34, v35, 0x7f7fffff
	v_add_f32_e32 v31, v31, v23
	v_add_f32_e32 v30, v30, v22
	;; [unrolled: 3-line block ×9, first 2 shown]
	v_add_f32_e32 v38, v2, v38
	v_add_f32_e32 v2, v2, v22
	v_min3_f32 v14, v14, v15, 0x7f7fffff
	v_add_f32_e32 v11, v11, v23
	v_min3_f32 v43, v43, v42, 0x7f7fffff
	v_add_f32_e32 v42, v7, v39
	v_add_f32_e32 v39, v3, v39
	;; [unrolled: 1-line block ×5, first 2 shown]
	v_min3_f32 v42, v79, v42, 0x7f7fffff
	v_min3_f32 v38, v38, v39, 0x7f7fffff
	;; [unrolled: 1-line block ×4, first 2 shown]
	v_add_f32_e32 v3, v37, v65
	v_add_f32_e32 v7, v36, v64
	v_min3_f32 v10, v10, v11, 0x7f7fffff
	v_min3_f32 v141, v7, v3, v76
	v_add_f32_e32 v3, v33, v65
	v_add_f32_e32 v7, v32, v64
	v_min3_f32 v81, v7, v3, v77
	v_add_f32_e32 v3, v29, v65
	v_add_f32_e32 v7, v28, v64
	v_min3_f32 v79, v7, v3, v78
	v_add_f32_e32 v3, v21, v65
	v_add_f32_e32 v7, v20, v64
	v_min3_f32 v77, v7, v3, v80
	v_add_f32_e32 v3, v17, v65
	v_add_f32_e32 v7, v16, v64
	v_min3_f32 v76, v7, v3, v117
	v_add_f32_e32 v3, v13, v65
	v_add_f32_e32 v7, v12, v64
	v_min3_f32 v78, v7, v3, v118
	v_add_f32_e32 v3, v9, v65
	v_add_f32_e32 v7, v8, v64
	v_min3_f32 v80, v7, v3, v119
	v_add_f32_e32 v3, v5, v65
	v_add_f32_e32 v7, v4, v64
	v_min3_f32 v140, v7, v3, v120
	v_add_f32_e32 v3, v37, v61
	v_add_f32_e32 v7, v36, v60
	v_min3_f32 v139, v7, v3, v116
	v_add_f32_e32 v3, v33, v61
	v_add_f32_e32 v7, v32, v60
	v_min3_f32 v138, v7, v3, v115
	v_add_f32_e32 v3, v29, v61
	v_add_f32_e32 v7, v28, v60
	v_min3_f32 v137, v7, v3, v114
	v_add_f32_e32 v3, v21, v61
	v_add_f32_e32 v7, v20, v60
	v_min3_f32 v136, v7, v3, v113
	v_add_f32_e32 v3, v17, v61
	v_add_f32_e32 v7, v16, v60
	v_min3_f32 v135, v7, v3, v112
	v_add_f32_e32 v3, v13, v61
	v_add_f32_e32 v7, v12, v60
	v_min3_f32 v134, v7, v3, v111
	v_add_f32_e32 v3, v9, v61
	v_add_f32_e32 v7, v8, v60
	v_min3_f32 v133, v7, v3, v110
	v_add_f32_e32 v3, v5, v61
	v_add_f32_e32 v7, v4, v60
	v_min3_f32 v131, v7, v3, v109
	v_add_f32_e32 v3, v37, v57
	v_add_f32_e32 v7, v36, v56
	v_min3_f32 v130, v7, v3, v108
	v_add_f32_e32 v3, v33, v57
	v_add_f32_e32 v7, v32, v56
	v_min3_f32 v129, v7, v3, v107
	v_add_f32_e32 v3, v29, v57
	v_add_f32_e32 v7, v28, v56
	v_min3_f32 v128, v7, v3, v106
	v_add_f32_e32 v3, v21, v57
	v_add_f32_e32 v7, v20, v56
	v_min3_f32 v127, v7, v3, v105
	v_add_f32_e32 v3, v17, v57
	v_add_f32_e32 v7, v16, v56
	v_min3_f32 v126, v7, v3, v104
	v_add_f32_e32 v3, v13, v57
	v_add_f32_e32 v7, v12, v56
	v_min3_f32 v125, v7, v3, v103
	v_add_f32_e32 v3, v9, v57
	v_add_f32_e32 v7, v8, v56
	v_min3_f32 v124, v7, v3, v102
	v_add_f32_e32 v3, v5, v57
	v_add_f32_e32 v7, v4, v56
	v_min3_f32 v121, v7, v3, v101
	v_add_f32_e32 v3, v37, v53
	v_add_f32_e32 v7, v36, v52
	v_min3_f32 v122, v7, v3, v100
	v_add_f32_e32 v3, v33, v53
	v_add_f32_e32 v7, v32, v52
	v_min3_f32 v120, v7, v3, v99
	v_add_f32_e32 v3, v29, v53
	v_add_f32_e32 v7, v28, v52
	v_min3_f32 v119, v7, v3, v98
	v_add_f32_e32 v3, v21, v53
	v_add_f32_e32 v7, v20, v52
	v_min3_f32 v118, v7, v3, v97
	v_add_f32_e32 v3, v17, v53
	v_add_f32_e32 v7, v16, v52
	v_min3_f32 v117, v7, v3, v96
	v_add_f32_e32 v3, v13, v53
	v_add_f32_e32 v7, v12, v52
	v_min3_f32 v116, v7, v3, v95
	v_add_f32_e32 v3, v9, v53
	v_add_f32_e32 v7, v8, v52
	v_min3_f32 v115, v7, v3, v94
	v_add_f32_e32 v3, v5, v53
	v_add_f32_e32 v7, v4, v52
	v_min3_f32 v114, v7, v3, v93
	v_add_f32_e32 v3, v37, v49
	v_add_f32_e32 v7, v36, v48
	v_min3_f32 v113, v7, v3, v92
	v_add_f32_e32 v3, v33, v49
	v_add_f32_e32 v7, v32, v48
	v_min3_f32 v112, v7, v3, v91
	v_add_f32_e32 v3, v29, v49
	v_add_f32_e32 v7, v28, v48
	v_min3_f32 v111, v7, v3, v90
	v_add_f32_e32 v3, v21, v49
	v_add_f32_e32 v7, v20, v48
	v_min3_f32 v110, v7, v3, v89
	v_add_f32_e32 v3, v17, v49
	v_add_f32_e32 v7, v16, v48
	v_min3_f32 v109, v7, v3, v88
	v_add_f32_e32 v3, v13, v49
	v_add_f32_e32 v7, v12, v48
	v_min3_f32 v108, v7, v3, v87
	v_add_f32_e32 v3, v9, v49
	v_add_f32_e32 v7, v8, v48
	v_min3_f32 v107, v7, v3, v86
	v_add_f32_e32 v3, v5, v49
	v_add_f32_e32 v7, v4, v48
	v_min3_f32 v106, v7, v3, v85
	v_add_f32_e32 v3, v37, v45
	v_add_f32_e32 v7, v36, v44
	v_min3_f32 v105, v7, v3, v84
	v_add_f32_e32 v3, v33, v45
	v_add_f32_e32 v7, v32, v44
	v_min3_f32 v104, v7, v3, v83
	v_add_f32_e32 v3, v29, v45
	v_add_f32_e32 v7, v28, v44
	v_min3_f32 v103, v7, v3, v82
	v_add_f32_e32 v3, v21, v45
	v_add_f32_e32 v7, v20, v44
	v_min3_f32 v102, v7, v3, v63
	v_add_f32_e32 v3, v17, v45
	v_add_f32_e32 v7, v16, v44
	v_min3_f32 v101, v7, v3, v62
	v_add_f32_e32 v3, v13, v45
	v_add_f32_e32 v7, v12, v44
	v_min3_f32 v100, v7, v3, v59
	v_add_f32_e32 v3, v9, v45
	v_add_f32_e32 v7, v8, v44
	v_min3_f32 v99, v7, v3, v58
	v_add_f32_e32 v3, v5, v45
	v_add_f32_e32 v7, v4, v44
	v_min3_f32 v98, v7, v3, v55
	v_add_f32_e32 v3, v37, v41
	v_add_f32_e32 v7, v36, v40
	v_min3_f32 v97, v7, v3, v54
	v_add_f32_e32 v3, v33, v41
	v_add_f32_e32 v7, v32, v40
	v_min3_f32 v96, v7, v3, v51
	v_add_f32_e32 v3, v29, v41
	v_add_f32_e32 v7, v28, v40
	v_min3_f32 v95, v7, v3, v50
	v_add_f32_e32 v3, v21, v41
	v_add_f32_e32 v7, v20, v40
	v_min3_f32 v94, v7, v3, v47
	v_add_f32_e32 v3, v17, v41
	v_add_f32_e32 v7, v16, v40
	v_min3_f32 v93, v7, v3, v46
	v_add_f32_e32 v3, v13, v41
	v_add_f32_e32 v7, v12, v40
	v_min3_f32 v91, v7, v3, v43
	v_add_f32_e32 v3, v9, v41
	v_add_f32_e32 v7, v8, v40
	v_min3_f32 v90, v7, v3, v42
	v_add_f32_e32 v3, v5, v41
	v_add_f32_e32 v7, v4, v40
	v_add_f32_e32 v4, v4, v24
	v_min3_f32 v89, v7, v3, v38
	v_add_f32_e32 v3, v37, v25
	v_add_f32_e32 v7, v36, v24
	v_min3_f32 v88, v7, v3, v34
	v_add_f32_e32 v3, v33, v25
	;; [unrolled: 3-line block ×8, first 2 shown]
	v_min3_f32 v92, v4, v3, v2
	s_cbranch_scc1 .LBB18_58
; %bb.32:
	v_add_nc_u32_e32 v4, 12, v72
	v_add_nc_u32_e32 v6, 8, v72
	v_lshlrev_b64 v[2:3], 2, v[66:67]
	v_lshlrev_b64 v[68:69], 2, v[68:69]
	v_or_b32_e32 v123, 0x2000, v74
	v_mad_i64_i32 v[4:5], null, v4, s8, 0
	v_mad_i64_i32 v[6:7], null, v6, s8, 0
	v_add_co_u32 v142, s6, s20, v2
	v_or_b32_e32 v132, 0x1000, v75
	v_add_co_ci_u32_e64 v143, null, s21, v3, s6
	v_lshlrev_b64 v[66:67], 2, v[4:5]
	v_lshlrev_b64 v[70:71], 2, v[6:7]
	v_lshl_add_u32 v144, v0, 4, 0x2400
	v_lshl_or_b32 v145, v1, 4, 0x1000
	s_add_i32 s28, s14, -8
	s_add_i32 s20, s14, -1
	s_lshl_b64 s[8:9], s[8:9], 5
	s_mov_b32 s21, 0
	s_branch .LBB18_34
.LBB18_33:                              ;   in Loop: Header=BB18_34 Depth=1
	s_or_b32 exec_lo, exec_lo, s7
	v_add_f32_e32 v151, v35, v63
	v_add_f32_e32 v152, v34, v62
	;; [unrolled: 1-line block ×6, first 2 shown]
	v_min3_f32 v141, v152, v151, v141
	v_add_f32_e32 v151, v23, v63
	v_min3_f32 v81, v154, v153, v81
	v_add_f32_e32 v152, v22, v62
	;; [unrolled: 2-line block ×3, first 2 shown]
	v_add_f32_e32 v154, v18, v62
	v_add_f32_e32 v155, v15, v63
	;; [unrolled: 1-line block ×7, first 2 shown]
	v_min3_f32 v77, v152, v151, v77
	v_min3_f32 v76, v154, v153, v76
	v_add_f32_e32 v151, v31, v59
	v_add_f32_e32 v152, v30, v58
	v_min3_f32 v62, v62, v63, v140
	v_add_f32_e32 v63, v35, v59
	v_add_f32_e32 v140, v34, v58
	;; [unrolled: 1-line block ×4, first 2 shown]
	v_min3_f32 v78, v156, v155, v78
	v_min3_f32 v80, v158, v157, v80
	v_add_f32_e32 v155, v23, v59
	v_add_f32_e32 v156, v22, v58
	;; [unrolled: 1-line block ×4, first 2 shown]
	v_min3_f32 v63, v140, v63, v139
	v_min3_f32 v138, v152, v151, v138
	;; [unrolled: 1-line block ×3, first 2 shown]
	v_add_f32_e32 v139, v15, v59
	v_add_f32_e32 v140, v14, v58
	v_add_f32_e32 v151, v11, v59
	v_add_f32_e32 v152, v10, v58
	v_add_f32_e32 v59, v3, v59
	v_add_f32_e32 v58, v2, v58
	v_add_f32_e32 v153, v35, v55
	v_add_f32_e32 v154, v34, v54
	v_min3_f32 v136, v156, v155, v136
	v_add_f32_e32 v155, v31, v55
	v_add_f32_e32 v156, v30, v54
	v_min3_f32 v134, v140, v139, v134
	v_min3_f32 v133, v152, v151, v133
	;; [unrolled: 1-line block ×4, first 2 shown]
	v_add_f32_e32 v130, v27, v55
	v_add_f32_e32 v131, v26, v54
	;; [unrolled: 1-line block ×6, first 2 shown]
	v_min3_f32 v129, v156, v155, v129
	v_add_f32_e32 v153, v15, v55
	v_add_f32_e32 v154, v14, v54
	;; [unrolled: 1-line block ×4, first 2 shown]
	v_min3_f32 v128, v131, v130, v128
	v_min3_f32 v127, v140, v139, v127
	v_min3_f32 v126, v152, v151, v126
	v_add_f32_e32 v55, v3, v55
	v_add_f32_e32 v54, v2, v54
	v_add_f32_e32 v130, v35, v51
	v_add_f32_e32 v131, v34, v50
	v_add_f32_e32 v139, v31, v51
	v_add_f32_e32 v140, v30, v50
	v_add_f32_e32 v151, v27, v51
	v_add_f32_e32 v152, v26, v50
	v_min3_f32 v125, v154, v153, v125
	v_add_f32_e32 v153, v23, v51
	v_add_f32_e32 v154, v22, v50
	v_min3_f32 v54, v54, v55, v121
	v_min3_f32 v55, v131, v130, v122
	;; [unrolled: 1-line block ×4, first 2 shown]
	v_add_f32_e32 v121, v19, v51
	v_add_f32_e32 v122, v18, v50
	v_add_f32_e32 v130, v15, v51
	v_add_f32_e32 v131, v14, v50
	v_add_f32_e32 v139, v11, v51
	v_add_f32_e32 v140, v10, v50
	v_add_f32_e32 v51, v3, v51
	v_add_f32_e32 v50, v2, v50
	v_add_f32_e32 v151, v35, v47
	v_add_f32_e32 v152, v34, v46
	v_min3_f32 v117, v122, v121, v117
	v_min3_f32 v116, v131, v130, v116
	;; [unrolled: 1-line block ×3, first 2 shown]
	v_add_f32_e32 v114, v30, v46
	v_min3_f32 v51, v152, v151, v113
	v_add_f32_e32 v113, v31, v47
	v_add_f32_e32 v121, v27, v47
	;; [unrolled: 1-line block ×5, first 2 shown]
	v_min3_f32 v115, v140, v139, v115
	v_add_f32_e32 v139, v19, v47
	v_add_f32_e32 v140, v18, v46
	;; [unrolled: 1-line block ×4, first 2 shown]
	v_min3_f32 v112, v114, v113, v112
	v_min3_f32 v111, v122, v121, v111
	v_min3_f32 v110, v131, v130, v110
	v_add_f32_e32 v113, v11, v47
	v_add_f32_e32 v114, v10, v46
	v_add_f32_e32 v47, v3, v47
	v_add_f32_e32 v46, v2, v46
	v_add_f32_e32 v121, v35, v43
	v_add_f32_e32 v122, v34, v42
	v_add_f32_e32 v130, v31, v43
	v_add_f32_e32 v131, v30, v42
	v_min3_f32 v109, v140, v139, v109
	v_add_f32_e32 v139, v27, v43
	v_add_f32_e32 v140, v26, v42
	v_min3_f32 v107, v114, v113, v107
	v_min3_f32 v46, v46, v47, v106
	;; [unrolled: 1-line block ×4, first 2 shown]
	v_add_f32_e32 v105, v23, v43
	v_add_f32_e32 v106, v22, v42
	;; [unrolled: 1-line block ×10, first 2 shown]
	v_min3_f32 v102, v106, v105, v102
	v_add_f32_e32 v105, v31, v39
	v_add_f32_e32 v106, v30, v38
	v_min3_f32 v101, v114, v113, v101
	v_min3_f32 v42, v42, v43, v98
	v_add_f32_e32 v43, v35, v39
	v_add_f32_e32 v98, v34, v38
	v_min3_f32 v100, v122, v121, v100
	v_min3_f32 v99, v131, v130, v99
	v_add_f32_e32 v113, v27, v39
	v_add_f32_e32 v114, v26, v38
	;; [unrolled: 1-line block ×6, first 2 shown]
	v_min3_f32 v43, v98, v43, v97
	v_min3_f32 v96, v106, v105, v96
	v_add_f32_e32 v97, v15, v39
	v_add_f32_e32 v98, v14, v38
	v_add_f32_e32 v105, v11, v39
	v_add_f32_e32 v106, v10, v38
	v_add_f32_e32 v31, v31, v7
	v_add_f32_e32 v30, v30, v6
	v_add_f32_e32 v27, v27, v7
	v_add_f32_e32 v26, v26, v6
	v_add_f32_e32 v23, v23, v7
	v_add_f32_e32 v22, v22, v6
	v_add_f32_e32 v19, v19, v7
	v_add_f32_e32 v18, v18, v6
	v_add_f32_e32 v15, v15, v7
	v_add_f32_e32 v14, v14, v6
	v_add_f32_e32 v11, v11, v7
	v_add_f32_e32 v10, v10, v6
	v_add_f32_e32 v39, v3, v39
	v_add_f32_e32 v38, v2, v38
	v_add_f32_e32 v35, v35, v7
	v_add_f32_e32 v34, v34, v6
	v_min3_f32 v30, v30, v31, v87
	v_min3_f32 v26, v26, v27, v86
	v_min3_f32 v22, v22, v23, v85
	v_min3_f32 v23, v18, v19, v84
	v_min3_f32 v27, v14, v15, v83
	v_min3_f32 v31, v10, v11, v82
	v_add_f32_e32 v3, v3, v7
	v_add_f32_e32 v2, v2, v6
	v_add_f32_e32 v6, v37, v65
	v_add_f32_e32 v7, v36, v64
	v_add_f32_e32 v10, v33, v65
	v_add_f32_e32 v11, v32, v64
	v_add_f32_e32 v14, v29, v65
	v_add_f32_e32 v15, v28, v64
	v_add_f32_e32 v18, v25, v65
	v_add_f32_e32 v19, v24, v64
	v_min3_f32 v34, v34, v35, v88
	v_min3_f32 v35, v2, v3, v92
	v_min3_f32 v82, v7, v6, v141
	v_min3_f32 v81, v11, v10, v81
	v_min3_f32 v79, v15, v14, v79
	v_min3_f32 v77, v19, v18, v77
	v_add_f32_e32 v2, v21, v65
	v_add_f32_e32 v3, v20, v64
	v_add_f32_e32 v6, v17, v65
	v_add_f32_e32 v7, v16, v64
	v_add_f32_e32 v10, v13, v65
	v_add_f32_e32 v11, v12, v64
	v_add_f32_e32 v14, v5, v65
	v_add_f32_e32 v15, v4, v64
	v_add_f32_e32 v18, v37, v61
	v_add_f32_e32 v19, v36, v60
	;; [unrolled: 16-line block ×4, first 2 shown]
	v_min3_f32 v124, v156, v155, v124
	v_min3_f32 v91, v98, v97, v91
	;; [unrolled: 1-line block ×8, first 2 shown]
	v_add_f32_e32 v2, v25, v57
	v_add_f32_e32 v3, v24, v56
	;; [unrolled: 1-line block ×10, first 2 shown]
	v_min3_f32 v118, v154, v153, v118
	v_min3_f32 v95, v114, v113, v95
	v_min3_f32 v94, v122, v121, v94
	v_min3_f32 v113, v3, v2, v127
	v_min3_f32 v114, v7, v6, v126
	v_min3_f32 v121, v11, v10, v125
	v_min3_f32 v122, v15, v14, v124
	v_min3_f32 v124, v19, v18, v54
	v_add_f32_e32 v2, v37, v53
	v_add_f32_e32 v3, v36, v52
	;; [unrolled: 1-line block ×10, first 2 shown]
	v_min3_f32 v125, v3, v2, v55
	v_min3_f32 v120, v7, v6, v120
	v_min3_f32 v119, v11, v10, v119
	v_min3_f32 v118, v15, v14, v118
	v_min3_f32 v117, v19, v18, v117
	v_add_f32_e32 v2, v17, v53
	v_add_f32_e32 v3, v16, v52
	v_add_f32_e32 v6, v13, v53
	v_add_f32_e32 v7, v12, v52
	v_add_f32_e32 v10, v5, v53
	v_add_f32_e32 v11, v4, v52
	v_add_f32_e32 v14, v37, v49
	v_add_f32_e32 v15, v36, v48
	v_add_f32_e32 v18, v33, v49
	v_add_f32_e32 v19, v32, v48
	v_min3_f32 v108, v152, v151, v108
	v_min3_f32 v116, v3, v2, v116
	v_min3_f32 v115, v7, v6, v115
	v_min3_f32 v126, v11, v10, v50
	v_min3_f32 v127, v15, v14, v51
	v_min3_f32 v112, v19, v18, v112
	v_add_f32_e32 v2, v29, v49
	v_add_f32_e32 v3, v28, v48
	v_add_f32_e32 v6, v25, v49
	v_add_f32_e32 v7, v24, v48
	v_add_f32_e32 v10, v21, v49
	v_add_f32_e32 v11, v20, v48
	v_add_f32_e32 v14, v17, v49
	v_add_f32_e32 v15, v16, v48
	v_add_f32_e32 v18, v13, v49
	v_add_f32_e32 v19, v12, v48
	v_min3_f32 v103, v140, v139, v103
	;; [unrolled: 16-line block ×3, first 2 shown]
	v_min3_f32 v129, v7, v6, v47
	v_min3_f32 v104, v11, v10, v104
	;; [unrolled: 1-line block ×4, first 2 shown]
	v_add_f32_e32 v2, v21, v45
	v_add_f32_e32 v3, v20, v44
	;; [unrolled: 1-line block ×10, first 2 shown]
	v_min3_f32 v93, v131, v130, v93
	v_min3_f32 v101, v3, v2, v101
	;; [unrolled: 1-line block ×6, first 2 shown]
	v_add_f32_e32 v2, v33, v41
	v_add_f32_e32 v3, v32, v40
	;; [unrolled: 1-line block ×10, first 2 shown]
	v_min3_f32 v96, v3, v2, v96
	v_min3_f32 v95, v7, v6, v95
	;; [unrolled: 1-line block ×5, first 2 shown]
	v_add_f32_e32 v2, v13, v41
	v_add_f32_e32 v3, v12, v40
	;; [unrolled: 1-line block ×10, first 2 shown]
	v_min3_f32 v90, v3, v2, v90
	v_min3_f32 v133, v7, v6, v38
	;; [unrolled: 1-line block ×5, first 2 shown]
	v_add_f32_e32 v6, v25, v9
	v_add_f32_e32 v7, v24, v8
	;; [unrolled: 1-line block ×8, first 2 shown]
	ds_read_b128 v[10:13], v123
	ds_read_b128 v[14:17], v73
	v_add_f32_e32 v9, v5, v9
	ds_read_b128 v[18:21], v123 offset:128
	v_add_f32_e32 v8, v4, v8
	ds_read_b128 v[2:5], v123 offset:256
	v_min3_f32 v137, v7, v6, v22
	v_min3_f32 v138, v25, v24, v23
	;; [unrolled: 1-line block ×5, first 2 shown]
	ds_read_b128 v[6:9], v123 offset:384
	ds_read_b128 v[22:25], v123 offset:512
	;; [unrolled: 1-line block ×12, first 2 shown]
	v_add_co_u32 v142, s6, v142, s8
	v_add_co_ci_u32_e64 v143, null, s9, v143, s6
	s_add_i32 s21, s21, 8
	s_cmp_ge_i32 s21, s28
	s_waitcnt lgkmcnt(14)
	v_add_f32_e32 v151, v11, v15
	v_add_f32_e32 v152, v10, v14
	s_waitcnt lgkmcnt(13)
	v_add_f32_e32 v153, v19, v15
	v_add_f32_e32 v154, v18, v14
	;; [unrolled: 3-line block ×3, first 2 shown]
	v_min3_f32 v82, v152, v151, v82
	s_waitcnt lgkmcnt(11)
	v_add_f32_e32 v151, v7, v15
	v_min3_f32 v81, v154, v153, v81
	v_add_f32_e32 v152, v6, v14
	v_min3_f32 v79, v156, v155, v79
	s_waitcnt lgkmcnt(10)
	v_add_f32_e32 v153, v23, v15
	v_add_f32_e32 v154, v22, v14
	s_waitcnt lgkmcnt(9)
	v_add_f32_e32 v155, v27, v15
	v_add_f32_e32 v156, v26, v14
	;; [unrolled: 3-line block ×4, first 2 shown]
	v_min3_f32 v77, v152, v151, v77
	v_min3_f32 v76, v154, v153, v76
	;; [unrolled: 1-line block ×5, first 2 shown]
	s_waitcnt lgkmcnt(6)
	v_add_f32_e32 v15, v11, v39
	v_add_f32_e32 v83, v10, v38
	;; [unrolled: 1-line block ×10, first 2 shown]
	v_min3_f32 v15, v83, v15, v84
	v_min3_f32 v83, v152, v151, v85
	v_min3_f32 v84, v154, v153, v86
	v_min3_f32 v85, v156, v155, v87
	v_min3_f32 v86, v158, v157, v88
	v_add_f32_e32 v87, v27, v39
	v_add_f32_e32 v88, v26, v38
	;; [unrolled: 1-line block ×6, first 2 shown]
	s_waitcnt lgkmcnt(5)
	v_add_f32_e32 v153, v11, v43
	v_add_f32_e32 v154, v10, v42
	;; [unrolled: 1-line block ×4, first 2 shown]
	v_min3_f32 v87, v88, v87, v89
	v_min3_f32 v88, v152, v151, v92
	;; [unrolled: 1-line block ×5, first 2 shown]
	v_add_f32_e32 v92, v3, v43
	v_add_f32_e32 v97, v2, v42
	;; [unrolled: 1-line block ×10, first 2 shown]
	v_min3_f32 v92, v97, v92, v106
	v_min3_f32 v97, v105, v98, v113
	;; [unrolled: 1-line block ×5, first 2 shown]
	v_add_f32_e32 v43, v35, v43
	v_add_f32_e32 v42, v34, v42
	s_waitcnt lgkmcnt(4)
	v_add_f32_e32 v113, v11, v47
	v_add_f32_e32 v114, v10, v46
	;; [unrolled: 1-line block ×8, first 2 shown]
	v_min3_f32 v42, v42, v43, v124
	v_min3_f32 v43, v114, v113, v125
	;; [unrolled: 1-line block ×4, first 2 shown]
	v_add_f32_e32 v119, v23, v47
	v_add_f32_e32 v120, v22, v46
	;; [unrolled: 1-line block ×8, first 2 shown]
	s_waitcnt lgkmcnt(3)
	v_add_f32_e32 v151, v11, v51
	v_add_f32_e32 v152, v10, v50
	v_min3_f32 v117, v120, v119, v117
	v_min3_f32 v116, v122, v121, v116
	;; [unrolled: 1-line block ×5, first 2 shown]
	v_add_f32_e32 v119, v19, v51
	v_add_f32_e32 v120, v18, v50
	;; [unrolled: 1-line block ×10, first 2 shown]
	v_min3_f32 v112, v120, v119, v112
	v_min3_f32 v111, v122, v121, v111
	;; [unrolled: 1-line block ×4, first 2 shown]
	v_add_f32_e32 v119, v31, v51
	v_add_f32_e32 v120, v30, v50
	;; [unrolled: 1-line block ×4, first 2 shown]
	s_waitcnt lgkmcnt(2)
	v_add_f32_e32 v121, v11, v55
	v_add_f32_e32 v122, v10, v54
	;; [unrolled: 1-line block ×6, first 2 shown]
	v_min3_f32 v107, v120, v119, v107
	v_min3_f32 v50, v50, v51, v128
	;; [unrolled: 1-line block ×5, first 2 shown]
	v_add_f32_e32 v119, v7, v55
	v_add_f32_e32 v120, v6, v54
	;; [unrolled: 1-line block ×10, first 2 shown]
	v_min3_f32 v102, v120, v119, v102
	v_min3_f32 v101, v122, v121, v101
	;; [unrolled: 1-line block ×3, first 2 shown]
	s_waitcnt lgkmcnt(1)
	v_add_f32_e32 v119, v10, v58
	v_min3_f32 v54, v54, v55, v130
	v_add_f32_e32 v55, v11, v59
	v_add_f32_e32 v120, v19, v59
	;; [unrolled: 1-line block ×5, first 2 shown]
	s_waitcnt lgkmcnt(0)
	v_add_f32_e32 v11, v11, v63
	v_add_f32_e32 v10, v10, v62
	;; [unrolled: 1-line block ×4, first 2 shown]
	v_min3_f32 v99, v127, v126, v99
	v_add_f32_e32 v125, v7, v59
	v_add_f32_e32 v126, v6, v58
	;; [unrolled: 1-line block ×4, first 2 shown]
	v_min3_f32 v55, v119, v55, v131
	v_min3_f32 v96, v121, v120, v96
	;; [unrolled: 1-line block ×3, first 2 shown]
	v_add_f32_e32 v119, v27, v59
	v_add_f32_e32 v120, v26, v58
	;; [unrolled: 1-line block ×6, first 2 shown]
	v_min3_f32 v10, v10, v11, v134
	v_min3_f32 v11, v18, v19, v135
	v_add_f32_e32 v3, v3, v63
	v_add_f32_e32 v2, v2, v62
	;; [unrolled: 1-line block ×10, first 2 shown]
	v_min3_f32 v58, v58, v59, v133
	v_min3_f32 v2, v2, v3, v136
	;; [unrolled: 1-line block ×6, first 2 shown]
	v_add_f32_e32 v19, v35, v63
	v_add_f32_e32 v22, v34, v62
	;; [unrolled: 1-line block ×10, first 2 shown]
	v_min3_f32 v19, v22, v19, v141
	v_min3_f32 v141, v26, v23, v82
	v_min3_f32 v81, v30, v27, v81
	v_min3_f32 v79, v34, v31, v79
	v_min3_f32 v77, v59, v35, v77
	v_add_f32_e32 v22, v25, v17
	v_add_f32_e32 v23, v24, v16
	;; [unrolled: 1-line block ×10, first 2 shown]
	v_min3_f32 v76, v23, v22, v76
	v_min3_f32 v78, v27, v26, v78
	;; [unrolled: 1-line block ×3, first 2 shown]
	v_add_f32_e32 v14, v21, v41
	v_min3_f32 v139, v35, v34, v15
	v_add_f32_e32 v15, v20, v40
	v_add_f32_e32 v16, v5, v41
	;; [unrolled: 1-line block ×3, first 2 shown]
	v_min3_f32 v80, v31, v30, v80
	v_add_f32_e32 v22, v9, v41
	v_min3_f32 v138, v15, v14, v83
	v_add_f32_e32 v14, v33, v41
	v_add_f32_e32 v15, v32, v40
	;; [unrolled: 1-line block ×7, first 2 shown]
	v_min3_f32 v137, v17, v16, v84
	v_add_f32_e32 v16, v37, v41
	v_add_f32_e32 v17, v36, v40
	v_min3_f32 v133, v15, v14, v88
	v_add_f32_e32 v14, v9, v45
	v_add_f32_e32 v15, v8, v44
	v_min3_f32 v93, v128, v127, v93
	v_min3_f32 v136, v23, v22, v85
	v_min3_f32 v135, v27, v26, v86
	v_min3_f32 v134, v31, v30, v87
	v_add_f32_e32 v22, v13, v45
	v_add_f32_e32 v23, v12, v44
	v_add_f32_e32 v26, v21, v45
	v_add_f32_e32 v27, v20, v44
	v_add_f32_e32 v30, v5, v45
	v_add_f32_e32 v31, v4, v44
	v_min3_f32 v131, v17, v16, v38
	v_add_f32_e32 v16, v25, v45
	v_add_f32_e32 v17, v24, v44
	v_min3_f32 v127, v15, v14, v97
	v_add_f32_e32 v14, v13, v49
	v_add_f32_e32 v15, v12, v48
	v_min3_f32 v94, v126, v125, v94
	v_min3_f32 v90, v122, v121, v90
	v_min3_f32 v130, v23, v22, v39
	v_min3_f32 v129, v27, v26, v89
	v_min3_f32 v128, v31, v30, v92
	v_add_f32_e32 v22, v29, v45
	v_add_f32_e32 v23, v28, v44
	v_add_f32_e32 v26, v33, v45
	v_add_f32_e32 v27, v32, v44
	v_add_f32_e32 v30, v37, v45
	v_add_f32_e32 v31, v36, v44
	v_min3_f32 v126, v17, v16, v98
	v_add_f32_e32 v16, v21, v49
	v_add_f32_e32 v17, v20, v48
	v_min3_f32 v122, v15, v14, v43
	v_add_f32_e32 v14, v29, v49
	v_add_f32_e32 v15, v28, v48
	v_min3_f32 v118, v154, v153, v118
	;; [unrolled: 17-line block ×3, first 2 shown]
	v_min3_f32 v118, v27, v26, v118
	v_min3_f32 v117, v31, v30, v117
	v_add_f32_e32 v22, v37, v49
	v_add_f32_e32 v23, v36, v48
	;; [unrolled: 1-line block ×6, first 2 shown]
	v_min3_f32 v115, v17, v16, v115
	v_add_f32_e32 v16, v9, v53
	v_add_f32_e32 v17, v8, v52
	v_min3_f32 v111, v15, v14, v111
	v_add_f32_e32 v14, v37, v53
	v_add_f32_e32 v15, v36, v52
	v_min3_f32 v108, v152, v151, v108
	v_min3_f32 v114, v23, v22, v46
	;; [unrolled: 1-line block ×4, first 2 shown]
	v_add_f32_e32 v22, v25, v53
	v_add_f32_e32 v23, v24, v52
	;; [unrolled: 1-line block ×6, first 2 shown]
	v_min3_f32 v110, v17, v16, v110
	v_add_f32_e32 v16, v13, v57
	v_add_f32_e32 v17, v12, v56
	v_min3_f32 v106, v15, v14, v50
	v_add_f32_e32 v14, v25, v57
	v_add_f32_e32 v15, v24, v56
	v_min3_f32 v109, v23, v22, v109
	v_min3_f32 v108, v27, v26, v108
	;; [unrolled: 1-line block ×3, first 2 shown]
	v_add_f32_e32 v22, v21, v57
	v_add_f32_e32 v23, v20, v56
	v_add_f32_e32 v26, v5, v57
	v_add_f32_e32 v27, v4, v56
	v_add_f32_e32 v30, v9, v57
	v_add_f32_e32 v31, v8, v56
	v_min3_f32 v105, v17, v16, v51
	v_add_f32_e32 v16, v29, v57
	v_add_f32_e32 v17, v28, v56
	v_min3_f32 v101, v15, v14, v101
	v_add_f32_e32 v14, v21, v61
	v_add_f32_e32 v15, v20, v60
	v_min3_f32 v104, v23, v22, v104
	v_min3_f32 v103, v27, v26, v103
	v_min3_f32 v102, v31, v30, v102
	v_add_f32_e32 v22, v33, v57
	v_add_f32_e32 v23, v32, v56
	;; [unrolled: 1-line block ×6, first 2 shown]
	v_min3_f32 v100, v17, v16, v100
	v_add_f32_e32 v16, v5, v61
	v_add_f32_e32 v17, v4, v60
	v_min3_f32 v96, v15, v14, v96
	v_add_f32_e32 v14, v33, v61
	v_add_f32_e32 v15, v32, v60
	;; [unrolled: 1-line block ×8, first 2 shown]
	v_min3_f32 v99, v23, v22, v99
	v_min3_f32 v98, v27, v26, v54
	;; [unrolled: 1-line block ×3, first 2 shown]
	v_add_f32_e32 v22, v9, v61
	v_add_f32_e32 v23, v8, v60
	;; [unrolled: 1-line block ×6, first 2 shown]
	v_min3_f32 v95, v17, v16, v95
	v_add_f32_e32 v16, v37, v61
	v_add_f32_e32 v17, v36, v60
	v_min3_f32 v90, v15, v14, v90
	v_min3_f32 v88, v12, v13, v10
	;; [unrolled: 1-line block ×4, first 2 shown]
	v_add_f32_e32 v2, v9, v65
	v_add_f32_e32 v4, v8, v64
	;; [unrolled: 1-line block ×10, first 2 shown]
	v_min3_f32 v94, v23, v22, v94
	v_min3_f32 v93, v27, v26, v93
	;; [unrolled: 1-line block ×5, first 2 shown]
	v_add_nc_u32_e32 v2, 0x2400, v75
	v_min3_f32 v84, v8, v5, v6
	v_min3_f32 v83, v10, v9, v7
	;; [unrolled: 1-line block ×4, first 2 shown]
	ds_write_b32 v2, v146
	ds_write2st64_b32 v132, v147, v148 offset1:4
	ds_write2st64_b32 v132, v149, v150 offset0:8 offset1:12
	s_waitcnt lgkmcnt(0)
	s_barrier
	buffer_gl0_inv
	s_cbranch_scc1 .LBB18_58
.LBB18_34:                              ; =>This Inner Loop Header: Depth=1
	v_add_nc_u32_e32 v146, s21, v72
                                        ; implicit-def: $vgpr147
	v_add_nc_u32_e32 v2, 8, v146
	v_cmp_le_i32_e64 s6, s14, v2
	s_or_b32 s29, vcc_lo, s6
	s_nor_b32 s7, s26, s29
	s_and_saveexec_b32 s30, s7
	s_xor_b32 s30, exec_lo, s30
	s_cbranch_execz .LBB18_36
; %bb.35:                               ;   in Loop: Header=BB18_34 Depth=1
	v_add_co_u32 v3, s7, v142, v70
	v_add_co_ci_u32_e64 v4, null, v143, v71, s7
	flat_load_dword v3, v[3:4]
	s_waitcnt vmcnt(0) lgkmcnt(0)
	v_mul_f32_e32 v147, s25, v3
.LBB18_36:                              ;   in Loop: Header=BB18_34 Depth=1
	s_andn2_saveexec_b32 s7, s30
; %bb.37:                               ;   in Loop: Header=BB18_34 Depth=1
	v_cndmask_b32_e64 v147, 0, 0x7f7fffff, s29
; %bb.38:                               ;   in Loop: Header=BB18_34 Depth=1
	s_or_b32 exec_lo, exec_lo, s7
	v_min_i32_e32 v2, s20, v2
	v_mad_i64_i32 v[2:3], null, v2, s27, 0
	v_lshlrev_b64 v[2:3], 2, v[2:3]
	v_add_co_u32 v2, s7, s16, v2
	v_add_co_ci_u32_e64 v3, null, s17, v3, s7
	s_or_b32 s7, s0, s6
	v_cndmask_b32_e64 v148, 0, 0x7f7fffff, s7
	s_nor_b32 s7, s26, s7
	s_and_saveexec_b32 s29, s7
	s_cbranch_execz .LBB18_40
; %bb.39:                               ;   in Loop: Header=BB18_34 Depth=1
	v_add_co_u32 v4, s7, v2, v68
	v_add_co_ci_u32_e64 v5, null, v3, v69, s7
	flat_load_dword v4, v[4:5]
	s_waitcnt vmcnt(0) lgkmcnt(0)
	v_mul_f32_e32 v148, s25, v4
.LBB18_40:                              ;   in Loop: Header=BB18_34 Depth=1
	s_or_b32 exec_lo, exec_lo, s29
	s_or_b32 s7, s1, s6
	v_cndmask_b32_e64 v149, 0, 0x7f7fffff, s7
	s_nor_b32 s7, s26, s7
	s_and_saveexec_b32 s29, s7
	s_cbranch_execz .LBB18_42
; %bb.41:                               ;   in Loop: Header=BB18_34 Depth=1
	v_add_co_u32 v4, s7, v2, v68
	v_add_co_ci_u32_e64 v5, null, v3, v69, s7
	flat_load_dword v4, v[4:5] offset:256
	s_waitcnt vmcnt(0) lgkmcnt(0)
	v_mul_f32_e32 v149, s25, v4
.LBB18_42:                              ;   in Loop: Header=BB18_34 Depth=1
	s_or_b32 exec_lo, exec_lo, s29
	s_or_b32 s7, s2, s6
	v_cndmask_b32_e64 v150, 0, 0x7f7fffff, s7
	s_nor_b32 s7, s26, s7
	s_and_saveexec_b32 s29, s7
	s_cbranch_execz .LBB18_44
; %bb.43:                               ;   in Loop: Header=BB18_34 Depth=1
	v_add_co_u32 v4, s7, v2, v68
	v_add_co_ci_u32_e64 v5, null, v3, v69, s7
	flat_load_dword v4, v[4:5] offset:512
	s_waitcnt vmcnt(0) lgkmcnt(0)
	v_mul_f32_e32 v150, s25, v4
.LBB18_44:                              ;   in Loop: Header=BB18_34 Depth=1
	s_or_b32 exec_lo, exec_lo, s29
	s_or_b32 s6, s3, s6
	v_cndmask_b32_e64 v152, 0, 0x7f7fffff, s6
	s_nor_b32 s6, s26, s6
	s_and_saveexec_b32 s7, s6
	s_cbranch_execz .LBB18_46
; %bb.45:                               ;   in Loop: Header=BB18_34 Depth=1
	v_add_co_u32 v2, s6, v2, v68
	v_add_co_ci_u32_e64 v3, null, v3, v69, s6
	flat_load_dword v2, v[2:3] offset:768
	s_waitcnt vmcnt(0) lgkmcnt(0)
	v_mul_f32_e32 v152, s25, v2
.LBB18_46:                              ;   in Loop: Header=BB18_34 Depth=1
	s_or_b32 exec_lo, exec_lo, s7
	ds_read_b128 v[34:37], v144
	ds_read_b128 v[30:33], v144 offset:128
	ds_read_b128 v[26:29], v144 offset:256
	;; [unrolled: 1-line block ×7, first 2 shown]
	ds_read_b128 v[62:65], v145
	ds_read_b128 v[58:61], v145 offset:512
	ds_read_b128 v[54:57], v145 offset:1024
	;; [unrolled: 1-line block ×7, first 2 shown]
	v_add_nc_u32_e32 v151, 12, v146
	v_or_b32_e32 v146, 0x2000, v75
	ds_write_b32 v146, v147
	ds_write2st64_b32 v75, v148, v149 offset1:4
	ds_write2st64_b32 v75, v150, v152 offset0:8 offset1:12
	v_cmp_le_i32_e64 s6, s14, v151
	s_waitcnt lgkmcnt(0)
	s_barrier
	buffer_gl0_inv
                                        ; implicit-def: $vgpr146
	s_or_b32 s29, vcc_lo, s6
	s_nor_b32 s7, s26, s29
	s_and_saveexec_b32 s30, s7
	s_xor_b32 s30, exec_lo, s30
	s_cbranch_execz .LBB18_48
; %bb.47:                               ;   in Loop: Header=BB18_34 Depth=1
	v_add_co_u32 v146, s7, v142, v66
	v_add_co_ci_u32_e64 v147, null, v143, v67, s7
	flat_load_dword v146, v[146:147]
	s_waitcnt vmcnt(0) lgkmcnt(0)
	v_mul_f32_e32 v146, s25, v146
.LBB18_48:                              ;   in Loop: Header=BB18_34 Depth=1
	s_andn2_saveexec_b32 s7, s30
; %bb.49:                               ;   in Loop: Header=BB18_34 Depth=1
	v_cndmask_b32_e64 v146, 0, 0x7f7fffff, s29
; %bb.50:                               ;   in Loop: Header=BB18_34 Depth=1
	s_or_b32 exec_lo, exec_lo, s7
	v_min_i32_e32 v147, s20, v151
	v_mad_i64_i32 v[147:148], null, v147, s27, 0
	v_lshlrev_b64 v[147:148], 2, v[147:148]
	v_add_co_u32 v151, s7, s16, v147
	v_add_co_ci_u32_e64 v152, null, s17, v148, s7
	s_or_b32 s7, s0, s6
	v_cndmask_b32_e64 v147, 0, 0x7f7fffff, s7
	s_nor_b32 s7, s26, s7
	s_and_saveexec_b32 s29, s7
	s_cbranch_execz .LBB18_52
; %bb.51:                               ;   in Loop: Header=BB18_34 Depth=1
	v_add_co_u32 v147, s7, v151, v68
	v_add_co_ci_u32_e64 v148, null, v152, v69, s7
	flat_load_dword v147, v[147:148]
	s_waitcnt vmcnt(0) lgkmcnt(0)
	v_mul_f32_e32 v147, s25, v147
.LBB18_52:                              ;   in Loop: Header=BB18_34 Depth=1
	s_or_b32 exec_lo, exec_lo, s29
	s_or_b32 s7, s1, s6
	v_cndmask_b32_e64 v148, 0, 0x7f7fffff, s7
	s_nor_b32 s7, s26, s7
	s_and_saveexec_b32 s29, s7
	s_cbranch_execz .LBB18_54
; %bb.53:                               ;   in Loop: Header=BB18_34 Depth=1
	v_add_co_u32 v148, s7, v151, v68
	v_add_co_ci_u32_e64 v149, null, v152, v69, s7
	flat_load_dword v148, v[148:149] offset:256
	s_waitcnt vmcnt(0) lgkmcnt(0)
	v_mul_f32_e32 v148, s25, v148
.LBB18_54:                              ;   in Loop: Header=BB18_34 Depth=1
	s_or_b32 exec_lo, exec_lo, s29
	s_or_b32 s7, s2, s6
	v_cndmask_b32_e64 v149, 0, 0x7f7fffff, s7
	s_nor_b32 s7, s26, s7
	s_and_saveexec_b32 s29, s7
	s_cbranch_execz .LBB18_56
; %bb.55:                               ;   in Loop: Header=BB18_34 Depth=1
	v_add_co_u32 v149, s7, v151, v68
	v_add_co_ci_u32_e64 v150, null, v152, v69, s7
	flat_load_dword v149, v[149:150] offset:512
	s_waitcnt vmcnt(0) lgkmcnt(0)
	v_mul_f32_e32 v149, s25, v149
.LBB18_56:                              ;   in Loop: Header=BB18_34 Depth=1
	s_or_b32 exec_lo, exec_lo, s29
	s_or_b32 s6, s3, s6
	v_cndmask_b32_e64 v150, 0, 0x7f7fffff, s6
	s_nor_b32 s6, s26, s6
	s_and_saveexec_b32 s7, s6
	s_cbranch_execz .LBB18_33
; %bb.57:                               ;   in Loop: Header=BB18_34 Depth=1
	v_add_co_u32 v150, s6, v151, v68
	v_add_co_ci_u32_e64 v151, null, v152, v69, s6
	flat_load_dword v150, v[150:151] offset:768
	s_waitcnt vmcnt(0) lgkmcnt(0)
	v_mul_f32_e32 v150, s25, v150
	s_branch .LBB18_33
.LBB18_58:
	s_clause 0x2
	s_load_dword s14, s[4:5], 0x58
	s_load_dword s9, s[4:5], 0x70
	s_load_dwordx2 s[0:1], s[4:5], 0x78
	v_add_nc_u32_e32 v132, s24, v1
	ds_read_b128 v[34:37], v74 offset:9216
	ds_read_b128 v[30:33], v74 offset:9344
	;; [unrolled: 1-line block ×16, first 2 shown]
	v_add_nc_u32_e32 v0, s15, v0
	v_cmp_gt_i32_e64 s8, s13, v132
	v_cndmask_b32_e64 v123, 0, 1, s23
	v_ashrrev_i32_e32 v1, 31, v0
	s_waitcnt lgkmcnt(0)
	v_mad_i64_i32 v[66:67], null, v132, s14, 0
	v_mad_i64_i32 v[68:69], null, v132, s9, 0
	s_lshl_b64 s[0:1], s[0:1], 2
	s_add_u32 s15, s18, s0
	s_addc_u32 s16, s19, s1
	v_lshlrev_b64 v[66:67], 2, v[66:67]
	v_cmp_gt_i32_e64 s0, s12, v0
	v_lshlrev_b64 v[68:69], 2, v[68:69]
	s_and_b32 s2, s0, s8
	v_add_co_u32 v144, vcc_lo, s10, v66
	v_add_co_ci_u32_e64 v145, null, s11, v67, vcc_lo
	v_add_co_u32 v142, vcc_lo, s15, v68
	v_add_co_ci_u32_e64 v143, null, s16, v69, vcc_lo
	s_and_saveexec_b32 s1, s2
	s_cbranch_execz .LBB18_63
; %bb.59:
	v_lshlrev_b64 v[66:67], 2, v[0:1]
	s_andn2_b32 vcc_lo, exec_lo, s23
	s_cbranch_vccnz .LBB18_61
; %bb.60:
	v_add_co_u32 v68, vcc_lo, v144, v66
	v_add_co_ci_u32_e64 v69, null, v145, v67, vcc_lo
	flat_load_dword v68, v[68:69]
	s_waitcnt vmcnt(0) lgkmcnt(0)
	v_mul_f32_e32 v68, s22, v68
	s_branch .LBB18_62
.LBB18_61:
	v_mov_b32_e32 v68, 0
.LBB18_62:
	v_add_f32_e32 v69, v35, v63
	v_add_f32_e32 v70, v34, v62
	;; [unrolled: 1-line block ×4, first 2 shown]
	v_add_co_u32 v66, vcc_lo, v142, v66
	v_min3_f32 v69, v70, v69, v141
	v_add_co_ci_u32_e64 v67, null, v143, v67, vcc_lo
	v_min_f32_e32 v70, v72, v71
	v_min3_f32 v68, v68, v70, v69
	flat_store_dword v[66:67], v68
.LBB18_63:
	s_or_b32 exec_lo, exec_lo, s1
	v_add_nc_u32_e32 v66, 8, v0
	v_cmp_gt_i32_e64 s1, s12, v66
	v_ashrrev_i32_e32 v67, 31, v66
	s_and_b32 s3, s1, s8
	s_and_saveexec_b32 s2, s3
	s_cbranch_execz .LBB18_68
; %bb.64:
	v_cmp_ne_u32_e32 vcc_lo, 1, v123
	v_lshlrev_b64 v[68:69], 2, v[66:67]
	s_cbranch_vccnz .LBB18_66
; %bb.65:
	v_add_co_u32 v70, vcc_lo, v144, v68
	v_add_co_ci_u32_e64 v71, null, v145, v69, vcc_lo
	flat_load_dword v70, v[70:71]
	s_waitcnt vmcnt(0) lgkmcnt(0)
	v_mul_f32_e32 v70, s22, v70
	s_branch .LBB18_67
.LBB18_66:
	v_mov_b32_e32 v70, 0
.LBB18_67:
	v_add_f32_e32 v71, v31, v63
	v_add_f32_e32 v72, v30, v62
	v_add_f32_e32 v73, v33, v65
	v_add_f32_e32 v74, v32, v64
	v_add_co_u32 v68, vcc_lo, v142, v68
	v_min3_f32 v71, v72, v71, v81
	v_add_co_ci_u32_e64 v69, null, v143, v69, vcc_lo
	v_min_f32_e32 v72, v74, v73
	v_min3_f32 v70, v70, v72, v71
	flat_store_dword v[68:69], v70
.LBB18_68:
	s_or_b32 exec_lo, exec_lo, s2
	v_add_nc_u32_e32 v68, 16, v0
	v_cmp_gt_i32_e64 s2, s12, v68
	v_ashrrev_i32_e32 v69, 31, v68
	s_and_b32 s4, s2, s8
	s_and_saveexec_b32 s3, s4
	s_cbranch_execz .LBB18_73
; %bb.69:
	v_cmp_ne_u32_e32 vcc_lo, 1, v123
	v_lshlrev_b64 v[70:71], 2, v[68:69]
	s_cbranch_vccnz .LBB18_71
; %bb.70:
	v_add_co_u32 v72, vcc_lo, v144, v70
	v_add_co_ci_u32_e64 v73, null, v145, v71, vcc_lo
	flat_load_dword v72, v[72:73]
	s_waitcnt vmcnt(0) lgkmcnt(0)
	v_mul_f32_e32 v72, s22, v72
	s_branch .LBB18_72
.LBB18_71:
	v_mov_b32_e32 v72, 0
.LBB18_72:
	v_add_f32_e32 v73, v27, v63
	v_add_f32_e32 v74, v26, v62
	v_add_f32_e32 v75, v29, v65
	v_add_f32_e32 v81, v28, v64
	v_add_co_u32 v70, vcc_lo, v142, v70
	v_min3_f32 v73, v74, v73, v79
	v_add_co_ci_u32_e64 v71, null, v143, v71, vcc_lo
	v_min_f32_e32 v74, v81, v75
	v_min3_f32 v72, v72, v74, v73
	flat_store_dword v[70:71], v72
.LBB18_73:
	;; [unrolled: 32-line block ×6, first 2 shown]
	s_or_b32 exec_lo, exec_lo, s7
	v_add_nc_u32_e32 v78, 56, v0
	v_cmp_gt_i32_e64 s7, s12, v78
	v_ashrrev_i32_e32 v79, 31, v78
	s_and_b32 s12, s7, s8
	s_and_saveexec_b32 s8, s12
	s_cbranch_execz .LBB18_98
; %bb.94:
	v_cmp_ne_u32_e32 vcc_lo, 1, v123
	v_lshlrev_b64 v[80:81], 2, v[78:79]
	s_cbranch_vccnz .LBB18_96
; %bb.95:
	v_add_co_u32 v144, vcc_lo, v144, v80
	v_add_co_ci_u32_e64 v145, null, v145, v81, vcc_lo
	flat_load_dword v141, v[144:145]
	s_waitcnt vmcnt(0) lgkmcnt(0)
	v_mul_f32_e32 v141, s22, v141
	s_branch .LBB18_97
.LBB18_96:
	v_mov_b32_e32 v141, 0
.LBB18_97:
	v_add_f32_e32 v63, v3, v63
	v_add_f32_e32 v62, v2, v62
	v_add_f32_e32 v65, v5, v65
	v_add_f32_e32 v64, v4, v64
	v_min3_f32 v62, v62, v63, v140
	v_min_f32_e32 v63, v64, v65
	v_min3_f32 v64, v141, v63, v62
	v_add_co_u32 v62, vcc_lo, v142, v80
	v_add_co_ci_u32_e64 v63, null, v143, v81, vcc_lo
	flat_store_dword v[62:63], v64
.LBB18_98:
	s_or_b32 exec_lo, exec_lo, s8
	v_add_nc_u32_e32 v80, 32, v132
	v_mad_i64_i32 v[62:63], null, v80, s14, 0
	v_mad_i64_i32 v[64:65], null, v80, s9, 0
	v_cmp_gt_i32_e64 s8, s13, v80
	v_lshlrev_b64 v[62:63], 2, v[62:63]
	s_and_b32 s17, s0, s8
	v_lshlrev_b64 v[64:65], 2, v[64:65]
	v_add_co_u32 v80, vcc_lo, s10, v62
	v_add_co_ci_u32_e64 v81, null, s11, v63, vcc_lo
	v_add_co_u32 v64, vcc_lo, s15, v64
	v_add_co_ci_u32_e64 v65, null, s16, v65, vcc_lo
	s_and_saveexec_b32 s12, s17
	s_cbranch_execnz .LBB18_106
; %bb.99:
	s_or_b32 exec_lo, exec_lo, s12
	s_and_b32 s17, s1, s8
	s_and_saveexec_b32 s12, s17
	s_cbranch_execnz .LBB18_110
.LBB18_100:
	s_or_b32 exec_lo, exec_lo, s12
	s_and_b32 s17, s2, s8
	s_and_saveexec_b32 s12, s17
	s_cbranch_execnz .LBB18_114
.LBB18_101:
	s_or_b32 exec_lo, exec_lo, s12
	s_and_b32 s17, s3, s8
	s_and_saveexec_b32 s12, s17
	s_cbranch_execnz .LBB18_118
.LBB18_102:
	s_or_b32 exec_lo, exec_lo, s12
	s_and_b32 s17, s4, s8
	s_and_saveexec_b32 s12, s17
	s_cbranch_execnz .LBB18_122
.LBB18_103:
	s_or_b32 exec_lo, exec_lo, s12
	s_and_b32 s17, s5, s8
	s_and_saveexec_b32 s12, s17
	s_cbranch_execnz .LBB18_126
.LBB18_104:
	s_or_b32 exec_lo, exec_lo, s12
	s_and_b32 s17, s6, s8
	s_and_saveexec_b32 s12, s17
	s_cbranch_execnz .LBB18_130
.LBB18_105:
	s_or_b32 exec_lo, exec_lo, s12
	s_and_b32 s12, s7, s8
	s_and_saveexec_b32 s8, s12
	s_cbranch_execnz .LBB18_134
	s_branch .LBB18_138
.LBB18_106:
	v_cmp_ne_u32_e32 vcc_lo, 1, v123
	v_lshlrev_b64 v[62:63], 2, v[0:1]
	s_cbranch_vccnz .LBB18_108
; %bb.107:
	v_add_co_u32 v140, vcc_lo, v80, v62
	v_add_co_ci_u32_e64 v141, null, v81, v63, vcc_lo
	flat_load_dword v140, v[140:141]
	s_waitcnt vmcnt(0) lgkmcnt(0)
	v_mul_f32_e32 v140, s22, v140
	s_branch .LBB18_109
.LBB18_108:
	v_mov_b32_e32 v140, 0
.LBB18_109:
	v_add_f32_e32 v141, v35, v59
	v_add_f32_e32 v142, v34, v58
	v_add_f32_e32 v143, v37, v61
	v_add_f32_e32 v144, v36, v60
	v_add_co_u32 v62, vcc_lo, v64, v62
	v_min3_f32 v139, v142, v141, v139
	v_add_co_ci_u32_e64 v63, null, v65, v63, vcc_lo
	v_min_f32_e32 v141, v144, v143
	v_min3_f32 v139, v140, v141, v139
	flat_store_dword v[62:63], v139
	s_or_b32 exec_lo, exec_lo, s12
	s_and_b32 s17, s1, s8
	s_and_saveexec_b32 s12, s17
	s_cbranch_execz .LBB18_100
.LBB18_110:
	v_cmp_ne_u32_e32 vcc_lo, 1, v123
	v_lshlrev_b64 v[62:63], 2, v[66:67]
	s_cbranch_vccnz .LBB18_112
; %bb.111:
	v_add_co_u32 v139, vcc_lo, v80, v62
	v_add_co_ci_u32_e64 v140, null, v81, v63, vcc_lo
	flat_load_dword v139, v[139:140]
	s_waitcnt vmcnt(0) lgkmcnt(0)
	v_mul_f32_e32 v139, s22, v139
	s_branch .LBB18_113
.LBB18_112:
	v_mov_b32_e32 v139, 0
.LBB18_113:
	v_add_f32_e32 v140, v31, v59
	v_add_f32_e32 v141, v30, v58
	v_add_f32_e32 v142, v33, v61
	v_add_f32_e32 v143, v32, v60
	v_add_co_u32 v62, vcc_lo, v64, v62
	v_min3_f32 v138, v141, v140, v138
	v_add_co_ci_u32_e64 v63, null, v65, v63, vcc_lo
	v_min_f32_e32 v140, v143, v142
	v_min3_f32 v138, v139, v140, v138
	flat_store_dword v[62:63], v138
	s_or_b32 exec_lo, exec_lo, s12
	s_and_b32 s17, s2, s8
	s_and_saveexec_b32 s12, s17
	s_cbranch_execz .LBB18_101
.LBB18_114:
	v_cmp_ne_u32_e32 vcc_lo, 1, v123
	v_lshlrev_b64 v[62:63], 2, v[68:69]
	s_cbranch_vccnz .LBB18_116
; %bb.115:
	v_add_co_u32 v138, vcc_lo, v80, v62
	v_add_co_ci_u32_e64 v139, null, v81, v63, vcc_lo
	flat_load_dword v138, v[138:139]
	s_waitcnt vmcnt(0) lgkmcnt(0)
	v_mul_f32_e32 v138, s22, v138
	s_branch .LBB18_117
.LBB18_116:
	v_mov_b32_e32 v138, 0
.LBB18_117:
	v_add_f32_e32 v139, v27, v59
	v_add_f32_e32 v140, v26, v58
	;; [unrolled: 1-line block ×4, first 2 shown]
	v_add_co_u32 v62, vcc_lo, v64, v62
	v_min3_f32 v137, v140, v139, v137
	v_add_co_ci_u32_e64 v63, null, v65, v63, vcc_lo
	v_min_f32_e32 v139, v142, v141
	v_min3_f32 v137, v138, v139, v137
	flat_store_dword v[62:63], v137
	s_or_b32 exec_lo, exec_lo, s12
	s_and_b32 s17, s3, s8
	s_and_saveexec_b32 s12, s17
	s_cbranch_execz .LBB18_102
.LBB18_118:
	v_cmp_ne_u32_e32 vcc_lo, 1, v123
	v_lshlrev_b64 v[62:63], 2, v[70:71]
	s_cbranch_vccnz .LBB18_120
; %bb.119:
	v_add_co_u32 v137, vcc_lo, v80, v62
	v_add_co_ci_u32_e64 v138, null, v81, v63, vcc_lo
	flat_load_dword v137, v[137:138]
	s_waitcnt vmcnt(0) lgkmcnt(0)
	v_mul_f32_e32 v137, s22, v137
	s_branch .LBB18_121
.LBB18_120:
	v_mov_b32_e32 v137, 0
.LBB18_121:
	v_add_f32_e32 v138, v23, v59
	v_add_f32_e32 v139, v22, v58
	;; [unrolled: 1-line block ×4, first 2 shown]
	v_add_co_u32 v62, vcc_lo, v64, v62
	v_min3_f32 v136, v139, v138, v136
	v_add_co_ci_u32_e64 v63, null, v65, v63, vcc_lo
	v_min_f32_e32 v138, v141, v140
	v_min3_f32 v136, v137, v138, v136
	flat_store_dword v[62:63], v136
	s_or_b32 exec_lo, exec_lo, s12
	s_and_b32 s17, s4, s8
	s_and_saveexec_b32 s12, s17
	s_cbranch_execz .LBB18_103
.LBB18_122:
	v_cmp_ne_u32_e32 vcc_lo, 1, v123
	v_lshlrev_b64 v[62:63], 2, v[72:73]
	s_cbranch_vccnz .LBB18_124
; %bb.123:
	v_add_co_u32 v136, vcc_lo, v80, v62
	v_add_co_ci_u32_e64 v137, null, v81, v63, vcc_lo
	flat_load_dword v136, v[136:137]
	s_waitcnt vmcnt(0) lgkmcnt(0)
	v_mul_f32_e32 v136, s22, v136
	s_branch .LBB18_125
.LBB18_124:
	v_mov_b32_e32 v136, 0
.LBB18_125:
	v_add_f32_e32 v137, v19, v59
	v_add_f32_e32 v138, v18, v58
	;; [unrolled: 1-line block ×4, first 2 shown]
	v_add_co_u32 v62, vcc_lo, v64, v62
	v_min3_f32 v135, v138, v137, v135
	v_add_co_ci_u32_e64 v63, null, v65, v63, vcc_lo
	v_min_f32_e32 v137, v140, v139
	v_min3_f32 v135, v136, v137, v135
	flat_store_dword v[62:63], v135
	s_or_b32 exec_lo, exec_lo, s12
	s_and_b32 s17, s5, s8
	s_and_saveexec_b32 s12, s17
	s_cbranch_execz .LBB18_104
.LBB18_126:
	v_cmp_ne_u32_e32 vcc_lo, 1, v123
	v_lshlrev_b64 v[62:63], 2, v[74:75]
	s_cbranch_vccnz .LBB18_128
; %bb.127:
	v_add_co_u32 v135, vcc_lo, v80, v62
	v_add_co_ci_u32_e64 v136, null, v81, v63, vcc_lo
	flat_load_dword v135, v[135:136]
	s_waitcnt vmcnt(0) lgkmcnt(0)
	v_mul_f32_e32 v135, s22, v135
	s_branch .LBB18_129
.LBB18_128:
	v_mov_b32_e32 v135, 0
.LBB18_129:
	v_add_f32_e32 v136, v15, v59
	v_add_f32_e32 v137, v14, v58
	;; [unrolled: 1-line block ×4, first 2 shown]
	v_add_co_u32 v62, vcc_lo, v64, v62
	v_min3_f32 v134, v137, v136, v134
	v_add_co_ci_u32_e64 v63, null, v65, v63, vcc_lo
	v_min_f32_e32 v136, v139, v138
	v_min3_f32 v134, v135, v136, v134
	flat_store_dword v[62:63], v134
	s_or_b32 exec_lo, exec_lo, s12
	s_and_b32 s17, s6, s8
	s_and_saveexec_b32 s12, s17
	s_cbranch_execz .LBB18_105
.LBB18_130:
	v_cmp_ne_u32_e32 vcc_lo, 1, v123
	v_lshlrev_b64 v[62:63], 2, v[76:77]
	s_cbranch_vccnz .LBB18_132
; %bb.131:
	v_add_co_u32 v134, vcc_lo, v80, v62
	v_add_co_ci_u32_e64 v135, null, v81, v63, vcc_lo
	flat_load_dword v134, v[134:135]
	s_waitcnt vmcnt(0) lgkmcnt(0)
	v_mul_f32_e32 v134, s22, v134
	s_branch .LBB18_133
.LBB18_132:
	v_mov_b32_e32 v134, 0
.LBB18_133:
	v_add_f32_e32 v135, v11, v59
	v_add_f32_e32 v136, v10, v58
	;; [unrolled: 1-line block ×4, first 2 shown]
	v_add_co_u32 v62, vcc_lo, v64, v62
	v_min3_f32 v133, v136, v135, v133
	v_add_co_ci_u32_e64 v63, null, v65, v63, vcc_lo
	v_min_f32_e32 v135, v138, v137
	v_min3_f32 v133, v134, v135, v133
	flat_store_dword v[62:63], v133
	s_or_b32 exec_lo, exec_lo, s12
	s_and_b32 s12, s7, s8
	s_and_saveexec_b32 s8, s12
	s_cbranch_execz .LBB18_138
.LBB18_134:
	v_cmp_ne_u32_e32 vcc_lo, 1, v123
	v_lshlrev_b64 v[62:63], 2, v[78:79]
	s_cbranch_vccnz .LBB18_136
; %bb.135:
	v_add_co_u32 v80, vcc_lo, v80, v62
	v_add_co_ci_u32_e64 v81, null, v81, v63, vcc_lo
	flat_load_dword v80, v[80:81]
	s_waitcnt vmcnt(0) lgkmcnt(0)
	v_mul_f32_e32 v80, s22, v80
	s_branch .LBB18_137
.LBB18_136:
	v_mov_b32_e32 v80, 0
.LBB18_137:
	v_add_f32_e32 v59, v3, v59
	v_add_f32_e32 v58, v2, v58
	;; [unrolled: 1-line block ×4, first 2 shown]
	v_min3_f32 v58, v58, v59, v131
	v_min_f32_e32 v59, v60, v61
	v_min3_f32 v60, v80, v59, v58
	v_add_co_u32 v58, vcc_lo, v64, v62
	v_add_co_ci_u32_e64 v59, null, v65, v63, vcc_lo
	flat_store_dword v[58:59], v60
.LBB18_138:
	s_or_b32 exec_lo, exec_lo, s8
	v_add_nc_u32_e32 v62, 64, v132
	v_mad_i64_i32 v[58:59], null, v62, s14, 0
	v_mad_i64_i32 v[60:61], null, v62, s9, 0
	v_cmp_gt_i32_e64 s8, s13, v62
	v_lshlrev_b64 v[58:59], 2, v[58:59]
	s_and_b32 s17, s0, s8
	v_lshlrev_b64 v[60:61], 2, v[60:61]
	v_add_co_u32 v62, vcc_lo, s10, v58
	v_add_co_ci_u32_e64 v63, null, s11, v59, vcc_lo
	v_add_co_u32 v60, vcc_lo, s15, v60
	v_add_co_ci_u32_e64 v61, null, s16, v61, vcc_lo
	s_and_saveexec_b32 s12, s17
	s_cbranch_execnz .LBB18_146
; %bb.139:
	s_or_b32 exec_lo, exec_lo, s12
	s_and_b32 s17, s1, s8
	s_and_saveexec_b32 s12, s17
	s_cbranch_execnz .LBB18_150
.LBB18_140:
	s_or_b32 exec_lo, exec_lo, s12
	s_and_b32 s17, s2, s8
	s_and_saveexec_b32 s12, s17
	s_cbranch_execnz .LBB18_154
.LBB18_141:
	s_or_b32 exec_lo, exec_lo, s12
	s_and_b32 s17, s3, s8
	s_and_saveexec_b32 s12, s17
	s_cbranch_execnz .LBB18_158
.LBB18_142:
	s_or_b32 exec_lo, exec_lo, s12
	s_and_b32 s17, s4, s8
	s_and_saveexec_b32 s12, s17
	s_cbranch_execnz .LBB18_162
.LBB18_143:
	s_or_b32 exec_lo, exec_lo, s12
	s_and_b32 s17, s5, s8
	s_and_saveexec_b32 s12, s17
	s_cbranch_execnz .LBB18_166
.LBB18_144:
	s_or_b32 exec_lo, exec_lo, s12
	s_and_b32 s17, s6, s8
	s_and_saveexec_b32 s12, s17
	s_cbranch_execnz .LBB18_170
.LBB18_145:
	s_or_b32 exec_lo, exec_lo, s12
	s_and_b32 s12, s7, s8
	s_and_saveexec_b32 s8, s12
	s_cbranch_execnz .LBB18_174
	s_branch .LBB18_178
.LBB18_146:
	v_cmp_ne_u32_e32 vcc_lo, 1, v123
	v_lshlrev_b64 v[58:59], 2, v[0:1]
	s_cbranch_vccnz .LBB18_148
; %bb.147:
	v_add_co_u32 v64, vcc_lo, v62, v58
	v_add_co_ci_u32_e64 v65, null, v63, v59, vcc_lo
	flat_load_dword v64, v[64:65]
	s_waitcnt vmcnt(0) lgkmcnt(0)
	v_mul_f32_e32 v64, s22, v64
	s_branch .LBB18_149
.LBB18_148:
	v_mov_b32_e32 v64, 0
.LBB18_149:
	v_add_f32_e32 v65, v35, v55
	v_add_f32_e32 v80, v34, v54
	;; [unrolled: 1-line block ×4, first 2 shown]
	v_add_co_u32 v58, vcc_lo, v60, v58
	v_min3_f32 v65, v80, v65, v130
	v_add_co_ci_u32_e64 v59, null, v61, v59, vcc_lo
	v_min_f32_e32 v80, v131, v81
	v_min3_f32 v64, v64, v80, v65
	flat_store_dword v[58:59], v64
	s_or_b32 exec_lo, exec_lo, s12
	s_and_b32 s17, s1, s8
	s_and_saveexec_b32 s12, s17
	s_cbranch_execz .LBB18_140
.LBB18_150:
	v_cmp_ne_u32_e32 vcc_lo, 1, v123
	v_lshlrev_b64 v[58:59], 2, v[66:67]
	s_cbranch_vccnz .LBB18_152
; %bb.151:
	v_add_co_u32 v64, vcc_lo, v62, v58
	v_add_co_ci_u32_e64 v65, null, v63, v59, vcc_lo
	flat_load_dword v64, v[64:65]
	s_waitcnt vmcnt(0) lgkmcnt(0)
	v_mul_f32_e32 v64, s22, v64
	s_branch .LBB18_153
.LBB18_152:
	v_mov_b32_e32 v64, 0
.LBB18_153:
	v_add_f32_e32 v65, v31, v55
	v_add_f32_e32 v80, v30, v54
	;; [unrolled: 1-line block ×4, first 2 shown]
	v_add_co_u32 v58, vcc_lo, v60, v58
	v_min3_f32 v65, v80, v65, v129
	v_add_co_ci_u32_e64 v59, null, v61, v59, vcc_lo
	v_min_f32_e32 v80, v130, v81
	v_min3_f32 v64, v64, v80, v65
	flat_store_dword v[58:59], v64
	s_or_b32 exec_lo, exec_lo, s12
	s_and_b32 s17, s2, s8
	s_and_saveexec_b32 s12, s17
	s_cbranch_execz .LBB18_141
.LBB18_154:
	v_cmp_ne_u32_e32 vcc_lo, 1, v123
	v_lshlrev_b64 v[58:59], 2, v[68:69]
	s_cbranch_vccnz .LBB18_156
; %bb.155:
	v_add_co_u32 v64, vcc_lo, v62, v58
	v_add_co_ci_u32_e64 v65, null, v63, v59, vcc_lo
	flat_load_dword v64, v[64:65]
	s_waitcnt vmcnt(0) lgkmcnt(0)
	v_mul_f32_e32 v64, s22, v64
	s_branch .LBB18_157
.LBB18_156:
	v_mov_b32_e32 v64, 0
.LBB18_157:
	v_add_f32_e32 v65, v27, v55
	v_add_f32_e32 v80, v26, v54
	;; [unrolled: 1-line block ×4, first 2 shown]
	v_add_co_u32 v58, vcc_lo, v60, v58
	v_min3_f32 v65, v80, v65, v128
	v_add_co_ci_u32_e64 v59, null, v61, v59, vcc_lo
	v_min_f32_e32 v80, v129, v81
	v_min3_f32 v64, v64, v80, v65
	flat_store_dword v[58:59], v64
	s_or_b32 exec_lo, exec_lo, s12
	s_and_b32 s17, s3, s8
	s_and_saveexec_b32 s12, s17
	s_cbranch_execz .LBB18_142
.LBB18_158:
	v_cmp_ne_u32_e32 vcc_lo, 1, v123
	v_lshlrev_b64 v[58:59], 2, v[70:71]
	s_cbranch_vccnz .LBB18_160
; %bb.159:
	v_add_co_u32 v64, vcc_lo, v62, v58
	v_add_co_ci_u32_e64 v65, null, v63, v59, vcc_lo
	flat_load_dword v64, v[64:65]
	s_waitcnt vmcnt(0) lgkmcnt(0)
	v_mul_f32_e32 v64, s22, v64
	s_branch .LBB18_161
.LBB18_160:
	v_mov_b32_e32 v64, 0
.LBB18_161:
	v_add_f32_e32 v65, v23, v55
	v_add_f32_e32 v80, v22, v54
	;; [unrolled: 1-line block ×4, first 2 shown]
	v_add_co_u32 v58, vcc_lo, v60, v58
	v_min3_f32 v65, v80, v65, v127
	v_add_co_ci_u32_e64 v59, null, v61, v59, vcc_lo
	v_min_f32_e32 v80, v128, v81
	v_min3_f32 v64, v64, v80, v65
	flat_store_dword v[58:59], v64
	s_or_b32 exec_lo, exec_lo, s12
	s_and_b32 s17, s4, s8
	s_and_saveexec_b32 s12, s17
	s_cbranch_execz .LBB18_143
.LBB18_162:
	v_cmp_ne_u32_e32 vcc_lo, 1, v123
	v_lshlrev_b64 v[58:59], 2, v[72:73]
	s_cbranch_vccnz .LBB18_164
; %bb.163:
	v_add_co_u32 v64, vcc_lo, v62, v58
	v_add_co_ci_u32_e64 v65, null, v63, v59, vcc_lo
	flat_load_dword v64, v[64:65]
	s_waitcnt vmcnt(0) lgkmcnt(0)
	v_mul_f32_e32 v64, s22, v64
	s_branch .LBB18_165
.LBB18_164:
	v_mov_b32_e32 v64, 0
.LBB18_165:
	v_add_f32_e32 v65, v19, v55
	v_add_f32_e32 v80, v18, v54
	;; [unrolled: 1-line block ×4, first 2 shown]
	v_add_co_u32 v58, vcc_lo, v60, v58
	v_min3_f32 v65, v80, v65, v126
	v_add_co_ci_u32_e64 v59, null, v61, v59, vcc_lo
	v_min_f32_e32 v80, v127, v81
	v_min3_f32 v64, v64, v80, v65
	flat_store_dword v[58:59], v64
	s_or_b32 exec_lo, exec_lo, s12
	s_and_b32 s17, s5, s8
	s_and_saveexec_b32 s12, s17
	s_cbranch_execz .LBB18_144
.LBB18_166:
	v_cmp_ne_u32_e32 vcc_lo, 1, v123
	v_lshlrev_b64 v[58:59], 2, v[74:75]
	s_cbranch_vccnz .LBB18_168
; %bb.167:
	v_add_co_u32 v64, vcc_lo, v62, v58
	v_add_co_ci_u32_e64 v65, null, v63, v59, vcc_lo
	flat_load_dword v64, v[64:65]
	s_waitcnt vmcnt(0) lgkmcnt(0)
	v_mul_f32_e32 v64, s22, v64
	s_branch .LBB18_169
.LBB18_168:
	v_mov_b32_e32 v64, 0
.LBB18_169:
	v_add_f32_e32 v65, v15, v55
	v_add_f32_e32 v80, v14, v54
	;; [unrolled: 1-line block ×4, first 2 shown]
	v_add_co_u32 v58, vcc_lo, v60, v58
	v_min3_f32 v65, v80, v65, v125
	v_add_co_ci_u32_e64 v59, null, v61, v59, vcc_lo
	v_min_f32_e32 v80, v126, v81
	v_min3_f32 v64, v64, v80, v65
	flat_store_dword v[58:59], v64
	s_or_b32 exec_lo, exec_lo, s12
	s_and_b32 s17, s6, s8
	s_and_saveexec_b32 s12, s17
	s_cbranch_execz .LBB18_145
.LBB18_170:
	v_cmp_ne_u32_e32 vcc_lo, 1, v123
	v_lshlrev_b64 v[58:59], 2, v[76:77]
	s_cbranch_vccnz .LBB18_172
; %bb.171:
	v_add_co_u32 v64, vcc_lo, v62, v58
	v_add_co_ci_u32_e64 v65, null, v63, v59, vcc_lo
	flat_load_dword v64, v[64:65]
	s_waitcnt vmcnt(0) lgkmcnt(0)
	v_mul_f32_e32 v64, s22, v64
	s_branch .LBB18_173
.LBB18_172:
	v_mov_b32_e32 v64, 0
.LBB18_173:
	v_add_f32_e32 v65, v11, v55
	v_add_f32_e32 v80, v10, v54
	;; [unrolled: 1-line block ×4, first 2 shown]
	v_add_co_u32 v58, vcc_lo, v60, v58
	v_min3_f32 v65, v80, v65, v124
	v_add_co_ci_u32_e64 v59, null, v61, v59, vcc_lo
	v_min_f32_e32 v80, v125, v81
	v_min3_f32 v64, v64, v80, v65
	flat_store_dword v[58:59], v64
	s_or_b32 exec_lo, exec_lo, s12
	s_and_b32 s12, s7, s8
	s_and_saveexec_b32 s8, s12
	s_cbranch_execz .LBB18_178
.LBB18_174:
	v_cmp_ne_u32_e32 vcc_lo, 1, v123
	v_lshlrev_b64 v[58:59], 2, v[78:79]
	s_cbranch_vccnz .LBB18_176
; %bb.175:
	v_add_co_u32 v62, vcc_lo, v62, v58
	v_add_co_ci_u32_e64 v63, null, v63, v59, vcc_lo
	flat_load_dword v62, v[62:63]
	s_waitcnt vmcnt(0) lgkmcnt(0)
	v_mul_f32_e32 v62, s22, v62
	s_branch .LBB18_177
.LBB18_176:
	v_mov_b32_e32 v62, 0
.LBB18_177:
	v_add_f32_e32 v55, v3, v55
	v_add_f32_e32 v54, v2, v54
	v_add_f32_e32 v57, v5, v57
	v_add_f32_e32 v56, v4, v56
	v_min3_f32 v54, v54, v55, v121
	v_min_f32_e32 v55, v56, v57
	v_min3_f32 v56, v62, v55, v54
	v_add_co_u32 v54, vcc_lo, v60, v58
	v_add_co_ci_u32_e64 v55, null, v61, v59, vcc_lo
	flat_store_dword v[54:55], v56
.LBB18_178:
	s_or_b32 exec_lo, exec_lo, s8
	v_add_nc_u32_e32 v58, 0x60, v132
	v_mad_i64_i32 v[54:55], null, v58, s14, 0
	v_mad_i64_i32 v[56:57], null, v58, s9, 0
	v_cmp_gt_i32_e64 s8, s13, v58
	v_lshlrev_b64 v[54:55], 2, v[54:55]
	s_and_b32 s17, s0, s8
	v_lshlrev_b64 v[56:57], 2, v[56:57]
	v_add_co_u32 v58, vcc_lo, s10, v54
	v_add_co_ci_u32_e64 v59, null, s11, v55, vcc_lo
	v_add_co_u32 v56, vcc_lo, s15, v56
	v_add_co_ci_u32_e64 v57, null, s16, v57, vcc_lo
	s_and_saveexec_b32 s12, s17
	s_cbranch_execnz .LBB18_186
; %bb.179:
	s_or_b32 exec_lo, exec_lo, s12
	s_and_b32 s17, s1, s8
	s_and_saveexec_b32 s12, s17
	s_cbranch_execnz .LBB18_190
.LBB18_180:
	s_or_b32 exec_lo, exec_lo, s12
	s_and_b32 s17, s2, s8
	s_and_saveexec_b32 s12, s17
	s_cbranch_execnz .LBB18_194
.LBB18_181:
	s_or_b32 exec_lo, exec_lo, s12
	s_and_b32 s17, s3, s8
	s_and_saveexec_b32 s12, s17
	s_cbranch_execnz .LBB18_198
.LBB18_182:
	s_or_b32 exec_lo, exec_lo, s12
	s_and_b32 s17, s4, s8
	s_and_saveexec_b32 s12, s17
	s_cbranch_execnz .LBB18_202
.LBB18_183:
	s_or_b32 exec_lo, exec_lo, s12
	s_and_b32 s17, s5, s8
	s_and_saveexec_b32 s12, s17
	s_cbranch_execnz .LBB18_206
.LBB18_184:
	s_or_b32 exec_lo, exec_lo, s12
	s_and_b32 s17, s6, s8
	s_and_saveexec_b32 s12, s17
	s_cbranch_execnz .LBB18_210
.LBB18_185:
	s_or_b32 exec_lo, exec_lo, s12
	s_and_b32 s12, s7, s8
	s_and_saveexec_b32 s8, s12
	s_cbranch_execnz .LBB18_214
	s_branch .LBB18_218
.LBB18_186:
	v_cmp_ne_u32_e32 vcc_lo, 1, v123
	v_lshlrev_b64 v[54:55], 2, v[0:1]
	s_cbranch_vccnz .LBB18_188
; %bb.187:
	v_add_co_u32 v60, vcc_lo, v58, v54
	v_add_co_ci_u32_e64 v61, null, v59, v55, vcc_lo
	flat_load_dword v60, v[60:61]
	s_waitcnt vmcnt(0) lgkmcnt(0)
	v_mul_f32_e32 v60, s22, v60
	s_branch .LBB18_189
.LBB18_188:
	v_mov_b32_e32 v60, 0
.LBB18_189:
	v_add_f32_e32 v61, v35, v51
	v_add_f32_e32 v62, v34, v50
	;; [unrolled: 1-line block ×4, first 2 shown]
	v_add_co_u32 v54, vcc_lo, v56, v54
	v_min3_f32 v61, v62, v61, v122
	v_add_co_ci_u32_e64 v55, null, v57, v55, vcc_lo
	v_min_f32_e32 v62, v64, v63
	v_min3_f32 v60, v60, v62, v61
	flat_store_dword v[54:55], v60
	s_or_b32 exec_lo, exec_lo, s12
	s_and_b32 s17, s1, s8
	s_and_saveexec_b32 s12, s17
	s_cbranch_execz .LBB18_180
.LBB18_190:
	v_cmp_ne_u32_e32 vcc_lo, 1, v123
	v_lshlrev_b64 v[54:55], 2, v[66:67]
	s_cbranch_vccnz .LBB18_192
; %bb.191:
	v_add_co_u32 v60, vcc_lo, v58, v54
	v_add_co_ci_u32_e64 v61, null, v59, v55, vcc_lo
	flat_load_dword v60, v[60:61]
	s_waitcnt vmcnt(0) lgkmcnt(0)
	v_mul_f32_e32 v60, s22, v60
	s_branch .LBB18_193
.LBB18_192:
	v_mov_b32_e32 v60, 0
.LBB18_193:
	v_add_f32_e32 v61, v31, v51
	v_add_f32_e32 v62, v30, v50
	;; [unrolled: 1-line block ×4, first 2 shown]
	v_add_co_u32 v54, vcc_lo, v56, v54
	v_min3_f32 v61, v62, v61, v120
	v_add_co_ci_u32_e64 v55, null, v57, v55, vcc_lo
	v_min_f32_e32 v62, v64, v63
	v_min3_f32 v60, v60, v62, v61
	flat_store_dword v[54:55], v60
	s_or_b32 exec_lo, exec_lo, s12
	s_and_b32 s17, s2, s8
	s_and_saveexec_b32 s12, s17
	s_cbranch_execz .LBB18_181
.LBB18_194:
	v_cmp_ne_u32_e32 vcc_lo, 1, v123
	v_lshlrev_b64 v[54:55], 2, v[68:69]
	s_cbranch_vccnz .LBB18_196
; %bb.195:
	v_add_co_u32 v60, vcc_lo, v58, v54
	v_add_co_ci_u32_e64 v61, null, v59, v55, vcc_lo
	flat_load_dword v60, v[60:61]
	s_waitcnt vmcnt(0) lgkmcnt(0)
	v_mul_f32_e32 v60, s22, v60
	s_branch .LBB18_197
.LBB18_196:
	v_mov_b32_e32 v60, 0
.LBB18_197:
	v_add_f32_e32 v61, v27, v51
	v_add_f32_e32 v62, v26, v50
	;; [unrolled: 1-line block ×4, first 2 shown]
	v_add_co_u32 v54, vcc_lo, v56, v54
	v_min3_f32 v61, v62, v61, v119
	v_add_co_ci_u32_e64 v55, null, v57, v55, vcc_lo
	v_min_f32_e32 v62, v64, v63
	v_min3_f32 v60, v60, v62, v61
	flat_store_dword v[54:55], v60
	s_or_b32 exec_lo, exec_lo, s12
	s_and_b32 s17, s3, s8
	s_and_saveexec_b32 s12, s17
	s_cbranch_execz .LBB18_182
.LBB18_198:
	v_cmp_ne_u32_e32 vcc_lo, 1, v123
	v_lshlrev_b64 v[54:55], 2, v[70:71]
	s_cbranch_vccnz .LBB18_200
; %bb.199:
	v_add_co_u32 v60, vcc_lo, v58, v54
	v_add_co_ci_u32_e64 v61, null, v59, v55, vcc_lo
	flat_load_dword v60, v[60:61]
	s_waitcnt vmcnt(0) lgkmcnt(0)
	v_mul_f32_e32 v60, s22, v60
	s_branch .LBB18_201
.LBB18_200:
	v_mov_b32_e32 v60, 0
.LBB18_201:
	v_add_f32_e32 v61, v23, v51
	v_add_f32_e32 v62, v22, v50
	;; [unrolled: 1-line block ×4, first 2 shown]
	v_add_co_u32 v54, vcc_lo, v56, v54
	v_min3_f32 v61, v62, v61, v118
	v_add_co_ci_u32_e64 v55, null, v57, v55, vcc_lo
	v_min_f32_e32 v62, v64, v63
	v_min3_f32 v60, v60, v62, v61
	flat_store_dword v[54:55], v60
	s_or_b32 exec_lo, exec_lo, s12
	s_and_b32 s17, s4, s8
	s_and_saveexec_b32 s12, s17
	s_cbranch_execz .LBB18_183
.LBB18_202:
	v_cmp_ne_u32_e32 vcc_lo, 1, v123
	v_lshlrev_b64 v[54:55], 2, v[72:73]
	s_cbranch_vccnz .LBB18_204
; %bb.203:
	v_add_co_u32 v60, vcc_lo, v58, v54
	v_add_co_ci_u32_e64 v61, null, v59, v55, vcc_lo
	flat_load_dword v60, v[60:61]
	s_waitcnt vmcnt(0) lgkmcnt(0)
	v_mul_f32_e32 v60, s22, v60
	s_branch .LBB18_205
.LBB18_204:
	v_mov_b32_e32 v60, 0
.LBB18_205:
	v_add_f32_e32 v61, v19, v51
	v_add_f32_e32 v62, v18, v50
	v_add_f32_e32 v63, v21, v53
	v_add_f32_e32 v64, v20, v52
	v_add_co_u32 v54, vcc_lo, v56, v54
	v_min3_f32 v61, v62, v61, v117
	v_add_co_ci_u32_e64 v55, null, v57, v55, vcc_lo
	v_min_f32_e32 v62, v64, v63
	v_min3_f32 v60, v60, v62, v61
	flat_store_dword v[54:55], v60
	s_or_b32 exec_lo, exec_lo, s12
	s_and_b32 s17, s5, s8
	s_and_saveexec_b32 s12, s17
	s_cbranch_execz .LBB18_184
.LBB18_206:
	v_cmp_ne_u32_e32 vcc_lo, 1, v123
	v_lshlrev_b64 v[54:55], 2, v[74:75]
	s_cbranch_vccnz .LBB18_208
; %bb.207:
	v_add_co_u32 v60, vcc_lo, v58, v54
	v_add_co_ci_u32_e64 v61, null, v59, v55, vcc_lo
	flat_load_dword v60, v[60:61]
	s_waitcnt vmcnt(0) lgkmcnt(0)
	v_mul_f32_e32 v60, s22, v60
	s_branch .LBB18_209
.LBB18_208:
	v_mov_b32_e32 v60, 0
.LBB18_209:
	v_add_f32_e32 v61, v15, v51
	v_add_f32_e32 v62, v14, v50
	;; [unrolled: 1-line block ×4, first 2 shown]
	v_add_co_u32 v54, vcc_lo, v56, v54
	v_min3_f32 v61, v62, v61, v116
	v_add_co_ci_u32_e64 v55, null, v57, v55, vcc_lo
	v_min_f32_e32 v62, v64, v63
	v_min3_f32 v60, v60, v62, v61
	flat_store_dword v[54:55], v60
	s_or_b32 exec_lo, exec_lo, s12
	s_and_b32 s17, s6, s8
	s_and_saveexec_b32 s12, s17
	s_cbranch_execz .LBB18_185
.LBB18_210:
	v_cmp_ne_u32_e32 vcc_lo, 1, v123
	v_lshlrev_b64 v[54:55], 2, v[76:77]
	s_cbranch_vccnz .LBB18_212
; %bb.211:
	v_add_co_u32 v60, vcc_lo, v58, v54
	v_add_co_ci_u32_e64 v61, null, v59, v55, vcc_lo
	flat_load_dword v60, v[60:61]
	s_waitcnt vmcnt(0) lgkmcnt(0)
	v_mul_f32_e32 v60, s22, v60
	s_branch .LBB18_213
.LBB18_212:
	v_mov_b32_e32 v60, 0
.LBB18_213:
	v_add_f32_e32 v61, v11, v51
	v_add_f32_e32 v62, v10, v50
	;; [unrolled: 1-line block ×4, first 2 shown]
	v_add_co_u32 v54, vcc_lo, v56, v54
	v_min3_f32 v61, v62, v61, v115
	v_add_co_ci_u32_e64 v55, null, v57, v55, vcc_lo
	v_min_f32_e32 v62, v64, v63
	v_min3_f32 v60, v60, v62, v61
	flat_store_dword v[54:55], v60
	s_or_b32 exec_lo, exec_lo, s12
	s_and_b32 s12, s7, s8
	s_and_saveexec_b32 s8, s12
	s_cbranch_execz .LBB18_218
.LBB18_214:
	v_cmp_ne_u32_e32 vcc_lo, 1, v123
	v_lshlrev_b64 v[54:55], 2, v[78:79]
	s_cbranch_vccnz .LBB18_216
; %bb.215:
	v_add_co_u32 v58, vcc_lo, v58, v54
	v_add_co_ci_u32_e64 v59, null, v59, v55, vcc_lo
	flat_load_dword v58, v[58:59]
	s_waitcnt vmcnt(0) lgkmcnt(0)
	v_mul_f32_e32 v58, s22, v58
	s_branch .LBB18_217
.LBB18_216:
	v_mov_b32_e32 v58, 0
.LBB18_217:
	v_add_f32_e32 v51, v3, v51
	v_add_f32_e32 v50, v2, v50
	;; [unrolled: 1-line block ×4, first 2 shown]
	v_min3_f32 v50, v50, v51, v114
	v_min_f32_e32 v51, v52, v53
	v_min3_f32 v52, v58, v51, v50
	v_add_co_u32 v50, vcc_lo, v56, v54
	v_add_co_ci_u32_e64 v51, null, v57, v55, vcc_lo
	flat_store_dword v[50:51], v52
.LBB18_218:
	s_or_b32 exec_lo, exec_lo, s8
	v_add_nc_u32_e32 v54, 0x80, v132
	v_mad_i64_i32 v[50:51], null, v54, s14, 0
	v_mad_i64_i32 v[52:53], null, v54, s9, 0
	v_cmp_gt_i32_e64 s8, s13, v54
	v_lshlrev_b64 v[50:51], 2, v[50:51]
	s_and_b32 s17, s0, s8
	v_lshlrev_b64 v[52:53], 2, v[52:53]
	v_add_co_u32 v54, vcc_lo, s10, v50
	v_add_co_ci_u32_e64 v55, null, s11, v51, vcc_lo
	v_add_co_u32 v52, vcc_lo, s15, v52
	v_add_co_ci_u32_e64 v53, null, s16, v53, vcc_lo
	s_and_saveexec_b32 s12, s17
	s_cbranch_execnz .LBB18_226
; %bb.219:
	s_or_b32 exec_lo, exec_lo, s12
	s_and_b32 s17, s1, s8
	s_and_saveexec_b32 s12, s17
	s_cbranch_execnz .LBB18_230
.LBB18_220:
	s_or_b32 exec_lo, exec_lo, s12
	s_and_b32 s17, s2, s8
	s_and_saveexec_b32 s12, s17
	s_cbranch_execnz .LBB18_234
.LBB18_221:
	s_or_b32 exec_lo, exec_lo, s12
	s_and_b32 s17, s3, s8
	s_and_saveexec_b32 s12, s17
	s_cbranch_execnz .LBB18_238
.LBB18_222:
	s_or_b32 exec_lo, exec_lo, s12
	s_and_b32 s17, s4, s8
	s_and_saveexec_b32 s12, s17
	s_cbranch_execnz .LBB18_242
.LBB18_223:
	s_or_b32 exec_lo, exec_lo, s12
	s_and_b32 s17, s5, s8
	s_and_saveexec_b32 s12, s17
	s_cbranch_execnz .LBB18_246
.LBB18_224:
	s_or_b32 exec_lo, exec_lo, s12
	s_and_b32 s17, s6, s8
	s_and_saveexec_b32 s12, s17
	s_cbranch_execnz .LBB18_250
.LBB18_225:
	s_or_b32 exec_lo, exec_lo, s12
	s_and_b32 s12, s7, s8
	s_and_saveexec_b32 s8, s12
	s_cbranch_execnz .LBB18_254
	s_branch .LBB18_258
.LBB18_226:
	v_cmp_ne_u32_e32 vcc_lo, 1, v123
	v_lshlrev_b64 v[50:51], 2, v[0:1]
	s_cbranch_vccnz .LBB18_228
; %bb.227:
	v_add_co_u32 v56, vcc_lo, v54, v50
	v_add_co_ci_u32_e64 v57, null, v55, v51, vcc_lo
	flat_load_dword v56, v[56:57]
	s_waitcnt vmcnt(0) lgkmcnt(0)
	v_mul_f32_e32 v56, s22, v56
	s_branch .LBB18_229
.LBB18_228:
	v_mov_b32_e32 v56, 0
.LBB18_229:
	v_add_f32_e32 v57, v35, v47
	v_add_f32_e32 v58, v34, v46
	;; [unrolled: 1-line block ×4, first 2 shown]
	v_add_co_u32 v50, vcc_lo, v52, v50
	v_min3_f32 v57, v58, v57, v113
	v_add_co_ci_u32_e64 v51, null, v53, v51, vcc_lo
	v_min_f32_e32 v58, v60, v59
	v_min3_f32 v56, v56, v58, v57
	flat_store_dword v[50:51], v56
	s_or_b32 exec_lo, exec_lo, s12
	s_and_b32 s17, s1, s8
	s_and_saveexec_b32 s12, s17
	s_cbranch_execz .LBB18_220
.LBB18_230:
	v_cmp_ne_u32_e32 vcc_lo, 1, v123
	v_lshlrev_b64 v[50:51], 2, v[66:67]
	s_cbranch_vccnz .LBB18_232
; %bb.231:
	v_add_co_u32 v56, vcc_lo, v54, v50
	v_add_co_ci_u32_e64 v57, null, v55, v51, vcc_lo
	flat_load_dword v56, v[56:57]
	s_waitcnt vmcnt(0) lgkmcnt(0)
	v_mul_f32_e32 v56, s22, v56
	s_branch .LBB18_233
.LBB18_232:
	v_mov_b32_e32 v56, 0
.LBB18_233:
	v_add_f32_e32 v57, v31, v47
	v_add_f32_e32 v58, v30, v46
	v_add_f32_e32 v59, v33, v49
	v_add_f32_e32 v60, v32, v48
	v_add_co_u32 v50, vcc_lo, v52, v50
	v_min3_f32 v57, v58, v57, v112
	v_add_co_ci_u32_e64 v51, null, v53, v51, vcc_lo
	v_min_f32_e32 v58, v60, v59
	v_min3_f32 v56, v56, v58, v57
	flat_store_dword v[50:51], v56
	s_or_b32 exec_lo, exec_lo, s12
	s_and_b32 s17, s2, s8
	s_and_saveexec_b32 s12, s17
	s_cbranch_execz .LBB18_221
.LBB18_234:
	v_cmp_ne_u32_e32 vcc_lo, 1, v123
	v_lshlrev_b64 v[50:51], 2, v[68:69]
	s_cbranch_vccnz .LBB18_236
; %bb.235:
	v_add_co_u32 v56, vcc_lo, v54, v50
	v_add_co_ci_u32_e64 v57, null, v55, v51, vcc_lo
	flat_load_dword v56, v[56:57]
	s_waitcnt vmcnt(0) lgkmcnt(0)
	v_mul_f32_e32 v56, s22, v56
	s_branch .LBB18_237
.LBB18_236:
	v_mov_b32_e32 v56, 0
.LBB18_237:
	v_add_f32_e32 v57, v27, v47
	v_add_f32_e32 v58, v26, v46
	;; [unrolled: 1-line block ×4, first 2 shown]
	v_add_co_u32 v50, vcc_lo, v52, v50
	v_min3_f32 v57, v58, v57, v111
	v_add_co_ci_u32_e64 v51, null, v53, v51, vcc_lo
	v_min_f32_e32 v58, v60, v59
	v_min3_f32 v56, v56, v58, v57
	flat_store_dword v[50:51], v56
	s_or_b32 exec_lo, exec_lo, s12
	s_and_b32 s17, s3, s8
	s_and_saveexec_b32 s12, s17
	s_cbranch_execz .LBB18_222
.LBB18_238:
	v_cmp_ne_u32_e32 vcc_lo, 1, v123
	v_lshlrev_b64 v[50:51], 2, v[70:71]
	s_cbranch_vccnz .LBB18_240
; %bb.239:
	v_add_co_u32 v56, vcc_lo, v54, v50
	v_add_co_ci_u32_e64 v57, null, v55, v51, vcc_lo
	flat_load_dword v56, v[56:57]
	s_waitcnt vmcnt(0) lgkmcnt(0)
	v_mul_f32_e32 v56, s22, v56
	s_branch .LBB18_241
.LBB18_240:
	v_mov_b32_e32 v56, 0
.LBB18_241:
	v_add_f32_e32 v57, v23, v47
	v_add_f32_e32 v58, v22, v46
	;; [unrolled: 1-line block ×4, first 2 shown]
	v_add_co_u32 v50, vcc_lo, v52, v50
	v_min3_f32 v57, v58, v57, v110
	v_add_co_ci_u32_e64 v51, null, v53, v51, vcc_lo
	v_min_f32_e32 v58, v60, v59
	v_min3_f32 v56, v56, v58, v57
	flat_store_dword v[50:51], v56
	s_or_b32 exec_lo, exec_lo, s12
	s_and_b32 s17, s4, s8
	s_and_saveexec_b32 s12, s17
	s_cbranch_execz .LBB18_223
.LBB18_242:
	v_cmp_ne_u32_e32 vcc_lo, 1, v123
	v_lshlrev_b64 v[50:51], 2, v[72:73]
	s_cbranch_vccnz .LBB18_244
; %bb.243:
	v_add_co_u32 v56, vcc_lo, v54, v50
	v_add_co_ci_u32_e64 v57, null, v55, v51, vcc_lo
	flat_load_dword v56, v[56:57]
	s_waitcnt vmcnt(0) lgkmcnt(0)
	v_mul_f32_e32 v56, s22, v56
	s_branch .LBB18_245
.LBB18_244:
	v_mov_b32_e32 v56, 0
.LBB18_245:
	v_add_f32_e32 v57, v19, v47
	v_add_f32_e32 v58, v18, v46
	;; [unrolled: 1-line block ×4, first 2 shown]
	v_add_co_u32 v50, vcc_lo, v52, v50
	v_min3_f32 v57, v58, v57, v109
	v_add_co_ci_u32_e64 v51, null, v53, v51, vcc_lo
	v_min_f32_e32 v58, v60, v59
	v_min3_f32 v56, v56, v58, v57
	flat_store_dword v[50:51], v56
	s_or_b32 exec_lo, exec_lo, s12
	s_and_b32 s17, s5, s8
	s_and_saveexec_b32 s12, s17
	s_cbranch_execz .LBB18_224
.LBB18_246:
	v_cmp_ne_u32_e32 vcc_lo, 1, v123
	v_lshlrev_b64 v[50:51], 2, v[74:75]
	s_cbranch_vccnz .LBB18_248
; %bb.247:
	v_add_co_u32 v56, vcc_lo, v54, v50
	v_add_co_ci_u32_e64 v57, null, v55, v51, vcc_lo
	flat_load_dword v56, v[56:57]
	s_waitcnt vmcnt(0) lgkmcnt(0)
	v_mul_f32_e32 v56, s22, v56
	s_branch .LBB18_249
.LBB18_248:
	v_mov_b32_e32 v56, 0
.LBB18_249:
	v_add_f32_e32 v57, v15, v47
	v_add_f32_e32 v58, v14, v46
	;; [unrolled: 1-line block ×4, first 2 shown]
	v_add_co_u32 v50, vcc_lo, v52, v50
	v_min3_f32 v57, v58, v57, v108
	v_add_co_ci_u32_e64 v51, null, v53, v51, vcc_lo
	v_min_f32_e32 v58, v60, v59
	v_min3_f32 v56, v56, v58, v57
	flat_store_dword v[50:51], v56
	s_or_b32 exec_lo, exec_lo, s12
	s_and_b32 s17, s6, s8
	s_and_saveexec_b32 s12, s17
	s_cbranch_execz .LBB18_225
.LBB18_250:
	v_cmp_ne_u32_e32 vcc_lo, 1, v123
	v_lshlrev_b64 v[50:51], 2, v[76:77]
	s_cbranch_vccnz .LBB18_252
; %bb.251:
	v_add_co_u32 v56, vcc_lo, v54, v50
	v_add_co_ci_u32_e64 v57, null, v55, v51, vcc_lo
	flat_load_dword v56, v[56:57]
	s_waitcnt vmcnt(0) lgkmcnt(0)
	v_mul_f32_e32 v56, s22, v56
	s_branch .LBB18_253
.LBB18_252:
	v_mov_b32_e32 v56, 0
.LBB18_253:
	v_add_f32_e32 v57, v11, v47
	v_add_f32_e32 v58, v10, v46
	;; [unrolled: 1-line block ×4, first 2 shown]
	v_add_co_u32 v50, vcc_lo, v52, v50
	v_min3_f32 v57, v58, v57, v107
	v_add_co_ci_u32_e64 v51, null, v53, v51, vcc_lo
	v_min_f32_e32 v58, v60, v59
	v_min3_f32 v56, v56, v58, v57
	flat_store_dword v[50:51], v56
	s_or_b32 exec_lo, exec_lo, s12
	s_and_b32 s12, s7, s8
	s_and_saveexec_b32 s8, s12
	s_cbranch_execz .LBB18_258
.LBB18_254:
	v_cmp_ne_u32_e32 vcc_lo, 1, v123
	v_lshlrev_b64 v[50:51], 2, v[78:79]
	s_cbranch_vccnz .LBB18_256
; %bb.255:
	v_add_co_u32 v54, vcc_lo, v54, v50
	v_add_co_ci_u32_e64 v55, null, v55, v51, vcc_lo
	flat_load_dword v54, v[54:55]
	s_waitcnt vmcnt(0) lgkmcnt(0)
	v_mul_f32_e32 v54, s22, v54
	s_branch .LBB18_257
.LBB18_256:
	v_mov_b32_e32 v54, 0
.LBB18_257:
	v_add_f32_e32 v47, v3, v47
	v_add_f32_e32 v46, v2, v46
	;; [unrolled: 1-line block ×4, first 2 shown]
	v_min3_f32 v46, v46, v47, v106
	v_min_f32_e32 v47, v48, v49
	v_min3_f32 v48, v54, v47, v46
	v_add_co_u32 v46, vcc_lo, v52, v50
	v_add_co_ci_u32_e64 v47, null, v53, v51, vcc_lo
	flat_store_dword v[46:47], v48
.LBB18_258:
	s_or_b32 exec_lo, exec_lo, s8
	v_add_nc_u32_e32 v50, 0xa0, v132
	v_mad_i64_i32 v[46:47], null, v50, s14, 0
	v_mad_i64_i32 v[48:49], null, v50, s9, 0
	v_cmp_gt_i32_e64 s8, s13, v50
	v_lshlrev_b64 v[46:47], 2, v[46:47]
	s_and_b32 s17, s0, s8
	v_lshlrev_b64 v[48:49], 2, v[48:49]
	v_add_co_u32 v50, vcc_lo, s10, v46
	v_add_co_ci_u32_e64 v51, null, s11, v47, vcc_lo
	v_add_co_u32 v48, vcc_lo, s15, v48
	v_add_co_ci_u32_e64 v49, null, s16, v49, vcc_lo
	s_and_saveexec_b32 s12, s17
	s_cbranch_execnz .LBB18_266
; %bb.259:
	s_or_b32 exec_lo, exec_lo, s12
	s_and_b32 s17, s1, s8
	s_and_saveexec_b32 s12, s17
	s_cbranch_execnz .LBB18_270
.LBB18_260:
	s_or_b32 exec_lo, exec_lo, s12
	s_and_b32 s17, s2, s8
	s_and_saveexec_b32 s12, s17
	s_cbranch_execnz .LBB18_274
.LBB18_261:
	s_or_b32 exec_lo, exec_lo, s12
	s_and_b32 s17, s3, s8
	s_and_saveexec_b32 s12, s17
	s_cbranch_execnz .LBB18_278
.LBB18_262:
	s_or_b32 exec_lo, exec_lo, s12
	s_and_b32 s17, s4, s8
	s_and_saveexec_b32 s12, s17
	s_cbranch_execnz .LBB18_282
.LBB18_263:
	s_or_b32 exec_lo, exec_lo, s12
	s_and_b32 s17, s5, s8
	s_and_saveexec_b32 s12, s17
	s_cbranch_execnz .LBB18_286
.LBB18_264:
	s_or_b32 exec_lo, exec_lo, s12
	s_and_b32 s17, s6, s8
	s_and_saveexec_b32 s12, s17
	s_cbranch_execnz .LBB18_290
.LBB18_265:
	s_or_b32 exec_lo, exec_lo, s12
	s_and_b32 s12, s7, s8
	s_and_saveexec_b32 s8, s12
	s_cbranch_execnz .LBB18_294
	s_branch .LBB18_298
.LBB18_266:
	v_cmp_ne_u32_e32 vcc_lo, 1, v123
	v_lshlrev_b64 v[46:47], 2, v[0:1]
	s_cbranch_vccnz .LBB18_268
; %bb.267:
	v_add_co_u32 v52, vcc_lo, v50, v46
	v_add_co_ci_u32_e64 v53, null, v51, v47, vcc_lo
	flat_load_dword v52, v[52:53]
	s_waitcnt vmcnt(0) lgkmcnt(0)
	v_mul_f32_e32 v52, s22, v52
	s_branch .LBB18_269
.LBB18_268:
	v_mov_b32_e32 v52, 0
.LBB18_269:
	v_add_f32_e32 v53, v35, v43
	v_add_f32_e32 v54, v34, v42
	;; [unrolled: 1-line block ×4, first 2 shown]
	v_add_co_u32 v46, vcc_lo, v48, v46
	v_min3_f32 v53, v54, v53, v105
	v_add_co_ci_u32_e64 v47, null, v49, v47, vcc_lo
	v_min_f32_e32 v54, v56, v55
	v_min3_f32 v52, v52, v54, v53
	flat_store_dword v[46:47], v52
	s_or_b32 exec_lo, exec_lo, s12
	s_and_b32 s17, s1, s8
	s_and_saveexec_b32 s12, s17
	s_cbranch_execz .LBB18_260
.LBB18_270:
	v_cmp_ne_u32_e32 vcc_lo, 1, v123
	v_lshlrev_b64 v[46:47], 2, v[66:67]
	s_cbranch_vccnz .LBB18_272
; %bb.271:
	v_add_co_u32 v52, vcc_lo, v50, v46
	v_add_co_ci_u32_e64 v53, null, v51, v47, vcc_lo
	flat_load_dword v52, v[52:53]
	s_waitcnt vmcnt(0) lgkmcnt(0)
	v_mul_f32_e32 v52, s22, v52
	s_branch .LBB18_273
.LBB18_272:
	v_mov_b32_e32 v52, 0
.LBB18_273:
	v_add_f32_e32 v53, v31, v43
	v_add_f32_e32 v54, v30, v42
	;; [unrolled: 1-line block ×4, first 2 shown]
	v_add_co_u32 v46, vcc_lo, v48, v46
	v_min3_f32 v53, v54, v53, v104
	v_add_co_ci_u32_e64 v47, null, v49, v47, vcc_lo
	v_min_f32_e32 v54, v56, v55
	v_min3_f32 v52, v52, v54, v53
	flat_store_dword v[46:47], v52
	s_or_b32 exec_lo, exec_lo, s12
	s_and_b32 s17, s2, s8
	s_and_saveexec_b32 s12, s17
	s_cbranch_execz .LBB18_261
.LBB18_274:
	v_cmp_ne_u32_e32 vcc_lo, 1, v123
	v_lshlrev_b64 v[46:47], 2, v[68:69]
	s_cbranch_vccnz .LBB18_276
; %bb.275:
	v_add_co_u32 v52, vcc_lo, v50, v46
	v_add_co_ci_u32_e64 v53, null, v51, v47, vcc_lo
	flat_load_dword v52, v[52:53]
	s_waitcnt vmcnt(0) lgkmcnt(0)
	v_mul_f32_e32 v52, s22, v52
	s_branch .LBB18_277
.LBB18_276:
	v_mov_b32_e32 v52, 0
.LBB18_277:
	v_add_f32_e32 v53, v27, v43
	v_add_f32_e32 v54, v26, v42
	;; [unrolled: 1-line block ×4, first 2 shown]
	v_add_co_u32 v46, vcc_lo, v48, v46
	v_min3_f32 v53, v54, v53, v103
	v_add_co_ci_u32_e64 v47, null, v49, v47, vcc_lo
	v_min_f32_e32 v54, v56, v55
	v_min3_f32 v52, v52, v54, v53
	flat_store_dword v[46:47], v52
	s_or_b32 exec_lo, exec_lo, s12
	s_and_b32 s17, s3, s8
	s_and_saveexec_b32 s12, s17
	s_cbranch_execz .LBB18_262
.LBB18_278:
	v_cmp_ne_u32_e32 vcc_lo, 1, v123
	v_lshlrev_b64 v[46:47], 2, v[70:71]
	s_cbranch_vccnz .LBB18_280
; %bb.279:
	v_add_co_u32 v52, vcc_lo, v50, v46
	v_add_co_ci_u32_e64 v53, null, v51, v47, vcc_lo
	flat_load_dword v52, v[52:53]
	s_waitcnt vmcnt(0) lgkmcnt(0)
	v_mul_f32_e32 v52, s22, v52
	s_branch .LBB18_281
.LBB18_280:
	v_mov_b32_e32 v52, 0
.LBB18_281:
	v_add_f32_e32 v53, v23, v43
	v_add_f32_e32 v54, v22, v42
	;; [unrolled: 1-line block ×4, first 2 shown]
	v_add_co_u32 v46, vcc_lo, v48, v46
	v_min3_f32 v53, v54, v53, v102
	v_add_co_ci_u32_e64 v47, null, v49, v47, vcc_lo
	v_min_f32_e32 v54, v56, v55
	v_min3_f32 v52, v52, v54, v53
	flat_store_dword v[46:47], v52
	s_or_b32 exec_lo, exec_lo, s12
	s_and_b32 s17, s4, s8
	s_and_saveexec_b32 s12, s17
	s_cbranch_execz .LBB18_263
.LBB18_282:
	v_cmp_ne_u32_e32 vcc_lo, 1, v123
	v_lshlrev_b64 v[46:47], 2, v[72:73]
	s_cbranch_vccnz .LBB18_284
; %bb.283:
	v_add_co_u32 v52, vcc_lo, v50, v46
	v_add_co_ci_u32_e64 v53, null, v51, v47, vcc_lo
	flat_load_dword v52, v[52:53]
	s_waitcnt vmcnt(0) lgkmcnt(0)
	v_mul_f32_e32 v52, s22, v52
	s_branch .LBB18_285
.LBB18_284:
	v_mov_b32_e32 v52, 0
.LBB18_285:
	v_add_f32_e32 v53, v19, v43
	v_add_f32_e32 v54, v18, v42
	;; [unrolled: 1-line block ×4, first 2 shown]
	v_add_co_u32 v46, vcc_lo, v48, v46
	v_min3_f32 v53, v54, v53, v101
	v_add_co_ci_u32_e64 v47, null, v49, v47, vcc_lo
	v_min_f32_e32 v54, v56, v55
	v_min3_f32 v52, v52, v54, v53
	flat_store_dword v[46:47], v52
	s_or_b32 exec_lo, exec_lo, s12
	s_and_b32 s17, s5, s8
	s_and_saveexec_b32 s12, s17
	s_cbranch_execz .LBB18_264
.LBB18_286:
	v_cmp_ne_u32_e32 vcc_lo, 1, v123
	v_lshlrev_b64 v[46:47], 2, v[74:75]
	s_cbranch_vccnz .LBB18_288
; %bb.287:
	v_add_co_u32 v52, vcc_lo, v50, v46
	v_add_co_ci_u32_e64 v53, null, v51, v47, vcc_lo
	flat_load_dword v52, v[52:53]
	s_waitcnt vmcnt(0) lgkmcnt(0)
	v_mul_f32_e32 v52, s22, v52
	s_branch .LBB18_289
.LBB18_288:
	v_mov_b32_e32 v52, 0
.LBB18_289:
	v_add_f32_e32 v53, v15, v43
	v_add_f32_e32 v54, v14, v42
	;; [unrolled: 1-line block ×4, first 2 shown]
	v_add_co_u32 v46, vcc_lo, v48, v46
	v_min3_f32 v53, v54, v53, v100
	v_add_co_ci_u32_e64 v47, null, v49, v47, vcc_lo
	v_min_f32_e32 v54, v56, v55
	v_min3_f32 v52, v52, v54, v53
	flat_store_dword v[46:47], v52
	s_or_b32 exec_lo, exec_lo, s12
	s_and_b32 s17, s6, s8
	s_and_saveexec_b32 s12, s17
	s_cbranch_execz .LBB18_265
.LBB18_290:
	v_cmp_ne_u32_e32 vcc_lo, 1, v123
	v_lshlrev_b64 v[46:47], 2, v[76:77]
	s_cbranch_vccnz .LBB18_292
; %bb.291:
	v_add_co_u32 v52, vcc_lo, v50, v46
	v_add_co_ci_u32_e64 v53, null, v51, v47, vcc_lo
	flat_load_dword v52, v[52:53]
	s_waitcnt vmcnt(0) lgkmcnt(0)
	v_mul_f32_e32 v52, s22, v52
	s_branch .LBB18_293
.LBB18_292:
	v_mov_b32_e32 v52, 0
.LBB18_293:
	v_add_f32_e32 v53, v11, v43
	v_add_f32_e32 v54, v10, v42
	;; [unrolled: 1-line block ×4, first 2 shown]
	v_add_co_u32 v46, vcc_lo, v48, v46
	v_min3_f32 v53, v54, v53, v99
	v_add_co_ci_u32_e64 v47, null, v49, v47, vcc_lo
	v_min_f32_e32 v54, v56, v55
	v_min3_f32 v52, v52, v54, v53
	flat_store_dword v[46:47], v52
	s_or_b32 exec_lo, exec_lo, s12
	s_and_b32 s12, s7, s8
	s_and_saveexec_b32 s8, s12
	s_cbranch_execz .LBB18_298
.LBB18_294:
	v_cmp_ne_u32_e32 vcc_lo, 1, v123
	v_lshlrev_b64 v[46:47], 2, v[78:79]
	s_cbranch_vccnz .LBB18_296
; %bb.295:
	v_add_co_u32 v50, vcc_lo, v50, v46
	v_add_co_ci_u32_e64 v51, null, v51, v47, vcc_lo
	flat_load_dword v50, v[50:51]
	s_waitcnt vmcnt(0) lgkmcnt(0)
	v_mul_f32_e32 v50, s22, v50
	s_branch .LBB18_297
.LBB18_296:
	v_mov_b32_e32 v50, 0
.LBB18_297:
	v_add_f32_e32 v43, v3, v43
	v_add_f32_e32 v42, v2, v42
	;; [unrolled: 1-line block ×4, first 2 shown]
	v_min3_f32 v42, v42, v43, v98
	v_min_f32_e32 v43, v44, v45
	v_min3_f32 v44, v50, v43, v42
	v_add_co_u32 v42, vcc_lo, v48, v46
	v_add_co_ci_u32_e64 v43, null, v49, v47, vcc_lo
	flat_store_dword v[42:43], v44
.LBB18_298:
	s_or_b32 exec_lo, exec_lo, s8
	v_add_nc_u32_e32 v46, 0xc0, v132
	v_mad_i64_i32 v[42:43], null, v46, s14, 0
	v_mad_i64_i32 v[44:45], null, v46, s9, 0
	v_cmp_gt_i32_e64 s8, s13, v46
	v_lshlrev_b64 v[42:43], 2, v[42:43]
	s_and_b32 s17, s0, s8
	v_lshlrev_b64 v[44:45], 2, v[44:45]
	v_add_co_u32 v46, vcc_lo, s10, v42
	v_add_co_ci_u32_e64 v47, null, s11, v43, vcc_lo
	v_add_co_u32 v44, vcc_lo, s15, v44
	v_add_co_ci_u32_e64 v45, null, s16, v45, vcc_lo
	s_and_saveexec_b32 s12, s17
	s_cbranch_execnz .LBB18_306
; %bb.299:
	s_or_b32 exec_lo, exec_lo, s12
	s_and_b32 s17, s1, s8
	s_and_saveexec_b32 s12, s17
	s_cbranch_execnz .LBB18_310
.LBB18_300:
	s_or_b32 exec_lo, exec_lo, s12
	s_and_b32 s17, s2, s8
	s_and_saveexec_b32 s12, s17
	s_cbranch_execnz .LBB18_314
.LBB18_301:
	s_or_b32 exec_lo, exec_lo, s12
	s_and_b32 s17, s3, s8
	s_and_saveexec_b32 s12, s17
	s_cbranch_execnz .LBB18_318
.LBB18_302:
	s_or_b32 exec_lo, exec_lo, s12
	s_and_b32 s17, s4, s8
	s_and_saveexec_b32 s12, s17
	s_cbranch_execnz .LBB18_322
.LBB18_303:
	s_or_b32 exec_lo, exec_lo, s12
	s_and_b32 s17, s5, s8
	s_and_saveexec_b32 s12, s17
	s_cbranch_execnz .LBB18_326
.LBB18_304:
	s_or_b32 exec_lo, exec_lo, s12
	s_and_b32 s17, s6, s8
	s_and_saveexec_b32 s12, s17
	s_cbranch_execnz .LBB18_330
.LBB18_305:
	s_or_b32 exec_lo, exec_lo, s12
	s_and_b32 s12, s7, s8
	s_and_saveexec_b32 s8, s12
	s_cbranch_execnz .LBB18_334
	s_branch .LBB18_338
.LBB18_306:
	v_cmp_ne_u32_e32 vcc_lo, 1, v123
	v_lshlrev_b64 v[42:43], 2, v[0:1]
	s_cbranch_vccnz .LBB18_308
; %bb.307:
	v_add_co_u32 v48, vcc_lo, v46, v42
	v_add_co_ci_u32_e64 v49, null, v47, v43, vcc_lo
	flat_load_dword v48, v[48:49]
	s_waitcnt vmcnt(0) lgkmcnt(0)
	v_mul_f32_e32 v48, s22, v48
	s_branch .LBB18_309
.LBB18_308:
	v_mov_b32_e32 v48, 0
.LBB18_309:
	v_add_f32_e32 v49, v35, v39
	v_add_f32_e32 v50, v34, v38
	;; [unrolled: 1-line block ×4, first 2 shown]
	v_add_co_u32 v42, vcc_lo, v44, v42
	v_min3_f32 v49, v50, v49, v97
	v_add_co_ci_u32_e64 v43, null, v45, v43, vcc_lo
	v_min_f32_e32 v50, v52, v51
	v_min3_f32 v48, v48, v50, v49
	flat_store_dword v[42:43], v48
	s_or_b32 exec_lo, exec_lo, s12
	s_and_b32 s17, s1, s8
	s_and_saveexec_b32 s12, s17
	s_cbranch_execz .LBB18_300
.LBB18_310:
	v_cmp_ne_u32_e32 vcc_lo, 1, v123
	v_lshlrev_b64 v[42:43], 2, v[66:67]
	s_cbranch_vccnz .LBB18_312
; %bb.311:
	v_add_co_u32 v48, vcc_lo, v46, v42
	v_add_co_ci_u32_e64 v49, null, v47, v43, vcc_lo
	flat_load_dword v48, v[48:49]
	s_waitcnt vmcnt(0) lgkmcnt(0)
	v_mul_f32_e32 v48, s22, v48
	s_branch .LBB18_313
.LBB18_312:
	v_mov_b32_e32 v48, 0
.LBB18_313:
	v_add_f32_e32 v49, v31, v39
	v_add_f32_e32 v50, v30, v38
	;; [unrolled: 1-line block ×4, first 2 shown]
	v_add_co_u32 v42, vcc_lo, v44, v42
	v_min3_f32 v49, v50, v49, v96
	v_add_co_ci_u32_e64 v43, null, v45, v43, vcc_lo
	v_min_f32_e32 v50, v52, v51
	v_min3_f32 v48, v48, v50, v49
	flat_store_dword v[42:43], v48
	s_or_b32 exec_lo, exec_lo, s12
	s_and_b32 s17, s2, s8
	s_and_saveexec_b32 s12, s17
	s_cbranch_execz .LBB18_301
.LBB18_314:
	v_cmp_ne_u32_e32 vcc_lo, 1, v123
	v_lshlrev_b64 v[42:43], 2, v[68:69]
	s_cbranch_vccnz .LBB18_316
; %bb.315:
	v_add_co_u32 v48, vcc_lo, v46, v42
	v_add_co_ci_u32_e64 v49, null, v47, v43, vcc_lo
	flat_load_dword v48, v[48:49]
	s_waitcnt vmcnt(0) lgkmcnt(0)
	v_mul_f32_e32 v48, s22, v48
	s_branch .LBB18_317
.LBB18_316:
	v_mov_b32_e32 v48, 0
.LBB18_317:
	v_add_f32_e32 v49, v27, v39
	v_add_f32_e32 v50, v26, v38
	;; [unrolled: 1-line block ×4, first 2 shown]
	v_add_co_u32 v42, vcc_lo, v44, v42
	v_min3_f32 v49, v50, v49, v95
	v_add_co_ci_u32_e64 v43, null, v45, v43, vcc_lo
	v_min_f32_e32 v50, v52, v51
	v_min3_f32 v48, v48, v50, v49
	flat_store_dword v[42:43], v48
	s_or_b32 exec_lo, exec_lo, s12
	s_and_b32 s17, s3, s8
	s_and_saveexec_b32 s12, s17
	s_cbranch_execz .LBB18_302
.LBB18_318:
	v_cmp_ne_u32_e32 vcc_lo, 1, v123
	v_lshlrev_b64 v[42:43], 2, v[70:71]
	s_cbranch_vccnz .LBB18_320
; %bb.319:
	v_add_co_u32 v48, vcc_lo, v46, v42
	v_add_co_ci_u32_e64 v49, null, v47, v43, vcc_lo
	flat_load_dword v48, v[48:49]
	s_waitcnt vmcnt(0) lgkmcnt(0)
	v_mul_f32_e32 v48, s22, v48
	s_branch .LBB18_321
.LBB18_320:
	v_mov_b32_e32 v48, 0
.LBB18_321:
	v_add_f32_e32 v49, v23, v39
	v_add_f32_e32 v50, v22, v38
	;; [unrolled: 1-line block ×4, first 2 shown]
	v_add_co_u32 v42, vcc_lo, v44, v42
	v_min3_f32 v49, v50, v49, v94
	v_add_co_ci_u32_e64 v43, null, v45, v43, vcc_lo
	v_min_f32_e32 v50, v52, v51
	v_min3_f32 v48, v48, v50, v49
	flat_store_dword v[42:43], v48
	s_or_b32 exec_lo, exec_lo, s12
	s_and_b32 s17, s4, s8
	s_and_saveexec_b32 s12, s17
	s_cbranch_execz .LBB18_303
.LBB18_322:
	v_cmp_ne_u32_e32 vcc_lo, 1, v123
	v_lshlrev_b64 v[42:43], 2, v[72:73]
	s_cbranch_vccnz .LBB18_324
; %bb.323:
	v_add_co_u32 v48, vcc_lo, v46, v42
	v_add_co_ci_u32_e64 v49, null, v47, v43, vcc_lo
	flat_load_dword v48, v[48:49]
	s_waitcnt vmcnt(0) lgkmcnt(0)
	v_mul_f32_e32 v48, s22, v48
	s_branch .LBB18_325
.LBB18_324:
	v_mov_b32_e32 v48, 0
.LBB18_325:
	v_add_f32_e32 v49, v19, v39
	v_add_f32_e32 v50, v18, v38
	v_add_f32_e32 v51, v21, v41
	v_add_f32_e32 v52, v20, v40
	v_add_co_u32 v42, vcc_lo, v44, v42
	v_min3_f32 v49, v50, v49, v93
	v_add_co_ci_u32_e64 v43, null, v45, v43, vcc_lo
	v_min_f32_e32 v50, v52, v51
	v_min3_f32 v48, v48, v50, v49
	flat_store_dword v[42:43], v48
	s_or_b32 exec_lo, exec_lo, s12
	s_and_b32 s17, s5, s8
	s_and_saveexec_b32 s12, s17
	s_cbranch_execz .LBB18_304
.LBB18_326:
	v_cmp_ne_u32_e32 vcc_lo, 1, v123
	v_lshlrev_b64 v[42:43], 2, v[74:75]
	s_cbranch_vccnz .LBB18_328
; %bb.327:
	v_add_co_u32 v48, vcc_lo, v46, v42
	v_add_co_ci_u32_e64 v49, null, v47, v43, vcc_lo
	flat_load_dword v48, v[48:49]
	s_waitcnt vmcnt(0) lgkmcnt(0)
	v_mul_f32_e32 v48, s22, v48
	s_branch .LBB18_329
.LBB18_328:
	v_mov_b32_e32 v48, 0
.LBB18_329:
	v_add_f32_e32 v49, v15, v39
	v_add_f32_e32 v50, v14, v38
	;; [unrolled: 1-line block ×4, first 2 shown]
	v_add_co_u32 v42, vcc_lo, v44, v42
	v_min3_f32 v49, v50, v49, v91
	v_add_co_ci_u32_e64 v43, null, v45, v43, vcc_lo
	v_min_f32_e32 v50, v52, v51
	v_min3_f32 v48, v48, v50, v49
	flat_store_dword v[42:43], v48
	s_or_b32 exec_lo, exec_lo, s12
	s_and_b32 s17, s6, s8
	s_and_saveexec_b32 s12, s17
	s_cbranch_execz .LBB18_305
.LBB18_330:
	v_cmp_ne_u32_e32 vcc_lo, 1, v123
	v_lshlrev_b64 v[42:43], 2, v[76:77]
	s_cbranch_vccnz .LBB18_332
; %bb.331:
	v_add_co_u32 v48, vcc_lo, v46, v42
	v_add_co_ci_u32_e64 v49, null, v47, v43, vcc_lo
	flat_load_dword v48, v[48:49]
	s_waitcnt vmcnt(0) lgkmcnt(0)
	v_mul_f32_e32 v48, s22, v48
	s_branch .LBB18_333
.LBB18_332:
	v_mov_b32_e32 v48, 0
.LBB18_333:
	v_add_f32_e32 v49, v11, v39
	v_add_f32_e32 v50, v10, v38
	;; [unrolled: 1-line block ×4, first 2 shown]
	v_add_co_u32 v42, vcc_lo, v44, v42
	v_min3_f32 v49, v50, v49, v90
	v_add_co_ci_u32_e64 v43, null, v45, v43, vcc_lo
	v_min_f32_e32 v50, v52, v51
	v_min3_f32 v48, v48, v50, v49
	flat_store_dword v[42:43], v48
	s_or_b32 exec_lo, exec_lo, s12
	s_and_b32 s12, s7, s8
	s_and_saveexec_b32 s8, s12
	s_cbranch_execz .LBB18_338
.LBB18_334:
	v_cmp_ne_u32_e32 vcc_lo, 1, v123
	v_lshlrev_b64 v[42:43], 2, v[78:79]
	s_cbranch_vccnz .LBB18_336
; %bb.335:
	v_add_co_u32 v46, vcc_lo, v46, v42
	v_add_co_ci_u32_e64 v47, null, v47, v43, vcc_lo
	flat_load_dword v46, v[46:47]
	s_waitcnt vmcnt(0) lgkmcnt(0)
	v_mul_f32_e32 v46, s22, v46
	s_branch .LBB18_337
.LBB18_336:
	v_mov_b32_e32 v46, 0
.LBB18_337:
	v_add_f32_e32 v39, v3, v39
	v_add_f32_e32 v38, v2, v38
	;; [unrolled: 1-line block ×4, first 2 shown]
	v_min3_f32 v38, v38, v39, v89
	v_min_f32_e32 v39, v40, v41
	v_min3_f32 v40, v46, v39, v38
	v_add_co_u32 v38, vcc_lo, v44, v42
	v_add_co_ci_u32_e64 v39, null, v45, v43, vcc_lo
	flat_store_dword v[38:39], v40
.LBB18_338:
	s_or_b32 exec_lo, exec_lo, s8
	v_add_nc_u32_e32 v42, 0xe0, v132
	v_mad_i64_i32 v[38:39], null, v42, s14, 0
	v_mad_i64_i32 v[40:41], null, v42, s9, 0
	v_cmp_gt_i32_e64 s8, s13, v42
	v_lshlrev_b64 v[38:39], 2, v[38:39]
	s_and_b32 s9, s0, s8
	v_lshlrev_b64 v[42:43], 2, v[40:41]
	v_add_co_u32 v40, vcc_lo, s10, v38
	v_add_co_ci_u32_e64 v41, null, s11, v39, vcc_lo
	v_add_co_u32 v38, vcc_lo, s15, v42
	v_add_co_ci_u32_e64 v39, null, s16, v43, vcc_lo
	s_and_saveexec_b32 s0, s9
	s_cbranch_execnz .LBB18_347
; %bb.339:
	s_or_b32 exec_lo, exec_lo, s0
	s_and_b32 s1, s1, s8
	s_and_saveexec_b32 s0, s1
	s_cbranch_execnz .LBB18_351
.LBB18_340:
	s_or_b32 exec_lo, exec_lo, s0
	s_and_b32 s1, s2, s8
	s_and_saveexec_b32 s0, s1
	s_cbranch_execnz .LBB18_355
.LBB18_341:
	s_or_b32 exec_lo, exec_lo, s0
	s_and_b32 s1, s3, s8
	s_and_saveexec_b32 s0, s1
	s_cbranch_execnz .LBB18_359
.LBB18_342:
	s_or_b32 exec_lo, exec_lo, s0
	s_and_b32 s1, s4, s8
	s_and_saveexec_b32 s0, s1
	s_cbranch_execnz .LBB18_363
.LBB18_343:
	s_or_b32 exec_lo, exec_lo, s0
	s_and_b32 s1, s5, s8
	s_and_saveexec_b32 s0, s1
	s_cbranch_execnz .LBB18_367
.LBB18_344:
	s_or_b32 exec_lo, exec_lo, s0
	s_and_b32 s1, s6, s8
	s_and_saveexec_b32 s0, s1
	s_cbranch_execnz .LBB18_371
.LBB18_345:
	s_or_b32 exec_lo, exec_lo, s0
	s_and_b32 s0, s7, s8
	s_and_saveexec_b32 s1, s0
	s_cbranch_execnz .LBB18_375
.LBB18_346:
	s_endpgm
.LBB18_347:
	v_cmp_ne_u32_e32 vcc_lo, 1, v123
	v_lshlrev_b64 v[0:1], 2, v[0:1]
	s_cbranch_vccnz .LBB18_349
; %bb.348:
	v_add_co_u32 v42, vcc_lo, v40, v0
	v_add_co_ci_u32_e64 v43, null, v41, v1, vcc_lo
	flat_load_dword v42, v[42:43]
	s_waitcnt vmcnt(0) lgkmcnt(0)
	v_mul_f32_e32 v42, s22, v42
	s_branch .LBB18_350
.LBB18_349:
	v_mov_b32_e32 v42, 0
.LBB18_350:
	v_add_f32_e32 v35, v35, v7
	v_add_f32_e32 v34, v34, v6
	;; [unrolled: 1-line block ×4, first 2 shown]
	v_add_co_u32 v0, vcc_lo, v38, v0
	v_min3_f32 v34, v34, v35, v88
	v_add_co_ci_u32_e64 v1, null, v39, v1, vcc_lo
	v_min_f32_e32 v35, v36, v37
	v_min3_f32 v34, v42, v35, v34
	flat_store_dword v[0:1], v34
	s_or_b32 exec_lo, exec_lo, s0
	s_and_b32 s1, s1, s8
	s_and_saveexec_b32 s0, s1
	s_cbranch_execz .LBB18_340
.LBB18_351:
	v_cmp_ne_u32_e32 vcc_lo, 1, v123
	v_lshlrev_b64 v[0:1], 2, v[66:67]
	s_cbranch_vccnz .LBB18_353
; %bb.352:
	v_add_co_u32 v34, vcc_lo, v40, v0
	v_add_co_ci_u32_e64 v35, null, v41, v1, vcc_lo
	flat_load_dword v34, v[34:35]
	s_waitcnt vmcnt(0) lgkmcnt(0)
	v_mul_f32_e32 v34, s22, v34
	s_branch .LBB18_354
.LBB18_353:
	v_mov_b32_e32 v34, 0
.LBB18_354:
	v_add_f32_e32 v31, v31, v7
	v_add_f32_e32 v30, v30, v6
	;; [unrolled: 1-line block ×4, first 2 shown]
	v_add_co_u32 v0, vcc_lo, v38, v0
	v_min3_f32 v30, v30, v31, v87
	v_add_co_ci_u32_e64 v1, null, v39, v1, vcc_lo
	v_min_f32_e32 v31, v32, v33
	v_min3_f32 v30, v34, v31, v30
	flat_store_dword v[0:1], v30
	s_or_b32 exec_lo, exec_lo, s0
	s_and_b32 s1, s2, s8
	s_and_saveexec_b32 s0, s1
	s_cbranch_execz .LBB18_341
.LBB18_355:
	v_cmp_ne_u32_e32 vcc_lo, 1, v123
	v_lshlrev_b64 v[0:1], 2, v[68:69]
	s_cbranch_vccnz .LBB18_357
; %bb.356:
	v_add_co_u32 v30, vcc_lo, v40, v0
	v_add_co_ci_u32_e64 v31, null, v41, v1, vcc_lo
	flat_load_dword v30, v[30:31]
	s_waitcnt vmcnt(0) lgkmcnt(0)
	v_mul_f32_e32 v30, s22, v30
	s_branch .LBB18_358
.LBB18_357:
	v_mov_b32_e32 v30, 0
.LBB18_358:
	v_add_f32_e32 v27, v27, v7
	v_add_f32_e32 v26, v26, v6
	v_add_f32_e32 v29, v29, v9
	v_add_f32_e32 v28, v28, v8
	v_add_co_u32 v0, vcc_lo, v38, v0
	v_min3_f32 v26, v26, v27, v86
	v_add_co_ci_u32_e64 v1, null, v39, v1, vcc_lo
	v_min_f32_e32 v27, v28, v29
	v_min3_f32 v26, v30, v27, v26
	flat_store_dword v[0:1], v26
	s_or_b32 exec_lo, exec_lo, s0
	s_and_b32 s1, s3, s8
	s_and_saveexec_b32 s0, s1
	s_cbranch_execz .LBB18_342
.LBB18_359:
	v_cmp_ne_u32_e32 vcc_lo, 1, v123
	v_lshlrev_b64 v[0:1], 2, v[70:71]
	s_cbranch_vccnz .LBB18_361
; %bb.360:
	v_add_co_u32 v26, vcc_lo, v40, v0
	v_add_co_ci_u32_e64 v27, null, v41, v1, vcc_lo
	flat_load_dword v26, v[26:27]
	s_waitcnt vmcnt(0) lgkmcnt(0)
	v_mul_f32_e32 v26, s22, v26
	s_branch .LBB18_362
.LBB18_361:
	v_mov_b32_e32 v26, 0
.LBB18_362:
	v_add_f32_e32 v23, v23, v7
	v_add_f32_e32 v22, v22, v6
	;; [unrolled: 1-line block ×4, first 2 shown]
	v_add_co_u32 v0, vcc_lo, v38, v0
	v_min3_f32 v22, v22, v23, v85
	v_add_co_ci_u32_e64 v1, null, v39, v1, vcc_lo
	v_min_f32_e32 v23, v24, v25
	v_min3_f32 v22, v26, v23, v22
	flat_store_dword v[0:1], v22
	s_or_b32 exec_lo, exec_lo, s0
	s_and_b32 s1, s4, s8
	s_and_saveexec_b32 s0, s1
	s_cbranch_execz .LBB18_343
.LBB18_363:
	v_cmp_ne_u32_e32 vcc_lo, 1, v123
	v_lshlrev_b64 v[0:1], 2, v[72:73]
	s_cbranch_vccnz .LBB18_365
; %bb.364:
	v_add_co_u32 v22, vcc_lo, v40, v0
	v_add_co_ci_u32_e64 v23, null, v41, v1, vcc_lo
	flat_load_dword v22, v[22:23]
	s_waitcnt vmcnt(0) lgkmcnt(0)
	v_mul_f32_e32 v22, s22, v22
	s_branch .LBB18_366
.LBB18_365:
	v_mov_b32_e32 v22, 0
.LBB18_366:
	v_add_f32_e32 v19, v19, v7
	v_add_f32_e32 v18, v18, v6
	;; [unrolled: 1-line block ×4, first 2 shown]
	v_add_co_u32 v0, vcc_lo, v38, v0
	v_min3_f32 v18, v18, v19, v84
	v_add_co_ci_u32_e64 v1, null, v39, v1, vcc_lo
	v_min_f32_e32 v19, v20, v21
	v_min3_f32 v18, v22, v19, v18
	flat_store_dword v[0:1], v18
	s_or_b32 exec_lo, exec_lo, s0
	s_and_b32 s1, s5, s8
	s_and_saveexec_b32 s0, s1
	s_cbranch_execz .LBB18_344
.LBB18_367:
	v_cmp_ne_u32_e32 vcc_lo, 1, v123
	v_lshlrev_b64 v[0:1], 2, v[74:75]
	s_cbranch_vccnz .LBB18_369
; %bb.368:
	v_add_co_u32 v18, vcc_lo, v40, v0
	v_add_co_ci_u32_e64 v19, null, v41, v1, vcc_lo
	flat_load_dword v18, v[18:19]
	s_waitcnt vmcnt(0) lgkmcnt(0)
	v_mul_f32_e32 v18, s22, v18
	s_branch .LBB18_370
.LBB18_369:
	v_mov_b32_e32 v18, 0
.LBB18_370:
	v_add_f32_e32 v15, v15, v7
	v_add_f32_e32 v14, v14, v6
	;; [unrolled: 1-line block ×4, first 2 shown]
	v_add_co_u32 v0, vcc_lo, v38, v0
	v_min3_f32 v14, v14, v15, v83
	v_add_co_ci_u32_e64 v1, null, v39, v1, vcc_lo
	v_min_f32_e32 v15, v16, v17
	v_min3_f32 v14, v18, v15, v14
	flat_store_dword v[0:1], v14
	s_or_b32 exec_lo, exec_lo, s0
	s_and_b32 s1, s6, s8
	s_and_saveexec_b32 s0, s1
	s_cbranch_execz .LBB18_345
.LBB18_371:
	v_cmp_ne_u32_e32 vcc_lo, 1, v123
	v_lshlrev_b64 v[0:1], 2, v[76:77]
	s_cbranch_vccnz .LBB18_373
; %bb.372:
	v_add_co_u32 v14, vcc_lo, v40, v0
	v_add_co_ci_u32_e64 v15, null, v41, v1, vcc_lo
	flat_load_dword v14, v[14:15]
	s_waitcnt vmcnt(0) lgkmcnt(0)
	v_mul_f32_e32 v14, s22, v14
	s_branch .LBB18_374
.LBB18_373:
	v_mov_b32_e32 v14, 0
.LBB18_374:
	v_add_f32_e32 v11, v11, v7
	v_add_f32_e32 v10, v10, v6
	;; [unrolled: 1-line block ×4, first 2 shown]
	v_add_co_u32 v0, vcc_lo, v38, v0
	v_min3_f32 v10, v10, v11, v82
	v_add_co_ci_u32_e64 v1, null, v39, v1, vcc_lo
	v_min_f32_e32 v11, v12, v13
	v_min3_f32 v10, v14, v11, v10
	flat_store_dword v[0:1], v10
	s_or_b32 exec_lo, exec_lo, s0
	s_and_b32 s0, s7, s8
	s_and_saveexec_b32 s1, s0
	s_cbranch_execz .LBB18_346
.LBB18_375:
	v_cmp_ne_u32_e32 vcc_lo, 1, v123
	v_lshlrev_b64 v[0:1], 2, v[78:79]
	s_cbranch_vccnz .LBB18_377
; %bb.376:
	v_add_co_u32 v10, vcc_lo, v40, v0
	v_add_co_ci_u32_e64 v11, null, v41, v1, vcc_lo
	flat_load_dword v10, v[10:11]
	s_waitcnt vmcnt(0) lgkmcnt(0)
	v_mul_f32_e32 v10, s22, v10
	s_branch .LBB18_378
.LBB18_377:
	v_mov_b32_e32 v10, 0
.LBB18_378:
	v_add_f32_e32 v3, v3, v7
	v_add_f32_e32 v2, v2, v6
	;; [unrolled: 1-line block ×4, first 2 shown]
	v_add_co_u32 v0, vcc_lo, v38, v0
	v_min3_f32 v2, v2, v3, v92
	v_add_co_ci_u32_e64 v1, null, v39, v1, vcc_lo
	v_min_f32_e32 v3, v4, v5
	v_min3_f32 v2, v10, v3, v2
	flat_store_dword v[0:1], v2
	s_endpgm
	.section	.rodata,"a",@progbits
	.p2align	6, 0x0
	.amdhsa_kernel _ZN12_GLOBAL__N_120geam_min_plus_kernelIf15HIP_vector_typeIfLj2EEfLi8ELi32ELi64ELi256ELi4ELi64ELi4ELi64ELi4ELc78ELc84ELb0ELb1ELb1EPKfKS4_KPfEEviiiT16_PT17_ilSA_ilS8_SA_ilPT18_ili26rocblas_geam_ex_operation_
		.amdhsa_group_segment_fixed_size 10240
		.amdhsa_private_segment_fixed_size 0
		.amdhsa_kernarg_size 136
		.amdhsa_user_sgpr_count 6
		.amdhsa_user_sgpr_private_segment_buffer 1
		.amdhsa_user_sgpr_dispatch_ptr 0
		.amdhsa_user_sgpr_queue_ptr 0
		.amdhsa_user_sgpr_kernarg_segment_ptr 1
		.amdhsa_user_sgpr_dispatch_id 0
		.amdhsa_user_sgpr_flat_scratch_init 0
		.amdhsa_user_sgpr_private_segment_size 0
		.amdhsa_wavefront_size32 1
		.amdhsa_uses_dynamic_stack 0
		.amdhsa_system_sgpr_private_segment_wavefront_offset 0
		.amdhsa_system_sgpr_workgroup_id_x 1
		.amdhsa_system_sgpr_workgroup_id_y 0
		.amdhsa_system_sgpr_workgroup_id_z 1
		.amdhsa_system_sgpr_workgroup_info 0
		.amdhsa_system_vgpr_workitem_id 1
		.amdhsa_next_free_vgpr 159
		.amdhsa_next_free_sgpr 31
		.amdhsa_reserve_vcc 1
		.amdhsa_reserve_flat_scratch 0
		.amdhsa_float_round_mode_32 0
		.amdhsa_float_round_mode_16_64 0
		.amdhsa_float_denorm_mode_32 3
		.amdhsa_float_denorm_mode_16_64 3
		.amdhsa_dx10_clamp 1
		.amdhsa_ieee_mode 1
		.amdhsa_fp16_overflow 0
		.amdhsa_workgroup_processor_mode 1
		.amdhsa_memory_ordered 1
		.amdhsa_forward_progress 1
		.amdhsa_shared_vgpr_count 0
		.amdhsa_exception_fp_ieee_invalid_op 0
		.amdhsa_exception_fp_denorm_src 0
		.amdhsa_exception_fp_ieee_div_zero 0
		.amdhsa_exception_fp_ieee_overflow 0
		.amdhsa_exception_fp_ieee_underflow 0
		.amdhsa_exception_fp_ieee_inexact 0
		.amdhsa_exception_int_div_zero 0
	.end_amdhsa_kernel
	.section	.text._ZN12_GLOBAL__N_120geam_min_plus_kernelIf15HIP_vector_typeIfLj2EEfLi8ELi32ELi64ELi256ELi4ELi64ELi4ELi64ELi4ELc78ELc84ELb0ELb1ELb1EPKfKS4_KPfEEviiiT16_PT17_ilSA_ilS8_SA_ilPT18_ili26rocblas_geam_ex_operation_,"axG",@progbits,_ZN12_GLOBAL__N_120geam_min_plus_kernelIf15HIP_vector_typeIfLj2EEfLi8ELi32ELi64ELi256ELi4ELi64ELi4ELi64ELi4ELc78ELc84ELb0ELb1ELb1EPKfKS4_KPfEEviiiT16_PT17_ilSA_ilS8_SA_ilPT18_ili26rocblas_geam_ex_operation_,comdat
.Lfunc_end18:
	.size	_ZN12_GLOBAL__N_120geam_min_plus_kernelIf15HIP_vector_typeIfLj2EEfLi8ELi32ELi64ELi256ELi4ELi64ELi4ELi64ELi4ELc78ELc84ELb0ELb1ELb1EPKfKS4_KPfEEviiiT16_PT17_ilSA_ilS8_SA_ilPT18_ili26rocblas_geam_ex_operation_, .Lfunc_end18-_ZN12_GLOBAL__N_120geam_min_plus_kernelIf15HIP_vector_typeIfLj2EEfLi8ELi32ELi64ELi256ELi4ELi64ELi4ELi64ELi4ELc78ELc84ELb0ELb1ELb1EPKfKS4_KPfEEviiiT16_PT17_ilSA_ilS8_SA_ilPT18_ili26rocblas_geam_ex_operation_
                                        ; -- End function
	.set _ZN12_GLOBAL__N_120geam_min_plus_kernelIf15HIP_vector_typeIfLj2EEfLi8ELi32ELi64ELi256ELi4ELi64ELi4ELi64ELi4ELc78ELc84ELb0ELb1ELb1EPKfKS4_KPfEEviiiT16_PT17_ilSA_ilS8_SA_ilPT18_ili26rocblas_geam_ex_operation_.num_vgpr, 159
	.set _ZN12_GLOBAL__N_120geam_min_plus_kernelIf15HIP_vector_typeIfLj2EEfLi8ELi32ELi64ELi256ELi4ELi64ELi4ELi64ELi4ELc78ELc84ELb0ELb1ELb1EPKfKS4_KPfEEviiiT16_PT17_ilSA_ilS8_SA_ilPT18_ili26rocblas_geam_ex_operation_.num_agpr, 0
	.set _ZN12_GLOBAL__N_120geam_min_plus_kernelIf15HIP_vector_typeIfLj2EEfLi8ELi32ELi64ELi256ELi4ELi64ELi4ELi64ELi4ELc78ELc84ELb0ELb1ELb1EPKfKS4_KPfEEviiiT16_PT17_ilSA_ilS8_SA_ilPT18_ili26rocblas_geam_ex_operation_.numbered_sgpr, 31
	.set _ZN12_GLOBAL__N_120geam_min_plus_kernelIf15HIP_vector_typeIfLj2EEfLi8ELi32ELi64ELi256ELi4ELi64ELi4ELi64ELi4ELc78ELc84ELb0ELb1ELb1EPKfKS4_KPfEEviiiT16_PT17_ilSA_ilS8_SA_ilPT18_ili26rocblas_geam_ex_operation_.num_named_barrier, 0
	.set _ZN12_GLOBAL__N_120geam_min_plus_kernelIf15HIP_vector_typeIfLj2EEfLi8ELi32ELi64ELi256ELi4ELi64ELi4ELi64ELi4ELc78ELc84ELb0ELb1ELb1EPKfKS4_KPfEEviiiT16_PT17_ilSA_ilS8_SA_ilPT18_ili26rocblas_geam_ex_operation_.private_seg_size, 0
	.set _ZN12_GLOBAL__N_120geam_min_plus_kernelIf15HIP_vector_typeIfLj2EEfLi8ELi32ELi64ELi256ELi4ELi64ELi4ELi64ELi4ELc78ELc84ELb0ELb1ELb1EPKfKS4_KPfEEviiiT16_PT17_ilSA_ilS8_SA_ilPT18_ili26rocblas_geam_ex_operation_.uses_vcc, 1
	.set _ZN12_GLOBAL__N_120geam_min_plus_kernelIf15HIP_vector_typeIfLj2EEfLi8ELi32ELi64ELi256ELi4ELi64ELi4ELi64ELi4ELc78ELc84ELb0ELb1ELb1EPKfKS4_KPfEEviiiT16_PT17_ilSA_ilS8_SA_ilPT18_ili26rocblas_geam_ex_operation_.uses_flat_scratch, 0
	.set _ZN12_GLOBAL__N_120geam_min_plus_kernelIf15HIP_vector_typeIfLj2EEfLi8ELi32ELi64ELi256ELi4ELi64ELi4ELi64ELi4ELc78ELc84ELb0ELb1ELb1EPKfKS4_KPfEEviiiT16_PT17_ilSA_ilS8_SA_ilPT18_ili26rocblas_geam_ex_operation_.has_dyn_sized_stack, 0
	.set _ZN12_GLOBAL__N_120geam_min_plus_kernelIf15HIP_vector_typeIfLj2EEfLi8ELi32ELi64ELi256ELi4ELi64ELi4ELi64ELi4ELc78ELc84ELb0ELb1ELb1EPKfKS4_KPfEEviiiT16_PT17_ilSA_ilS8_SA_ilPT18_ili26rocblas_geam_ex_operation_.has_recursion, 0
	.set _ZN12_GLOBAL__N_120geam_min_plus_kernelIf15HIP_vector_typeIfLj2EEfLi8ELi32ELi64ELi256ELi4ELi64ELi4ELi64ELi4ELc78ELc84ELb0ELb1ELb1EPKfKS4_KPfEEviiiT16_PT17_ilSA_ilS8_SA_ilPT18_ili26rocblas_geam_ex_operation_.has_indirect_call, 0
	.section	.AMDGPU.csdata,"",@progbits
; Kernel info:
; codeLenInByte = 19676
; TotalNumSgprs: 33
; NumVgprs: 159
; ScratchSize: 0
; MemoryBound: 0
; FloatMode: 240
; IeeeMode: 1
; LDSByteSize: 10240 bytes/workgroup (compile time only)
; SGPRBlocks: 0
; VGPRBlocks: 19
; NumSGPRsForWavesPerEU: 33
; NumVGPRsForWavesPerEU: 159
; Occupancy: 6
; WaveLimiterHint : 1
; COMPUTE_PGM_RSRC2:SCRATCH_EN: 0
; COMPUTE_PGM_RSRC2:USER_SGPR: 6
; COMPUTE_PGM_RSRC2:TRAP_HANDLER: 0
; COMPUTE_PGM_RSRC2:TGID_X_EN: 1
; COMPUTE_PGM_RSRC2:TGID_Y_EN: 0
; COMPUTE_PGM_RSRC2:TGID_Z_EN: 1
; COMPUTE_PGM_RSRC2:TIDIG_COMP_CNT: 1
	.section	.text._ZN12_GLOBAL__N_120geam_min_plus_kernelIf15HIP_vector_typeIfLj2EEfLi8ELi32ELi64ELi256ELi4ELi64ELi4ELi64ELi4ELc78ELc84ELb1ELb1ELb1EfKPKfKPfEEviiiT16_PT17_ilSA_ilS8_SA_ilPT18_ili26rocblas_geam_ex_operation_,"axG",@progbits,_ZN12_GLOBAL__N_120geam_min_plus_kernelIf15HIP_vector_typeIfLj2EEfLi8ELi32ELi64ELi256ELi4ELi64ELi4ELi64ELi4ELc78ELc84ELb1ELb1ELb1EfKPKfKPfEEviiiT16_PT17_ilSA_ilS8_SA_ilPT18_ili26rocblas_geam_ex_operation_,comdat
	.globl	_ZN12_GLOBAL__N_120geam_min_plus_kernelIf15HIP_vector_typeIfLj2EEfLi8ELi32ELi64ELi256ELi4ELi64ELi4ELi64ELi4ELc78ELc84ELb1ELb1ELb1EfKPKfKPfEEviiiT16_PT17_ilSA_ilS8_SA_ilPT18_ili26rocblas_geam_ex_operation_ ; -- Begin function _ZN12_GLOBAL__N_120geam_min_plus_kernelIf15HIP_vector_typeIfLj2EEfLi8ELi32ELi64ELi256ELi4ELi64ELi4ELi64ELi4ELc78ELc84ELb1ELb1ELb1EfKPKfKPfEEviiiT16_PT17_ilSA_ilS8_SA_ilPT18_ili26rocblas_geam_ex_operation_
	.p2align	8
	.type	_ZN12_GLOBAL__N_120geam_min_plus_kernelIf15HIP_vector_typeIfLj2EEfLi8ELi32ELi64ELi256ELi4ELi64ELi4ELi64ELi4ELc78ELc84ELb1ELb1ELb1EfKPKfKPfEEviiiT16_PT17_ilSA_ilS8_SA_ilPT18_ili26rocblas_geam_ex_operation_,@function
_ZN12_GLOBAL__N_120geam_min_plus_kernelIf15HIP_vector_typeIfLj2EEfLi8ELi32ELi64ELi256ELi4ELi64ELi4ELi64ELi4ELc78ELc84ELb1ELb1ELb1EfKPKfKPfEEviiiT16_PT17_ilSA_ilS8_SA_ilPT18_ili26rocblas_geam_ex_operation_: ; @_ZN12_GLOBAL__N_120geam_min_plus_kernelIf15HIP_vector_typeIfLj2EEfLi8ELi32ELi64ELi256ELi4ELi64ELi4ELi64ELi4ELc78ELc84ELb1ELb1ELb1EfKPKfKPfEEviiiT16_PT17_ilSA_ilS8_SA_ilPT18_ili26rocblas_geam_ex_operation_
; %bb.0:
	s_clause 0x1
	s_load_dwordx4 s[12:15], s[4:5], 0x0
	s_load_dwordx4 s[0:3], s[4:5], 0x20
	s_mov_b32 s16, s7
	s_mov_b32 s17, 0
	s_waitcnt lgkmcnt(0)
	v_cmp_eq_f32_e64 s7, s15, 0
	s_and_b32 vcc_lo, exec_lo, s7
	s_cbranch_vccnz .LBB19_3
; %bb.1:
	s_load_dwordx2 s[8:9], s[4:5], 0x10
	s_lshl_b64 s[10:11], s[16:17], 3
	s_waitcnt lgkmcnt(0)
	s_add_u32 s8, s8, s10
	s_addc_u32 s9, s9, s11
	s_lshl_b64 s[0:1], s[0:1], 2
	s_load_dwordx2 s[8:9], s[8:9], 0x0
	s_waitcnt lgkmcnt(0)
	s_add_u32 s8, s8, s0
	s_addc_u32 s9, s9, s1
	s_andn2_b32 vcc_lo, exec_lo, s7
	s_cbranch_vccnz .LBB19_4
.LBB19_2:
	s_mov_b32 s23, 0
	s_mov_b32 s22, s16
	;; [unrolled: 1-line block ×3, first 2 shown]
	s_mov_b64 s[10:11], 0
	s_andn2_b32 vcc_lo, exec_lo, s0
	s_mov_b64 s[18:19], 0
	s_cbranch_vccz .LBB19_5
	s_branch .LBB19_6
.LBB19_3:
	s_mov_b64 s[8:9], 0
	s_andn2_b32 vcc_lo, exec_lo, s7
	s_cbranch_vccz .LBB19_2
.LBB19_4:
	s_mov_b64 s[22:23], s[16:17]
	s_mov_b64 s[10:11], 0
	;; [unrolled: 1-line block ×3, first 2 shown]
.LBB19_5:
	s_lshl_b64 s[0:1], s[16:17], 3
	s_load_dwordx2 s[16:17], s[4:5], 0x38
	s_add_u32 s0, s2, s0
	s_addc_u32 s1, s3, s1
	s_load_dwordx2 s[0:1], s[0:1], 0x0
	s_waitcnt lgkmcnt(0)
	s_lshl_b64 s[2:3], s[16:17], 2
	s_add_u32 s18, s0, s2
	s_addc_u32 s19, s1, s3
.LBB19_6:
	s_clause 0x1
	s_load_dword s15, s[4:5], 0x40
	s_load_dwordx4 s[0:3], s[4:5], 0x58
	s_waitcnt lgkmcnt(0)
	v_cmp_eq_f32_e64 s7, s15, 0
	v_cmp_neq_f32_e64 s24, s15, 0
	s_and_b32 vcc_lo, exec_lo, s7
	s_cbranch_vccnz .LBB19_8
; %bb.7:
	s_load_dwordx2 s[10:11], s[4:5], 0x48
	s_lshl_b64 s[16:17], s[22:23], 3
	s_waitcnt lgkmcnt(0)
	s_add_u32 s10, s10, s16
	s_addc_u32 s11, s11, s17
	s_lshl_b64 s[0:1], s[0:1], 2
	s_load_dwordx2 s[10:11], s[10:11], 0x0
	s_waitcnt lgkmcnt(0)
	s_add_u32 s10, s10, s0
	s_addc_u32 s11, s11, s1
.LBB19_8:
	s_load_dword s20, s[4:5], 0x18
	s_lshl_b64 s[0:1], s[22:23], 3
	v_lshl_add_u32 v3, v1, 3, v0
	v_mov_b32_e32 v4, 0x7f7fffff
	v_lshrrev_b32_e32 v74, 6, v3
	s_waitcnt lgkmcnt(0)
	s_ashr_i32 s21, s20, 31
	s_add_u32 s16, s2, s0
	s_addc_u32 s17, s3, s1
	s_add_i32 s0, s12, -1
	s_ashr_i32 s1, s0, 31
	s_lshr_b32 s1, s1, 26
	s_add_i32 s0, s0, s1
	s_ashr_i32 s0, s0, 6
	s_add_i32 s2, s0, 1
	s_not_b32 s0, s0
	v_cvt_f32_u32_e32 v2, s2
	v_rcp_iflag_f32_e32 v2, v2
	v_mul_f32_e32 v2, 0x4f7ffffe, v2
	v_cvt_u32_f32_e32 v2, v2
	v_readfirstlane_b32 s1, v2
	v_and_b32_e32 v2, 63, v3
	v_mov_b32_e32 v3, 0x7f7fffff
	s_mul_i32 s0, s0, s1
	s_mul_hi_u32 s0, s1, s0
	s_add_i32 s1, s1, s0
	s_mul_hi_u32 s0, s6, s1
	s_mul_i32 s1, s0, s2
	s_add_i32 s3, s0, 1
	s_sub_i32 s1, s6, s1
	s_sub_i32 s7, s1, s2
	s_cmp_ge_u32 s1, s2
	s_cselect_b32 s0, s3, s0
	s_cselect_b32 s1, s7, s1
	s_add_i32 s3, s0, 1
	s_cmp_ge_u32 s1, s2
	s_cselect_b32 s1, s3, s0
	s_mul_i32 s0, s1, s2
	s_sub_i32 s0, s6, s0
	v_cmp_le_i32_e64 s6, s14, v74
	s_lshl_b32 s25, s0, 6
	v_or_b32_e32 v66, s25, v2
	v_cmp_le_i32_e32 vcc_lo, s12, v66
	v_ashrrev_i32_e32 v67, 31, v66
	s_nor_b32 s0, vcc_lo, s6
	s_and_saveexec_b32 s2, s0
	s_cbranch_execz .LBB19_10
; %bb.9:
	v_mad_i64_i32 v[4:5], null, s20, v74, 0
	v_lshlrev_b64 v[6:7], 2, v[66:67]
	v_lshlrev_b64 v[4:5], 2, v[4:5]
	v_add_co_u32 v4, s0, s8, v4
	v_add_co_ci_u32_e64 v5, null, s9, v5, s0
	v_add_co_u32 v4, s0, v4, v6
	v_add_co_ci_u32_e64 v5, null, v5, v7, s0
	flat_load_dword v4, v[4:5]
.LBB19_10:
	s_or_b32 exec_lo, exec_lo, s2
	s_load_dword s22, s[4:5], 0x30
	s_lshl_b32 s26, s1, 8
	v_or_b32_e32 v68, s26, v2
	v_cmp_le_i32_e64 s0, s13, v68
	v_ashrrev_i32_e32 v69, 31, v68
	s_waitcnt lgkmcnt(0)
	v_mad_i64_i32 v[5:6], null, v74, s22, 0
	v_lshlrev_b64 v[5:6], 2, v[5:6]
	v_add_co_u32 v8, s1, s18, v5
	v_add_co_ci_u32_e64 v9, null, s19, v6, s1
	s_nor_b32 s1, s0, s6
	s_and_saveexec_b32 s2, s1
	s_cbranch_execz .LBB19_12
; %bb.11:
	v_lshlrev_b64 v[5:6], 2, v[68:69]
	v_add_co_u32 v5, s1, v8, v5
	v_add_co_ci_u32_e64 v6, null, v9, v6, s1
	flat_load_dword v3, v[5:6]
.LBB19_12:
	s_or_b32 exec_lo, exec_lo, s2
	v_or_b32_e32 v5, 64, v68
	v_mov_b32_e32 v6, 0x7f7fffff
	v_cmp_le_i32_e64 s1, s13, v5
	v_mov_b32_e32 v5, 0x7f7fffff
	s_nor_b32 s2, s1, s6
	s_and_saveexec_b32 s3, s2
	s_cbranch_execz .LBB19_14
; %bb.13:
	v_lshlrev_b64 v[6:7], 2, v[68:69]
	v_add_co_u32 v6, s2, v8, v6
	v_add_co_ci_u32_e64 v7, null, v9, v7, s2
	flat_load_dword v6, v[6:7] offset:256
.LBB19_14:
	s_or_b32 exec_lo, exec_lo, s3
	v_or_b32_e32 v7, 0x80, v68
	s_ashr_i32 s23, s22, 31
	v_cmp_le_i32_e64 s2, s13, v7
	s_nor_b32 s3, s2, s6
	s_and_saveexec_b32 s7, s3
	s_cbranch_execz .LBB19_16
; %bb.15:
	v_lshlrev_b64 v[10:11], 2, v[68:69]
	v_add_co_u32 v10, s3, v8, v10
	v_add_co_ci_u32_e64 v11, null, v9, v11, s3
	flat_load_dword v5, v[10:11] offset:512
.LBB19_16:
	s_or_b32 exec_lo, exec_lo, s7
	v_or_b32_e32 v7, 0xc0, v68
	v_mov_b32_e32 v70, 0x7f7fffff
	v_cmp_le_i32_e64 s3, s13, v7
	v_mov_b32_e32 v7, 0x7f7fffff
	s_nor_b32 s6, s3, s6
	s_and_saveexec_b32 s7, s6
	s_cbranch_execz .LBB19_18
; %bb.17:
	v_lshlrev_b64 v[10:11], 2, v[68:69]
	v_add_co_u32 v7, s6, v8, v10
	v_add_co_ci_u32_e64 v8, null, v9, v11, s6
	flat_load_dword v7, v[7:8] offset:768
.LBB19_18:
	s_or_b32 exec_lo, exec_lo, s7
	v_add_nc_u32_e32 v8, 4, v74
	v_cmp_le_i32_e64 s6, s14, v8
	s_nor_b32 s7, vcc_lo, s6
	s_and_saveexec_b32 s27, s7
	s_cbranch_execz .LBB19_20
; %bb.19:
	v_mad_u64_u32 v[9:10], null, s20, v8, 0
	v_mad_u64_u32 v[10:11], null, s21, v8, v[10:11]
	v_lshlrev_b64 v[11:12], 2, v[66:67]
	v_lshlrev_b64 v[9:10], 2, v[9:10]
	v_add_co_u32 v9, s7, s8, v9
	v_add_co_ci_u32_e64 v10, null, s9, v10, s7
	v_add_co_u32 v9, s7, v9, v11
	v_add_co_ci_u32_e64 v10, null, v10, v12, s7
	flat_load_dword v70, v[9:10]
.LBB19_20:
	s_or_b32 exec_lo, exec_lo, s27
	v_mad_u64_u32 v[9:10], null, v8, s22, 0
	v_mov_b32_e32 v71, 0x7f7fffff
	v_mov_b32_e32 v72, 0x7f7fffff
	v_mad_u64_u32 v[10:11], null, v8, s23, v[10:11]
	v_lshlrev_b64 v[8:9], 2, v[9:10]
	v_add_co_u32 v8, s7, s18, v8
	v_add_co_ci_u32_e64 v9, null, s19, v9, s7
	s_nor_b32 s7, s0, s6
	s_and_saveexec_b32 s27, s7
	s_cbranch_execz .LBB19_22
; %bb.21:
	v_lshlrev_b64 v[10:11], 2, v[68:69]
	v_add_co_u32 v10, s7, v8, v10
	v_add_co_ci_u32_e64 v11, null, v9, v11, s7
	flat_load_dword v72, v[10:11]
.LBB19_22:
	s_or_b32 exec_lo, exec_lo, s27
	s_nor_b32 s7, s1, s6
	s_and_saveexec_b32 s27, s7
	s_cbranch_execz .LBB19_24
; %bb.23:
	v_lshlrev_b64 v[10:11], 2, v[68:69]
	v_add_co_u32 v10, s7, v8, v10
	v_add_co_ci_u32_e64 v11, null, v9, v11, s7
	flat_load_dword v71, v[10:11] offset:256
.LBB19_24:
	s_or_b32 exec_lo, exec_lo, s27
	v_mov_b32_e32 v73, 0x7f7fffff
	v_mov_b32_e32 v121, 0x7f7fffff
	s_nor_b32 s7, s2, s6
	s_and_saveexec_b32 s27, s7
	s_cbranch_execz .LBB19_26
; %bb.25:
	v_lshlrev_b64 v[10:11], 2, v[68:69]
	v_add_co_u32 v10, s7, v8, v10
	v_add_co_ci_u32_e64 v11, null, v9, v11, s7
	flat_load_dword v121, v[10:11] offset:512
.LBB19_26:
	s_or_b32 exec_lo, exec_lo, s27
	s_nor_b32 s6, s3, s6
	s_and_saveexec_b32 s7, s6
	s_cbranch_execz .LBB19_28
; %bb.27:
	v_lshlrev_b64 v[10:11], 2, v[68:69]
	v_add_co_u32 v8, s6, v8, v10
	v_add_co_ci_u32_e64 v9, null, v9, v11, s6
	flat_load_dword v73, v[8:9] offset:768
.LBB19_28:
	s_or_b32 exec_lo, exec_lo, s7
	v_lshlrev_b32_e32 v2, 4, v2
	v_lshlrev_b32_e32 v76, 4, v0
	s_load_dwordx2 s[16:17], s[16:17], 0x0
	v_lshlrev_b32_e32 v75, 4, v1
	s_cmp_lt_i32 s14, 9
	v_lshl_add_u32 v77, v74, 2, v2
	s_waitcnt vmcnt(0)
	ds_write_b32 v77, v4 offset:8192
	s_waitcnt lgkmcnt(0)
	ds_write2st64_b32 v77, v3, v6 offset1:4
	ds_write2st64_b32 v77, v5, v7 offset0:8 offset1:12
	s_waitcnt lgkmcnt(0)
	s_barrier
	buffer_gl0_inv
	ds_read_b128 v[34:37], v76 offset:8192
	ds_read_b128 v[30:33], v76 offset:8320
	;; [unrolled: 1-line block ×8, first 2 shown]
	ds_read_b128 v[62:65], v75
	ds_read_b128 v[58:61], v75 offset:512
	ds_read_b128 v[54:57], v75 offset:1024
	;; [unrolled: 1-line block ×7, first 2 shown]
	ds_write_b32 v77, v70 offset:9216
	ds_write2st64_b32 v77, v72, v71 offset0:16 offset1:20
	ds_write2st64_b32 v77, v121, v73 offset0:24 offset1:28
	s_waitcnt lgkmcnt(0)
	s_barrier
	buffer_gl0_inv
	v_add_f32_e32 v78, v35, v63
	v_add_f32_e32 v79, v34, v62
	v_add_f32_e32 v80, v30, v62
	v_add_f32_e32 v81, v26, v62
	v_add_f32_e32 v82, v18, v62
	v_add_f32_e32 v83, v14, v62
	v_min3_f32 v78, v79, v78, 0x7f7fffff
	v_add_f32_e32 v79, v31, v63
	v_add_f32_e32 v122, v6, v38
	v_min3_f32 v79, v80, v79, 0x7f7fffff
	v_add_f32_e32 v80, v27, v63
	v_min3_f32 v80, v81, v80, 0x7f7fffff
	;; [unrolled: 2-line block ×4, first 2 shown]
	v_add_f32_e32 v82, v11, v63
	v_add_f32_e32 v83, v10, v62
	v_min3_f32 v118, v83, v82, 0x7f7fffff
	v_add_f32_e32 v82, v7, v63
	v_add_f32_e32 v83, v6, v62
	v_add_f32_e32 v63, v3, v63
	v_add_f32_e32 v62, v2, v62
	v_min3_f32 v119, v83, v82, 0x7f7fffff
	v_min3_f32 v120, v62, v63, 0x7f7fffff
	v_add_f32_e32 v62, v35, v59
	v_add_f32_e32 v63, v34, v58
	v_min3_f32 v116, v63, v62, 0x7f7fffff
	v_add_f32_e32 v62, v31, v59
	v_add_f32_e32 v63, v30, v58
	v_min3_f32 v115, v63, v62, 0x7f7fffff
	v_add_f32_e32 v62, v27, v59
	v_add_f32_e32 v63, v26, v58
	v_min3_f32 v114, v63, v62, 0x7f7fffff
	v_add_f32_e32 v62, v19, v59
	v_add_f32_e32 v63, v18, v58
	v_min3_f32 v113, v63, v62, 0x7f7fffff
	v_add_f32_e32 v62, v15, v59
	v_add_f32_e32 v63, v14, v58
	v_min3_f32 v112, v63, v62, 0x7f7fffff
	v_add_f32_e32 v62, v11, v59
	v_add_f32_e32 v63, v10, v58
	v_min3_f32 v111, v63, v62, 0x7f7fffff
	v_add_f32_e32 v62, v7, v59
	v_add_f32_e32 v63, v6, v58
	v_add_f32_e32 v59, v3, v59
	v_add_f32_e32 v58, v2, v58
	v_min3_f32 v110, v63, v62, 0x7f7fffff
	v_min3_f32 v109, v58, v59, 0x7f7fffff
	v_add_f32_e32 v58, v35, v55
	v_add_f32_e32 v59, v34, v54
	v_min3_f32 v108, v59, v58, 0x7f7fffff
	v_add_f32_e32 v58, v31, v55
	v_add_f32_e32 v59, v30, v54
	v_min3_f32 v107, v59, v58, 0x7f7fffff
	v_add_f32_e32 v58, v27, v55
	v_add_f32_e32 v59, v26, v54
	v_min3_f32 v106, v59, v58, 0x7f7fffff
	v_add_f32_e32 v58, v19, v55
	v_add_f32_e32 v59, v18, v54
	v_min3_f32 v105, v59, v58, 0x7f7fffff
	v_add_f32_e32 v58, v15, v55
	v_add_f32_e32 v59, v14, v54
	v_min3_f32 v104, v59, v58, 0x7f7fffff
	;; [unrolled: 24-line block ×5, first 2 shown]
	v_add_f32_e32 v46, v11, v43
	v_add_f32_e32 v47, v10, v42
	v_min3_f32 v59, v47, v46, 0x7f7fffff
	v_add_f32_e32 v46, v7, v43
	v_add_f32_e32 v47, v6, v42
	;; [unrolled: 1-line block ×5, first 2 shown]
	v_min3_f32 v58, v47, v46, 0x7f7fffff
	v_min3_f32 v55, v42, v43, 0x7f7fffff
	v_add_f32_e32 v42, v35, v39
	v_add_f32_e32 v43, v34, v38
	;; [unrolled: 1-line block ×4, first 2 shown]
	v_min3_f32 v54, v43, v42, 0x7f7fffff
	v_add_f32_e32 v42, v31, v39
	v_add_f32_e32 v43, v30, v38
	v_min3_f32 v34, v34, v35, 0x7f7fffff
	v_add_f32_e32 v31, v31, v23
	v_add_f32_e32 v30, v30, v22
	;; [unrolled: 3-line block ×9, first 2 shown]
	v_add_f32_e32 v38, v2, v38
	v_add_f32_e32 v2, v2, v22
	v_min3_f32 v14, v14, v15, 0x7f7fffff
	v_add_f32_e32 v11, v11, v23
	v_min3_f32 v43, v43, v42, 0x7f7fffff
	v_add_f32_e32 v42, v7, v39
	v_add_f32_e32 v39, v3, v39
	;; [unrolled: 1-line block ×5, first 2 shown]
	v_min3_f32 v42, v122, v42, 0x7f7fffff
	v_min3_f32 v38, v38, v39, 0x7f7fffff
	;; [unrolled: 1-line block ×4, first 2 shown]
	v_add_f32_e32 v3, v37, v65
	v_add_f32_e32 v7, v36, v64
	v_min3_f32 v10, v10, v11, 0x7f7fffff
	v_min3_f32 v143, v7, v3, v78
	v_add_f32_e32 v3, v33, v65
	v_add_f32_e32 v7, v32, v64
	v_min3_f32 v142, v7, v3, v79
	v_add_f32_e32 v3, v29, v65
	v_add_f32_e32 v7, v28, v64
	;; [unrolled: 3-line block ×55, first 2 shown]
	v_add_f32_e32 v4, v4, v24
	v_min3_f32 v89, v7, v3, v38
	v_add_f32_e32 v3, v37, v25
	v_add_f32_e32 v7, v36, v24
	v_min3_f32 v88, v7, v3, v34
	v_add_f32_e32 v3, v33, v25
	;; [unrolled: 3-line block ×8, first 2 shown]
	v_min3_f32 v91, v4, v3, v2
	s_cbranch_scc1 .LBB19_51
; %bb.29:
	v_lshlrev_b64 v[2:3], 2, v[66:67]
	v_add_nc_u32_e32 v6, 8, v74
	v_add_nc_u32_e32 v10, 12, v74
	v_or_b32_e32 v121, 0x2000, v77
	v_or_b32_e32 v130, 0x2000, v76
	v_add_nc_u32_e32 v144, 0x2400, v77
	v_add_co_u32 v146, s6, s8, v2
	v_mad_i64_i32 v[4:5], null, v6, s20, 0
	v_mad_i64_i32 v[6:7], null, v6, s22, 0
	v_mad_i64_i32 v[8:9], null, v10, s22, 0
	v_mad_i64_i32 v[10:11], null, v10, s20, 0
	v_add_co_ci_u32_e64 v147, null, s9, v3, s6
	v_lshlrev_b64 v[2:3], 2, v[68:69]
	v_lshlrev_b64 v[66:67], 2, v[4:5]
	;; [unrolled: 1-line block ×5, first 2 shown]
	v_or_b32_e32 v145, 0x1000, v77
	v_add_co_u32 v150, s6, s18, v2
	v_lshl_add_u32 v148, v0, 4, 0x2400
	v_lshl_or_b32 v149, v1, 4, 0x1000
	v_add_co_ci_u32_e64 v151, null, s19, v3, s6
	s_add_i32 s27, s14, -8
	s_lshl_b64 s[8:9], s[20:21], 5
	s_lshl_b64 s[18:19], s[22:23], 5
	s_mov_b32 s20, 0
	s_branch .LBB19_31
.LBB19_30:                              ;   in Loop: Header=BB19_31 Depth=1
	s_or_b32 exec_lo, exec_lo, s7
	v_add_f32_e32 v157, v35, v63
	v_add_f32_e32 v158, v34, v62
	;; [unrolled: 1-line block ×6, first 2 shown]
	v_min3_f32 v143, v158, v157, v143
	v_add_f32_e32 v157, v23, v63
	v_min3_f32 v142, v160, v159, v142
	v_add_f32_e32 v158, v22, v62
	v_min3_f32 v141, v162, v161, v141
	v_add_f32_e32 v159, v19, v63
	v_add_f32_e32 v160, v18, v62
	v_add_f32_e32 v161, v15, v63
	v_add_f32_e32 v162, v14, v62
	v_add_f32_e32 v163, v7, v63
	v_add_f32_e32 v164, v6, v62
	v_add_f32_e32 v63, v3, v63
	v_add_f32_e32 v62, v2, v62
	v_min3_f32 v81, v158, v157, v81
	v_min3_f32 v79, v160, v159, v79
	v_add_f32_e32 v157, v31, v59
	v_add_f32_e32 v158, v30, v58
	v_min3_f32 v62, v62, v63, v140
	v_add_f32_e32 v63, v35, v59
	v_add_f32_e32 v140, v34, v58
	;; [unrolled: 1-line block ×4, first 2 shown]
	v_min3_f32 v78, v162, v161, v78
	v_min3_f32 v80, v164, v163, v80
	v_add_f32_e32 v161, v23, v59
	v_add_f32_e32 v162, v22, v58
	;; [unrolled: 1-line block ×4, first 2 shown]
	v_min3_f32 v63, v140, v63, v139
	v_min3_f32 v138, v158, v157, v138
	v_min3_f32 v137, v160, v159, v137
	v_add_f32_e32 v139, v15, v59
	v_add_f32_e32 v140, v14, v58
	;; [unrolled: 1-line block ×8, first 2 shown]
	v_min3_f32 v136, v162, v161, v136
	v_add_f32_e32 v161, v31, v55
	v_add_f32_e32 v162, v30, v54
	v_min3_f32 v134, v140, v139, v134
	v_min3_f32 v133, v158, v157, v133
	;; [unrolled: 1-line block ×4, first 2 shown]
	v_add_f32_e32 v131, v27, v55
	v_add_f32_e32 v132, v26, v54
	;; [unrolled: 1-line block ×6, first 2 shown]
	v_min3_f32 v129, v162, v161, v129
	v_add_f32_e32 v159, v15, v55
	v_add_f32_e32 v160, v14, v54
	;; [unrolled: 1-line block ×4, first 2 shown]
	v_min3_f32 v128, v132, v131, v128
	v_min3_f32 v127, v140, v139, v127
	;; [unrolled: 1-line block ×3, first 2 shown]
	v_add_f32_e32 v55, v3, v55
	v_add_f32_e32 v54, v2, v54
	;; [unrolled: 1-line block ×8, first 2 shown]
	v_min3_f32 v125, v160, v159, v125
	v_add_f32_e32 v159, v23, v51
	v_add_f32_e32 v160, v22, v50
	v_min3_f32 v54, v54, v55, v122
	v_min3_f32 v55, v132, v131, v123
	;; [unrolled: 1-line block ×4, first 2 shown]
	v_add_f32_e32 v122, v19, v51
	v_add_f32_e32 v123, v18, v50
	v_add_f32_e32 v131, v15, v51
	v_add_f32_e32 v132, v14, v50
	v_add_f32_e32 v139, v7, v51
	v_add_f32_e32 v140, v6, v50
	v_add_f32_e32 v51, v3, v51
	v_add_f32_e32 v50, v2, v50
	v_add_f32_e32 v157, v35, v47
	v_add_f32_e32 v158, v34, v46
	v_min3_f32 v117, v123, v122, v117
	v_min3_f32 v116, v132, v131, v116
	;; [unrolled: 1-line block ×3, first 2 shown]
	v_add_f32_e32 v114, v30, v46
	v_min3_f32 v51, v158, v157, v113
	v_add_f32_e32 v113, v31, v47
	v_add_f32_e32 v122, v27, v47
	v_add_f32_e32 v123, v26, v46
	v_add_f32_e32 v131, v23, v47
	v_add_f32_e32 v132, v22, v46
	v_min3_f32 v115, v140, v139, v115
	v_add_f32_e32 v139, v19, v47
	v_add_f32_e32 v140, v18, v46
	;; [unrolled: 1-line block ×4, first 2 shown]
	v_min3_f32 v112, v114, v113, v112
	v_min3_f32 v111, v123, v122, v111
	;; [unrolled: 1-line block ×3, first 2 shown]
	v_add_f32_e32 v113, v7, v47
	v_add_f32_e32 v114, v6, v46
	;; [unrolled: 1-line block ×8, first 2 shown]
	v_min3_f32 v109, v140, v139, v109
	v_add_f32_e32 v139, v27, v43
	v_add_f32_e32 v140, v26, v42
	v_min3_f32 v107, v114, v113, v107
	v_min3_f32 v46, v46, v47, v106
	;; [unrolled: 1-line block ×4, first 2 shown]
	v_add_f32_e32 v105, v23, v43
	v_add_f32_e32 v106, v22, v42
	;; [unrolled: 1-line block ×10, first 2 shown]
	v_min3_f32 v102, v106, v105, v102
	v_add_f32_e32 v105, v31, v39
	v_add_f32_e32 v106, v30, v38
	v_min3_f32 v101, v114, v113, v101
	v_min3_f32 v42, v42, v43, v98
	v_add_f32_e32 v43, v35, v39
	v_add_f32_e32 v98, v34, v38
	v_min3_f32 v100, v123, v122, v100
	v_min3_f32 v99, v132, v131, v99
	v_add_f32_e32 v113, v27, v39
	v_add_f32_e32 v114, v26, v38
	;; [unrolled: 1-line block ×6, first 2 shown]
	v_min3_f32 v43, v98, v43, v97
	v_min3_f32 v96, v106, v105, v96
	v_add_f32_e32 v97, v15, v39
	v_add_f32_e32 v98, v14, v38
	v_add_f32_e32 v105, v7, v39
	v_add_f32_e32 v106, v6, v38
	v_add_f32_e32 v39, v3, v39
	v_add_f32_e32 v38, v2, v38
	v_add_f32_e32 v35, v35, v11
	v_add_f32_e32 v34, v34, v10
	v_add_f32_e32 v31, v31, v11
	v_add_f32_e32 v30, v30, v10
	v_add_f32_e32 v19, v19, v11
	v_add_f32_e32 v18, v18, v10
	v_add_f32_e32 v15, v15, v11
	v_add_f32_e32 v14, v14, v10
	v_add_f32_e32 v7, v7, v11
	v_add_f32_e32 v6, v6, v10
	v_min3_f32 v38, v38, v39, v89
	v_min3_f32 v34, v34, v35, v88
	;; [unrolled: 1-line block ×3, first 2 shown]
	v_add_f32_e32 v27, v27, v11
	v_add_f32_e32 v26, v26, v10
	;; [unrolled: 1-line block ×4, first 2 shown]
	v_min3_f32 v31, v18, v19, v84
	v_min3_f32 v35, v14, v15, v83
	;; [unrolled: 1-line block ×3, first 2 shown]
	v_add_f32_e32 v3, v3, v11
	v_add_f32_e32 v2, v2, v10
	;; [unrolled: 1-line block ×10, first 2 shown]
	v_min3_f32 v26, v26, v27, v86
	v_min3_f32 v27, v22, v23, v85
	;; [unrolled: 1-line block ×7, first 2 shown]
	v_add_f32_e32 v3, v21, v65
	v_add_f32_e32 v6, v20, v64
	;; [unrolled: 1-line block ×10, first 2 shown]
	v_min3_f32 v135, v164, v163, v135
	v_min3_f32 v64, v6, v3, v79
	;; [unrolled: 1-line block ×6, first 2 shown]
	v_add_f32_e32 v3, v33, v61
	v_add_f32_e32 v6, v32, v60
	;; [unrolled: 1-line block ×10, first 2 shown]
	v_min3_f32 v79, v6, v3, v138
	v_min3_f32 v80, v10, v7, v137
	;; [unrolled: 1-line block ×5, first 2 shown]
	v_add_f32_e32 v3, v9, v61
	v_add_f32_e32 v6, v8, v60
	;; [unrolled: 1-line block ×10, first 2 shown]
	v_min3_f32 v124, v162, v161, v124
	v_min3_f32 v92, v98, v97, v92
	;; [unrolled: 1-line block ×7, first 2 shown]
	v_add_f32_e32 v3, v25, v57
	v_add_f32_e32 v6, v24, v56
	;; [unrolled: 1-line block ×10, first 2 shown]
	v_min3_f32 v118, v160, v159, v118
	v_min3_f32 v95, v114, v113, v95
	;; [unrolled: 1-line block ×9, first 2 shown]
	v_add_f32_e32 v3, v37, v53
	v_add_f32_e32 v6, v36, v52
	v_add_f32_e32 v7, v33, v53
	v_add_f32_e32 v10, v32, v52
	v_add_f32_e32 v11, v29, v53
	v_add_f32_e32 v14, v28, v52
	v_add_f32_e32 v15, v25, v53
	v_add_f32_e32 v18, v24, v52
	v_add_f32_e32 v19, v21, v53
	v_add_f32_e32 v22, v20, v52
	v_min3_f32 v123, v6, v3, v55
	v_min3_f32 v120, v10, v7, v120
	v_min3_f32 v119, v14, v11, v119
	v_min3_f32 v118, v18, v15, v118
	v_min3_f32 v117, v22, v19, v117
	v_add_f32_e32 v3, v17, v53
	v_add_f32_e32 v6, v16, v52
	v_add_f32_e32 v7, v9, v53
	v_add_f32_e32 v10, v8, v52
	v_add_f32_e32 v11, v5, v53
	v_add_f32_e32 v14, v4, v52
	v_add_f32_e32 v15, v37, v49
	v_add_f32_e32 v18, v36, v48
	v_add_f32_e32 v19, v33, v49
	v_add_f32_e32 v22, v32, v48
	v_min3_f32 v108, v158, v157, v108
	v_min3_f32 v116, v6, v3, v116
	v_min3_f32 v115, v10, v7, v115
	v_min3_f32 v124, v14, v11, v50
	v_min3_f32 v125, v18, v15, v51
	v_min3_f32 v112, v22, v19, v112
	v_add_f32_e32 v3, v29, v49
	v_add_f32_e32 v6, v28, v48
	v_add_f32_e32 v7, v25, v49
	v_add_f32_e32 v10, v24, v48
	v_add_f32_e32 v11, v21, v49
	v_add_f32_e32 v14, v20, v48
	v_add_f32_e32 v15, v17, v49
	v_add_f32_e32 v18, v16, v48
	v_add_f32_e32 v19, v9, v49
	v_add_f32_e32 v22, v8, v48
	v_min3_f32 v103, v140, v139, v103
	v_min3_f32 v111, v6, v3, v111
	v_min3_f32 v110, v10, v7, v110
	v_min3_f32 v109, v14, v11, v109
	v_min3_f32 v108, v18, v15, v108
	v_min3_f32 v107, v22, v19, v107
	v_add_f32_e32 v3, v5, v49
	v_add_f32_e32 v6, v4, v48
	v_add_f32_e32 v7, v37, v45
	v_add_f32_e32 v10, v36, v44
	v_add_f32_e32 v11, v33, v45
	v_add_f32_e32 v14, v32, v44
	v_add_f32_e32 v15, v29, v45
	v_add_f32_e32 v18, v28, v44
	v_add_f32_e32 v19, v25, v45
	v_add_f32_e32 v22, v24, v44
	v_min3_f32 v126, v6, v3, v46
	v_min3_f32 v127, v10, v7, v47
	v_min3_f32 v104, v14, v11, v104
	;; [unrolled: 1-line block ×4, first 2 shown]
	v_add_f32_e32 v3, v21, v45
	v_add_f32_e32 v6, v20, v44
	;; [unrolled: 1-line block ×10, first 2 shown]
	v_min3_f32 v93, v132, v131, v93
	v_min3_f32 v101, v6, v3, v101
	;; [unrolled: 1-line block ×6, first 2 shown]
	v_add_f32_e32 v3, v33, v41
	v_add_f32_e32 v6, v32, v40
	;; [unrolled: 1-line block ×10, first 2 shown]
	v_min3_f32 v96, v6, v3, v96
	v_min3_f32 v95, v10, v7, v95
	;; [unrolled: 1-line block ×5, first 2 shown]
	v_add_f32_e32 v3, v9, v41
	v_add_f32_e32 v6, v8, v40
	;; [unrolled: 1-line block ×10, first 2 shown]
	v_min3_f32 v90, v6, v3, v90
	v_min3_f32 v131, v10, v7, v38
	;; [unrolled: 1-line block ×5, first 2 shown]
	v_add_f32_e32 v3, v25, v13
	v_add_f32_e32 v10, v24, v12
	;; [unrolled: 1-line block ×6, first 2 shown]
	ds_read_b128 v[14:17], v130
	ds_read_b128 v[18:21], v75
	v_add_f32_e32 v30, v9, v13
	ds_read_b128 v[22:25], v130 offset:128
	v_add_f32_e32 v32, v8, v12
	ds_read_b128 v[6:9], v130 offset:256
	v_add_f32_e32 v5, v5, v13
	v_add_f32_e32 v4, v4, v12
	v_min3_f32 v135, v10, v3, v27
	v_min3_f32 v136, v26, v11, v31
	;; [unrolled: 1-line block ×5, first 2 shown]
	ds_read_b128 v[2:5], v130 offset:384
	ds_read_b128 v[10:13], v130 offset:512
	ds_read_b128 v[26:29], v130 offset:640
	ds_read_b128 v[30:33], v130 offset:768
	ds_read_b128 v[34:37], v130 offset:896
	ds_read_b128 v[38:41], v75 offset:512
	ds_read_b128 v[42:45], v75 offset:1024
	ds_read_b128 v[46:49], v75 offset:1536
	ds_read_b128 v[50:53], v75 offset:2048
	ds_read_b128 v[54:57], v75 offset:2560
	ds_read_b128 v[58:61], v75 offset:3072
	v_add_co_u32 v146, s6, v146, s8
	v_add_co_ci_u32_e64 v147, null, s9, v147, s6
	v_add_co_u32 v150, s6, v150, s18
	s_waitcnt lgkmcnt(13)
	v_add_f32_e32 v140, v15, v19
	v_add_f32_e32 v141, v14, v18
	s_waitcnt lgkmcnt(12)
	v_add_f32_e32 v142, v23, v19
	v_add_f32_e32 v143, v22, v18
	;; [unrolled: 3-line block ×3, first 2 shown]
	v_min3_f32 v82, v141, v140, v82
	s_waitcnt lgkmcnt(10)
	v_add_f32_e32 v140, v3, v19
	v_min3_f32 v83, v143, v142, v83
	v_add_f32_e32 v141, v2, v18
	v_min3_f32 v84, v158, v157, v84
	s_waitcnt lgkmcnt(9)
	v_add_f32_e32 v142, v11, v19
	v_add_f32_e32 v143, v10, v18
	s_waitcnt lgkmcnt(8)
	v_add_f32_e32 v157, v27, v19
	v_add_f32_e32 v158, v26, v18
	s_waitcnt lgkmcnt(7)
	v_add_f32_e32 v159, v31, v19
	v_add_f32_e32 v160, v30, v18
	s_waitcnt lgkmcnt(6)
	v_add_f32_e32 v19, v35, v19
	v_add_f32_e32 v18, v34, v18
	v_min3_f32 v81, v141, v140, v81
	v_min3_f32 v140, v143, v142, v64
	;; [unrolled: 1-line block ×5, first 2 shown]
	s_waitcnt lgkmcnt(5)
	v_add_f32_e32 v19, v15, v39
	v_add_f32_e32 v62, v14, v38
	;; [unrolled: 1-line block ×6, first 2 shown]
	v_min3_f32 v19, v62, v19, v63
	v_add_f32_e32 v62, v27, v39
	v_add_f32_e32 v63, v26, v38
	;; [unrolled: 1-line block ×6, first 2 shown]
	v_min3_f32 v161, v65, v64, v79
	v_min3_f32 v162, v141, v78, v80
	v_add_f32_e32 v64, v31, v39
	v_add_f32_e32 v65, v30, v38
	;; [unrolled: 1-line block ×4, first 2 shown]
	s_waitcnt lgkmcnt(4)
	v_add_f32_e32 v78, v15, v43
	v_add_f32_e32 v79, v14, v42
	;; [unrolled: 1-line block ×4, first 2 shown]
	v_min3_f32 v87, v63, v62, v87
	v_add_f32_e32 v62, v7, v43
	v_add_f32_e32 v63, v6, v42
	v_min3_f32 v88, v65, v64, v88
	v_min3_f32 v38, v38, v39, v89
	;; [unrolled: 1-line block ×4, first 2 shown]
	v_add_f32_e32 v64, v3, v43
	v_add_f32_e32 v65, v2, v42
	;; [unrolled: 1-line block ×8, first 2 shown]
	v_min3_f32 v98, v63, v62, v98
	v_add_f32_e32 v43, v35, v43
	v_add_f32_e32 v42, v34, v42
	s_waitcnt lgkmcnt(3)
	v_add_f32_e32 v62, v15, v47
	v_add_f32_e32 v63, v14, v46
	v_min3_f32 v105, v65, v64, v105
	v_add_f32_e32 v64, v23, v47
	v_add_f32_e32 v65, v22, v46
	v_min3_f32 v42, v42, v43, v122
	v_min3_f32 v43, v63, v62, v123
	v_add_f32_e32 v62, v11, v47
	v_add_f32_e32 v63, v10, v46
	v_min3_f32 v106, v79, v78, v106
	v_min3_f32 v91, v91, v80, v113
	v_min3_f32 v97, v141, v97, v114
	v_add_f32_e32 v78, v7, v47
	v_add_f32_e32 v79, v6, v46
	;; [unrolled: 1-line block ×4, first 2 shown]
	v_min3_f32 v114, v65, v64, v120
	v_add_f32_e32 v64, v27, v47
	v_add_f32_e32 v65, v26, v46
	v_min3_f32 v117, v63, v62, v117
	s_waitcnt lgkmcnt(2)
	v_add_f32_e32 v62, v23, v51
	v_add_f32_e32 v63, v22, v50
	v_min3_f32 v119, v79, v78, v119
	v_min3_f32 v113, v113, v80, v118
	v_add_f32_e32 v78, v31, v47
	v_add_f32_e32 v79, v30, v46
	v_add_f32_e32 v47, v35, v47
	v_add_f32_e32 v46, v34, v46
	v_add_f32_e32 v80, v15, v51
	v_add_f32_e32 v118, v14, v50
	v_min3_f32 v116, v65, v64, v116
	v_add_f32_e32 v64, v7, v51
	v_add_f32_e32 v65, v6, v50
	v_min3_f32 v112, v63, v62, v112
	v_add_f32_e32 v62, v31, v51
	v_add_f32_e32 v63, v30, v50
	v_min3_f32 v115, v79, v78, v115
	v_min3_f32 v46, v46, v47, v124
	;; [unrolled: 1-line block ×3, first 2 shown]
	v_add_f32_e32 v78, v3, v51
	v_add_f32_e32 v79, v2, v50
	;; [unrolled: 1-line block ×6, first 2 shown]
	v_min3_f32 v111, v65, v64, v111
	v_add_f32_e32 v51, v35, v51
	v_add_f32_e32 v50, v34, v50
	s_waitcnt lgkmcnt(1)
	v_add_f32_e32 v64, v15, v55
	v_add_f32_e32 v65, v14, v54
	v_min3_f32 v107, v63, v62, v107
	v_add_f32_e32 v62, v3, v55
	v_add_f32_e32 v63, v2, v54
	v_min3_f32 v50, v50, v51, v126
	v_min3_f32 v51, v65, v64, v127
	;; [unrolled: 1-line block ×5, first 2 shown]
	ds_read_b128 v[62:65], v75 offset:3584
	v_add_f32_e32 v78, v23, v55
	v_add_f32_e32 v79, v22, v54
	;; [unrolled: 1-line block ×4, first 2 shown]
	v_min3_f32 v108, v122, v120, v108
	v_add_f32_e32 v120, v31, v55
	v_min3_f32 v104, v79, v78, v104
	v_add_f32_e32 v78, v11, v55
	;; [unrolled: 2-line block ×3, first 2 shown]
	v_add_f32_e32 v80, v27, v55
	v_add_f32_e32 v118, v26, v54
	;; [unrolled: 1-line block ×5, first 2 shown]
	v_min3_f32 v101, v79, v78, v101
	v_min3_f32 v100, v118, v80, v100
	s_waitcnt lgkmcnt(1)
	v_add_f32_e32 v78, v14, v58
	v_add_f32_e32 v79, v23, v59
	v_min3_f32 v54, v54, v55, v128
	v_add_f32_e32 v55, v15, v59
	v_add_f32_e32 v80, v22, v58
	s_waitcnt lgkmcnt(0)
	v_add_f32_e32 v15, v15, v63
	v_add_f32_e32 v14, v14, v62
	;; [unrolled: 1-line block ×4, first 2 shown]
	v_min3_f32 v99, v122, v120, v99
	v_add_f32_e32 v118, v7, v59
	v_add_f32_e32 v120, v6, v58
	;; [unrolled: 1-line block ×6, first 2 shown]
	v_min3_f32 v55, v78, v55, v129
	v_min3_f32 v96, v80, v79, v96
	v_add_f32_e32 v78, v27, v59
	v_add_f32_e32 v79, v26, v58
	v_min3_f32 v14, v14, v15, v132
	v_min3_f32 v15, v22, v23, v133
	v_add_f32_e32 v7, v7, v63
	v_add_f32_e32 v6, v6, v62
	;; [unrolled: 1-line block ×10, first 2 shown]
	v_min3_f32 v95, v120, v118, v95
	v_add_f32_e32 v80, v31, v59
	v_add_f32_e32 v118, v30, v58
	v_add_f32_e32 v59, v35, v59
	v_add_f32_e32 v58, v34, v58
	v_min3_f32 v6, v6, v7, v134
	v_min3_f32 v2, v2, v3, v135
	;; [unrolled: 1-line block ×5, first 2 shown]
	v_add_f32_e32 v11, v35, v63
	v_add_f32_e32 v22, v34, v62
	;; [unrolled: 1-line block ×4, first 2 shown]
	v_min3_f32 v85, v143, v142, v85
	v_min3_f32 v58, v58, v59, v131
	v_add_f32_e32 v27, v25, v21
	v_add_f32_e32 v30, v24, v20
	;; [unrolled: 1-line block ×6, first 2 shown]
	v_min3_f32 v11, v22, v11, v139
	v_min3_f32 v143, v26, v23, v82
	v_add_f32_e32 v22, v13, v21
	v_add_f32_e32 v23, v12, v20
	v_min3_f32 v92, v79, v78, v92
	v_min3_f32 v142, v30, v27, v83
	v_min3_f32 v141, v34, v31, v84
	v_min3_f32 v81, v59, v35, v81
	v_add_f32_e32 v26, v29, v21
	v_add_f32_e32 v27, v28, v20
	;; [unrolled: 1-line block ×8, first 2 shown]
	v_min3_f32 v79, v23, v22, v140
	v_add_f32_e32 v22, v5, v41
	v_add_f32_e32 v23, v4, v40
	v_min3_f32 v140, v20, v21, v18
	v_min3_f32 v139, v35, v34, v19
	v_add_f32_e32 v18, v25, v41
	v_add_f32_e32 v19, v24, v40
	;; [unrolled: 1-line block ×4, first 2 shown]
	v_min3_f32 v136, v23, v22, v85
	v_add_f32_e32 v22, v17, v45
	v_add_f32_e32 v23, v16, v44
	v_min3_f32 v86, v160, v159, v86
	v_min3_f32 v90, v118, v80, v90
	;; [unrolled: 1-line block ×4, first 2 shown]
	v_add_f32_e32 v26, v13, v41
	v_add_f32_e32 v27, v12, v40
	;; [unrolled: 1-line block ×4, first 2 shown]
	v_min3_f32 v138, v19, v18, v161
	v_min3_f32 v137, v21, v20, v162
	v_add_f32_e32 v18, v33, v41
	v_add_f32_e32 v19, v32, v40
	;; [unrolled: 1-line block ×4, first 2 shown]
	v_min3_f32 v131, v23, v22, v39
	v_add_f32_e32 v22, v29, v45
	v_add_f32_e32 v23, v28, v44
	v_min3_f32 v93, v125, v124, v93
	v_min3_f32 v135, v27, v26, v86
	;; [unrolled: 1-line block ×3, first 2 shown]
	v_add_f32_e32 v26, v25, v45
	v_add_f32_e32 v27, v24, v44
	;; [unrolled: 1-line block ×4, first 2 shown]
	v_min3_f32 v133, v19, v18, v88
	v_min3_f32 v132, v21, v20, v38
	v_add_f32_e32 v18, v5, v45
	v_add_f32_e32 v19, v4, v44
	;; [unrolled: 1-line block ×4, first 2 shown]
	v_min3_f32 v125, v23, v22, v91
	v_add_f32_e32 v22, v9, v49
	v_add_f32_e32 v23, v8, v48
	v_min3_f32 v129, v27, v26, v89
	v_min3_f32 v128, v31, v30, v98
	v_add_f32_e32 v26, v33, v45
	v_add_f32_e32 v27, v32, v44
	;; [unrolled: 1-line block ×4, first 2 shown]
	v_min3_f32 v127, v19, v18, v105
	v_min3_f32 v126, v21, v20, v106
	v_add_f32_e32 v18, v17, v49
	v_add_f32_e32 v19, v16, v48
	v_add_f32_e32 v20, v25, v49
	v_add_f32_e32 v21, v24, v48
	v_min3_f32 v119, v23, v22, v119
	v_add_f32_e32 v22, v37, v49
	v_add_f32_e32 v23, v36, v48
	v_min3_f32 v94, v123, v122, v94
	v_min3_f32 v124, v27, v26, v97
	;; [unrolled: 1-line block ×3, first 2 shown]
	v_add_f32_e32 v26, v5, v49
	v_add_f32_e32 v27, v4, v48
	v_add_f32_e32 v30, v13, v49
	v_add_f32_e32 v31, v12, v48
	v_min3_f32 v123, v19, v18, v43
	v_min3_f32 v120, v21, v20, v114
	v_add_f32_e32 v18, v29, v49
	v_add_f32_e32 v19, v28, v48
	v_add_f32_e32 v20, v33, v49
	v_add_f32_e32 v21, v32, v48
	v_min3_f32 v114, v23, v22, v46
	v_add_f32_e32 v22, v13, v53
	v_add_f32_e32 v23, v12, v52
	v_min3_f32 v118, v27, v26, v113
	v_min3_f32 v117, v31, v30, v117
	v_add_f32_e32 v26, v17, v53
	v_add_f32_e32 v27, v16, v52
	v_add_f32_e32 v30, v25, v53
	v_add_f32_e32 v31, v24, v52
	v_min3_f32 v116, v19, v18, v116
	v_min3_f32 v115, v21, v20, v115
	v_add_f32_e32 v18, v9, v53
	v_add_f32_e32 v19, v8, v52
	v_add_f32_e32 v20, v5, v53
	v_add_f32_e32 v21, v4, v52
	v_min3_f32 v109, v23, v22, v109
	v_add_f32_e32 v22, v25, v57
	v_add_f32_e32 v23, v24, v56
	v_min3_f32 v113, v27, v26, v47
	v_min3_f32 v112, v31, v30, v112
	;; [unrolled: 15-line block ×4, first 2 shown]
	v_add_f32_e32 v26, v37, v57
	v_add_f32_e32 v27, v36, v56
	;; [unrolled: 1-line block ×4, first 2 shown]
	v_min3_f32 v101, v19, v18, v101
	v_min3_f32 v100, v21, v20, v100
	v_add_f32_e32 v18, v25, v61
	v_add_f32_e32 v19, v24, v60
	;; [unrolled: 1-line block ×4, first 2 shown]
	v_min3_f32 v94, v23, v22, v94
	v_add_f32_e32 v17, v17, v65
	v_add_f32_e32 v16, v16, v64
	;; [unrolled: 1-line block ×6, first 2 shown]
	v_min3_f32 v98, v27, v26, v54
	v_min3_f32 v97, v31, v30, v55
	v_add_f32_e32 v26, v13, v61
	v_add_f32_e32 v27, v12, v60
	;; [unrolled: 1-line block ×4, first 2 shown]
	v_min3_f32 v96, v19, v18, v96
	v_min3_f32 v95, v21, v20, v95
	v_add_f32_e32 v18, v33, v61
	v_add_f32_e32 v19, v32, v60
	;; [unrolled: 1-line block ×4, first 2 shown]
	v_min3_f32 v88, v16, v17, v14
	v_min3_f32 v87, v23, v22, v15
	;; [unrolled: 1-line block ×3, first 2 shown]
	v_add_f32_e32 v5, v5, v65
	v_add_f32_e32 v4, v4, v64
	;; [unrolled: 1-line block ×10, first 2 shown]
	v_min3_f32 v93, v27, v26, v93
	v_min3_f32 v92, v31, v30, v92
	;; [unrolled: 1-line block ×9, first 2 shown]
	v_add_co_ci_u32_e64 v151, null, s19, v151, s6
	s_add_i32 s20, s20, 8
	s_waitcnt vmcnt(0)
	ds_write_b32 v144, v152
	ds_write2st64_b32 v145, v154, v153 offset1:4
	ds_write2st64_b32 v145, v156, v155 offset0:8 offset1:12
	s_cmp_ge_i32 s20, s27
	s_waitcnt lgkmcnt(0)
	s_barrier
	buffer_gl0_inv
	s_cbranch_scc1 .LBB19_51
.LBB19_31:                              ; =>This Inner Loop Header: Depth=1
	v_add_nc_u32_e32 v153, s20, v74
	v_mov_b32_e32 v154, 0x7f7fffff
	v_mov_b32_e32 v155, 0x7f7fffff
	v_add_nc_u32_e32 v2, 8, v153
	v_cmp_le_i32_e64 s6, s14, v2
	s_nor_b32 s7, vcc_lo, s6
	s_and_saveexec_b32 s21, s7
	s_cbranch_execz .LBB19_33
; %bb.32:                               ;   in Loop: Header=BB19_31 Depth=1
	v_add_co_u32 v2, s7, v146, v66
	v_add_co_ci_u32_e64 v3, null, v147, v67, s7
	flat_load_dword v155, v[2:3]
.LBB19_33:                              ;   in Loop: Header=BB19_31 Depth=1
	s_or_b32 exec_lo, exec_lo, s21
	s_nor_b32 s7, s0, s6
	s_and_saveexec_b32 s21, s7
	s_cbranch_execz .LBB19_35
; %bb.34:                               ;   in Loop: Header=BB19_31 Depth=1
	v_add_co_u32 v2, s7, v150, v68
	v_add_co_ci_u32_e64 v3, null, v151, v69, s7
	flat_load_dword v154, v[2:3]
.LBB19_35:                              ;   in Loop: Header=BB19_31 Depth=1
	s_or_b32 exec_lo, exec_lo, s21
	v_mov_b32_e32 v156, 0x7f7fffff
	v_mov_b32_e32 v157, 0x7f7fffff
	s_nor_b32 s7, s1, s6
	s_and_saveexec_b32 s21, s7
	s_cbranch_execz .LBB19_37
; %bb.36:                               ;   in Loop: Header=BB19_31 Depth=1
	v_add_co_u32 v2, s7, v150, v68
	v_add_co_ci_u32_e64 v3, null, v151, v69, s7
	flat_load_dword v157, v[2:3] offset:256
.LBB19_37:                              ;   in Loop: Header=BB19_31 Depth=1
	s_or_b32 exec_lo, exec_lo, s21
	s_nor_b32 s7, s2, s6
	s_and_saveexec_b32 s21, s7
	s_cbranch_execz .LBB19_39
; %bb.38:                               ;   in Loop: Header=BB19_31 Depth=1
	v_add_co_u32 v2, s7, v150, v68
	v_add_co_ci_u32_e64 v3, null, v151, v69, s7
	flat_load_dword v156, v[2:3] offset:512
.LBB19_39:                              ;   in Loop: Header=BB19_31 Depth=1
	s_or_b32 exec_lo, exec_lo, s21
	v_mov_b32_e32 v152, 0x7f7fffff
	v_mov_b32_e32 v158, 0x7f7fffff
	s_nor_b32 s6, s3, s6
	s_and_saveexec_b32 s7, s6
	s_cbranch_execz .LBB19_41
; %bb.40:                               ;   in Loop: Header=BB19_31 Depth=1
	v_add_co_u32 v2, s6, v150, v68
	v_add_co_ci_u32_e64 v3, null, v151, v69, s6
	flat_load_dword v158, v[2:3] offset:768
.LBB19_41:                              ;   in Loop: Header=BB19_31 Depth=1
	s_or_b32 exec_lo, exec_lo, s7
	ds_read_b128 v[34:37], v148
	ds_read_b128 v[30:33], v148 offset:128
	ds_read_b128 v[26:29], v148 offset:256
	;; [unrolled: 1-line block ×7, first 2 shown]
	ds_read_b128 v[62:65], v149
	ds_read_b128 v[58:61], v149 offset:512
	ds_read_b128 v[54:57], v149 offset:1024
	;; [unrolled: 1-line block ×7, first 2 shown]
	v_add_nc_u32_e32 v153, 12, v153
	s_waitcnt vmcnt(0) lgkmcnt(16)
	ds_write_b32 v121, v155
	ds_write2st64_b32 v77, v154, v157 offset1:4
	ds_write2st64_b32 v77, v156, v158 offset0:8 offset1:12
	s_waitcnt lgkmcnt(0)
	s_barrier
	v_cmp_le_i32_e64 s6, s14, v153
	buffer_gl0_inv
	s_nor_b32 s7, vcc_lo, s6
	s_and_saveexec_b32 s21, s7
	s_cbranch_execz .LBB19_43
; %bb.42:                               ;   in Loop: Header=BB19_31 Depth=1
	v_add_co_u32 v152, s7, v146, v72
	v_add_co_ci_u32_e64 v153, null, v147, v73, s7
	flat_load_dword v152, v[152:153]
.LBB19_43:                              ;   in Loop: Header=BB19_31 Depth=1
	s_or_b32 exec_lo, exec_lo, s21
	v_mov_b32_e32 v153, 0x7f7fffff
	v_mov_b32_e32 v154, 0x7f7fffff
	s_nor_b32 s7, s0, s6
	s_and_saveexec_b32 s21, s7
	s_cbranch_execz .LBB19_45
; %bb.44:                               ;   in Loop: Header=BB19_31 Depth=1
	v_add_co_u32 v154, s7, v150, v70
	v_add_co_ci_u32_e64 v155, null, v151, v71, s7
	flat_load_dword v154, v[154:155]
.LBB19_45:                              ;   in Loop: Header=BB19_31 Depth=1
	s_or_b32 exec_lo, exec_lo, s21
	s_nor_b32 s7, s1, s6
	s_and_saveexec_b32 s21, s7
	s_cbranch_execz .LBB19_47
; %bb.46:                               ;   in Loop: Header=BB19_31 Depth=1
	v_add_co_u32 v155, s7, v150, v70
	v_add_co_ci_u32_e64 v156, null, v151, v71, s7
	flat_load_dword v153, v[155:156] offset:256
.LBB19_47:                              ;   in Loop: Header=BB19_31 Depth=1
	s_or_b32 exec_lo, exec_lo, s21
	v_mov_b32_e32 v155, 0x7f7fffff
	v_mov_b32_e32 v156, 0x7f7fffff
	s_nor_b32 s7, s2, s6
	s_and_saveexec_b32 s21, s7
	s_cbranch_execz .LBB19_49
; %bb.48:                               ;   in Loop: Header=BB19_31 Depth=1
	v_add_co_u32 v156, s7, v150, v70
	v_add_co_ci_u32_e64 v157, null, v151, v71, s7
	flat_load_dword v156, v[156:157] offset:512
.LBB19_49:                              ;   in Loop: Header=BB19_31 Depth=1
	s_or_b32 exec_lo, exec_lo, s21
	s_nor_b32 s6, s3, s6
	s_and_saveexec_b32 s7, s6
	s_cbranch_execz .LBB19_30
; %bb.50:                               ;   in Loop: Header=BB19_31 Depth=1
	v_add_co_u32 v157, s6, v150, v70
	v_add_co_ci_u32_e64 v158, null, v151, v71, s6
	flat_load_dword v155, v[157:158] offset:768
	s_branch .LBB19_30
.LBB19_51:
	s_clause 0x2
	s_load_dword s14, s[4:5], 0x50
	s_load_dword s9, s[4:5], 0x68
	s_load_dwordx2 s[0:1], s[4:5], 0x70
	v_add_nc_u32_e32 v130, s26, v1
	ds_read_b128 v[34:37], v76 offset:9216
	ds_read_b128 v[30:33], v76 offset:9344
	;; [unrolled: 1-line block ×16, first 2 shown]
	v_add_nc_u32_e32 v0, s25, v0
	v_cmp_gt_i32_e64 s8, s13, v130
	v_cndmask_b32_e64 v121, 0, 1, s24
	v_ashrrev_i32_e32 v1, 31, v0
	s_waitcnt lgkmcnt(0)
	v_mad_i64_i32 v[66:67], null, v130, s14, 0
	v_mad_i64_i32 v[68:69], null, v130, s9, 0
	s_lshl_b64 s[0:1], s[0:1], 2
	s_add_u32 s16, s16, s0
	s_addc_u32 s17, s17, s1
	v_lshlrev_b64 v[66:67], 2, v[66:67]
	v_cmp_gt_i32_e64 s0, s12, v0
	v_lshlrev_b64 v[68:69], 2, v[68:69]
	s_and_b32 s2, s0, s8
	v_add_co_u32 v146, vcc_lo, s10, v66
	v_add_co_ci_u32_e64 v147, null, s11, v67, vcc_lo
	v_add_co_u32 v144, vcc_lo, s16, v68
	v_add_co_ci_u32_e64 v145, null, s17, v69, vcc_lo
	s_and_saveexec_b32 s1, s2
	s_cbranch_execz .LBB19_56
; %bb.52:
	v_lshlrev_b64 v[66:67], 2, v[0:1]
	s_andn2_b32 vcc_lo, exec_lo, s24
	s_cbranch_vccnz .LBB19_54
; %bb.53:
	v_add_co_u32 v68, vcc_lo, v146, v66
	v_add_co_ci_u32_e64 v69, null, v147, v67, vcc_lo
	flat_load_dword v68, v[68:69]
	s_waitcnt vmcnt(0) lgkmcnt(0)
	v_mul_f32_e32 v68, s15, v68
	s_branch .LBB19_55
.LBB19_54:
	v_mov_b32_e32 v68, 0
.LBB19_55:
	v_add_f32_e32 v69, v35, v63
	v_add_f32_e32 v70, v34, v62
	;; [unrolled: 1-line block ×4, first 2 shown]
	v_add_co_u32 v66, vcc_lo, v144, v66
	v_min3_f32 v69, v70, v69, v143
	v_add_co_ci_u32_e64 v67, null, v145, v67, vcc_lo
	v_min_f32_e32 v70, v72, v71
	v_min3_f32 v68, v68, v70, v69
	flat_store_dword v[66:67], v68
.LBB19_56:
	s_or_b32 exec_lo, exec_lo, s1
	v_add_nc_u32_e32 v66, 8, v0
	v_cmp_gt_i32_e64 s1, s12, v66
	v_ashrrev_i32_e32 v67, 31, v66
	s_and_b32 s3, s1, s8
	s_and_saveexec_b32 s2, s3
	s_cbranch_execz .LBB19_61
; %bb.57:
	v_cmp_ne_u32_e32 vcc_lo, 1, v121
	v_lshlrev_b64 v[68:69], 2, v[66:67]
	s_cbranch_vccnz .LBB19_59
; %bb.58:
	v_add_co_u32 v70, vcc_lo, v146, v68
	v_add_co_ci_u32_e64 v71, null, v147, v69, vcc_lo
	flat_load_dword v70, v[70:71]
	s_waitcnt vmcnt(0) lgkmcnt(0)
	v_mul_f32_e32 v70, s15, v70
	s_branch .LBB19_60
.LBB19_59:
	v_mov_b32_e32 v70, 0
.LBB19_60:
	v_add_f32_e32 v71, v31, v63
	v_add_f32_e32 v72, v30, v62
	v_add_f32_e32 v73, v33, v65
	v_add_f32_e32 v74, v32, v64
	v_add_co_u32 v68, vcc_lo, v144, v68
	v_min3_f32 v71, v72, v71, v142
	v_add_co_ci_u32_e64 v69, null, v145, v69, vcc_lo
	v_min_f32_e32 v72, v74, v73
	v_min3_f32 v70, v70, v72, v71
	flat_store_dword v[68:69], v70
.LBB19_61:
	s_or_b32 exec_lo, exec_lo, s2
	v_add_nc_u32_e32 v68, 16, v0
	v_cmp_gt_i32_e64 s2, s12, v68
	v_ashrrev_i32_e32 v69, 31, v68
	s_and_b32 s4, s2, s8
	s_and_saveexec_b32 s3, s4
	s_cbranch_execz .LBB19_66
; %bb.62:
	v_cmp_ne_u32_e32 vcc_lo, 1, v121
	v_lshlrev_b64 v[70:71], 2, v[68:69]
	s_cbranch_vccnz .LBB19_64
; %bb.63:
	v_add_co_u32 v72, vcc_lo, v146, v70
	v_add_co_ci_u32_e64 v73, null, v147, v71, vcc_lo
	flat_load_dword v72, v[72:73]
	s_waitcnt vmcnt(0) lgkmcnt(0)
	v_mul_f32_e32 v72, s15, v72
	s_branch .LBB19_65
.LBB19_64:
	v_mov_b32_e32 v72, 0
.LBB19_65:
	v_add_f32_e32 v73, v27, v63
	v_add_f32_e32 v74, v26, v62
	v_add_f32_e32 v75, v29, v65
	v_add_f32_e32 v76, v28, v64
	v_add_co_u32 v70, vcc_lo, v144, v70
	v_min3_f32 v73, v74, v73, v141
	v_add_co_ci_u32_e64 v71, null, v145, v71, vcc_lo
	v_min_f32_e32 v74, v76, v75
	v_min3_f32 v72, v72, v74, v73
	flat_store_dword v[70:71], v72
.LBB19_66:
	;; [unrolled: 32-line block ×6, first 2 shown]
	s_or_b32 exec_lo, exec_lo, s7
	v_add_nc_u32_e32 v78, 56, v0
	v_cmp_gt_i32_e64 s7, s12, v78
	v_ashrrev_i32_e32 v79, 31, v78
	s_and_b32 s12, s7, s8
	s_and_saveexec_b32 s8, s12
	s_cbranch_execz .LBB19_91
; %bb.87:
	v_cmp_ne_u32_e32 vcc_lo, 1, v121
	v_lshlrev_b64 v[80:81], 2, v[78:79]
	s_cbranch_vccnz .LBB19_89
; %bb.88:
	v_add_co_u32 v141, vcc_lo, v146, v80
	v_add_co_ci_u32_e64 v142, null, v147, v81, vcc_lo
	flat_load_dword v141, v[141:142]
	s_waitcnt vmcnt(0) lgkmcnt(0)
	v_mul_f32_e32 v141, s15, v141
	s_branch .LBB19_90
.LBB19_89:
	v_mov_b32_e32 v141, 0
.LBB19_90:
	v_add_f32_e32 v63, v3, v63
	v_add_f32_e32 v62, v2, v62
	;; [unrolled: 1-line block ×4, first 2 shown]
	v_min3_f32 v62, v62, v63, v140
	v_min_f32_e32 v63, v64, v65
	v_min3_f32 v64, v141, v63, v62
	v_add_co_u32 v62, vcc_lo, v144, v80
	v_add_co_ci_u32_e64 v63, null, v145, v81, vcc_lo
	flat_store_dword v[62:63], v64
.LBB19_91:
	s_or_b32 exec_lo, exec_lo, s8
	v_add_nc_u32_e32 v80, 32, v130
	v_mad_i64_i32 v[62:63], null, v80, s14, 0
	v_mad_i64_i32 v[64:65], null, v80, s9, 0
	v_cmp_gt_i32_e64 s8, s13, v80
	v_lshlrev_b64 v[62:63], 2, v[62:63]
	s_and_b32 s18, s0, s8
	v_lshlrev_b64 v[64:65], 2, v[64:65]
	v_add_co_u32 v80, vcc_lo, s10, v62
	v_add_co_ci_u32_e64 v81, null, s11, v63, vcc_lo
	v_add_co_u32 v64, vcc_lo, s16, v64
	v_add_co_ci_u32_e64 v65, null, s17, v65, vcc_lo
	s_and_saveexec_b32 s12, s18
	s_cbranch_execnz .LBB19_99
; %bb.92:
	s_or_b32 exec_lo, exec_lo, s12
	s_and_b32 s18, s1, s8
	s_and_saveexec_b32 s12, s18
	s_cbranch_execnz .LBB19_103
.LBB19_93:
	s_or_b32 exec_lo, exec_lo, s12
	s_and_b32 s18, s2, s8
	s_and_saveexec_b32 s12, s18
	s_cbranch_execnz .LBB19_107
.LBB19_94:
	s_or_b32 exec_lo, exec_lo, s12
	s_and_b32 s18, s3, s8
	s_and_saveexec_b32 s12, s18
	s_cbranch_execnz .LBB19_111
.LBB19_95:
	s_or_b32 exec_lo, exec_lo, s12
	s_and_b32 s18, s4, s8
	s_and_saveexec_b32 s12, s18
	s_cbranch_execnz .LBB19_115
.LBB19_96:
	s_or_b32 exec_lo, exec_lo, s12
	s_and_b32 s18, s5, s8
	s_and_saveexec_b32 s12, s18
	s_cbranch_execnz .LBB19_119
.LBB19_97:
	s_or_b32 exec_lo, exec_lo, s12
	s_and_b32 s18, s6, s8
	s_and_saveexec_b32 s12, s18
	s_cbranch_execnz .LBB19_123
.LBB19_98:
	s_or_b32 exec_lo, exec_lo, s12
	s_and_b32 s12, s7, s8
	s_and_saveexec_b32 s8, s12
	s_cbranch_execnz .LBB19_127
	s_branch .LBB19_131
.LBB19_99:
	v_cmp_ne_u32_e32 vcc_lo, 1, v121
	v_lshlrev_b64 v[62:63], 2, v[0:1]
	s_cbranch_vccnz .LBB19_101
; %bb.100:
	v_add_co_u32 v140, vcc_lo, v80, v62
	v_add_co_ci_u32_e64 v141, null, v81, v63, vcc_lo
	flat_load_dword v140, v[140:141]
	s_waitcnt vmcnt(0) lgkmcnt(0)
	v_mul_f32_e32 v140, s15, v140
	s_branch .LBB19_102
.LBB19_101:
	v_mov_b32_e32 v140, 0
.LBB19_102:
	v_add_f32_e32 v141, v35, v59
	v_add_f32_e32 v142, v34, v58
	;; [unrolled: 1-line block ×4, first 2 shown]
	v_add_co_u32 v62, vcc_lo, v64, v62
	v_min3_f32 v139, v142, v141, v139
	v_add_co_ci_u32_e64 v63, null, v65, v63, vcc_lo
	v_min_f32_e32 v141, v144, v143
	v_min3_f32 v139, v140, v141, v139
	flat_store_dword v[62:63], v139
	s_or_b32 exec_lo, exec_lo, s12
	s_and_b32 s18, s1, s8
	s_and_saveexec_b32 s12, s18
	s_cbranch_execz .LBB19_93
.LBB19_103:
	v_cmp_ne_u32_e32 vcc_lo, 1, v121
	v_lshlrev_b64 v[62:63], 2, v[66:67]
	s_cbranch_vccnz .LBB19_105
; %bb.104:
	v_add_co_u32 v139, vcc_lo, v80, v62
	v_add_co_ci_u32_e64 v140, null, v81, v63, vcc_lo
	flat_load_dword v139, v[139:140]
	s_waitcnt vmcnt(0) lgkmcnt(0)
	v_mul_f32_e32 v139, s15, v139
	s_branch .LBB19_106
.LBB19_105:
	v_mov_b32_e32 v139, 0
.LBB19_106:
	v_add_f32_e32 v140, v31, v59
	v_add_f32_e32 v141, v30, v58
	;; [unrolled: 1-line block ×4, first 2 shown]
	v_add_co_u32 v62, vcc_lo, v64, v62
	v_min3_f32 v138, v141, v140, v138
	v_add_co_ci_u32_e64 v63, null, v65, v63, vcc_lo
	v_min_f32_e32 v140, v143, v142
	v_min3_f32 v138, v139, v140, v138
	flat_store_dword v[62:63], v138
	s_or_b32 exec_lo, exec_lo, s12
	s_and_b32 s18, s2, s8
	s_and_saveexec_b32 s12, s18
	s_cbranch_execz .LBB19_94
.LBB19_107:
	v_cmp_ne_u32_e32 vcc_lo, 1, v121
	v_lshlrev_b64 v[62:63], 2, v[68:69]
	s_cbranch_vccnz .LBB19_109
; %bb.108:
	v_add_co_u32 v138, vcc_lo, v80, v62
	v_add_co_ci_u32_e64 v139, null, v81, v63, vcc_lo
	flat_load_dword v138, v[138:139]
	s_waitcnt vmcnt(0) lgkmcnt(0)
	v_mul_f32_e32 v138, s15, v138
	s_branch .LBB19_110
.LBB19_109:
	v_mov_b32_e32 v138, 0
.LBB19_110:
	v_add_f32_e32 v139, v27, v59
	v_add_f32_e32 v140, v26, v58
	;; [unrolled: 1-line block ×4, first 2 shown]
	v_add_co_u32 v62, vcc_lo, v64, v62
	v_min3_f32 v137, v140, v139, v137
	v_add_co_ci_u32_e64 v63, null, v65, v63, vcc_lo
	v_min_f32_e32 v139, v142, v141
	v_min3_f32 v137, v138, v139, v137
	flat_store_dword v[62:63], v137
	s_or_b32 exec_lo, exec_lo, s12
	s_and_b32 s18, s3, s8
	s_and_saveexec_b32 s12, s18
	s_cbranch_execz .LBB19_95
.LBB19_111:
	v_cmp_ne_u32_e32 vcc_lo, 1, v121
	v_lshlrev_b64 v[62:63], 2, v[70:71]
	s_cbranch_vccnz .LBB19_113
; %bb.112:
	v_add_co_u32 v137, vcc_lo, v80, v62
	v_add_co_ci_u32_e64 v138, null, v81, v63, vcc_lo
	flat_load_dword v137, v[137:138]
	s_waitcnt vmcnt(0) lgkmcnt(0)
	v_mul_f32_e32 v137, s15, v137
	s_branch .LBB19_114
.LBB19_113:
	v_mov_b32_e32 v137, 0
.LBB19_114:
	v_add_f32_e32 v138, v23, v59
	v_add_f32_e32 v139, v22, v58
	;; [unrolled: 1-line block ×4, first 2 shown]
	v_add_co_u32 v62, vcc_lo, v64, v62
	v_min3_f32 v136, v139, v138, v136
	v_add_co_ci_u32_e64 v63, null, v65, v63, vcc_lo
	v_min_f32_e32 v138, v141, v140
	v_min3_f32 v136, v137, v138, v136
	flat_store_dword v[62:63], v136
	s_or_b32 exec_lo, exec_lo, s12
	s_and_b32 s18, s4, s8
	s_and_saveexec_b32 s12, s18
	s_cbranch_execz .LBB19_96
.LBB19_115:
	v_cmp_ne_u32_e32 vcc_lo, 1, v121
	v_lshlrev_b64 v[62:63], 2, v[72:73]
	s_cbranch_vccnz .LBB19_117
; %bb.116:
	v_add_co_u32 v136, vcc_lo, v80, v62
	v_add_co_ci_u32_e64 v137, null, v81, v63, vcc_lo
	flat_load_dword v136, v[136:137]
	s_waitcnt vmcnt(0) lgkmcnt(0)
	v_mul_f32_e32 v136, s15, v136
	s_branch .LBB19_118
.LBB19_117:
	v_mov_b32_e32 v136, 0
.LBB19_118:
	v_add_f32_e32 v137, v19, v59
	v_add_f32_e32 v138, v18, v58
	;; [unrolled: 1-line block ×4, first 2 shown]
	v_add_co_u32 v62, vcc_lo, v64, v62
	v_min3_f32 v135, v138, v137, v135
	v_add_co_ci_u32_e64 v63, null, v65, v63, vcc_lo
	v_min_f32_e32 v137, v140, v139
	v_min3_f32 v135, v136, v137, v135
	flat_store_dword v[62:63], v135
	s_or_b32 exec_lo, exec_lo, s12
	s_and_b32 s18, s5, s8
	s_and_saveexec_b32 s12, s18
	s_cbranch_execz .LBB19_97
.LBB19_119:
	v_cmp_ne_u32_e32 vcc_lo, 1, v121
	v_lshlrev_b64 v[62:63], 2, v[74:75]
	s_cbranch_vccnz .LBB19_121
; %bb.120:
	v_add_co_u32 v135, vcc_lo, v80, v62
	v_add_co_ci_u32_e64 v136, null, v81, v63, vcc_lo
	flat_load_dword v135, v[135:136]
	s_waitcnt vmcnt(0) lgkmcnt(0)
	v_mul_f32_e32 v135, s15, v135
	s_branch .LBB19_122
.LBB19_121:
	v_mov_b32_e32 v135, 0
.LBB19_122:
	v_add_f32_e32 v136, v15, v59
	v_add_f32_e32 v137, v14, v58
	;; [unrolled: 1-line block ×4, first 2 shown]
	v_add_co_u32 v62, vcc_lo, v64, v62
	v_min3_f32 v134, v137, v136, v134
	v_add_co_ci_u32_e64 v63, null, v65, v63, vcc_lo
	v_min_f32_e32 v136, v139, v138
	v_min3_f32 v134, v135, v136, v134
	flat_store_dword v[62:63], v134
	s_or_b32 exec_lo, exec_lo, s12
	s_and_b32 s18, s6, s8
	s_and_saveexec_b32 s12, s18
	s_cbranch_execz .LBB19_98
.LBB19_123:
	v_cmp_ne_u32_e32 vcc_lo, 1, v121
	v_lshlrev_b64 v[62:63], 2, v[76:77]
	s_cbranch_vccnz .LBB19_125
; %bb.124:
	v_add_co_u32 v134, vcc_lo, v80, v62
	v_add_co_ci_u32_e64 v135, null, v81, v63, vcc_lo
	flat_load_dword v134, v[134:135]
	s_waitcnt vmcnt(0) lgkmcnt(0)
	v_mul_f32_e32 v134, s15, v134
	s_branch .LBB19_126
.LBB19_125:
	v_mov_b32_e32 v134, 0
.LBB19_126:
	v_add_f32_e32 v135, v11, v59
	v_add_f32_e32 v136, v10, v58
	v_add_f32_e32 v137, v13, v61
	v_add_f32_e32 v138, v12, v60
	v_add_co_u32 v62, vcc_lo, v64, v62
	v_min3_f32 v133, v136, v135, v133
	v_add_co_ci_u32_e64 v63, null, v65, v63, vcc_lo
	v_min_f32_e32 v135, v138, v137
	v_min3_f32 v133, v134, v135, v133
	flat_store_dword v[62:63], v133
	s_or_b32 exec_lo, exec_lo, s12
	s_and_b32 s12, s7, s8
	s_and_saveexec_b32 s8, s12
	s_cbranch_execz .LBB19_131
.LBB19_127:
	v_cmp_ne_u32_e32 vcc_lo, 1, v121
	v_lshlrev_b64 v[62:63], 2, v[78:79]
	s_cbranch_vccnz .LBB19_129
; %bb.128:
	v_add_co_u32 v80, vcc_lo, v80, v62
	v_add_co_ci_u32_e64 v81, null, v81, v63, vcc_lo
	flat_load_dword v80, v[80:81]
	s_waitcnt vmcnt(0) lgkmcnt(0)
	v_mul_f32_e32 v80, s15, v80
	s_branch .LBB19_130
.LBB19_129:
	v_mov_b32_e32 v80, 0
.LBB19_130:
	v_add_f32_e32 v59, v3, v59
	v_add_f32_e32 v58, v2, v58
	;; [unrolled: 1-line block ×4, first 2 shown]
	v_min3_f32 v58, v58, v59, v132
	v_min_f32_e32 v59, v60, v61
	v_min3_f32 v60, v80, v59, v58
	v_add_co_u32 v58, vcc_lo, v64, v62
	v_add_co_ci_u32_e64 v59, null, v65, v63, vcc_lo
	flat_store_dword v[58:59], v60
.LBB19_131:
	s_or_b32 exec_lo, exec_lo, s8
	v_add_nc_u32_e32 v62, 64, v130
	v_mad_i64_i32 v[58:59], null, v62, s14, 0
	v_mad_i64_i32 v[60:61], null, v62, s9, 0
	v_cmp_gt_i32_e64 s8, s13, v62
	v_lshlrev_b64 v[58:59], 2, v[58:59]
	s_and_b32 s18, s0, s8
	v_lshlrev_b64 v[60:61], 2, v[60:61]
	v_add_co_u32 v62, vcc_lo, s10, v58
	v_add_co_ci_u32_e64 v63, null, s11, v59, vcc_lo
	v_add_co_u32 v60, vcc_lo, s16, v60
	v_add_co_ci_u32_e64 v61, null, s17, v61, vcc_lo
	s_and_saveexec_b32 s12, s18
	s_cbranch_execnz .LBB19_139
; %bb.132:
	s_or_b32 exec_lo, exec_lo, s12
	s_and_b32 s18, s1, s8
	s_and_saveexec_b32 s12, s18
	s_cbranch_execnz .LBB19_143
.LBB19_133:
	s_or_b32 exec_lo, exec_lo, s12
	s_and_b32 s18, s2, s8
	s_and_saveexec_b32 s12, s18
	s_cbranch_execnz .LBB19_147
.LBB19_134:
	s_or_b32 exec_lo, exec_lo, s12
	s_and_b32 s18, s3, s8
	s_and_saveexec_b32 s12, s18
	s_cbranch_execnz .LBB19_151
.LBB19_135:
	s_or_b32 exec_lo, exec_lo, s12
	s_and_b32 s18, s4, s8
	s_and_saveexec_b32 s12, s18
	s_cbranch_execnz .LBB19_155
.LBB19_136:
	s_or_b32 exec_lo, exec_lo, s12
	s_and_b32 s18, s5, s8
	s_and_saveexec_b32 s12, s18
	s_cbranch_execnz .LBB19_159
.LBB19_137:
	s_or_b32 exec_lo, exec_lo, s12
	s_and_b32 s18, s6, s8
	s_and_saveexec_b32 s12, s18
	s_cbranch_execnz .LBB19_163
.LBB19_138:
	s_or_b32 exec_lo, exec_lo, s12
	s_and_b32 s12, s7, s8
	s_and_saveexec_b32 s8, s12
	s_cbranch_execnz .LBB19_167
	s_branch .LBB19_171
.LBB19_139:
	v_cmp_ne_u32_e32 vcc_lo, 1, v121
	v_lshlrev_b64 v[58:59], 2, v[0:1]
	s_cbranch_vccnz .LBB19_141
; %bb.140:
	v_add_co_u32 v64, vcc_lo, v62, v58
	v_add_co_ci_u32_e64 v65, null, v63, v59, vcc_lo
	flat_load_dword v64, v[64:65]
	s_waitcnt vmcnt(0) lgkmcnt(0)
	v_mul_f32_e32 v64, s15, v64
	s_branch .LBB19_142
.LBB19_141:
	v_mov_b32_e32 v64, 0
.LBB19_142:
	v_add_f32_e32 v65, v35, v55
	v_add_f32_e32 v80, v34, v54
	;; [unrolled: 1-line block ×4, first 2 shown]
	v_add_co_u32 v58, vcc_lo, v60, v58
	v_min3_f32 v65, v80, v65, v131
	v_add_co_ci_u32_e64 v59, null, v61, v59, vcc_lo
	v_min_f32_e32 v80, v132, v81
	v_min3_f32 v64, v64, v80, v65
	flat_store_dword v[58:59], v64
	s_or_b32 exec_lo, exec_lo, s12
	s_and_b32 s18, s1, s8
	s_and_saveexec_b32 s12, s18
	s_cbranch_execz .LBB19_133
.LBB19_143:
	v_cmp_ne_u32_e32 vcc_lo, 1, v121
	v_lshlrev_b64 v[58:59], 2, v[66:67]
	s_cbranch_vccnz .LBB19_145
; %bb.144:
	v_add_co_u32 v64, vcc_lo, v62, v58
	v_add_co_ci_u32_e64 v65, null, v63, v59, vcc_lo
	flat_load_dword v64, v[64:65]
	s_waitcnt vmcnt(0) lgkmcnt(0)
	v_mul_f32_e32 v64, s15, v64
	s_branch .LBB19_146
.LBB19_145:
	v_mov_b32_e32 v64, 0
.LBB19_146:
	v_add_f32_e32 v65, v31, v55
	v_add_f32_e32 v80, v30, v54
	;; [unrolled: 1-line block ×4, first 2 shown]
	v_add_co_u32 v58, vcc_lo, v60, v58
	v_min3_f32 v65, v80, v65, v129
	v_add_co_ci_u32_e64 v59, null, v61, v59, vcc_lo
	v_min_f32_e32 v80, v131, v81
	v_min3_f32 v64, v64, v80, v65
	flat_store_dword v[58:59], v64
	s_or_b32 exec_lo, exec_lo, s12
	s_and_b32 s18, s2, s8
	s_and_saveexec_b32 s12, s18
	s_cbranch_execz .LBB19_134
.LBB19_147:
	v_cmp_ne_u32_e32 vcc_lo, 1, v121
	v_lshlrev_b64 v[58:59], 2, v[68:69]
	s_cbranch_vccnz .LBB19_149
; %bb.148:
	v_add_co_u32 v64, vcc_lo, v62, v58
	v_add_co_ci_u32_e64 v65, null, v63, v59, vcc_lo
	flat_load_dword v64, v[64:65]
	s_waitcnt vmcnt(0) lgkmcnt(0)
	v_mul_f32_e32 v64, s15, v64
	s_branch .LBB19_150
.LBB19_149:
	v_mov_b32_e32 v64, 0
.LBB19_150:
	v_add_f32_e32 v65, v27, v55
	v_add_f32_e32 v80, v26, v54
	;; [unrolled: 1-line block ×4, first 2 shown]
	v_add_co_u32 v58, vcc_lo, v60, v58
	v_min3_f32 v65, v80, v65, v128
	v_add_co_ci_u32_e64 v59, null, v61, v59, vcc_lo
	v_min_f32_e32 v80, v129, v81
	v_min3_f32 v64, v64, v80, v65
	flat_store_dword v[58:59], v64
	s_or_b32 exec_lo, exec_lo, s12
	s_and_b32 s18, s3, s8
	s_and_saveexec_b32 s12, s18
	s_cbranch_execz .LBB19_135
.LBB19_151:
	v_cmp_ne_u32_e32 vcc_lo, 1, v121
	v_lshlrev_b64 v[58:59], 2, v[70:71]
	s_cbranch_vccnz .LBB19_153
; %bb.152:
	v_add_co_u32 v64, vcc_lo, v62, v58
	v_add_co_ci_u32_e64 v65, null, v63, v59, vcc_lo
	flat_load_dword v64, v[64:65]
	s_waitcnt vmcnt(0) lgkmcnt(0)
	v_mul_f32_e32 v64, s15, v64
	s_branch .LBB19_154
.LBB19_153:
	v_mov_b32_e32 v64, 0
.LBB19_154:
	v_add_f32_e32 v65, v23, v55
	v_add_f32_e32 v80, v22, v54
	;; [unrolled: 1-line block ×4, first 2 shown]
	v_add_co_u32 v58, vcc_lo, v60, v58
	v_min3_f32 v65, v80, v65, v127
	v_add_co_ci_u32_e64 v59, null, v61, v59, vcc_lo
	v_min_f32_e32 v80, v128, v81
	v_min3_f32 v64, v64, v80, v65
	flat_store_dword v[58:59], v64
	s_or_b32 exec_lo, exec_lo, s12
	s_and_b32 s18, s4, s8
	s_and_saveexec_b32 s12, s18
	s_cbranch_execz .LBB19_136
.LBB19_155:
	v_cmp_ne_u32_e32 vcc_lo, 1, v121
	v_lshlrev_b64 v[58:59], 2, v[72:73]
	s_cbranch_vccnz .LBB19_157
; %bb.156:
	v_add_co_u32 v64, vcc_lo, v62, v58
	v_add_co_ci_u32_e64 v65, null, v63, v59, vcc_lo
	flat_load_dword v64, v[64:65]
	s_waitcnt vmcnt(0) lgkmcnt(0)
	v_mul_f32_e32 v64, s15, v64
	s_branch .LBB19_158
.LBB19_157:
	v_mov_b32_e32 v64, 0
.LBB19_158:
	v_add_f32_e32 v65, v19, v55
	v_add_f32_e32 v80, v18, v54
	;; [unrolled: 1-line block ×4, first 2 shown]
	v_add_co_u32 v58, vcc_lo, v60, v58
	v_min3_f32 v65, v80, v65, v126
	v_add_co_ci_u32_e64 v59, null, v61, v59, vcc_lo
	v_min_f32_e32 v80, v127, v81
	v_min3_f32 v64, v64, v80, v65
	flat_store_dword v[58:59], v64
	s_or_b32 exec_lo, exec_lo, s12
	s_and_b32 s18, s5, s8
	s_and_saveexec_b32 s12, s18
	s_cbranch_execz .LBB19_137
.LBB19_159:
	v_cmp_ne_u32_e32 vcc_lo, 1, v121
	v_lshlrev_b64 v[58:59], 2, v[74:75]
	s_cbranch_vccnz .LBB19_161
; %bb.160:
	v_add_co_u32 v64, vcc_lo, v62, v58
	v_add_co_ci_u32_e64 v65, null, v63, v59, vcc_lo
	flat_load_dword v64, v[64:65]
	s_waitcnt vmcnt(0) lgkmcnt(0)
	v_mul_f32_e32 v64, s15, v64
	s_branch .LBB19_162
.LBB19_161:
	v_mov_b32_e32 v64, 0
.LBB19_162:
	v_add_f32_e32 v65, v15, v55
	v_add_f32_e32 v80, v14, v54
	;; [unrolled: 1-line block ×4, first 2 shown]
	v_add_co_u32 v58, vcc_lo, v60, v58
	v_min3_f32 v65, v80, v65, v125
	v_add_co_ci_u32_e64 v59, null, v61, v59, vcc_lo
	v_min_f32_e32 v80, v126, v81
	v_min3_f32 v64, v64, v80, v65
	flat_store_dword v[58:59], v64
	s_or_b32 exec_lo, exec_lo, s12
	s_and_b32 s18, s6, s8
	s_and_saveexec_b32 s12, s18
	s_cbranch_execz .LBB19_138
.LBB19_163:
	v_cmp_ne_u32_e32 vcc_lo, 1, v121
	v_lshlrev_b64 v[58:59], 2, v[76:77]
	s_cbranch_vccnz .LBB19_165
; %bb.164:
	v_add_co_u32 v64, vcc_lo, v62, v58
	v_add_co_ci_u32_e64 v65, null, v63, v59, vcc_lo
	flat_load_dword v64, v[64:65]
	s_waitcnt vmcnt(0) lgkmcnt(0)
	v_mul_f32_e32 v64, s15, v64
	s_branch .LBB19_166
.LBB19_165:
	v_mov_b32_e32 v64, 0
.LBB19_166:
	v_add_f32_e32 v65, v11, v55
	v_add_f32_e32 v80, v10, v54
	;; [unrolled: 1-line block ×4, first 2 shown]
	v_add_co_u32 v58, vcc_lo, v60, v58
	v_min3_f32 v65, v80, v65, v124
	v_add_co_ci_u32_e64 v59, null, v61, v59, vcc_lo
	v_min_f32_e32 v80, v125, v81
	v_min3_f32 v64, v64, v80, v65
	flat_store_dword v[58:59], v64
	s_or_b32 exec_lo, exec_lo, s12
	s_and_b32 s12, s7, s8
	s_and_saveexec_b32 s8, s12
	s_cbranch_execz .LBB19_171
.LBB19_167:
	v_cmp_ne_u32_e32 vcc_lo, 1, v121
	v_lshlrev_b64 v[58:59], 2, v[78:79]
	s_cbranch_vccnz .LBB19_169
; %bb.168:
	v_add_co_u32 v62, vcc_lo, v62, v58
	v_add_co_ci_u32_e64 v63, null, v63, v59, vcc_lo
	flat_load_dword v62, v[62:63]
	s_waitcnt vmcnt(0) lgkmcnt(0)
	v_mul_f32_e32 v62, s15, v62
	s_branch .LBB19_170
.LBB19_169:
	v_mov_b32_e32 v62, 0
.LBB19_170:
	v_add_f32_e32 v55, v3, v55
	v_add_f32_e32 v54, v2, v54
	;; [unrolled: 1-line block ×4, first 2 shown]
	v_min3_f32 v54, v54, v55, v122
	v_min_f32_e32 v55, v56, v57
	v_min3_f32 v56, v62, v55, v54
	v_add_co_u32 v54, vcc_lo, v60, v58
	v_add_co_ci_u32_e64 v55, null, v61, v59, vcc_lo
	flat_store_dword v[54:55], v56
.LBB19_171:
	s_or_b32 exec_lo, exec_lo, s8
	v_add_nc_u32_e32 v58, 0x60, v130
	v_mad_i64_i32 v[54:55], null, v58, s14, 0
	v_mad_i64_i32 v[56:57], null, v58, s9, 0
	v_cmp_gt_i32_e64 s8, s13, v58
	v_lshlrev_b64 v[54:55], 2, v[54:55]
	s_and_b32 s18, s0, s8
	v_lshlrev_b64 v[56:57], 2, v[56:57]
	v_add_co_u32 v58, vcc_lo, s10, v54
	v_add_co_ci_u32_e64 v59, null, s11, v55, vcc_lo
	v_add_co_u32 v56, vcc_lo, s16, v56
	v_add_co_ci_u32_e64 v57, null, s17, v57, vcc_lo
	s_and_saveexec_b32 s12, s18
	s_cbranch_execnz .LBB19_179
; %bb.172:
	s_or_b32 exec_lo, exec_lo, s12
	s_and_b32 s18, s1, s8
	s_and_saveexec_b32 s12, s18
	s_cbranch_execnz .LBB19_183
.LBB19_173:
	s_or_b32 exec_lo, exec_lo, s12
	s_and_b32 s18, s2, s8
	s_and_saveexec_b32 s12, s18
	s_cbranch_execnz .LBB19_187
.LBB19_174:
	s_or_b32 exec_lo, exec_lo, s12
	s_and_b32 s18, s3, s8
	s_and_saveexec_b32 s12, s18
	s_cbranch_execnz .LBB19_191
.LBB19_175:
	s_or_b32 exec_lo, exec_lo, s12
	s_and_b32 s18, s4, s8
	s_and_saveexec_b32 s12, s18
	s_cbranch_execnz .LBB19_195
.LBB19_176:
	s_or_b32 exec_lo, exec_lo, s12
	s_and_b32 s18, s5, s8
	s_and_saveexec_b32 s12, s18
	s_cbranch_execnz .LBB19_199
.LBB19_177:
	s_or_b32 exec_lo, exec_lo, s12
	s_and_b32 s18, s6, s8
	s_and_saveexec_b32 s12, s18
	s_cbranch_execnz .LBB19_203
.LBB19_178:
	s_or_b32 exec_lo, exec_lo, s12
	s_and_b32 s12, s7, s8
	s_and_saveexec_b32 s8, s12
	s_cbranch_execnz .LBB19_207
	s_branch .LBB19_211
.LBB19_179:
	v_cmp_ne_u32_e32 vcc_lo, 1, v121
	v_lshlrev_b64 v[54:55], 2, v[0:1]
	s_cbranch_vccnz .LBB19_181
; %bb.180:
	v_add_co_u32 v60, vcc_lo, v58, v54
	v_add_co_ci_u32_e64 v61, null, v59, v55, vcc_lo
	flat_load_dword v60, v[60:61]
	s_waitcnt vmcnt(0) lgkmcnt(0)
	v_mul_f32_e32 v60, s15, v60
	s_branch .LBB19_182
.LBB19_181:
	v_mov_b32_e32 v60, 0
.LBB19_182:
	v_add_f32_e32 v61, v35, v51
	v_add_f32_e32 v62, v34, v50
	v_add_f32_e32 v63, v37, v53
	v_add_f32_e32 v64, v36, v52
	v_add_co_u32 v54, vcc_lo, v56, v54
	v_min3_f32 v61, v62, v61, v123
	v_add_co_ci_u32_e64 v55, null, v57, v55, vcc_lo
	v_min_f32_e32 v62, v64, v63
	v_min3_f32 v60, v60, v62, v61
	flat_store_dword v[54:55], v60
	s_or_b32 exec_lo, exec_lo, s12
	s_and_b32 s18, s1, s8
	s_and_saveexec_b32 s12, s18
	s_cbranch_execz .LBB19_173
.LBB19_183:
	v_cmp_ne_u32_e32 vcc_lo, 1, v121
	v_lshlrev_b64 v[54:55], 2, v[66:67]
	s_cbranch_vccnz .LBB19_185
; %bb.184:
	v_add_co_u32 v60, vcc_lo, v58, v54
	v_add_co_ci_u32_e64 v61, null, v59, v55, vcc_lo
	flat_load_dword v60, v[60:61]
	s_waitcnt vmcnt(0) lgkmcnt(0)
	v_mul_f32_e32 v60, s15, v60
	s_branch .LBB19_186
.LBB19_185:
	v_mov_b32_e32 v60, 0
.LBB19_186:
	v_add_f32_e32 v61, v31, v51
	v_add_f32_e32 v62, v30, v50
	;; [unrolled: 1-line block ×4, first 2 shown]
	v_add_co_u32 v54, vcc_lo, v56, v54
	v_min3_f32 v61, v62, v61, v120
	v_add_co_ci_u32_e64 v55, null, v57, v55, vcc_lo
	v_min_f32_e32 v62, v64, v63
	v_min3_f32 v60, v60, v62, v61
	flat_store_dword v[54:55], v60
	s_or_b32 exec_lo, exec_lo, s12
	s_and_b32 s18, s2, s8
	s_and_saveexec_b32 s12, s18
	s_cbranch_execz .LBB19_174
.LBB19_187:
	v_cmp_ne_u32_e32 vcc_lo, 1, v121
	v_lshlrev_b64 v[54:55], 2, v[68:69]
	s_cbranch_vccnz .LBB19_189
; %bb.188:
	v_add_co_u32 v60, vcc_lo, v58, v54
	v_add_co_ci_u32_e64 v61, null, v59, v55, vcc_lo
	flat_load_dword v60, v[60:61]
	s_waitcnt vmcnt(0) lgkmcnt(0)
	v_mul_f32_e32 v60, s15, v60
	s_branch .LBB19_190
.LBB19_189:
	v_mov_b32_e32 v60, 0
.LBB19_190:
	v_add_f32_e32 v61, v27, v51
	v_add_f32_e32 v62, v26, v50
	;; [unrolled: 1-line block ×4, first 2 shown]
	v_add_co_u32 v54, vcc_lo, v56, v54
	v_min3_f32 v61, v62, v61, v119
	v_add_co_ci_u32_e64 v55, null, v57, v55, vcc_lo
	v_min_f32_e32 v62, v64, v63
	v_min3_f32 v60, v60, v62, v61
	flat_store_dword v[54:55], v60
	s_or_b32 exec_lo, exec_lo, s12
	s_and_b32 s18, s3, s8
	s_and_saveexec_b32 s12, s18
	s_cbranch_execz .LBB19_175
.LBB19_191:
	v_cmp_ne_u32_e32 vcc_lo, 1, v121
	v_lshlrev_b64 v[54:55], 2, v[70:71]
	s_cbranch_vccnz .LBB19_193
; %bb.192:
	v_add_co_u32 v60, vcc_lo, v58, v54
	v_add_co_ci_u32_e64 v61, null, v59, v55, vcc_lo
	flat_load_dword v60, v[60:61]
	s_waitcnt vmcnt(0) lgkmcnt(0)
	v_mul_f32_e32 v60, s15, v60
	s_branch .LBB19_194
.LBB19_193:
	v_mov_b32_e32 v60, 0
.LBB19_194:
	v_add_f32_e32 v61, v23, v51
	v_add_f32_e32 v62, v22, v50
	;; [unrolled: 1-line block ×4, first 2 shown]
	v_add_co_u32 v54, vcc_lo, v56, v54
	v_min3_f32 v61, v62, v61, v118
	v_add_co_ci_u32_e64 v55, null, v57, v55, vcc_lo
	v_min_f32_e32 v62, v64, v63
	v_min3_f32 v60, v60, v62, v61
	flat_store_dword v[54:55], v60
	s_or_b32 exec_lo, exec_lo, s12
	s_and_b32 s18, s4, s8
	s_and_saveexec_b32 s12, s18
	s_cbranch_execz .LBB19_176
.LBB19_195:
	v_cmp_ne_u32_e32 vcc_lo, 1, v121
	v_lshlrev_b64 v[54:55], 2, v[72:73]
	s_cbranch_vccnz .LBB19_197
; %bb.196:
	v_add_co_u32 v60, vcc_lo, v58, v54
	v_add_co_ci_u32_e64 v61, null, v59, v55, vcc_lo
	flat_load_dword v60, v[60:61]
	s_waitcnt vmcnt(0) lgkmcnt(0)
	v_mul_f32_e32 v60, s15, v60
	s_branch .LBB19_198
.LBB19_197:
	v_mov_b32_e32 v60, 0
.LBB19_198:
	v_add_f32_e32 v61, v19, v51
	v_add_f32_e32 v62, v18, v50
	;; [unrolled: 1-line block ×4, first 2 shown]
	v_add_co_u32 v54, vcc_lo, v56, v54
	v_min3_f32 v61, v62, v61, v117
	v_add_co_ci_u32_e64 v55, null, v57, v55, vcc_lo
	v_min_f32_e32 v62, v64, v63
	v_min3_f32 v60, v60, v62, v61
	flat_store_dword v[54:55], v60
	s_or_b32 exec_lo, exec_lo, s12
	s_and_b32 s18, s5, s8
	s_and_saveexec_b32 s12, s18
	s_cbranch_execz .LBB19_177
.LBB19_199:
	v_cmp_ne_u32_e32 vcc_lo, 1, v121
	v_lshlrev_b64 v[54:55], 2, v[74:75]
	s_cbranch_vccnz .LBB19_201
; %bb.200:
	v_add_co_u32 v60, vcc_lo, v58, v54
	v_add_co_ci_u32_e64 v61, null, v59, v55, vcc_lo
	flat_load_dword v60, v[60:61]
	s_waitcnt vmcnt(0) lgkmcnt(0)
	v_mul_f32_e32 v60, s15, v60
	s_branch .LBB19_202
.LBB19_201:
	v_mov_b32_e32 v60, 0
.LBB19_202:
	v_add_f32_e32 v61, v15, v51
	v_add_f32_e32 v62, v14, v50
	;; [unrolled: 1-line block ×4, first 2 shown]
	v_add_co_u32 v54, vcc_lo, v56, v54
	v_min3_f32 v61, v62, v61, v116
	v_add_co_ci_u32_e64 v55, null, v57, v55, vcc_lo
	v_min_f32_e32 v62, v64, v63
	v_min3_f32 v60, v60, v62, v61
	flat_store_dword v[54:55], v60
	s_or_b32 exec_lo, exec_lo, s12
	s_and_b32 s18, s6, s8
	s_and_saveexec_b32 s12, s18
	s_cbranch_execz .LBB19_178
.LBB19_203:
	v_cmp_ne_u32_e32 vcc_lo, 1, v121
	v_lshlrev_b64 v[54:55], 2, v[76:77]
	s_cbranch_vccnz .LBB19_205
; %bb.204:
	v_add_co_u32 v60, vcc_lo, v58, v54
	v_add_co_ci_u32_e64 v61, null, v59, v55, vcc_lo
	flat_load_dword v60, v[60:61]
	s_waitcnt vmcnt(0) lgkmcnt(0)
	v_mul_f32_e32 v60, s15, v60
	s_branch .LBB19_206
.LBB19_205:
	v_mov_b32_e32 v60, 0
.LBB19_206:
	v_add_f32_e32 v61, v11, v51
	v_add_f32_e32 v62, v10, v50
	;; [unrolled: 1-line block ×4, first 2 shown]
	v_add_co_u32 v54, vcc_lo, v56, v54
	v_min3_f32 v61, v62, v61, v115
	v_add_co_ci_u32_e64 v55, null, v57, v55, vcc_lo
	v_min_f32_e32 v62, v64, v63
	v_min3_f32 v60, v60, v62, v61
	flat_store_dword v[54:55], v60
	s_or_b32 exec_lo, exec_lo, s12
	s_and_b32 s12, s7, s8
	s_and_saveexec_b32 s8, s12
	s_cbranch_execz .LBB19_211
.LBB19_207:
	v_cmp_ne_u32_e32 vcc_lo, 1, v121
	v_lshlrev_b64 v[54:55], 2, v[78:79]
	s_cbranch_vccnz .LBB19_209
; %bb.208:
	v_add_co_u32 v58, vcc_lo, v58, v54
	v_add_co_ci_u32_e64 v59, null, v59, v55, vcc_lo
	flat_load_dword v58, v[58:59]
	s_waitcnt vmcnt(0) lgkmcnt(0)
	v_mul_f32_e32 v58, s15, v58
	s_branch .LBB19_210
.LBB19_209:
	v_mov_b32_e32 v58, 0
.LBB19_210:
	v_add_f32_e32 v51, v3, v51
	v_add_f32_e32 v50, v2, v50
	;; [unrolled: 1-line block ×4, first 2 shown]
	v_min3_f32 v50, v50, v51, v114
	v_min_f32_e32 v51, v52, v53
	v_min3_f32 v52, v58, v51, v50
	v_add_co_u32 v50, vcc_lo, v56, v54
	v_add_co_ci_u32_e64 v51, null, v57, v55, vcc_lo
	flat_store_dword v[50:51], v52
.LBB19_211:
	s_or_b32 exec_lo, exec_lo, s8
	v_add_nc_u32_e32 v54, 0x80, v130
	v_mad_i64_i32 v[50:51], null, v54, s14, 0
	v_mad_i64_i32 v[52:53], null, v54, s9, 0
	v_cmp_gt_i32_e64 s8, s13, v54
	v_lshlrev_b64 v[50:51], 2, v[50:51]
	s_and_b32 s18, s0, s8
	v_lshlrev_b64 v[52:53], 2, v[52:53]
	v_add_co_u32 v54, vcc_lo, s10, v50
	v_add_co_ci_u32_e64 v55, null, s11, v51, vcc_lo
	v_add_co_u32 v52, vcc_lo, s16, v52
	v_add_co_ci_u32_e64 v53, null, s17, v53, vcc_lo
	s_and_saveexec_b32 s12, s18
	s_cbranch_execnz .LBB19_219
; %bb.212:
	s_or_b32 exec_lo, exec_lo, s12
	s_and_b32 s18, s1, s8
	s_and_saveexec_b32 s12, s18
	s_cbranch_execnz .LBB19_223
.LBB19_213:
	s_or_b32 exec_lo, exec_lo, s12
	s_and_b32 s18, s2, s8
	s_and_saveexec_b32 s12, s18
	s_cbranch_execnz .LBB19_227
.LBB19_214:
	s_or_b32 exec_lo, exec_lo, s12
	s_and_b32 s18, s3, s8
	s_and_saveexec_b32 s12, s18
	s_cbranch_execnz .LBB19_231
.LBB19_215:
	s_or_b32 exec_lo, exec_lo, s12
	s_and_b32 s18, s4, s8
	s_and_saveexec_b32 s12, s18
	s_cbranch_execnz .LBB19_235
.LBB19_216:
	s_or_b32 exec_lo, exec_lo, s12
	s_and_b32 s18, s5, s8
	s_and_saveexec_b32 s12, s18
	s_cbranch_execnz .LBB19_239
.LBB19_217:
	s_or_b32 exec_lo, exec_lo, s12
	s_and_b32 s18, s6, s8
	s_and_saveexec_b32 s12, s18
	s_cbranch_execnz .LBB19_243
.LBB19_218:
	s_or_b32 exec_lo, exec_lo, s12
	s_and_b32 s12, s7, s8
	s_and_saveexec_b32 s8, s12
	s_cbranch_execnz .LBB19_247
	s_branch .LBB19_251
.LBB19_219:
	v_cmp_ne_u32_e32 vcc_lo, 1, v121
	v_lshlrev_b64 v[50:51], 2, v[0:1]
	s_cbranch_vccnz .LBB19_221
; %bb.220:
	v_add_co_u32 v56, vcc_lo, v54, v50
	v_add_co_ci_u32_e64 v57, null, v55, v51, vcc_lo
	flat_load_dword v56, v[56:57]
	s_waitcnt vmcnt(0) lgkmcnt(0)
	v_mul_f32_e32 v56, s15, v56
	s_branch .LBB19_222
.LBB19_221:
	v_mov_b32_e32 v56, 0
.LBB19_222:
	v_add_f32_e32 v57, v35, v47
	v_add_f32_e32 v58, v34, v46
	;; [unrolled: 1-line block ×4, first 2 shown]
	v_add_co_u32 v50, vcc_lo, v52, v50
	v_min3_f32 v57, v58, v57, v113
	v_add_co_ci_u32_e64 v51, null, v53, v51, vcc_lo
	v_min_f32_e32 v58, v60, v59
	v_min3_f32 v56, v56, v58, v57
	flat_store_dword v[50:51], v56
	s_or_b32 exec_lo, exec_lo, s12
	s_and_b32 s18, s1, s8
	s_and_saveexec_b32 s12, s18
	s_cbranch_execz .LBB19_213
.LBB19_223:
	v_cmp_ne_u32_e32 vcc_lo, 1, v121
	v_lshlrev_b64 v[50:51], 2, v[66:67]
	s_cbranch_vccnz .LBB19_225
; %bb.224:
	v_add_co_u32 v56, vcc_lo, v54, v50
	v_add_co_ci_u32_e64 v57, null, v55, v51, vcc_lo
	flat_load_dword v56, v[56:57]
	s_waitcnt vmcnt(0) lgkmcnt(0)
	v_mul_f32_e32 v56, s15, v56
	s_branch .LBB19_226
.LBB19_225:
	v_mov_b32_e32 v56, 0
.LBB19_226:
	v_add_f32_e32 v57, v31, v47
	v_add_f32_e32 v58, v30, v46
	;; [unrolled: 1-line block ×4, first 2 shown]
	v_add_co_u32 v50, vcc_lo, v52, v50
	v_min3_f32 v57, v58, v57, v112
	v_add_co_ci_u32_e64 v51, null, v53, v51, vcc_lo
	v_min_f32_e32 v58, v60, v59
	v_min3_f32 v56, v56, v58, v57
	flat_store_dword v[50:51], v56
	s_or_b32 exec_lo, exec_lo, s12
	s_and_b32 s18, s2, s8
	s_and_saveexec_b32 s12, s18
	s_cbranch_execz .LBB19_214
.LBB19_227:
	v_cmp_ne_u32_e32 vcc_lo, 1, v121
	v_lshlrev_b64 v[50:51], 2, v[68:69]
	s_cbranch_vccnz .LBB19_229
; %bb.228:
	v_add_co_u32 v56, vcc_lo, v54, v50
	v_add_co_ci_u32_e64 v57, null, v55, v51, vcc_lo
	flat_load_dword v56, v[56:57]
	s_waitcnt vmcnt(0) lgkmcnt(0)
	v_mul_f32_e32 v56, s15, v56
	s_branch .LBB19_230
.LBB19_229:
	v_mov_b32_e32 v56, 0
.LBB19_230:
	v_add_f32_e32 v57, v27, v47
	v_add_f32_e32 v58, v26, v46
	;; [unrolled: 1-line block ×4, first 2 shown]
	v_add_co_u32 v50, vcc_lo, v52, v50
	v_min3_f32 v57, v58, v57, v111
	v_add_co_ci_u32_e64 v51, null, v53, v51, vcc_lo
	v_min_f32_e32 v58, v60, v59
	v_min3_f32 v56, v56, v58, v57
	flat_store_dword v[50:51], v56
	s_or_b32 exec_lo, exec_lo, s12
	s_and_b32 s18, s3, s8
	s_and_saveexec_b32 s12, s18
	s_cbranch_execz .LBB19_215
.LBB19_231:
	v_cmp_ne_u32_e32 vcc_lo, 1, v121
	v_lshlrev_b64 v[50:51], 2, v[70:71]
	s_cbranch_vccnz .LBB19_233
; %bb.232:
	v_add_co_u32 v56, vcc_lo, v54, v50
	v_add_co_ci_u32_e64 v57, null, v55, v51, vcc_lo
	flat_load_dword v56, v[56:57]
	s_waitcnt vmcnt(0) lgkmcnt(0)
	v_mul_f32_e32 v56, s15, v56
	s_branch .LBB19_234
.LBB19_233:
	v_mov_b32_e32 v56, 0
.LBB19_234:
	v_add_f32_e32 v57, v23, v47
	v_add_f32_e32 v58, v22, v46
	;; [unrolled: 1-line block ×4, first 2 shown]
	v_add_co_u32 v50, vcc_lo, v52, v50
	v_min3_f32 v57, v58, v57, v110
	v_add_co_ci_u32_e64 v51, null, v53, v51, vcc_lo
	v_min_f32_e32 v58, v60, v59
	v_min3_f32 v56, v56, v58, v57
	flat_store_dword v[50:51], v56
	s_or_b32 exec_lo, exec_lo, s12
	s_and_b32 s18, s4, s8
	s_and_saveexec_b32 s12, s18
	s_cbranch_execz .LBB19_216
.LBB19_235:
	v_cmp_ne_u32_e32 vcc_lo, 1, v121
	v_lshlrev_b64 v[50:51], 2, v[72:73]
	s_cbranch_vccnz .LBB19_237
; %bb.236:
	v_add_co_u32 v56, vcc_lo, v54, v50
	v_add_co_ci_u32_e64 v57, null, v55, v51, vcc_lo
	flat_load_dword v56, v[56:57]
	s_waitcnt vmcnt(0) lgkmcnt(0)
	v_mul_f32_e32 v56, s15, v56
	s_branch .LBB19_238
.LBB19_237:
	v_mov_b32_e32 v56, 0
.LBB19_238:
	v_add_f32_e32 v57, v19, v47
	v_add_f32_e32 v58, v18, v46
	;; [unrolled: 1-line block ×4, first 2 shown]
	v_add_co_u32 v50, vcc_lo, v52, v50
	v_min3_f32 v57, v58, v57, v109
	v_add_co_ci_u32_e64 v51, null, v53, v51, vcc_lo
	v_min_f32_e32 v58, v60, v59
	v_min3_f32 v56, v56, v58, v57
	flat_store_dword v[50:51], v56
	s_or_b32 exec_lo, exec_lo, s12
	s_and_b32 s18, s5, s8
	s_and_saveexec_b32 s12, s18
	s_cbranch_execz .LBB19_217
.LBB19_239:
	v_cmp_ne_u32_e32 vcc_lo, 1, v121
	v_lshlrev_b64 v[50:51], 2, v[74:75]
	s_cbranch_vccnz .LBB19_241
; %bb.240:
	v_add_co_u32 v56, vcc_lo, v54, v50
	v_add_co_ci_u32_e64 v57, null, v55, v51, vcc_lo
	flat_load_dword v56, v[56:57]
	s_waitcnt vmcnt(0) lgkmcnt(0)
	v_mul_f32_e32 v56, s15, v56
	s_branch .LBB19_242
.LBB19_241:
	v_mov_b32_e32 v56, 0
.LBB19_242:
	v_add_f32_e32 v57, v15, v47
	v_add_f32_e32 v58, v14, v46
	;; [unrolled: 1-line block ×4, first 2 shown]
	v_add_co_u32 v50, vcc_lo, v52, v50
	v_min3_f32 v57, v58, v57, v108
	v_add_co_ci_u32_e64 v51, null, v53, v51, vcc_lo
	v_min_f32_e32 v58, v60, v59
	v_min3_f32 v56, v56, v58, v57
	flat_store_dword v[50:51], v56
	s_or_b32 exec_lo, exec_lo, s12
	s_and_b32 s18, s6, s8
	s_and_saveexec_b32 s12, s18
	s_cbranch_execz .LBB19_218
.LBB19_243:
	v_cmp_ne_u32_e32 vcc_lo, 1, v121
	v_lshlrev_b64 v[50:51], 2, v[76:77]
	s_cbranch_vccnz .LBB19_245
; %bb.244:
	v_add_co_u32 v56, vcc_lo, v54, v50
	v_add_co_ci_u32_e64 v57, null, v55, v51, vcc_lo
	flat_load_dword v56, v[56:57]
	s_waitcnt vmcnt(0) lgkmcnt(0)
	v_mul_f32_e32 v56, s15, v56
	s_branch .LBB19_246
.LBB19_245:
	v_mov_b32_e32 v56, 0
.LBB19_246:
	v_add_f32_e32 v57, v11, v47
	v_add_f32_e32 v58, v10, v46
	;; [unrolled: 1-line block ×4, first 2 shown]
	v_add_co_u32 v50, vcc_lo, v52, v50
	v_min3_f32 v57, v58, v57, v107
	v_add_co_ci_u32_e64 v51, null, v53, v51, vcc_lo
	v_min_f32_e32 v58, v60, v59
	v_min3_f32 v56, v56, v58, v57
	flat_store_dword v[50:51], v56
	s_or_b32 exec_lo, exec_lo, s12
	s_and_b32 s12, s7, s8
	s_and_saveexec_b32 s8, s12
	s_cbranch_execz .LBB19_251
.LBB19_247:
	v_cmp_ne_u32_e32 vcc_lo, 1, v121
	v_lshlrev_b64 v[50:51], 2, v[78:79]
	s_cbranch_vccnz .LBB19_249
; %bb.248:
	v_add_co_u32 v54, vcc_lo, v54, v50
	v_add_co_ci_u32_e64 v55, null, v55, v51, vcc_lo
	flat_load_dword v54, v[54:55]
	s_waitcnt vmcnt(0) lgkmcnt(0)
	v_mul_f32_e32 v54, s15, v54
	s_branch .LBB19_250
.LBB19_249:
	v_mov_b32_e32 v54, 0
.LBB19_250:
	v_add_f32_e32 v47, v3, v47
	v_add_f32_e32 v46, v2, v46
	;; [unrolled: 1-line block ×4, first 2 shown]
	v_min3_f32 v46, v46, v47, v106
	v_min_f32_e32 v47, v48, v49
	v_min3_f32 v48, v54, v47, v46
	v_add_co_u32 v46, vcc_lo, v52, v50
	v_add_co_ci_u32_e64 v47, null, v53, v51, vcc_lo
	flat_store_dword v[46:47], v48
.LBB19_251:
	s_or_b32 exec_lo, exec_lo, s8
	v_add_nc_u32_e32 v50, 0xa0, v130
	v_mad_i64_i32 v[46:47], null, v50, s14, 0
	v_mad_i64_i32 v[48:49], null, v50, s9, 0
	v_cmp_gt_i32_e64 s8, s13, v50
	v_lshlrev_b64 v[46:47], 2, v[46:47]
	s_and_b32 s18, s0, s8
	v_lshlrev_b64 v[48:49], 2, v[48:49]
	v_add_co_u32 v50, vcc_lo, s10, v46
	v_add_co_ci_u32_e64 v51, null, s11, v47, vcc_lo
	v_add_co_u32 v48, vcc_lo, s16, v48
	v_add_co_ci_u32_e64 v49, null, s17, v49, vcc_lo
	s_and_saveexec_b32 s12, s18
	s_cbranch_execnz .LBB19_259
; %bb.252:
	s_or_b32 exec_lo, exec_lo, s12
	s_and_b32 s18, s1, s8
	s_and_saveexec_b32 s12, s18
	s_cbranch_execnz .LBB19_263
.LBB19_253:
	s_or_b32 exec_lo, exec_lo, s12
	s_and_b32 s18, s2, s8
	s_and_saveexec_b32 s12, s18
	s_cbranch_execnz .LBB19_267
.LBB19_254:
	s_or_b32 exec_lo, exec_lo, s12
	s_and_b32 s18, s3, s8
	s_and_saveexec_b32 s12, s18
	s_cbranch_execnz .LBB19_271
.LBB19_255:
	s_or_b32 exec_lo, exec_lo, s12
	s_and_b32 s18, s4, s8
	s_and_saveexec_b32 s12, s18
	s_cbranch_execnz .LBB19_275
.LBB19_256:
	s_or_b32 exec_lo, exec_lo, s12
	s_and_b32 s18, s5, s8
	s_and_saveexec_b32 s12, s18
	s_cbranch_execnz .LBB19_279
.LBB19_257:
	s_or_b32 exec_lo, exec_lo, s12
	s_and_b32 s18, s6, s8
	s_and_saveexec_b32 s12, s18
	s_cbranch_execnz .LBB19_283
.LBB19_258:
	s_or_b32 exec_lo, exec_lo, s12
	s_and_b32 s12, s7, s8
	s_and_saveexec_b32 s8, s12
	s_cbranch_execnz .LBB19_287
	s_branch .LBB19_291
.LBB19_259:
	v_cmp_ne_u32_e32 vcc_lo, 1, v121
	v_lshlrev_b64 v[46:47], 2, v[0:1]
	s_cbranch_vccnz .LBB19_261
; %bb.260:
	v_add_co_u32 v52, vcc_lo, v50, v46
	v_add_co_ci_u32_e64 v53, null, v51, v47, vcc_lo
	flat_load_dword v52, v[52:53]
	s_waitcnt vmcnt(0) lgkmcnt(0)
	v_mul_f32_e32 v52, s15, v52
	s_branch .LBB19_262
.LBB19_261:
	v_mov_b32_e32 v52, 0
.LBB19_262:
	v_add_f32_e32 v53, v35, v43
	v_add_f32_e32 v54, v34, v42
	;; [unrolled: 1-line block ×4, first 2 shown]
	v_add_co_u32 v46, vcc_lo, v48, v46
	v_min3_f32 v53, v54, v53, v105
	v_add_co_ci_u32_e64 v47, null, v49, v47, vcc_lo
	v_min_f32_e32 v54, v56, v55
	v_min3_f32 v52, v52, v54, v53
	flat_store_dword v[46:47], v52
	s_or_b32 exec_lo, exec_lo, s12
	s_and_b32 s18, s1, s8
	s_and_saveexec_b32 s12, s18
	s_cbranch_execz .LBB19_253
.LBB19_263:
	v_cmp_ne_u32_e32 vcc_lo, 1, v121
	v_lshlrev_b64 v[46:47], 2, v[66:67]
	s_cbranch_vccnz .LBB19_265
; %bb.264:
	v_add_co_u32 v52, vcc_lo, v50, v46
	v_add_co_ci_u32_e64 v53, null, v51, v47, vcc_lo
	flat_load_dword v52, v[52:53]
	s_waitcnt vmcnt(0) lgkmcnt(0)
	v_mul_f32_e32 v52, s15, v52
	s_branch .LBB19_266
.LBB19_265:
	v_mov_b32_e32 v52, 0
.LBB19_266:
	v_add_f32_e32 v53, v31, v43
	v_add_f32_e32 v54, v30, v42
	;; [unrolled: 1-line block ×4, first 2 shown]
	v_add_co_u32 v46, vcc_lo, v48, v46
	v_min3_f32 v53, v54, v53, v104
	v_add_co_ci_u32_e64 v47, null, v49, v47, vcc_lo
	v_min_f32_e32 v54, v56, v55
	v_min3_f32 v52, v52, v54, v53
	flat_store_dword v[46:47], v52
	s_or_b32 exec_lo, exec_lo, s12
	s_and_b32 s18, s2, s8
	s_and_saveexec_b32 s12, s18
	s_cbranch_execz .LBB19_254
.LBB19_267:
	v_cmp_ne_u32_e32 vcc_lo, 1, v121
	v_lshlrev_b64 v[46:47], 2, v[68:69]
	s_cbranch_vccnz .LBB19_269
; %bb.268:
	v_add_co_u32 v52, vcc_lo, v50, v46
	v_add_co_ci_u32_e64 v53, null, v51, v47, vcc_lo
	flat_load_dword v52, v[52:53]
	s_waitcnt vmcnt(0) lgkmcnt(0)
	v_mul_f32_e32 v52, s15, v52
	s_branch .LBB19_270
.LBB19_269:
	v_mov_b32_e32 v52, 0
.LBB19_270:
	v_add_f32_e32 v53, v27, v43
	v_add_f32_e32 v54, v26, v42
	;; [unrolled: 1-line block ×4, first 2 shown]
	v_add_co_u32 v46, vcc_lo, v48, v46
	v_min3_f32 v53, v54, v53, v103
	v_add_co_ci_u32_e64 v47, null, v49, v47, vcc_lo
	v_min_f32_e32 v54, v56, v55
	v_min3_f32 v52, v52, v54, v53
	flat_store_dword v[46:47], v52
	s_or_b32 exec_lo, exec_lo, s12
	s_and_b32 s18, s3, s8
	s_and_saveexec_b32 s12, s18
	s_cbranch_execz .LBB19_255
.LBB19_271:
	v_cmp_ne_u32_e32 vcc_lo, 1, v121
	v_lshlrev_b64 v[46:47], 2, v[70:71]
	s_cbranch_vccnz .LBB19_273
; %bb.272:
	v_add_co_u32 v52, vcc_lo, v50, v46
	v_add_co_ci_u32_e64 v53, null, v51, v47, vcc_lo
	flat_load_dword v52, v[52:53]
	s_waitcnt vmcnt(0) lgkmcnt(0)
	v_mul_f32_e32 v52, s15, v52
	s_branch .LBB19_274
.LBB19_273:
	v_mov_b32_e32 v52, 0
.LBB19_274:
	v_add_f32_e32 v53, v23, v43
	v_add_f32_e32 v54, v22, v42
	;; [unrolled: 1-line block ×4, first 2 shown]
	v_add_co_u32 v46, vcc_lo, v48, v46
	v_min3_f32 v53, v54, v53, v102
	v_add_co_ci_u32_e64 v47, null, v49, v47, vcc_lo
	v_min_f32_e32 v54, v56, v55
	v_min3_f32 v52, v52, v54, v53
	flat_store_dword v[46:47], v52
	s_or_b32 exec_lo, exec_lo, s12
	s_and_b32 s18, s4, s8
	s_and_saveexec_b32 s12, s18
	s_cbranch_execz .LBB19_256
.LBB19_275:
	v_cmp_ne_u32_e32 vcc_lo, 1, v121
	v_lshlrev_b64 v[46:47], 2, v[72:73]
	s_cbranch_vccnz .LBB19_277
; %bb.276:
	v_add_co_u32 v52, vcc_lo, v50, v46
	v_add_co_ci_u32_e64 v53, null, v51, v47, vcc_lo
	flat_load_dword v52, v[52:53]
	s_waitcnt vmcnt(0) lgkmcnt(0)
	v_mul_f32_e32 v52, s15, v52
	s_branch .LBB19_278
.LBB19_277:
	v_mov_b32_e32 v52, 0
.LBB19_278:
	v_add_f32_e32 v53, v19, v43
	v_add_f32_e32 v54, v18, v42
	v_add_f32_e32 v55, v21, v45
	v_add_f32_e32 v56, v20, v44
	v_add_co_u32 v46, vcc_lo, v48, v46
	v_min3_f32 v53, v54, v53, v101
	v_add_co_ci_u32_e64 v47, null, v49, v47, vcc_lo
	v_min_f32_e32 v54, v56, v55
	v_min3_f32 v52, v52, v54, v53
	flat_store_dword v[46:47], v52
	s_or_b32 exec_lo, exec_lo, s12
	s_and_b32 s18, s5, s8
	s_and_saveexec_b32 s12, s18
	s_cbranch_execz .LBB19_257
.LBB19_279:
	v_cmp_ne_u32_e32 vcc_lo, 1, v121
	v_lshlrev_b64 v[46:47], 2, v[74:75]
	s_cbranch_vccnz .LBB19_281
; %bb.280:
	v_add_co_u32 v52, vcc_lo, v50, v46
	v_add_co_ci_u32_e64 v53, null, v51, v47, vcc_lo
	flat_load_dword v52, v[52:53]
	s_waitcnt vmcnt(0) lgkmcnt(0)
	v_mul_f32_e32 v52, s15, v52
	s_branch .LBB19_282
.LBB19_281:
	v_mov_b32_e32 v52, 0
.LBB19_282:
	v_add_f32_e32 v53, v15, v43
	v_add_f32_e32 v54, v14, v42
	;; [unrolled: 1-line block ×4, first 2 shown]
	v_add_co_u32 v46, vcc_lo, v48, v46
	v_min3_f32 v53, v54, v53, v100
	v_add_co_ci_u32_e64 v47, null, v49, v47, vcc_lo
	v_min_f32_e32 v54, v56, v55
	v_min3_f32 v52, v52, v54, v53
	flat_store_dword v[46:47], v52
	s_or_b32 exec_lo, exec_lo, s12
	s_and_b32 s18, s6, s8
	s_and_saveexec_b32 s12, s18
	s_cbranch_execz .LBB19_258
.LBB19_283:
	v_cmp_ne_u32_e32 vcc_lo, 1, v121
	v_lshlrev_b64 v[46:47], 2, v[76:77]
	s_cbranch_vccnz .LBB19_285
; %bb.284:
	v_add_co_u32 v52, vcc_lo, v50, v46
	v_add_co_ci_u32_e64 v53, null, v51, v47, vcc_lo
	flat_load_dword v52, v[52:53]
	s_waitcnt vmcnt(0) lgkmcnt(0)
	v_mul_f32_e32 v52, s15, v52
	s_branch .LBB19_286
.LBB19_285:
	v_mov_b32_e32 v52, 0
.LBB19_286:
	v_add_f32_e32 v53, v11, v43
	v_add_f32_e32 v54, v10, v42
	;; [unrolled: 1-line block ×4, first 2 shown]
	v_add_co_u32 v46, vcc_lo, v48, v46
	v_min3_f32 v53, v54, v53, v99
	v_add_co_ci_u32_e64 v47, null, v49, v47, vcc_lo
	v_min_f32_e32 v54, v56, v55
	v_min3_f32 v52, v52, v54, v53
	flat_store_dword v[46:47], v52
	s_or_b32 exec_lo, exec_lo, s12
	s_and_b32 s12, s7, s8
	s_and_saveexec_b32 s8, s12
	s_cbranch_execz .LBB19_291
.LBB19_287:
	v_cmp_ne_u32_e32 vcc_lo, 1, v121
	v_lshlrev_b64 v[46:47], 2, v[78:79]
	s_cbranch_vccnz .LBB19_289
; %bb.288:
	v_add_co_u32 v50, vcc_lo, v50, v46
	v_add_co_ci_u32_e64 v51, null, v51, v47, vcc_lo
	flat_load_dword v50, v[50:51]
	s_waitcnt vmcnt(0) lgkmcnt(0)
	v_mul_f32_e32 v50, s15, v50
	s_branch .LBB19_290
.LBB19_289:
	v_mov_b32_e32 v50, 0
.LBB19_290:
	v_add_f32_e32 v43, v3, v43
	v_add_f32_e32 v42, v2, v42
	v_add_f32_e32 v45, v5, v45
	v_add_f32_e32 v44, v4, v44
	v_min3_f32 v42, v42, v43, v98
	v_min_f32_e32 v43, v44, v45
	v_min3_f32 v44, v50, v43, v42
	v_add_co_u32 v42, vcc_lo, v48, v46
	v_add_co_ci_u32_e64 v43, null, v49, v47, vcc_lo
	flat_store_dword v[42:43], v44
.LBB19_291:
	s_or_b32 exec_lo, exec_lo, s8
	v_add_nc_u32_e32 v46, 0xc0, v130
	v_mad_i64_i32 v[42:43], null, v46, s14, 0
	v_mad_i64_i32 v[44:45], null, v46, s9, 0
	v_cmp_gt_i32_e64 s8, s13, v46
	v_lshlrev_b64 v[42:43], 2, v[42:43]
	s_and_b32 s18, s0, s8
	v_lshlrev_b64 v[44:45], 2, v[44:45]
	v_add_co_u32 v46, vcc_lo, s10, v42
	v_add_co_ci_u32_e64 v47, null, s11, v43, vcc_lo
	v_add_co_u32 v44, vcc_lo, s16, v44
	v_add_co_ci_u32_e64 v45, null, s17, v45, vcc_lo
	s_and_saveexec_b32 s12, s18
	s_cbranch_execnz .LBB19_299
; %bb.292:
	s_or_b32 exec_lo, exec_lo, s12
	s_and_b32 s18, s1, s8
	s_and_saveexec_b32 s12, s18
	s_cbranch_execnz .LBB19_303
.LBB19_293:
	s_or_b32 exec_lo, exec_lo, s12
	s_and_b32 s18, s2, s8
	s_and_saveexec_b32 s12, s18
	s_cbranch_execnz .LBB19_307
.LBB19_294:
	s_or_b32 exec_lo, exec_lo, s12
	s_and_b32 s18, s3, s8
	s_and_saveexec_b32 s12, s18
	s_cbranch_execnz .LBB19_311
.LBB19_295:
	s_or_b32 exec_lo, exec_lo, s12
	s_and_b32 s18, s4, s8
	s_and_saveexec_b32 s12, s18
	s_cbranch_execnz .LBB19_315
.LBB19_296:
	s_or_b32 exec_lo, exec_lo, s12
	s_and_b32 s18, s5, s8
	s_and_saveexec_b32 s12, s18
	s_cbranch_execnz .LBB19_319
.LBB19_297:
	s_or_b32 exec_lo, exec_lo, s12
	s_and_b32 s18, s6, s8
	s_and_saveexec_b32 s12, s18
	s_cbranch_execnz .LBB19_323
.LBB19_298:
	s_or_b32 exec_lo, exec_lo, s12
	s_and_b32 s12, s7, s8
	s_and_saveexec_b32 s8, s12
	s_cbranch_execnz .LBB19_327
	s_branch .LBB19_331
.LBB19_299:
	v_cmp_ne_u32_e32 vcc_lo, 1, v121
	v_lshlrev_b64 v[42:43], 2, v[0:1]
	s_cbranch_vccnz .LBB19_301
; %bb.300:
	v_add_co_u32 v48, vcc_lo, v46, v42
	v_add_co_ci_u32_e64 v49, null, v47, v43, vcc_lo
	flat_load_dword v48, v[48:49]
	s_waitcnt vmcnt(0) lgkmcnt(0)
	v_mul_f32_e32 v48, s15, v48
	s_branch .LBB19_302
.LBB19_301:
	v_mov_b32_e32 v48, 0
.LBB19_302:
	v_add_f32_e32 v49, v35, v39
	v_add_f32_e32 v50, v34, v38
	;; [unrolled: 1-line block ×4, first 2 shown]
	v_add_co_u32 v42, vcc_lo, v44, v42
	v_min3_f32 v49, v50, v49, v97
	v_add_co_ci_u32_e64 v43, null, v45, v43, vcc_lo
	v_min_f32_e32 v50, v52, v51
	v_min3_f32 v48, v48, v50, v49
	flat_store_dword v[42:43], v48
	s_or_b32 exec_lo, exec_lo, s12
	s_and_b32 s18, s1, s8
	s_and_saveexec_b32 s12, s18
	s_cbranch_execz .LBB19_293
.LBB19_303:
	v_cmp_ne_u32_e32 vcc_lo, 1, v121
	v_lshlrev_b64 v[42:43], 2, v[66:67]
	s_cbranch_vccnz .LBB19_305
; %bb.304:
	v_add_co_u32 v48, vcc_lo, v46, v42
	v_add_co_ci_u32_e64 v49, null, v47, v43, vcc_lo
	flat_load_dword v48, v[48:49]
	s_waitcnt vmcnt(0) lgkmcnt(0)
	v_mul_f32_e32 v48, s15, v48
	s_branch .LBB19_306
.LBB19_305:
	v_mov_b32_e32 v48, 0
.LBB19_306:
	v_add_f32_e32 v49, v31, v39
	v_add_f32_e32 v50, v30, v38
	;; [unrolled: 1-line block ×4, first 2 shown]
	v_add_co_u32 v42, vcc_lo, v44, v42
	v_min3_f32 v49, v50, v49, v96
	v_add_co_ci_u32_e64 v43, null, v45, v43, vcc_lo
	v_min_f32_e32 v50, v52, v51
	v_min3_f32 v48, v48, v50, v49
	flat_store_dword v[42:43], v48
	s_or_b32 exec_lo, exec_lo, s12
	s_and_b32 s18, s2, s8
	s_and_saveexec_b32 s12, s18
	s_cbranch_execz .LBB19_294
.LBB19_307:
	v_cmp_ne_u32_e32 vcc_lo, 1, v121
	v_lshlrev_b64 v[42:43], 2, v[68:69]
	s_cbranch_vccnz .LBB19_309
; %bb.308:
	v_add_co_u32 v48, vcc_lo, v46, v42
	v_add_co_ci_u32_e64 v49, null, v47, v43, vcc_lo
	flat_load_dword v48, v[48:49]
	s_waitcnt vmcnt(0) lgkmcnt(0)
	v_mul_f32_e32 v48, s15, v48
	s_branch .LBB19_310
.LBB19_309:
	v_mov_b32_e32 v48, 0
.LBB19_310:
	v_add_f32_e32 v49, v27, v39
	v_add_f32_e32 v50, v26, v38
	;; [unrolled: 1-line block ×4, first 2 shown]
	v_add_co_u32 v42, vcc_lo, v44, v42
	v_min3_f32 v49, v50, v49, v95
	v_add_co_ci_u32_e64 v43, null, v45, v43, vcc_lo
	v_min_f32_e32 v50, v52, v51
	v_min3_f32 v48, v48, v50, v49
	flat_store_dword v[42:43], v48
	s_or_b32 exec_lo, exec_lo, s12
	s_and_b32 s18, s3, s8
	s_and_saveexec_b32 s12, s18
	s_cbranch_execz .LBB19_295
.LBB19_311:
	v_cmp_ne_u32_e32 vcc_lo, 1, v121
	v_lshlrev_b64 v[42:43], 2, v[70:71]
	s_cbranch_vccnz .LBB19_313
; %bb.312:
	v_add_co_u32 v48, vcc_lo, v46, v42
	v_add_co_ci_u32_e64 v49, null, v47, v43, vcc_lo
	flat_load_dword v48, v[48:49]
	s_waitcnt vmcnt(0) lgkmcnt(0)
	v_mul_f32_e32 v48, s15, v48
	s_branch .LBB19_314
.LBB19_313:
	v_mov_b32_e32 v48, 0
.LBB19_314:
	v_add_f32_e32 v49, v23, v39
	v_add_f32_e32 v50, v22, v38
	;; [unrolled: 1-line block ×4, first 2 shown]
	v_add_co_u32 v42, vcc_lo, v44, v42
	v_min3_f32 v49, v50, v49, v94
	v_add_co_ci_u32_e64 v43, null, v45, v43, vcc_lo
	v_min_f32_e32 v50, v52, v51
	v_min3_f32 v48, v48, v50, v49
	flat_store_dword v[42:43], v48
	s_or_b32 exec_lo, exec_lo, s12
	s_and_b32 s18, s4, s8
	s_and_saveexec_b32 s12, s18
	s_cbranch_execz .LBB19_296
.LBB19_315:
	v_cmp_ne_u32_e32 vcc_lo, 1, v121
	v_lshlrev_b64 v[42:43], 2, v[72:73]
	s_cbranch_vccnz .LBB19_317
; %bb.316:
	v_add_co_u32 v48, vcc_lo, v46, v42
	v_add_co_ci_u32_e64 v49, null, v47, v43, vcc_lo
	flat_load_dword v48, v[48:49]
	s_waitcnt vmcnt(0) lgkmcnt(0)
	v_mul_f32_e32 v48, s15, v48
	s_branch .LBB19_318
.LBB19_317:
	v_mov_b32_e32 v48, 0
.LBB19_318:
	v_add_f32_e32 v49, v19, v39
	v_add_f32_e32 v50, v18, v38
	;; [unrolled: 1-line block ×4, first 2 shown]
	v_add_co_u32 v42, vcc_lo, v44, v42
	v_min3_f32 v49, v50, v49, v93
	v_add_co_ci_u32_e64 v43, null, v45, v43, vcc_lo
	v_min_f32_e32 v50, v52, v51
	v_min3_f32 v48, v48, v50, v49
	flat_store_dword v[42:43], v48
	s_or_b32 exec_lo, exec_lo, s12
	s_and_b32 s18, s5, s8
	s_and_saveexec_b32 s12, s18
	s_cbranch_execz .LBB19_297
.LBB19_319:
	v_cmp_ne_u32_e32 vcc_lo, 1, v121
	v_lshlrev_b64 v[42:43], 2, v[74:75]
	s_cbranch_vccnz .LBB19_321
; %bb.320:
	v_add_co_u32 v48, vcc_lo, v46, v42
	v_add_co_ci_u32_e64 v49, null, v47, v43, vcc_lo
	flat_load_dword v48, v[48:49]
	s_waitcnt vmcnt(0) lgkmcnt(0)
	v_mul_f32_e32 v48, s15, v48
	s_branch .LBB19_322
.LBB19_321:
	v_mov_b32_e32 v48, 0
.LBB19_322:
	v_add_f32_e32 v49, v15, v39
	v_add_f32_e32 v50, v14, v38
	v_add_f32_e32 v51, v17, v41
	v_add_f32_e32 v52, v16, v40
	v_add_co_u32 v42, vcc_lo, v44, v42
	v_min3_f32 v49, v50, v49, v92
	v_add_co_ci_u32_e64 v43, null, v45, v43, vcc_lo
	v_min_f32_e32 v50, v52, v51
	v_min3_f32 v48, v48, v50, v49
	flat_store_dword v[42:43], v48
	s_or_b32 exec_lo, exec_lo, s12
	s_and_b32 s18, s6, s8
	s_and_saveexec_b32 s12, s18
	s_cbranch_execz .LBB19_298
.LBB19_323:
	v_cmp_ne_u32_e32 vcc_lo, 1, v121
	v_lshlrev_b64 v[42:43], 2, v[76:77]
	s_cbranch_vccnz .LBB19_325
; %bb.324:
	v_add_co_u32 v48, vcc_lo, v46, v42
	v_add_co_ci_u32_e64 v49, null, v47, v43, vcc_lo
	flat_load_dword v48, v[48:49]
	s_waitcnt vmcnt(0) lgkmcnt(0)
	v_mul_f32_e32 v48, s15, v48
	s_branch .LBB19_326
.LBB19_325:
	v_mov_b32_e32 v48, 0
.LBB19_326:
	v_add_f32_e32 v49, v11, v39
	v_add_f32_e32 v50, v10, v38
	;; [unrolled: 1-line block ×4, first 2 shown]
	v_add_co_u32 v42, vcc_lo, v44, v42
	v_min3_f32 v49, v50, v49, v90
	v_add_co_ci_u32_e64 v43, null, v45, v43, vcc_lo
	v_min_f32_e32 v50, v52, v51
	v_min3_f32 v48, v48, v50, v49
	flat_store_dword v[42:43], v48
	s_or_b32 exec_lo, exec_lo, s12
	s_and_b32 s12, s7, s8
	s_and_saveexec_b32 s8, s12
	s_cbranch_execz .LBB19_331
.LBB19_327:
	v_cmp_ne_u32_e32 vcc_lo, 1, v121
	v_lshlrev_b64 v[42:43], 2, v[78:79]
	s_cbranch_vccnz .LBB19_329
; %bb.328:
	v_add_co_u32 v46, vcc_lo, v46, v42
	v_add_co_ci_u32_e64 v47, null, v47, v43, vcc_lo
	flat_load_dword v46, v[46:47]
	s_waitcnt vmcnt(0) lgkmcnt(0)
	v_mul_f32_e32 v46, s15, v46
	s_branch .LBB19_330
.LBB19_329:
	v_mov_b32_e32 v46, 0
.LBB19_330:
	v_add_f32_e32 v39, v3, v39
	v_add_f32_e32 v38, v2, v38
	;; [unrolled: 1-line block ×4, first 2 shown]
	v_min3_f32 v38, v38, v39, v89
	v_min_f32_e32 v39, v40, v41
	v_min3_f32 v40, v46, v39, v38
	v_add_co_u32 v38, vcc_lo, v44, v42
	v_add_co_ci_u32_e64 v39, null, v45, v43, vcc_lo
	flat_store_dword v[38:39], v40
.LBB19_331:
	s_or_b32 exec_lo, exec_lo, s8
	v_add_nc_u32_e32 v42, 0xe0, v130
	v_mad_i64_i32 v[38:39], null, v42, s14, 0
	v_mad_i64_i32 v[40:41], null, v42, s9, 0
	v_cmp_gt_i32_e64 s8, s13, v42
	v_lshlrev_b64 v[38:39], 2, v[38:39]
	s_and_b32 s9, s0, s8
	v_lshlrev_b64 v[42:43], 2, v[40:41]
	v_add_co_u32 v40, vcc_lo, s10, v38
	v_add_co_ci_u32_e64 v41, null, s11, v39, vcc_lo
	v_add_co_u32 v38, vcc_lo, s16, v42
	v_add_co_ci_u32_e64 v39, null, s17, v43, vcc_lo
	s_and_saveexec_b32 s0, s9
	s_cbranch_execnz .LBB19_340
; %bb.332:
	s_or_b32 exec_lo, exec_lo, s0
	s_and_b32 s1, s1, s8
	s_and_saveexec_b32 s0, s1
	s_cbranch_execnz .LBB19_344
.LBB19_333:
	s_or_b32 exec_lo, exec_lo, s0
	s_and_b32 s1, s2, s8
	s_and_saveexec_b32 s0, s1
	s_cbranch_execnz .LBB19_348
.LBB19_334:
	s_or_b32 exec_lo, exec_lo, s0
	s_and_b32 s1, s3, s8
	s_and_saveexec_b32 s0, s1
	s_cbranch_execnz .LBB19_352
.LBB19_335:
	s_or_b32 exec_lo, exec_lo, s0
	s_and_b32 s1, s4, s8
	s_and_saveexec_b32 s0, s1
	s_cbranch_execnz .LBB19_356
.LBB19_336:
	s_or_b32 exec_lo, exec_lo, s0
	s_and_b32 s1, s5, s8
	s_and_saveexec_b32 s0, s1
	s_cbranch_execnz .LBB19_360
.LBB19_337:
	s_or_b32 exec_lo, exec_lo, s0
	s_and_b32 s1, s6, s8
	s_and_saveexec_b32 s0, s1
	s_cbranch_execnz .LBB19_364
.LBB19_338:
	s_or_b32 exec_lo, exec_lo, s0
	s_and_b32 s0, s7, s8
	s_and_saveexec_b32 s1, s0
	s_cbranch_execnz .LBB19_368
.LBB19_339:
	s_endpgm
.LBB19_340:
	v_cmp_ne_u32_e32 vcc_lo, 1, v121
	v_lshlrev_b64 v[0:1], 2, v[0:1]
	s_cbranch_vccnz .LBB19_342
; %bb.341:
	v_add_co_u32 v42, vcc_lo, v40, v0
	v_add_co_ci_u32_e64 v43, null, v41, v1, vcc_lo
	flat_load_dword v42, v[42:43]
	s_waitcnt vmcnt(0) lgkmcnt(0)
	v_mul_f32_e32 v42, s15, v42
	s_branch .LBB19_343
.LBB19_342:
	v_mov_b32_e32 v42, 0
.LBB19_343:
	v_add_f32_e32 v35, v35, v7
	v_add_f32_e32 v34, v34, v6
	;; [unrolled: 1-line block ×4, first 2 shown]
	v_add_co_u32 v0, vcc_lo, v38, v0
	v_min3_f32 v34, v34, v35, v88
	v_add_co_ci_u32_e64 v1, null, v39, v1, vcc_lo
	v_min_f32_e32 v35, v36, v37
	v_min3_f32 v34, v42, v35, v34
	flat_store_dword v[0:1], v34
	s_or_b32 exec_lo, exec_lo, s0
	s_and_b32 s1, s1, s8
	s_and_saveexec_b32 s0, s1
	s_cbranch_execz .LBB19_333
.LBB19_344:
	v_cmp_ne_u32_e32 vcc_lo, 1, v121
	v_lshlrev_b64 v[0:1], 2, v[66:67]
	s_cbranch_vccnz .LBB19_346
; %bb.345:
	v_add_co_u32 v34, vcc_lo, v40, v0
	v_add_co_ci_u32_e64 v35, null, v41, v1, vcc_lo
	flat_load_dword v34, v[34:35]
	s_waitcnt vmcnt(0) lgkmcnt(0)
	v_mul_f32_e32 v34, s15, v34
	s_branch .LBB19_347
.LBB19_346:
	v_mov_b32_e32 v34, 0
.LBB19_347:
	v_add_f32_e32 v31, v31, v7
	v_add_f32_e32 v30, v30, v6
	;; [unrolled: 1-line block ×4, first 2 shown]
	v_add_co_u32 v0, vcc_lo, v38, v0
	v_min3_f32 v30, v30, v31, v87
	v_add_co_ci_u32_e64 v1, null, v39, v1, vcc_lo
	v_min_f32_e32 v31, v32, v33
	v_min3_f32 v30, v34, v31, v30
	flat_store_dword v[0:1], v30
	s_or_b32 exec_lo, exec_lo, s0
	s_and_b32 s1, s2, s8
	s_and_saveexec_b32 s0, s1
	s_cbranch_execz .LBB19_334
.LBB19_348:
	v_cmp_ne_u32_e32 vcc_lo, 1, v121
	v_lshlrev_b64 v[0:1], 2, v[68:69]
	s_cbranch_vccnz .LBB19_350
; %bb.349:
	v_add_co_u32 v30, vcc_lo, v40, v0
	v_add_co_ci_u32_e64 v31, null, v41, v1, vcc_lo
	flat_load_dword v30, v[30:31]
	s_waitcnt vmcnt(0) lgkmcnt(0)
	v_mul_f32_e32 v30, s15, v30
	s_branch .LBB19_351
.LBB19_350:
	v_mov_b32_e32 v30, 0
.LBB19_351:
	v_add_f32_e32 v27, v27, v7
	v_add_f32_e32 v26, v26, v6
	v_add_f32_e32 v29, v29, v9
	v_add_f32_e32 v28, v28, v8
	v_add_co_u32 v0, vcc_lo, v38, v0
	v_min3_f32 v26, v26, v27, v86
	v_add_co_ci_u32_e64 v1, null, v39, v1, vcc_lo
	v_min_f32_e32 v27, v28, v29
	v_min3_f32 v26, v30, v27, v26
	flat_store_dword v[0:1], v26
	s_or_b32 exec_lo, exec_lo, s0
	s_and_b32 s1, s3, s8
	s_and_saveexec_b32 s0, s1
	s_cbranch_execz .LBB19_335
.LBB19_352:
	v_cmp_ne_u32_e32 vcc_lo, 1, v121
	v_lshlrev_b64 v[0:1], 2, v[70:71]
	s_cbranch_vccnz .LBB19_354
; %bb.353:
	v_add_co_u32 v26, vcc_lo, v40, v0
	v_add_co_ci_u32_e64 v27, null, v41, v1, vcc_lo
	flat_load_dword v26, v[26:27]
	s_waitcnt vmcnt(0) lgkmcnt(0)
	v_mul_f32_e32 v26, s15, v26
	s_branch .LBB19_355
.LBB19_354:
	v_mov_b32_e32 v26, 0
.LBB19_355:
	v_add_f32_e32 v23, v23, v7
	v_add_f32_e32 v22, v22, v6
	;; [unrolled: 1-line block ×4, first 2 shown]
	v_add_co_u32 v0, vcc_lo, v38, v0
	v_min3_f32 v22, v22, v23, v85
	v_add_co_ci_u32_e64 v1, null, v39, v1, vcc_lo
	v_min_f32_e32 v23, v24, v25
	v_min3_f32 v22, v26, v23, v22
	flat_store_dword v[0:1], v22
	s_or_b32 exec_lo, exec_lo, s0
	s_and_b32 s1, s4, s8
	s_and_saveexec_b32 s0, s1
	s_cbranch_execz .LBB19_336
.LBB19_356:
	v_cmp_ne_u32_e32 vcc_lo, 1, v121
	v_lshlrev_b64 v[0:1], 2, v[72:73]
	s_cbranch_vccnz .LBB19_358
; %bb.357:
	v_add_co_u32 v22, vcc_lo, v40, v0
	v_add_co_ci_u32_e64 v23, null, v41, v1, vcc_lo
	flat_load_dword v22, v[22:23]
	s_waitcnt vmcnt(0) lgkmcnt(0)
	v_mul_f32_e32 v22, s15, v22
	s_branch .LBB19_359
.LBB19_358:
	v_mov_b32_e32 v22, 0
.LBB19_359:
	v_add_f32_e32 v19, v19, v7
	v_add_f32_e32 v18, v18, v6
	;; [unrolled: 1-line block ×4, first 2 shown]
	v_add_co_u32 v0, vcc_lo, v38, v0
	v_min3_f32 v18, v18, v19, v84
	v_add_co_ci_u32_e64 v1, null, v39, v1, vcc_lo
	v_min_f32_e32 v19, v20, v21
	v_min3_f32 v18, v22, v19, v18
	flat_store_dword v[0:1], v18
	s_or_b32 exec_lo, exec_lo, s0
	s_and_b32 s1, s5, s8
	s_and_saveexec_b32 s0, s1
	s_cbranch_execz .LBB19_337
.LBB19_360:
	v_cmp_ne_u32_e32 vcc_lo, 1, v121
	v_lshlrev_b64 v[0:1], 2, v[74:75]
	s_cbranch_vccnz .LBB19_362
; %bb.361:
	v_add_co_u32 v18, vcc_lo, v40, v0
	v_add_co_ci_u32_e64 v19, null, v41, v1, vcc_lo
	flat_load_dword v18, v[18:19]
	s_waitcnt vmcnt(0) lgkmcnt(0)
	v_mul_f32_e32 v18, s15, v18
	s_branch .LBB19_363
.LBB19_362:
	v_mov_b32_e32 v18, 0
.LBB19_363:
	v_add_f32_e32 v15, v15, v7
	v_add_f32_e32 v14, v14, v6
	;; [unrolled: 1-line block ×4, first 2 shown]
	v_add_co_u32 v0, vcc_lo, v38, v0
	v_min3_f32 v14, v14, v15, v83
	v_add_co_ci_u32_e64 v1, null, v39, v1, vcc_lo
	v_min_f32_e32 v15, v16, v17
	v_min3_f32 v14, v18, v15, v14
	flat_store_dword v[0:1], v14
	s_or_b32 exec_lo, exec_lo, s0
	s_and_b32 s1, s6, s8
	s_and_saveexec_b32 s0, s1
	s_cbranch_execz .LBB19_338
.LBB19_364:
	v_cmp_ne_u32_e32 vcc_lo, 1, v121
	v_lshlrev_b64 v[0:1], 2, v[76:77]
	s_cbranch_vccnz .LBB19_366
; %bb.365:
	v_add_co_u32 v14, vcc_lo, v40, v0
	v_add_co_ci_u32_e64 v15, null, v41, v1, vcc_lo
	flat_load_dword v14, v[14:15]
	s_waitcnt vmcnt(0) lgkmcnt(0)
	v_mul_f32_e32 v14, s15, v14
	s_branch .LBB19_367
.LBB19_366:
	v_mov_b32_e32 v14, 0
.LBB19_367:
	v_add_f32_e32 v11, v11, v7
	v_add_f32_e32 v10, v10, v6
	;; [unrolled: 1-line block ×4, first 2 shown]
	v_add_co_u32 v0, vcc_lo, v38, v0
	v_min3_f32 v10, v10, v11, v82
	v_add_co_ci_u32_e64 v1, null, v39, v1, vcc_lo
	v_min_f32_e32 v11, v12, v13
	v_min3_f32 v10, v14, v11, v10
	flat_store_dword v[0:1], v10
	s_or_b32 exec_lo, exec_lo, s0
	s_and_b32 s0, s7, s8
	s_and_saveexec_b32 s1, s0
	s_cbranch_execz .LBB19_339
.LBB19_368:
	v_cmp_ne_u32_e32 vcc_lo, 1, v121
	v_lshlrev_b64 v[0:1], 2, v[78:79]
	s_cbranch_vccnz .LBB19_370
; %bb.369:
	v_add_co_u32 v10, vcc_lo, v40, v0
	v_add_co_ci_u32_e64 v11, null, v41, v1, vcc_lo
	flat_load_dword v10, v[10:11]
	s_waitcnt vmcnt(0) lgkmcnt(0)
	v_mul_f32_e32 v10, s15, v10
	s_branch .LBB19_371
.LBB19_370:
	v_mov_b32_e32 v10, 0
.LBB19_371:
	v_add_f32_e32 v3, v3, v7
	v_add_f32_e32 v2, v2, v6
	;; [unrolled: 1-line block ×4, first 2 shown]
	v_add_co_u32 v0, vcc_lo, v38, v0
	v_min3_f32 v2, v2, v3, v91
	v_add_co_ci_u32_e64 v1, null, v39, v1, vcc_lo
	v_min_f32_e32 v3, v4, v5
	v_min3_f32 v2, v10, v3, v2
	flat_store_dword v[0:1], v2
	s_endpgm
	.section	.rodata,"a",@progbits
	.p2align	6, 0x0
	.amdhsa_kernel _ZN12_GLOBAL__N_120geam_min_plus_kernelIf15HIP_vector_typeIfLj2EEfLi8ELi32ELi64ELi256ELi4ELi64ELi4ELi64ELi4ELc78ELc84ELb1ELb1ELb1EfKPKfKPfEEviiiT16_PT17_ilSA_ilS8_SA_ilPT18_ili26rocblas_geam_ex_operation_
		.amdhsa_group_segment_fixed_size 10240
		.amdhsa_private_segment_fixed_size 0
		.amdhsa_kernarg_size 128
		.amdhsa_user_sgpr_count 6
		.amdhsa_user_sgpr_private_segment_buffer 1
		.amdhsa_user_sgpr_dispatch_ptr 0
		.amdhsa_user_sgpr_queue_ptr 0
		.amdhsa_user_sgpr_kernarg_segment_ptr 1
		.amdhsa_user_sgpr_dispatch_id 0
		.amdhsa_user_sgpr_flat_scratch_init 0
		.amdhsa_user_sgpr_private_segment_size 0
		.amdhsa_wavefront_size32 1
		.amdhsa_uses_dynamic_stack 0
		.amdhsa_system_sgpr_private_segment_wavefront_offset 0
		.amdhsa_system_sgpr_workgroup_id_x 1
		.amdhsa_system_sgpr_workgroup_id_y 0
		.amdhsa_system_sgpr_workgroup_id_z 1
		.amdhsa_system_sgpr_workgroup_info 0
		.amdhsa_system_vgpr_workitem_id 1
		.amdhsa_next_free_vgpr 165
		.amdhsa_next_free_sgpr 28
		.amdhsa_reserve_vcc 1
		.amdhsa_reserve_flat_scratch 0
		.amdhsa_float_round_mode_32 0
		.amdhsa_float_round_mode_16_64 0
		.amdhsa_float_denorm_mode_32 3
		.amdhsa_float_denorm_mode_16_64 3
		.amdhsa_dx10_clamp 1
		.amdhsa_ieee_mode 1
		.amdhsa_fp16_overflow 0
		.amdhsa_workgroup_processor_mode 1
		.amdhsa_memory_ordered 1
		.amdhsa_forward_progress 1
		.amdhsa_shared_vgpr_count 0
		.amdhsa_exception_fp_ieee_invalid_op 0
		.amdhsa_exception_fp_denorm_src 0
		.amdhsa_exception_fp_ieee_div_zero 0
		.amdhsa_exception_fp_ieee_overflow 0
		.amdhsa_exception_fp_ieee_underflow 0
		.amdhsa_exception_fp_ieee_inexact 0
		.amdhsa_exception_int_div_zero 0
	.end_amdhsa_kernel
	.section	.text._ZN12_GLOBAL__N_120geam_min_plus_kernelIf15HIP_vector_typeIfLj2EEfLi8ELi32ELi64ELi256ELi4ELi64ELi4ELi64ELi4ELc78ELc84ELb1ELb1ELb1EfKPKfKPfEEviiiT16_PT17_ilSA_ilS8_SA_ilPT18_ili26rocblas_geam_ex_operation_,"axG",@progbits,_ZN12_GLOBAL__N_120geam_min_plus_kernelIf15HIP_vector_typeIfLj2EEfLi8ELi32ELi64ELi256ELi4ELi64ELi4ELi64ELi4ELc78ELc84ELb1ELb1ELb1EfKPKfKPfEEviiiT16_PT17_ilSA_ilS8_SA_ilPT18_ili26rocblas_geam_ex_operation_,comdat
.Lfunc_end19:
	.size	_ZN12_GLOBAL__N_120geam_min_plus_kernelIf15HIP_vector_typeIfLj2EEfLi8ELi32ELi64ELi256ELi4ELi64ELi4ELi64ELi4ELc78ELc84ELb1ELb1ELb1EfKPKfKPfEEviiiT16_PT17_ilSA_ilS8_SA_ilPT18_ili26rocblas_geam_ex_operation_, .Lfunc_end19-_ZN12_GLOBAL__N_120geam_min_plus_kernelIf15HIP_vector_typeIfLj2EEfLi8ELi32ELi64ELi256ELi4ELi64ELi4ELi64ELi4ELc78ELc84ELb1ELb1ELb1EfKPKfKPfEEviiiT16_PT17_ilSA_ilS8_SA_ilPT18_ili26rocblas_geam_ex_operation_
                                        ; -- End function
	.set _ZN12_GLOBAL__N_120geam_min_plus_kernelIf15HIP_vector_typeIfLj2EEfLi8ELi32ELi64ELi256ELi4ELi64ELi4ELi64ELi4ELc78ELc84ELb1ELb1ELb1EfKPKfKPfEEviiiT16_PT17_ilSA_ilS8_SA_ilPT18_ili26rocblas_geam_ex_operation_.num_vgpr, 165
	.set _ZN12_GLOBAL__N_120geam_min_plus_kernelIf15HIP_vector_typeIfLj2EEfLi8ELi32ELi64ELi256ELi4ELi64ELi4ELi64ELi4ELc78ELc84ELb1ELb1ELb1EfKPKfKPfEEviiiT16_PT17_ilSA_ilS8_SA_ilPT18_ili26rocblas_geam_ex_operation_.num_agpr, 0
	.set _ZN12_GLOBAL__N_120geam_min_plus_kernelIf15HIP_vector_typeIfLj2EEfLi8ELi32ELi64ELi256ELi4ELi64ELi4ELi64ELi4ELc78ELc84ELb1ELb1ELb1EfKPKfKPfEEviiiT16_PT17_ilSA_ilS8_SA_ilPT18_ili26rocblas_geam_ex_operation_.numbered_sgpr, 28
	.set _ZN12_GLOBAL__N_120geam_min_plus_kernelIf15HIP_vector_typeIfLj2EEfLi8ELi32ELi64ELi256ELi4ELi64ELi4ELi64ELi4ELc78ELc84ELb1ELb1ELb1EfKPKfKPfEEviiiT16_PT17_ilSA_ilS8_SA_ilPT18_ili26rocblas_geam_ex_operation_.num_named_barrier, 0
	.set _ZN12_GLOBAL__N_120geam_min_plus_kernelIf15HIP_vector_typeIfLj2EEfLi8ELi32ELi64ELi256ELi4ELi64ELi4ELi64ELi4ELc78ELc84ELb1ELb1ELb1EfKPKfKPfEEviiiT16_PT17_ilSA_ilS8_SA_ilPT18_ili26rocblas_geam_ex_operation_.private_seg_size, 0
	.set _ZN12_GLOBAL__N_120geam_min_plus_kernelIf15HIP_vector_typeIfLj2EEfLi8ELi32ELi64ELi256ELi4ELi64ELi4ELi64ELi4ELc78ELc84ELb1ELb1ELb1EfKPKfKPfEEviiiT16_PT17_ilSA_ilS8_SA_ilPT18_ili26rocblas_geam_ex_operation_.uses_vcc, 1
	.set _ZN12_GLOBAL__N_120geam_min_plus_kernelIf15HIP_vector_typeIfLj2EEfLi8ELi32ELi64ELi256ELi4ELi64ELi4ELi64ELi4ELc78ELc84ELb1ELb1ELb1EfKPKfKPfEEviiiT16_PT17_ilSA_ilS8_SA_ilPT18_ili26rocblas_geam_ex_operation_.uses_flat_scratch, 0
	.set _ZN12_GLOBAL__N_120geam_min_plus_kernelIf15HIP_vector_typeIfLj2EEfLi8ELi32ELi64ELi256ELi4ELi64ELi4ELi64ELi4ELc78ELc84ELb1ELb1ELb1EfKPKfKPfEEviiiT16_PT17_ilSA_ilS8_SA_ilPT18_ili26rocblas_geam_ex_operation_.has_dyn_sized_stack, 0
	.set _ZN12_GLOBAL__N_120geam_min_plus_kernelIf15HIP_vector_typeIfLj2EEfLi8ELi32ELi64ELi256ELi4ELi64ELi4ELi64ELi4ELc78ELc84ELb1ELb1ELb1EfKPKfKPfEEviiiT16_PT17_ilSA_ilS8_SA_ilPT18_ili26rocblas_geam_ex_operation_.has_recursion, 0
	.set _ZN12_GLOBAL__N_120geam_min_plus_kernelIf15HIP_vector_typeIfLj2EEfLi8ELi32ELi64ELi256ELi4ELi64ELi4ELi64ELi4ELc78ELc84ELb1ELb1ELb1EfKPKfKPfEEviiiT16_PT17_ilSA_ilS8_SA_ilPT18_ili26rocblas_geam_ex_operation_.has_indirect_call, 0
	.section	.AMDGPU.csdata,"",@progbits
; Kernel info:
; codeLenInByte = 19284
; TotalNumSgprs: 30
; NumVgprs: 165
; ScratchSize: 0
; MemoryBound: 0
; FloatMode: 240
; IeeeMode: 1
; LDSByteSize: 10240 bytes/workgroup (compile time only)
; SGPRBlocks: 0
; VGPRBlocks: 20
; NumSGPRsForWavesPerEU: 30
; NumVGPRsForWavesPerEU: 165
; Occupancy: 5
; WaveLimiterHint : 1
; COMPUTE_PGM_RSRC2:SCRATCH_EN: 0
; COMPUTE_PGM_RSRC2:USER_SGPR: 6
; COMPUTE_PGM_RSRC2:TRAP_HANDLER: 0
; COMPUTE_PGM_RSRC2:TGID_X_EN: 1
; COMPUTE_PGM_RSRC2:TGID_Y_EN: 0
; COMPUTE_PGM_RSRC2:TGID_Z_EN: 1
; COMPUTE_PGM_RSRC2:TIDIG_COMP_CNT: 1
	.section	.text._ZN12_GLOBAL__N_120geam_min_plus_kernelIf15HIP_vector_typeIfLj2EEfLi8ELi32ELi64ELi256ELi4ELi64ELi4ELi64ELi4ELc78ELc84ELb0ELb1ELb1EfKPKfKPfEEviiiT16_PT17_ilSA_ilS8_SA_ilPT18_ili26rocblas_geam_ex_operation_,"axG",@progbits,_ZN12_GLOBAL__N_120geam_min_plus_kernelIf15HIP_vector_typeIfLj2EEfLi8ELi32ELi64ELi256ELi4ELi64ELi4ELi64ELi4ELc78ELc84ELb0ELb1ELb1EfKPKfKPfEEviiiT16_PT17_ilSA_ilS8_SA_ilPT18_ili26rocblas_geam_ex_operation_,comdat
	.globl	_ZN12_GLOBAL__N_120geam_min_plus_kernelIf15HIP_vector_typeIfLj2EEfLi8ELi32ELi64ELi256ELi4ELi64ELi4ELi64ELi4ELc78ELc84ELb0ELb1ELb1EfKPKfKPfEEviiiT16_PT17_ilSA_ilS8_SA_ilPT18_ili26rocblas_geam_ex_operation_ ; -- Begin function _ZN12_GLOBAL__N_120geam_min_plus_kernelIf15HIP_vector_typeIfLj2EEfLi8ELi32ELi64ELi256ELi4ELi64ELi4ELi64ELi4ELc78ELc84ELb0ELb1ELb1EfKPKfKPfEEviiiT16_PT17_ilSA_ilS8_SA_ilPT18_ili26rocblas_geam_ex_operation_
	.p2align	8
	.type	_ZN12_GLOBAL__N_120geam_min_plus_kernelIf15HIP_vector_typeIfLj2EEfLi8ELi32ELi64ELi256ELi4ELi64ELi4ELi64ELi4ELc78ELc84ELb0ELb1ELb1EfKPKfKPfEEviiiT16_PT17_ilSA_ilS8_SA_ilPT18_ili26rocblas_geam_ex_operation_,@function
_ZN12_GLOBAL__N_120geam_min_plus_kernelIf15HIP_vector_typeIfLj2EEfLi8ELi32ELi64ELi256ELi4ELi64ELi4ELi64ELi4ELc78ELc84ELb0ELb1ELb1EfKPKfKPfEEviiiT16_PT17_ilSA_ilS8_SA_ilPT18_ili26rocblas_geam_ex_operation_: ; @_ZN12_GLOBAL__N_120geam_min_plus_kernelIf15HIP_vector_typeIfLj2EEfLi8ELi32ELi64ELi256ELi4ELi64ELi4ELi64ELi4ELc78ELc84ELb0ELb1ELb1EfKPKfKPfEEviiiT16_PT17_ilSA_ilS8_SA_ilPT18_ili26rocblas_geam_ex_operation_
; %bb.0:
	s_clause 0x1
	s_load_dwordx4 s[12:15], s[4:5], 0x0
	s_load_dwordx4 s[0:3], s[4:5], 0x20
	s_mov_b32 s16, s7
	s_mov_b32 s17, 0
	s_waitcnt lgkmcnt(0)
	v_cmp_eq_f32_e64 s7, s15, 0
	s_and_b32 vcc_lo, exec_lo, s7
	s_cbranch_vccnz .LBB20_3
; %bb.1:
	s_load_dwordx2 s[8:9], s[4:5], 0x10
	s_lshl_b64 s[10:11], s[16:17], 3
	s_waitcnt lgkmcnt(0)
	s_add_u32 s8, s8, s10
	s_addc_u32 s9, s9, s11
	s_lshl_b64 s[0:1], s[0:1], 2
	s_load_dwordx2 s[8:9], s[8:9], 0x0
	s_waitcnt lgkmcnt(0)
	s_add_u32 s18, s8, s0
	s_addc_u32 s19, s9, s1
	s_andn2_b32 vcc_lo, exec_lo, s7
	s_cbranch_vccnz .LBB20_4
.LBB20_2:
	s_mov_b32 s23, 0
	s_mov_b32 s22, s16
	;; [unrolled: 1-line block ×3, first 2 shown]
	s_mov_b64 s[10:11], 0
	s_andn2_b32 vcc_lo, exec_lo, s0
	s_mov_b64 s[8:9], 0
	s_cbranch_vccz .LBB20_5
	s_branch .LBB20_6
.LBB20_3:
	s_mov_b64 s[18:19], 0
	s_andn2_b32 vcc_lo, exec_lo, s7
	s_cbranch_vccz .LBB20_2
.LBB20_4:
	s_mov_b64 s[22:23], s[16:17]
	s_mov_b64 s[10:11], 0
	;; [unrolled: 1-line block ×3, first 2 shown]
.LBB20_5:
	s_lshl_b64 s[0:1], s[16:17], 3
	s_load_dwordx2 s[8:9], s[4:5], 0x38
	s_add_u32 s0, s2, s0
	s_addc_u32 s1, s3, s1
	s_load_dwordx2 s[0:1], s[0:1], 0x0
	s_waitcnt lgkmcnt(0)
	s_lshl_b64 s[2:3], s[8:9], 2
	s_add_u32 s8, s0, s2
	s_addc_u32 s9, s1, s3
.LBB20_6:
	s_clause 0x1
	s_load_dword s24, s[4:5], 0x40
	s_load_dwordx4 s[0:3], s[4:5], 0x58
	s_waitcnt lgkmcnt(0)
	v_cmp_eq_f32_e64 s7, s24, 0
	v_cmp_neq_f32_e64 s25, s24, 0
	s_and_b32 vcc_lo, exec_lo, s7
	s_cbranch_vccnz .LBB20_8
; %bb.7:
	s_load_dwordx2 s[10:11], s[4:5], 0x48
	s_lshl_b64 s[16:17], s[22:23], 3
	s_waitcnt lgkmcnt(0)
	s_add_u32 s10, s10, s16
	s_addc_u32 s11, s11, s17
	s_lshl_b64 s[0:1], s[0:1], 2
	s_load_dwordx2 s[10:11], s[10:11], 0x0
	s_waitcnt lgkmcnt(0)
	s_add_u32 s10, s10, s0
	s_addc_u32 s11, s11, s1
.LBB20_8:
	s_load_dword s20, s[4:5], 0x18
	s_lshl_b64 s[0:1], s[22:23], 3
	v_lshl_add_u32 v3, v1, 3, v0
	v_cmp_eq_f32_e64 s26, s15, 0
	v_lshrrev_b32_e32 v72, 6, v3
	s_waitcnt lgkmcnt(0)
	s_ashr_i32 s21, s20, 31
	s_add_u32 s16, s2, s0
	s_addc_u32 s17, s3, s1
	s_add_i32 s0, s12, -1
	s_ashr_i32 s1, s0, 31
	s_lshr_b32 s1, s1, 26
	s_add_i32 s0, s0, s1
	s_ashr_i32 s0, s0, 6
	s_add_i32 s2, s0, 1
	s_not_b32 s0, s0
	v_cvt_f32_u32_e32 v2, s2
	v_rcp_iflag_f32_e32 v2, v2
	v_mul_f32_e32 v2, 0x4f7ffffe, v2
	v_cvt_u32_f32_e32 v2, v2
	v_readfirstlane_b32 s1, v2
	v_and_b32_e32 v2, 63, v3
                                        ; implicit-def: $vgpr3
	s_mul_i32 s0, s0, s1
	s_mul_hi_u32 s0, s1, s0
	s_add_i32 s1, s1, s0
	s_mul_hi_u32 s0, s6, s1
	s_mul_i32 s1, s0, s2
	s_add_i32 s3, s0, 1
	s_sub_i32 s1, s6, s1
	s_sub_i32 s7, s1, s2
	s_cmp_ge_u32 s1, s2
	s_cselect_b32 s0, s3, s0
	s_cselect_b32 s1, s7, s1
	s_add_i32 s3, s0, 1
	s_cmp_ge_u32 s1, s2
	s_cselect_b32 s1, s3, s0
                                        ; implicit-def: $sgpr3
	s_mul_i32 s0, s1, s2
	s_sub_i32 s0, s6, s0
	v_cmp_le_i32_e64 s6, s14, v72
	s_lshl_b32 s22, s0, 6
	v_or_b32_e32 v66, s22, v2
	v_cmp_le_i32_e32 vcc_lo, s12, v66
	v_ashrrev_i32_e32 v67, 31, v66
	s_or_b32 s2, vcc_lo, s6
	s_nor_b32 s0, s26, s2
	s_and_saveexec_b32 s7, s0
	s_xor_b32 s7, exec_lo, s7
	s_cbranch_execz .LBB20_10
; %bb.9:
	s_add_i32 s3, s14, -1
	v_lshlrev_b64 v[5:6], 2, v[66:67]
	v_min_u32_e32 v3, s3, v72
	v_mad_i64_i32 v[3:4], null, s20, v3, 0
	v_lshlrev_b64 v[3:4], 2, v[3:4]
	v_add_co_u32 v3, s0, s18, v3
	v_add_co_ci_u32_e64 v4, null, s19, v4, s0
	v_add_co_u32 v3, s0, v3, v5
	v_add_co_ci_u32_e64 v4, null, v4, v6, s0
	flat_load_dword v3, v[3:4]
	s_waitcnt vmcnt(0) lgkmcnt(0)
	v_mul_f32_e32 v3, s15, v3
.LBB20_10:
	s_or_saveexec_b32 s0, s7
	v_mov_b32_e32 v4, s3
	s_xor_b32 exec_lo, exec_lo, s0
; %bb.11:
	s_add_i32 s3, s14, -1
	v_cndmask_b32_e64 v3, 0, 0x7f7fffff, s2
	v_mov_b32_e32 v4, s3
; %bb.12:
	s_or_b32 exec_lo, exec_lo, s0
	s_load_dword s27, s[4:5], 0x30
	v_min_i32_e32 v4, v72, v4
	s_lshl_b32 s23, s1, 8
	v_or_b32_e32 v68, s23, v2
	v_cmp_le_i32_e64 s0, s13, v68
	v_ashrrev_i32_e32 v69, 31, v68
	s_or_b32 s2, s0, s6
	s_waitcnt lgkmcnt(0)
	v_mad_i64_i32 v[4:5], null, v4, s27, 0
	v_lshlrev_b64 v[5:6], 2, v[4:5]
	v_cndmask_b32_e64 v4, 0, 0x7f7fffff, s2
	v_add_co_u32 v8, s1, s8, v5
	v_add_co_ci_u32_e64 v9, null, s9, v6, s1
	s_nor_b32 s1, s26, s2
	s_and_saveexec_b32 s2, s1
	s_cbranch_execz .LBB20_14
; %bb.13:
	v_lshlrev_b64 v[4:5], 2, v[68:69]
	v_add_co_u32 v4, s1, v8, v4
	v_add_co_ci_u32_e64 v5, null, v9, v5, s1
	flat_load_dword v4, v[4:5]
	s_waitcnt vmcnt(0) lgkmcnt(0)
	v_mul_f32_e32 v4, s15, v4
.LBB20_14:
	s_or_b32 exec_lo, exec_lo, s2
	v_or_b32_e32 v5, 64, v68
	v_cmp_le_i32_e64 s1, s13, v5
	s_or_b32 s2, s1, s6
	v_cndmask_b32_e64 v5, 0, 0x7f7fffff, s2
	s_nor_b32 s2, s26, s2
	s_and_saveexec_b32 s3, s2
	s_cbranch_execz .LBB20_16
; %bb.15:
	v_lshlrev_b64 v[5:6], 2, v[68:69]
	v_add_co_u32 v5, s2, v8, v5
	v_add_co_ci_u32_e64 v6, null, v9, v6, s2
	flat_load_dword v5, v[5:6] offset:256
	s_waitcnt vmcnt(0) lgkmcnt(0)
	v_mul_f32_e32 v5, s15, v5
.LBB20_16:
	s_or_b32 exec_lo, exec_lo, s3
	v_or_b32_e32 v6, 0x80, v68
	v_cmp_le_i32_e64 s2, s13, v6
	s_or_b32 s3, s2, s6
	v_cndmask_b32_e64 v6, 0, 0x7f7fffff, s3
	s_nor_b32 s3, s26, s3
	s_and_saveexec_b32 s7, s3
	s_cbranch_execz .LBB20_18
; %bb.17:
	v_lshlrev_b64 v[6:7], 2, v[68:69]
	v_add_co_u32 v6, s3, v8, v6
	v_add_co_ci_u32_e64 v7, null, v9, v7, s3
	flat_load_dword v6, v[6:7] offset:512
	s_waitcnt vmcnt(0) lgkmcnt(0)
	v_mul_f32_e32 v6, s15, v6
.LBB20_18:
	;; [unrolled: 16-line block ×3, first 2 shown]
	s_or_b32 exec_lo, exec_lo, s7
	v_add_nc_u32_e32 v8, 4, v72
                                        ; implicit-def: $vgpr70
                                        ; implicit-def: $sgpr29
	v_cmp_le_i32_e64 s6, s14, v8
	s_or_b32 s28, vcc_lo, s6
	s_nor_b32 s7, s26, s28
	s_and_saveexec_b32 s30, s7
	s_xor_b32 s30, exec_lo, s30
	s_cbranch_execz .LBB20_22
; %bb.21:
	s_add_i32 s29, s14, -1
	v_min_u32_e32 v11, s29, v8
	v_mad_u64_u32 v[9:10], null, s20, v11, 0
	v_mad_u64_u32 v[10:11], null, s21, v11, v[10:11]
	v_lshlrev_b64 v[11:12], 2, v[66:67]
	v_lshlrev_b64 v[9:10], 2, v[9:10]
	v_add_co_u32 v9, s7, s18, v9
	v_add_co_ci_u32_e64 v10, null, s19, v10, s7
	v_add_co_u32 v9, s7, v9, v11
	v_add_co_ci_u32_e64 v10, null, v10, v12, s7
	flat_load_dword v9, v[9:10]
	s_waitcnt vmcnt(0) lgkmcnt(0)
	v_mul_f32_e32 v70, s15, v9
.LBB20_22:
	s_or_saveexec_b32 s7, s30
	v_mov_b32_e32 v9, s29
	s_xor_b32 exec_lo, exec_lo, s7
; %bb.23:
	s_add_i32 s29, s14, -1
	v_cndmask_b32_e64 v70, 0, 0x7f7fffff, s28
	v_mov_b32_e32 v9, s29
; %bb.24:
	s_or_b32 exec_lo, exec_lo, s7
	v_min_i32_e32 v8, v8, v9
	v_mad_i64_i32 v[8:9], null, v8, s27, 0
	v_lshlrev_b64 v[8:9], 2, v[8:9]
	v_add_co_u32 v8, s7, s8, v8
	v_add_co_ci_u32_e64 v9, null, s9, v9, s7
	s_or_b32 s7, s0, s6
	v_cndmask_b32_e64 v71, 0, 0x7f7fffff, s7
	s_nor_b32 s7, s26, s7
	s_and_saveexec_b32 s28, s7
	s_cbranch_execz .LBB20_26
; %bb.25:
	v_lshlrev_b64 v[10:11], 2, v[68:69]
	v_add_co_u32 v10, s7, v8, v10
	v_add_co_ci_u32_e64 v11, null, v9, v11, s7
	flat_load_dword v10, v[10:11]
	s_waitcnt vmcnt(0) lgkmcnt(0)
	v_mul_f32_e32 v71, s15, v10
.LBB20_26:
	s_or_b32 exec_lo, exec_lo, s28
	s_or_b32 s7, s1, s6
	v_cndmask_b32_e64 v123, 0, 0x7f7fffff, s7
	s_nor_b32 s7, s26, s7
	s_and_saveexec_b32 s28, s7
	s_cbranch_execz .LBB20_28
; %bb.27:
	v_lshlrev_b64 v[10:11], 2, v[68:69]
	v_add_co_u32 v10, s7, v8, v10
	v_add_co_ci_u32_e64 v11, null, v9, v11, s7
	flat_load_dword v10, v[10:11] offset:256
	s_waitcnt vmcnt(0) lgkmcnt(0)
	v_mul_f32_e32 v123, s15, v10
.LBB20_28:
	s_or_b32 exec_lo, exec_lo, s28
	s_or_b32 s7, s2, s6
	v_cndmask_b32_e64 v132, 0, 0x7f7fffff, s7
	s_nor_b32 s7, s26, s7
	s_and_saveexec_b32 s28, s7
	s_cbranch_execz .LBB20_30
; %bb.29:
	v_lshlrev_b64 v[10:11], 2, v[68:69]
	v_add_co_u32 v10, s7, v8, v10
	v_add_co_ci_u32_e64 v11, null, v9, v11, s7
	flat_load_dword v10, v[10:11] offset:512
	s_waitcnt vmcnt(0) lgkmcnt(0)
	v_mul_f32_e32 v132, s15, v10
.LBB20_30:
	;; [unrolled: 14-line block ×3, first 2 shown]
	s_or_b32 exec_lo, exec_lo, s7
	v_lshlrev_b32_e32 v2, 4, v2
	v_lshlrev_b32_e32 v74, 4, v0
	s_load_dwordx2 s[16:17], s[16:17], 0x0
	v_lshlrev_b32_e32 v73, 4, v1
	s_cmp_lt_i32 s14, 9
	v_lshl_add_u32 v75, v72, 2, v2
	ds_write_b32 v75, v3 offset:8192
	ds_write2st64_b32 v75, v4, v5 offset1:4
	ds_write2st64_b32 v75, v6, v7 offset0:8 offset1:12
	s_waitcnt lgkmcnt(0)
	s_barrier
	buffer_gl0_inv
	ds_read_b128 v[34:37], v74 offset:8192
	ds_read_b128 v[30:33], v74 offset:8320
	;; [unrolled: 1-line block ×8, first 2 shown]
	ds_read_b128 v[62:65], v73
	ds_read_b128 v[58:61], v73 offset:512
	ds_read_b128 v[54:57], v73 offset:1024
	;; [unrolled: 1-line block ×7, first 2 shown]
	ds_write_b32 v75, v70 offset:9216
	ds_write2st64_b32 v75, v71, v123 offset0:16 offset1:20
	ds_write2st64_b32 v75, v132, v142 offset0:24 offset1:28
	s_waitcnt lgkmcnt(0)
	s_barrier
	buffer_gl0_inv
	v_add_f32_e32 v76, v35, v63
	v_add_f32_e32 v77, v34, v62
	;; [unrolled: 1-line block ×6, first 2 shown]
	v_min3_f32 v76, v77, v76, 0x7f7fffff
	v_add_f32_e32 v77, v31, v63
	v_min3_f32 v77, v78, v77, 0x7f7fffff
	v_add_f32_e32 v78, v27, v63
	;; [unrolled: 2-line block ×5, first 2 shown]
	v_add_f32_e32 v81, v10, v62
	v_min3_f32 v118, v81, v79, 0x7f7fffff
	v_add_f32_e32 v79, v7, v63
	v_add_f32_e32 v81, v6, v62
	;; [unrolled: 1-line block ×4, first 2 shown]
	v_min3_f32 v119, v81, v79, 0x7f7fffff
	v_add_f32_e32 v79, v6, v38
	v_min3_f32 v120, v62, v63, 0x7f7fffff
	v_add_f32_e32 v62, v35, v59
	v_add_f32_e32 v63, v34, v58
	v_min3_f32 v116, v63, v62, 0x7f7fffff
	v_add_f32_e32 v62, v31, v59
	;; [unrolled: 3-line block ×7, first 2 shown]
	v_add_f32_e32 v63, v6, v58
	v_add_f32_e32 v59, v3, v59
	v_add_f32_e32 v58, v2, v58
	v_min3_f32 v110, v63, v62, 0x7f7fffff
	v_min3_f32 v109, v58, v59, 0x7f7fffff
	v_add_f32_e32 v58, v35, v55
	v_add_f32_e32 v59, v34, v54
	v_min3_f32 v108, v59, v58, 0x7f7fffff
	v_add_f32_e32 v58, v31, v55
	v_add_f32_e32 v59, v30, v54
	v_min3_f32 v107, v59, v58, 0x7f7fffff
	v_add_f32_e32 v58, v27, v55
	v_add_f32_e32 v59, v26, v54
	v_min3_f32 v106, v59, v58, 0x7f7fffff
	v_add_f32_e32 v58, v19, v55
	v_add_f32_e32 v59, v18, v54
	v_min3_f32 v105, v59, v58, 0x7f7fffff
	v_add_f32_e32 v58, v15, v55
	v_add_f32_e32 v59, v14, v54
	v_min3_f32 v104, v59, v58, 0x7f7fffff
	v_add_f32_e32 v58, v11, v55
	v_add_f32_e32 v59, v10, v54
	v_min3_f32 v103, v59, v58, 0x7f7fffff
	v_add_f32_e32 v58, v7, v55
	v_add_f32_e32 v59, v6, v54
	v_add_f32_e32 v55, v3, v55
	v_add_f32_e32 v54, v2, v54
	v_min3_f32 v102, v59, v58, 0x7f7fffff
	v_min3_f32 v101, v54, v55, 0x7f7fffff
	v_add_f32_e32 v54, v35, v51
	v_add_f32_e32 v55, v34, v50
	v_min3_f32 v100, v55, v54, 0x7f7fffff
	v_add_f32_e32 v54, v31, v51
	v_add_f32_e32 v55, v30, v50
	v_min3_f32 v99, v55, v54, 0x7f7fffff
	v_add_f32_e32 v54, v27, v51
	v_add_f32_e32 v55, v26, v50
	v_min3_f32 v98, v55, v54, 0x7f7fffff
	v_add_f32_e32 v54, v19, v51
	v_add_f32_e32 v55, v18, v50
	v_min3_f32 v97, v55, v54, 0x7f7fffff
	v_add_f32_e32 v54, v15, v51
	v_add_f32_e32 v55, v14, v50
	v_min3_f32 v96, v55, v54, 0x7f7fffff
	v_add_f32_e32 v54, v11, v51
	v_add_f32_e32 v55, v10, v50
	v_min3_f32 v95, v55, v54, 0x7f7fffff
	v_add_f32_e32 v54, v7, v51
	;; [unrolled: 24-line block ×4, first 2 shown]
	v_add_f32_e32 v47, v6, v42
	v_add_f32_e32 v43, v3, v43
	;; [unrolled: 1-line block ×4, first 2 shown]
	v_min3_f32 v58, v47, v46, 0x7f7fffff
	v_min3_f32 v55, v42, v43, 0x7f7fffff
	v_add_f32_e32 v42, v35, v39
	v_add_f32_e32 v43, v34, v38
	;; [unrolled: 1-line block ×4, first 2 shown]
	v_min3_f32 v54, v43, v42, 0x7f7fffff
	v_add_f32_e32 v42, v31, v39
	v_add_f32_e32 v43, v30, v38
	v_min3_f32 v34, v34, v35, 0x7f7fffff
	v_add_f32_e32 v31, v31, v23
	v_add_f32_e32 v30, v30, v22
	;; [unrolled: 3-line block ×9, first 2 shown]
	v_add_f32_e32 v38, v2, v38
	v_add_f32_e32 v2, v2, v22
	v_min3_f32 v14, v14, v15, 0x7f7fffff
	v_add_f32_e32 v11, v11, v23
	v_min3_f32 v43, v43, v42, 0x7f7fffff
	v_add_f32_e32 v42, v7, v39
	v_add_f32_e32 v39, v3, v39
	;; [unrolled: 1-line block ×5, first 2 shown]
	v_min3_f32 v42, v79, v42, 0x7f7fffff
	v_min3_f32 v38, v38, v39, 0x7f7fffff
	v_min3_f32 v6, v6, v7, 0x7f7fffff
	v_min3_f32 v2, v2, v3, 0x7f7fffff
	v_add_f32_e32 v3, v37, v65
	v_add_f32_e32 v7, v36, v64
	v_min3_f32 v10, v10, v11, 0x7f7fffff
	v_min3_f32 v141, v7, v3, v76
	v_add_f32_e32 v3, v33, v65
	v_add_f32_e32 v7, v32, v64
	v_min3_f32 v81, v7, v3, v77
	v_add_f32_e32 v3, v29, v65
	v_add_f32_e32 v7, v28, v64
	;; [unrolled: 3-line block ×55, first 2 shown]
	v_add_f32_e32 v4, v4, v24
	v_min3_f32 v89, v7, v3, v38
	v_add_f32_e32 v3, v37, v25
	v_add_f32_e32 v7, v36, v24
	v_min3_f32 v88, v7, v3, v34
	v_add_f32_e32 v3, v33, v25
	;; [unrolled: 3-line block ×8, first 2 shown]
	v_min3_f32 v92, v4, v3, v2
	s_cbranch_scc1 .LBB20_59
; %bb.33:
	v_add_nc_u32_e32 v4, 12, v72
	v_add_nc_u32_e32 v6, 8, v72
	v_lshlrev_b64 v[2:3], 2, v[66:67]
	v_lshlrev_b64 v[68:69], 2, v[68:69]
	v_or_b32_e32 v123, 0x2000, v74
	v_mad_i64_i32 v[4:5], null, v4, s20, 0
	v_mad_i64_i32 v[6:7], null, v6, s20, 0
	v_add_co_u32 v142, s6, s18, v2
	v_or_b32_e32 v132, 0x1000, v75
	v_add_co_ci_u32_e64 v143, null, s19, v3, s6
	v_lshlrev_b64 v[66:67], 2, v[4:5]
	v_lshlrev_b64 v[70:71], 2, v[6:7]
	v_lshl_add_u32 v144, v0, 4, 0x2400
	v_lshl_or_b32 v145, v1, 4, 0x1000
	s_add_i32 s28, s14, -8
	s_add_i32 s29, s14, -1
	s_lshl_b64 s[18:19], s[20:21], 5
	s_mov_b32 s20, 0
	s_branch .LBB20_35
.LBB20_34:                              ;   in Loop: Header=BB20_35 Depth=1
	s_or_b32 exec_lo, exec_lo, s7
	v_add_f32_e32 v151, v35, v63
	v_add_f32_e32 v152, v34, v62
	;; [unrolled: 1-line block ×6, first 2 shown]
	v_min3_f32 v141, v152, v151, v141
	v_add_f32_e32 v151, v23, v63
	v_min3_f32 v81, v154, v153, v81
	v_add_f32_e32 v152, v22, v62
	;; [unrolled: 2-line block ×3, first 2 shown]
	v_add_f32_e32 v154, v18, v62
	v_add_f32_e32 v155, v15, v63
	;; [unrolled: 1-line block ×7, first 2 shown]
	v_min3_f32 v77, v152, v151, v77
	v_min3_f32 v76, v154, v153, v76
	v_add_f32_e32 v151, v31, v59
	v_add_f32_e32 v152, v30, v58
	v_min3_f32 v62, v62, v63, v140
	v_add_f32_e32 v63, v35, v59
	v_add_f32_e32 v140, v34, v58
	;; [unrolled: 1-line block ×4, first 2 shown]
	v_min3_f32 v78, v156, v155, v78
	v_min3_f32 v80, v158, v157, v80
	v_add_f32_e32 v155, v23, v59
	v_add_f32_e32 v156, v22, v58
	;; [unrolled: 1-line block ×4, first 2 shown]
	v_min3_f32 v63, v140, v63, v139
	v_min3_f32 v138, v152, v151, v138
	;; [unrolled: 1-line block ×3, first 2 shown]
	v_add_f32_e32 v139, v15, v59
	v_add_f32_e32 v140, v14, v58
	v_add_f32_e32 v151, v11, v59
	v_add_f32_e32 v152, v10, v58
	v_add_f32_e32 v59, v3, v59
	v_add_f32_e32 v58, v2, v58
	v_add_f32_e32 v153, v35, v55
	v_add_f32_e32 v154, v34, v54
	v_min3_f32 v136, v156, v155, v136
	v_add_f32_e32 v155, v31, v55
	v_add_f32_e32 v156, v30, v54
	v_min3_f32 v134, v140, v139, v134
	v_min3_f32 v133, v152, v151, v133
	;; [unrolled: 1-line block ×4, first 2 shown]
	v_add_f32_e32 v130, v27, v55
	v_add_f32_e32 v131, v26, v54
	;; [unrolled: 1-line block ×6, first 2 shown]
	v_min3_f32 v129, v156, v155, v129
	v_add_f32_e32 v153, v15, v55
	v_add_f32_e32 v154, v14, v54
	;; [unrolled: 1-line block ×4, first 2 shown]
	v_min3_f32 v128, v131, v130, v128
	v_min3_f32 v127, v140, v139, v127
	;; [unrolled: 1-line block ×3, first 2 shown]
	v_add_f32_e32 v55, v3, v55
	v_add_f32_e32 v54, v2, v54
	;; [unrolled: 1-line block ×8, first 2 shown]
	v_min3_f32 v125, v154, v153, v125
	v_add_f32_e32 v153, v23, v51
	v_add_f32_e32 v154, v22, v50
	v_min3_f32 v54, v54, v55, v121
	v_min3_f32 v55, v131, v130, v122
	v_min3_f32 v120, v140, v139, v120
	v_min3_f32 v119, v152, v151, v119
	v_add_f32_e32 v121, v19, v51
	v_add_f32_e32 v122, v18, v50
	;; [unrolled: 1-line block ×10, first 2 shown]
	v_min3_f32 v117, v122, v121, v117
	v_min3_f32 v116, v131, v130, v116
	;; [unrolled: 1-line block ×3, first 2 shown]
	v_add_f32_e32 v114, v30, v46
	v_min3_f32 v51, v152, v151, v113
	v_add_f32_e32 v113, v31, v47
	v_add_f32_e32 v121, v27, v47
	;; [unrolled: 1-line block ×5, first 2 shown]
	v_min3_f32 v115, v140, v139, v115
	v_add_f32_e32 v139, v19, v47
	v_add_f32_e32 v140, v18, v46
	;; [unrolled: 1-line block ×4, first 2 shown]
	v_min3_f32 v112, v114, v113, v112
	v_min3_f32 v111, v122, v121, v111
	;; [unrolled: 1-line block ×3, first 2 shown]
	v_add_f32_e32 v113, v11, v47
	v_add_f32_e32 v114, v10, v46
	;; [unrolled: 1-line block ×8, first 2 shown]
	v_min3_f32 v109, v140, v139, v109
	v_add_f32_e32 v139, v27, v43
	v_add_f32_e32 v140, v26, v42
	v_min3_f32 v107, v114, v113, v107
	v_min3_f32 v46, v46, v47, v106
	;; [unrolled: 1-line block ×4, first 2 shown]
	v_add_f32_e32 v105, v23, v43
	v_add_f32_e32 v106, v22, v42
	;; [unrolled: 1-line block ×10, first 2 shown]
	v_min3_f32 v102, v106, v105, v102
	v_add_f32_e32 v105, v31, v39
	v_add_f32_e32 v106, v30, v38
	v_min3_f32 v101, v114, v113, v101
	v_min3_f32 v42, v42, v43, v98
	v_add_f32_e32 v43, v35, v39
	v_add_f32_e32 v98, v34, v38
	v_min3_f32 v100, v122, v121, v100
	v_min3_f32 v99, v131, v130, v99
	v_add_f32_e32 v113, v27, v39
	v_add_f32_e32 v114, v26, v38
	;; [unrolled: 1-line block ×6, first 2 shown]
	v_min3_f32 v43, v98, v43, v97
	v_min3_f32 v96, v106, v105, v96
	v_add_f32_e32 v97, v15, v39
	v_add_f32_e32 v98, v14, v38
	;; [unrolled: 1-line block ×20, first 2 shown]
	v_min3_f32 v30, v30, v31, v87
	v_min3_f32 v26, v26, v27, v86
	v_min3_f32 v22, v22, v23, v85
	v_min3_f32 v23, v18, v19, v84
	v_min3_f32 v27, v14, v15, v83
	v_min3_f32 v31, v10, v11, v82
	v_add_f32_e32 v3, v3, v7
	v_add_f32_e32 v2, v2, v6
	v_add_f32_e32 v6, v37, v65
	v_add_f32_e32 v7, v36, v64
	v_add_f32_e32 v10, v33, v65
	v_add_f32_e32 v11, v32, v64
	v_add_f32_e32 v14, v29, v65
	v_add_f32_e32 v15, v28, v64
	v_add_f32_e32 v18, v25, v65
	v_add_f32_e32 v19, v24, v64
	v_min3_f32 v34, v34, v35, v88
	v_min3_f32 v35, v2, v3, v92
	v_min3_f32 v82, v7, v6, v141
	v_min3_f32 v81, v11, v10, v81
	v_min3_f32 v79, v15, v14, v79
	v_min3_f32 v77, v19, v18, v77
	v_add_f32_e32 v2, v21, v65
	v_add_f32_e32 v3, v20, v64
	v_add_f32_e32 v6, v17, v65
	v_add_f32_e32 v7, v16, v64
	v_add_f32_e32 v10, v13, v65
	v_add_f32_e32 v11, v12, v64
	v_add_f32_e32 v14, v5, v65
	v_add_f32_e32 v15, v4, v64
	v_add_f32_e32 v18, v37, v61
	v_add_f32_e32 v19, v36, v60
	;; [unrolled: 16-line block ×4, first 2 shown]
	v_min3_f32 v124, v156, v155, v124
	v_min3_f32 v91, v98, v97, v91
	;; [unrolled: 1-line block ×8, first 2 shown]
	v_add_f32_e32 v2, v25, v57
	v_add_f32_e32 v3, v24, v56
	v_add_f32_e32 v6, v21, v57
	v_add_f32_e32 v7, v20, v56
	v_add_f32_e32 v10, v17, v57
	v_add_f32_e32 v11, v16, v56
	v_add_f32_e32 v14, v13, v57
	v_add_f32_e32 v15, v12, v56
	v_add_f32_e32 v18, v5, v57
	v_add_f32_e32 v19, v4, v56
	v_min3_f32 v118, v154, v153, v118
	v_min3_f32 v95, v114, v113, v95
	;; [unrolled: 1-line block ×8, first 2 shown]
	v_add_f32_e32 v2, v37, v53
	v_add_f32_e32 v3, v36, v52
	;; [unrolled: 1-line block ×10, first 2 shown]
	v_min3_f32 v125, v3, v2, v55
	v_min3_f32 v120, v7, v6, v120
	v_min3_f32 v119, v11, v10, v119
	v_min3_f32 v118, v15, v14, v118
	v_min3_f32 v117, v19, v18, v117
	v_add_f32_e32 v2, v17, v53
	v_add_f32_e32 v3, v16, v52
	v_add_f32_e32 v6, v13, v53
	v_add_f32_e32 v7, v12, v52
	v_add_f32_e32 v10, v5, v53
	v_add_f32_e32 v11, v4, v52
	v_add_f32_e32 v14, v37, v49
	v_add_f32_e32 v15, v36, v48
	v_add_f32_e32 v18, v33, v49
	v_add_f32_e32 v19, v32, v48
	v_min3_f32 v108, v152, v151, v108
	v_min3_f32 v116, v3, v2, v116
	v_min3_f32 v115, v7, v6, v115
	v_min3_f32 v126, v11, v10, v50
	v_min3_f32 v127, v15, v14, v51
	v_min3_f32 v112, v19, v18, v112
	v_add_f32_e32 v2, v29, v49
	v_add_f32_e32 v3, v28, v48
	v_add_f32_e32 v6, v25, v49
	v_add_f32_e32 v7, v24, v48
	v_add_f32_e32 v10, v21, v49
	v_add_f32_e32 v11, v20, v48
	v_add_f32_e32 v14, v17, v49
	v_add_f32_e32 v15, v16, v48
	v_add_f32_e32 v18, v13, v49
	v_add_f32_e32 v19, v12, v48
	v_min3_f32 v103, v140, v139, v103
	;; [unrolled: 16-line block ×3, first 2 shown]
	v_min3_f32 v129, v7, v6, v47
	v_min3_f32 v104, v11, v10, v104
	;; [unrolled: 1-line block ×4, first 2 shown]
	v_add_f32_e32 v2, v21, v45
	v_add_f32_e32 v3, v20, v44
	;; [unrolled: 1-line block ×10, first 2 shown]
	v_min3_f32 v93, v131, v130, v93
	v_min3_f32 v101, v3, v2, v101
	;; [unrolled: 1-line block ×6, first 2 shown]
	v_add_f32_e32 v2, v33, v41
	v_add_f32_e32 v3, v32, v40
	;; [unrolled: 1-line block ×10, first 2 shown]
	v_min3_f32 v96, v3, v2, v96
	v_min3_f32 v95, v7, v6, v95
	;; [unrolled: 1-line block ×5, first 2 shown]
	v_add_f32_e32 v2, v13, v41
	v_add_f32_e32 v3, v12, v40
	;; [unrolled: 1-line block ×10, first 2 shown]
	v_min3_f32 v90, v3, v2, v90
	v_min3_f32 v133, v7, v6, v38
	;; [unrolled: 1-line block ×5, first 2 shown]
	v_add_f32_e32 v6, v25, v9
	v_add_f32_e32 v7, v24, v8
	;; [unrolled: 1-line block ×8, first 2 shown]
	ds_read_b128 v[10:13], v123
	ds_read_b128 v[14:17], v73
	v_add_f32_e32 v9, v5, v9
	ds_read_b128 v[18:21], v123 offset:128
	v_add_f32_e32 v8, v4, v8
	ds_read_b128 v[2:5], v123 offset:256
	v_min3_f32 v137, v7, v6, v22
	v_min3_f32 v138, v25, v24, v23
	;; [unrolled: 1-line block ×5, first 2 shown]
	ds_read_b128 v[6:9], v123 offset:384
	ds_read_b128 v[22:25], v123 offset:512
	;; [unrolled: 1-line block ×12, first 2 shown]
	v_add_co_u32 v142, s6, v142, s18
	v_add_co_ci_u32_e64 v143, null, s19, v143, s6
	s_add_i32 s20, s20, 8
	s_cmp_ge_i32 s20, s28
	s_waitcnt lgkmcnt(14)
	v_add_f32_e32 v151, v11, v15
	v_add_f32_e32 v152, v10, v14
	s_waitcnt lgkmcnt(13)
	v_add_f32_e32 v153, v19, v15
	v_add_f32_e32 v154, v18, v14
	;; [unrolled: 3-line block ×3, first 2 shown]
	v_min3_f32 v82, v152, v151, v82
	s_waitcnt lgkmcnt(11)
	v_add_f32_e32 v151, v7, v15
	v_min3_f32 v81, v154, v153, v81
	v_add_f32_e32 v152, v6, v14
	v_min3_f32 v79, v156, v155, v79
	s_waitcnt lgkmcnt(10)
	v_add_f32_e32 v153, v23, v15
	v_add_f32_e32 v154, v22, v14
	s_waitcnt lgkmcnt(9)
	v_add_f32_e32 v155, v27, v15
	v_add_f32_e32 v156, v26, v14
	;; [unrolled: 3-line block ×4, first 2 shown]
	v_min3_f32 v77, v152, v151, v77
	v_min3_f32 v76, v154, v153, v76
	v_min3_f32 v78, v156, v155, v78
	v_min3_f32 v80, v158, v157, v80
	v_min3_f32 v14, v14, v15, v83
	s_waitcnt lgkmcnt(6)
	v_add_f32_e32 v15, v11, v39
	v_add_f32_e32 v83, v10, v38
	;; [unrolled: 1-line block ×10, first 2 shown]
	v_min3_f32 v15, v83, v15, v84
	v_min3_f32 v83, v152, v151, v85
	;; [unrolled: 1-line block ×5, first 2 shown]
	v_add_f32_e32 v87, v27, v39
	v_add_f32_e32 v88, v26, v38
	;; [unrolled: 1-line block ×6, first 2 shown]
	s_waitcnt lgkmcnt(5)
	v_add_f32_e32 v153, v11, v43
	v_add_f32_e32 v154, v10, v42
	;; [unrolled: 1-line block ×4, first 2 shown]
	v_min3_f32 v87, v88, v87, v89
	v_min3_f32 v88, v152, v151, v92
	;; [unrolled: 1-line block ×5, first 2 shown]
	v_add_f32_e32 v92, v3, v43
	v_add_f32_e32 v97, v2, v42
	;; [unrolled: 1-line block ×10, first 2 shown]
	v_min3_f32 v92, v97, v92, v106
	v_min3_f32 v97, v105, v98, v113
	;; [unrolled: 1-line block ×5, first 2 shown]
	v_add_f32_e32 v43, v35, v43
	v_add_f32_e32 v42, v34, v42
	s_waitcnt lgkmcnt(4)
	v_add_f32_e32 v113, v11, v47
	v_add_f32_e32 v114, v10, v46
	;; [unrolled: 1-line block ×8, first 2 shown]
	v_min3_f32 v42, v42, v43, v124
	v_min3_f32 v43, v114, v113, v125
	;; [unrolled: 1-line block ×4, first 2 shown]
	v_add_f32_e32 v119, v23, v47
	v_add_f32_e32 v120, v22, v46
	;; [unrolled: 1-line block ×8, first 2 shown]
	s_waitcnt lgkmcnt(3)
	v_add_f32_e32 v151, v11, v51
	v_add_f32_e32 v152, v10, v50
	v_min3_f32 v117, v120, v119, v117
	v_min3_f32 v116, v122, v121, v116
	;; [unrolled: 1-line block ×5, first 2 shown]
	v_add_f32_e32 v119, v19, v51
	v_add_f32_e32 v120, v18, v50
	;; [unrolled: 1-line block ×10, first 2 shown]
	v_min3_f32 v112, v120, v119, v112
	v_min3_f32 v111, v122, v121, v111
	;; [unrolled: 1-line block ×4, first 2 shown]
	v_add_f32_e32 v119, v31, v51
	v_add_f32_e32 v120, v30, v50
	;; [unrolled: 1-line block ×4, first 2 shown]
	s_waitcnt lgkmcnt(2)
	v_add_f32_e32 v121, v11, v55
	v_add_f32_e32 v122, v10, v54
	;; [unrolled: 1-line block ×6, first 2 shown]
	v_min3_f32 v107, v120, v119, v107
	v_min3_f32 v50, v50, v51, v128
	;; [unrolled: 1-line block ×5, first 2 shown]
	v_add_f32_e32 v119, v7, v55
	v_add_f32_e32 v120, v6, v54
	;; [unrolled: 1-line block ×10, first 2 shown]
	v_min3_f32 v102, v120, v119, v102
	v_min3_f32 v101, v122, v121, v101
	;; [unrolled: 1-line block ×3, first 2 shown]
	s_waitcnt lgkmcnt(1)
	v_add_f32_e32 v119, v10, v58
	v_min3_f32 v54, v54, v55, v130
	v_add_f32_e32 v55, v11, v59
	v_add_f32_e32 v120, v19, v59
	;; [unrolled: 1-line block ×5, first 2 shown]
	s_waitcnt lgkmcnt(0)
	v_add_f32_e32 v11, v11, v63
	v_add_f32_e32 v10, v10, v62
	v_add_f32_e32 v19, v19, v63
	v_add_f32_e32 v18, v18, v62
	v_min3_f32 v99, v127, v126, v99
	v_add_f32_e32 v125, v7, v59
	v_add_f32_e32 v126, v6, v58
	;; [unrolled: 1-line block ×4, first 2 shown]
	v_min3_f32 v55, v119, v55, v131
	v_min3_f32 v96, v121, v120, v96
	;; [unrolled: 1-line block ×3, first 2 shown]
	v_add_f32_e32 v119, v27, v59
	v_add_f32_e32 v120, v26, v58
	;; [unrolled: 1-line block ×6, first 2 shown]
	v_min3_f32 v10, v10, v11, v134
	v_min3_f32 v11, v18, v19, v135
	v_add_f32_e32 v3, v3, v63
	v_add_f32_e32 v2, v2, v62
	;; [unrolled: 1-line block ×10, first 2 shown]
	v_min3_f32 v58, v58, v59, v133
	v_min3_f32 v2, v2, v3, v136
	;; [unrolled: 1-line block ×6, first 2 shown]
	v_add_f32_e32 v19, v35, v63
	v_add_f32_e32 v22, v34, v62
	;; [unrolled: 1-line block ×10, first 2 shown]
	v_min3_f32 v19, v22, v19, v141
	v_min3_f32 v141, v26, v23, v82
	;; [unrolled: 1-line block ×5, first 2 shown]
	v_add_f32_e32 v22, v25, v17
	v_add_f32_e32 v23, v24, v16
	;; [unrolled: 1-line block ×10, first 2 shown]
	v_min3_f32 v76, v23, v22, v76
	v_min3_f32 v78, v27, v26, v78
	;; [unrolled: 1-line block ×3, first 2 shown]
	v_add_f32_e32 v14, v21, v41
	v_min3_f32 v139, v35, v34, v15
	v_add_f32_e32 v15, v20, v40
	v_add_f32_e32 v16, v5, v41
	;; [unrolled: 1-line block ×3, first 2 shown]
	v_min3_f32 v80, v31, v30, v80
	v_add_f32_e32 v22, v9, v41
	v_min3_f32 v138, v15, v14, v83
	v_add_f32_e32 v14, v33, v41
	v_add_f32_e32 v15, v32, v40
	;; [unrolled: 1-line block ×7, first 2 shown]
	v_min3_f32 v137, v17, v16, v84
	v_add_f32_e32 v16, v37, v41
	v_add_f32_e32 v17, v36, v40
	v_min3_f32 v133, v15, v14, v88
	v_add_f32_e32 v14, v9, v45
	v_add_f32_e32 v15, v8, v44
	v_min3_f32 v93, v128, v127, v93
	v_min3_f32 v136, v23, v22, v85
	v_min3_f32 v135, v27, v26, v86
	v_min3_f32 v134, v31, v30, v87
	v_add_f32_e32 v22, v13, v45
	v_add_f32_e32 v23, v12, v44
	v_add_f32_e32 v26, v21, v45
	v_add_f32_e32 v27, v20, v44
	v_add_f32_e32 v30, v5, v45
	v_add_f32_e32 v31, v4, v44
	v_min3_f32 v131, v17, v16, v38
	v_add_f32_e32 v16, v25, v45
	v_add_f32_e32 v17, v24, v44
	v_min3_f32 v127, v15, v14, v97
	v_add_f32_e32 v14, v13, v49
	v_add_f32_e32 v15, v12, v48
	v_min3_f32 v94, v126, v125, v94
	v_min3_f32 v90, v122, v121, v90
	v_min3_f32 v130, v23, v22, v39
	v_min3_f32 v129, v27, v26, v89
	v_min3_f32 v128, v31, v30, v92
	v_add_f32_e32 v22, v29, v45
	v_add_f32_e32 v23, v28, v44
	v_add_f32_e32 v26, v33, v45
	v_add_f32_e32 v27, v32, v44
	v_add_f32_e32 v30, v37, v45
	v_add_f32_e32 v31, v36, v44
	v_min3_f32 v126, v17, v16, v98
	v_add_f32_e32 v16, v21, v49
	v_add_f32_e32 v17, v20, v48
	v_min3_f32 v122, v15, v14, v43
	v_add_f32_e32 v14, v29, v49
	v_add_f32_e32 v15, v28, v48
	v_min3_f32 v118, v154, v153, v118
	;; [unrolled: 17-line block ×3, first 2 shown]
	v_min3_f32 v118, v27, v26, v118
	v_min3_f32 v117, v31, v30, v117
	v_add_f32_e32 v22, v37, v49
	v_add_f32_e32 v23, v36, v48
	;; [unrolled: 1-line block ×6, first 2 shown]
	v_min3_f32 v115, v17, v16, v115
	v_add_f32_e32 v16, v9, v53
	v_add_f32_e32 v17, v8, v52
	v_min3_f32 v111, v15, v14, v111
	v_add_f32_e32 v14, v37, v53
	v_add_f32_e32 v15, v36, v52
	v_min3_f32 v108, v152, v151, v108
	v_min3_f32 v114, v23, v22, v46
	;; [unrolled: 1-line block ×4, first 2 shown]
	v_add_f32_e32 v22, v25, v53
	v_add_f32_e32 v23, v24, v52
	;; [unrolled: 1-line block ×6, first 2 shown]
	v_min3_f32 v110, v17, v16, v110
	v_add_f32_e32 v16, v13, v57
	v_add_f32_e32 v17, v12, v56
	v_min3_f32 v106, v15, v14, v50
	v_add_f32_e32 v14, v25, v57
	v_add_f32_e32 v15, v24, v56
	v_min3_f32 v109, v23, v22, v109
	v_min3_f32 v108, v27, v26, v108
	;; [unrolled: 1-line block ×3, first 2 shown]
	v_add_f32_e32 v22, v21, v57
	v_add_f32_e32 v23, v20, v56
	;; [unrolled: 1-line block ×6, first 2 shown]
	v_min3_f32 v105, v17, v16, v51
	v_add_f32_e32 v16, v29, v57
	v_add_f32_e32 v17, v28, v56
	v_min3_f32 v101, v15, v14, v101
	v_add_f32_e32 v14, v21, v61
	v_add_f32_e32 v15, v20, v60
	v_min3_f32 v104, v23, v22, v104
	v_min3_f32 v103, v27, v26, v103
	;; [unrolled: 1-line block ×3, first 2 shown]
	v_add_f32_e32 v22, v33, v57
	v_add_f32_e32 v23, v32, v56
	;; [unrolled: 1-line block ×6, first 2 shown]
	v_min3_f32 v100, v17, v16, v100
	v_add_f32_e32 v16, v5, v61
	v_add_f32_e32 v17, v4, v60
	v_min3_f32 v96, v15, v14, v96
	v_add_f32_e32 v14, v33, v61
	v_add_f32_e32 v15, v32, v60
	;; [unrolled: 1-line block ×8, first 2 shown]
	v_min3_f32 v99, v23, v22, v99
	v_min3_f32 v98, v27, v26, v54
	;; [unrolled: 1-line block ×3, first 2 shown]
	v_add_f32_e32 v22, v9, v61
	v_add_f32_e32 v23, v8, v60
	;; [unrolled: 1-line block ×6, first 2 shown]
	v_min3_f32 v95, v17, v16, v95
	v_add_f32_e32 v16, v37, v61
	v_add_f32_e32 v17, v36, v60
	v_min3_f32 v90, v15, v14, v90
	v_min3_f32 v88, v12, v13, v10
	;; [unrolled: 1-line block ×4, first 2 shown]
	v_add_f32_e32 v2, v9, v65
	v_add_f32_e32 v4, v8, v64
	v_add_f32_e32 v5, v25, v65
	v_add_f32_e32 v8, v24, v64
	v_add_f32_e32 v9, v29, v65
	v_add_f32_e32 v10, v28, v64
	v_add_f32_e32 v11, v33, v65
	v_add_f32_e32 v12, v32, v64
	v_add_f32_e32 v13, v37, v65
	v_add_f32_e32 v14, v36, v64
	v_min3_f32 v94, v23, v22, v94
	v_min3_f32 v93, v27, v26, v93
	;; [unrolled: 1-line block ×5, first 2 shown]
	v_add_nc_u32_e32 v2, 0x2400, v75
	v_min3_f32 v84, v8, v5, v6
	v_min3_f32 v83, v10, v9, v7
	;; [unrolled: 1-line block ×4, first 2 shown]
	ds_write_b32 v2, v146
	ds_write2st64_b32 v132, v147, v148 offset1:4
	ds_write2st64_b32 v132, v149, v150 offset0:8 offset1:12
	s_waitcnt lgkmcnt(0)
	s_barrier
	buffer_gl0_inv
	s_cbranch_scc1 .LBB20_59
.LBB20_35:                              ; =>This Inner Loop Header: Depth=1
	v_add_nc_u32_e32 v146, s20, v72
                                        ; implicit-def: $vgpr147
	v_add_nc_u32_e32 v2, 8, v146
	v_cmp_le_i32_e64 s6, s14, v2
	s_or_b32 s21, vcc_lo, s6
	s_nor_b32 s7, s26, s21
	s_and_saveexec_b32 s30, s7
	s_xor_b32 s30, exec_lo, s30
	s_cbranch_execz .LBB20_37
; %bb.36:                               ;   in Loop: Header=BB20_35 Depth=1
	v_add_co_u32 v3, s7, v142, v70
	v_add_co_ci_u32_e64 v4, null, v143, v71, s7
	flat_load_dword v3, v[3:4]
	s_waitcnt vmcnt(0) lgkmcnt(0)
	v_mul_f32_e32 v147, s15, v3
.LBB20_37:                              ;   in Loop: Header=BB20_35 Depth=1
	s_andn2_saveexec_b32 s7, s30
; %bb.38:                               ;   in Loop: Header=BB20_35 Depth=1
	v_cndmask_b32_e64 v147, 0, 0x7f7fffff, s21
; %bb.39:                               ;   in Loop: Header=BB20_35 Depth=1
	s_or_b32 exec_lo, exec_lo, s7
	v_min_i32_e32 v2, s29, v2
	v_mad_i64_i32 v[2:3], null, v2, s27, 0
	v_lshlrev_b64 v[2:3], 2, v[2:3]
	v_add_co_u32 v2, s7, s8, v2
	v_add_co_ci_u32_e64 v3, null, s9, v3, s7
	s_or_b32 s7, s0, s6
	v_cndmask_b32_e64 v148, 0, 0x7f7fffff, s7
	s_nor_b32 s7, s26, s7
	s_and_saveexec_b32 s21, s7
	s_cbranch_execz .LBB20_41
; %bb.40:                               ;   in Loop: Header=BB20_35 Depth=1
	v_add_co_u32 v4, s7, v2, v68
	v_add_co_ci_u32_e64 v5, null, v3, v69, s7
	flat_load_dword v4, v[4:5]
	s_waitcnt vmcnt(0) lgkmcnt(0)
	v_mul_f32_e32 v148, s15, v4
.LBB20_41:                              ;   in Loop: Header=BB20_35 Depth=1
	s_or_b32 exec_lo, exec_lo, s21
	s_or_b32 s7, s1, s6
	v_cndmask_b32_e64 v149, 0, 0x7f7fffff, s7
	s_nor_b32 s7, s26, s7
	s_and_saveexec_b32 s21, s7
	s_cbranch_execz .LBB20_43
; %bb.42:                               ;   in Loop: Header=BB20_35 Depth=1
	v_add_co_u32 v4, s7, v2, v68
	v_add_co_ci_u32_e64 v5, null, v3, v69, s7
	flat_load_dword v4, v[4:5] offset:256
	s_waitcnt vmcnt(0) lgkmcnt(0)
	v_mul_f32_e32 v149, s15, v4
.LBB20_43:                              ;   in Loop: Header=BB20_35 Depth=1
	s_or_b32 exec_lo, exec_lo, s21
	s_or_b32 s7, s2, s6
	v_cndmask_b32_e64 v150, 0, 0x7f7fffff, s7
	s_nor_b32 s7, s26, s7
	s_and_saveexec_b32 s21, s7
	s_cbranch_execz .LBB20_45
; %bb.44:                               ;   in Loop: Header=BB20_35 Depth=1
	v_add_co_u32 v4, s7, v2, v68
	v_add_co_ci_u32_e64 v5, null, v3, v69, s7
	flat_load_dword v4, v[4:5] offset:512
	s_waitcnt vmcnt(0) lgkmcnt(0)
	v_mul_f32_e32 v150, s15, v4
.LBB20_45:                              ;   in Loop: Header=BB20_35 Depth=1
	;; [unrolled: 13-line block ×3, first 2 shown]
	s_or_b32 exec_lo, exec_lo, s7
	ds_read_b128 v[34:37], v144
	ds_read_b128 v[30:33], v144 offset:128
	ds_read_b128 v[26:29], v144 offset:256
	;; [unrolled: 1-line block ×7, first 2 shown]
	ds_read_b128 v[62:65], v145
	ds_read_b128 v[58:61], v145 offset:512
	ds_read_b128 v[54:57], v145 offset:1024
	;; [unrolled: 1-line block ×7, first 2 shown]
	v_add_nc_u32_e32 v151, 12, v146
	v_or_b32_e32 v146, 0x2000, v75
	ds_write_b32 v146, v147
	ds_write2st64_b32 v75, v148, v149 offset1:4
	ds_write2st64_b32 v75, v150, v152 offset0:8 offset1:12
	v_cmp_le_i32_e64 s6, s14, v151
	s_waitcnt lgkmcnt(0)
	s_barrier
	buffer_gl0_inv
                                        ; implicit-def: $vgpr146
	s_or_b32 s21, vcc_lo, s6
	s_nor_b32 s7, s26, s21
	s_and_saveexec_b32 s30, s7
	s_xor_b32 s30, exec_lo, s30
	s_cbranch_execz .LBB20_49
; %bb.48:                               ;   in Loop: Header=BB20_35 Depth=1
	v_add_co_u32 v146, s7, v142, v66
	v_add_co_ci_u32_e64 v147, null, v143, v67, s7
	flat_load_dword v146, v[146:147]
	s_waitcnt vmcnt(0) lgkmcnt(0)
	v_mul_f32_e32 v146, s15, v146
.LBB20_49:                              ;   in Loop: Header=BB20_35 Depth=1
	s_andn2_saveexec_b32 s7, s30
; %bb.50:                               ;   in Loop: Header=BB20_35 Depth=1
	v_cndmask_b32_e64 v146, 0, 0x7f7fffff, s21
; %bb.51:                               ;   in Loop: Header=BB20_35 Depth=1
	s_or_b32 exec_lo, exec_lo, s7
	v_min_i32_e32 v147, s29, v151
	v_mad_i64_i32 v[147:148], null, v147, s27, 0
	v_lshlrev_b64 v[147:148], 2, v[147:148]
	v_add_co_u32 v151, s7, s8, v147
	v_add_co_ci_u32_e64 v152, null, s9, v148, s7
	s_or_b32 s7, s0, s6
	v_cndmask_b32_e64 v147, 0, 0x7f7fffff, s7
	s_nor_b32 s7, s26, s7
	s_and_saveexec_b32 s21, s7
	s_cbranch_execz .LBB20_53
; %bb.52:                               ;   in Loop: Header=BB20_35 Depth=1
	v_add_co_u32 v147, s7, v151, v68
	v_add_co_ci_u32_e64 v148, null, v152, v69, s7
	flat_load_dword v147, v[147:148]
	s_waitcnt vmcnt(0) lgkmcnt(0)
	v_mul_f32_e32 v147, s15, v147
.LBB20_53:                              ;   in Loop: Header=BB20_35 Depth=1
	s_or_b32 exec_lo, exec_lo, s21
	s_or_b32 s7, s1, s6
	v_cndmask_b32_e64 v148, 0, 0x7f7fffff, s7
	s_nor_b32 s7, s26, s7
	s_and_saveexec_b32 s21, s7
	s_cbranch_execz .LBB20_55
; %bb.54:                               ;   in Loop: Header=BB20_35 Depth=1
	v_add_co_u32 v148, s7, v151, v68
	v_add_co_ci_u32_e64 v149, null, v152, v69, s7
	flat_load_dword v148, v[148:149] offset:256
	s_waitcnt vmcnt(0) lgkmcnt(0)
	v_mul_f32_e32 v148, s15, v148
.LBB20_55:                              ;   in Loop: Header=BB20_35 Depth=1
	s_or_b32 exec_lo, exec_lo, s21
	s_or_b32 s7, s2, s6
	v_cndmask_b32_e64 v149, 0, 0x7f7fffff, s7
	s_nor_b32 s7, s26, s7
	s_and_saveexec_b32 s21, s7
	s_cbranch_execz .LBB20_57
; %bb.56:                               ;   in Loop: Header=BB20_35 Depth=1
	v_add_co_u32 v149, s7, v151, v68
	v_add_co_ci_u32_e64 v150, null, v152, v69, s7
	flat_load_dword v149, v[149:150] offset:512
	s_waitcnt vmcnt(0) lgkmcnt(0)
	v_mul_f32_e32 v149, s15, v149
.LBB20_57:                              ;   in Loop: Header=BB20_35 Depth=1
	s_or_b32 exec_lo, exec_lo, s21
	s_or_b32 s6, s3, s6
	v_cndmask_b32_e64 v150, 0, 0x7f7fffff, s6
	s_nor_b32 s6, s26, s6
	s_and_saveexec_b32 s7, s6
	s_cbranch_execz .LBB20_34
; %bb.58:                               ;   in Loop: Header=BB20_35 Depth=1
	v_add_co_u32 v150, s6, v151, v68
	v_add_co_ci_u32_e64 v151, null, v152, v69, s6
	flat_load_dword v150, v[150:151] offset:768
	s_waitcnt vmcnt(0) lgkmcnt(0)
	v_mul_f32_e32 v150, s15, v150
	s_branch .LBB20_34
.LBB20_59:
	s_clause 0x2
	s_load_dword s14, s[4:5], 0x50
	s_load_dword s9, s[4:5], 0x68
	s_load_dwordx2 s[0:1], s[4:5], 0x70
	v_add_nc_u32_e32 v132, s23, v1
	ds_read_b128 v[34:37], v74 offset:9216
	ds_read_b128 v[30:33], v74 offset:9344
	;; [unrolled: 1-line block ×16, first 2 shown]
	v_add_nc_u32_e32 v0, s22, v0
	v_cmp_gt_i32_e64 s8, s13, v132
	v_cndmask_b32_e64 v123, 0, 1, s25
	v_ashrrev_i32_e32 v1, 31, v0
	s_waitcnt lgkmcnt(0)
	v_mad_i64_i32 v[66:67], null, v132, s14, 0
	v_mad_i64_i32 v[68:69], null, v132, s9, 0
	s_lshl_b64 s[0:1], s[0:1], 2
	s_add_u32 s15, s16, s0
	s_addc_u32 s16, s17, s1
	v_lshlrev_b64 v[66:67], 2, v[66:67]
	v_cmp_gt_i32_e64 s0, s12, v0
	v_lshlrev_b64 v[68:69], 2, v[68:69]
	s_and_b32 s2, s0, s8
	v_add_co_u32 v144, vcc_lo, s10, v66
	v_add_co_ci_u32_e64 v145, null, s11, v67, vcc_lo
	v_add_co_u32 v142, vcc_lo, s15, v68
	v_add_co_ci_u32_e64 v143, null, s16, v69, vcc_lo
	s_and_saveexec_b32 s1, s2
	s_cbranch_execz .LBB20_64
; %bb.60:
	v_lshlrev_b64 v[66:67], 2, v[0:1]
	s_andn2_b32 vcc_lo, exec_lo, s25
	s_cbranch_vccnz .LBB20_62
; %bb.61:
	v_add_co_u32 v68, vcc_lo, v144, v66
	v_add_co_ci_u32_e64 v69, null, v145, v67, vcc_lo
	flat_load_dword v68, v[68:69]
	s_waitcnt vmcnt(0) lgkmcnt(0)
	v_mul_f32_e32 v68, s24, v68
	s_branch .LBB20_63
.LBB20_62:
	v_mov_b32_e32 v68, 0
.LBB20_63:
	v_add_f32_e32 v69, v35, v63
	v_add_f32_e32 v70, v34, v62
	;; [unrolled: 1-line block ×4, first 2 shown]
	v_add_co_u32 v66, vcc_lo, v142, v66
	v_min3_f32 v69, v70, v69, v141
	v_add_co_ci_u32_e64 v67, null, v143, v67, vcc_lo
	v_min_f32_e32 v70, v72, v71
	v_min3_f32 v68, v68, v70, v69
	flat_store_dword v[66:67], v68
.LBB20_64:
	s_or_b32 exec_lo, exec_lo, s1
	v_add_nc_u32_e32 v66, 8, v0
	v_cmp_gt_i32_e64 s1, s12, v66
	v_ashrrev_i32_e32 v67, 31, v66
	s_and_b32 s3, s1, s8
	s_and_saveexec_b32 s2, s3
	s_cbranch_execz .LBB20_69
; %bb.65:
	v_cmp_ne_u32_e32 vcc_lo, 1, v123
	v_lshlrev_b64 v[68:69], 2, v[66:67]
	s_cbranch_vccnz .LBB20_67
; %bb.66:
	v_add_co_u32 v70, vcc_lo, v144, v68
	v_add_co_ci_u32_e64 v71, null, v145, v69, vcc_lo
	flat_load_dword v70, v[70:71]
	s_waitcnt vmcnt(0) lgkmcnt(0)
	v_mul_f32_e32 v70, s24, v70
	s_branch .LBB20_68
.LBB20_67:
	v_mov_b32_e32 v70, 0
.LBB20_68:
	v_add_f32_e32 v71, v31, v63
	v_add_f32_e32 v72, v30, v62
	v_add_f32_e32 v73, v33, v65
	v_add_f32_e32 v74, v32, v64
	v_add_co_u32 v68, vcc_lo, v142, v68
	v_min3_f32 v71, v72, v71, v81
	v_add_co_ci_u32_e64 v69, null, v143, v69, vcc_lo
	v_min_f32_e32 v72, v74, v73
	v_min3_f32 v70, v70, v72, v71
	flat_store_dword v[68:69], v70
.LBB20_69:
	s_or_b32 exec_lo, exec_lo, s2
	v_add_nc_u32_e32 v68, 16, v0
	v_cmp_gt_i32_e64 s2, s12, v68
	v_ashrrev_i32_e32 v69, 31, v68
	s_and_b32 s4, s2, s8
	s_and_saveexec_b32 s3, s4
	s_cbranch_execz .LBB20_74
; %bb.70:
	v_cmp_ne_u32_e32 vcc_lo, 1, v123
	v_lshlrev_b64 v[70:71], 2, v[68:69]
	s_cbranch_vccnz .LBB20_72
; %bb.71:
	v_add_co_u32 v72, vcc_lo, v144, v70
	v_add_co_ci_u32_e64 v73, null, v145, v71, vcc_lo
	flat_load_dword v72, v[72:73]
	s_waitcnt vmcnt(0) lgkmcnt(0)
	v_mul_f32_e32 v72, s24, v72
	s_branch .LBB20_73
.LBB20_72:
	v_mov_b32_e32 v72, 0
.LBB20_73:
	v_add_f32_e32 v73, v27, v63
	v_add_f32_e32 v74, v26, v62
	v_add_f32_e32 v75, v29, v65
	v_add_f32_e32 v81, v28, v64
	v_add_co_u32 v70, vcc_lo, v142, v70
	v_min3_f32 v73, v74, v73, v79
	v_add_co_ci_u32_e64 v71, null, v143, v71, vcc_lo
	v_min_f32_e32 v74, v81, v75
	v_min3_f32 v72, v72, v74, v73
	flat_store_dword v[70:71], v72
.LBB20_74:
	;; [unrolled: 32-line block ×6, first 2 shown]
	s_or_b32 exec_lo, exec_lo, s7
	v_add_nc_u32_e32 v78, 56, v0
	v_cmp_gt_i32_e64 s7, s12, v78
	v_ashrrev_i32_e32 v79, 31, v78
	s_and_b32 s12, s7, s8
	s_and_saveexec_b32 s8, s12
	s_cbranch_execz .LBB20_99
; %bb.95:
	v_cmp_ne_u32_e32 vcc_lo, 1, v123
	v_lshlrev_b64 v[80:81], 2, v[78:79]
	s_cbranch_vccnz .LBB20_97
; %bb.96:
	v_add_co_u32 v144, vcc_lo, v144, v80
	v_add_co_ci_u32_e64 v145, null, v145, v81, vcc_lo
	flat_load_dword v141, v[144:145]
	s_waitcnt vmcnt(0) lgkmcnt(0)
	v_mul_f32_e32 v141, s24, v141
	s_branch .LBB20_98
.LBB20_97:
	v_mov_b32_e32 v141, 0
.LBB20_98:
	v_add_f32_e32 v63, v3, v63
	v_add_f32_e32 v62, v2, v62
	;; [unrolled: 1-line block ×4, first 2 shown]
	v_min3_f32 v62, v62, v63, v140
	v_min_f32_e32 v63, v64, v65
	v_min3_f32 v64, v141, v63, v62
	v_add_co_u32 v62, vcc_lo, v142, v80
	v_add_co_ci_u32_e64 v63, null, v143, v81, vcc_lo
	flat_store_dword v[62:63], v64
.LBB20_99:
	s_or_b32 exec_lo, exec_lo, s8
	v_add_nc_u32_e32 v80, 32, v132
	v_mad_i64_i32 v[62:63], null, v80, s14, 0
	v_mad_i64_i32 v[64:65], null, v80, s9, 0
	v_cmp_gt_i32_e64 s8, s13, v80
	v_lshlrev_b64 v[62:63], 2, v[62:63]
	s_and_b32 s17, s0, s8
	v_lshlrev_b64 v[64:65], 2, v[64:65]
	v_add_co_u32 v80, vcc_lo, s10, v62
	v_add_co_ci_u32_e64 v81, null, s11, v63, vcc_lo
	v_add_co_u32 v64, vcc_lo, s15, v64
	v_add_co_ci_u32_e64 v65, null, s16, v65, vcc_lo
	s_and_saveexec_b32 s12, s17
	s_cbranch_execnz .LBB20_107
; %bb.100:
	s_or_b32 exec_lo, exec_lo, s12
	s_and_b32 s17, s1, s8
	s_and_saveexec_b32 s12, s17
	s_cbranch_execnz .LBB20_111
.LBB20_101:
	s_or_b32 exec_lo, exec_lo, s12
	s_and_b32 s17, s2, s8
	s_and_saveexec_b32 s12, s17
	s_cbranch_execnz .LBB20_115
.LBB20_102:
	s_or_b32 exec_lo, exec_lo, s12
	s_and_b32 s17, s3, s8
	s_and_saveexec_b32 s12, s17
	s_cbranch_execnz .LBB20_119
.LBB20_103:
	s_or_b32 exec_lo, exec_lo, s12
	s_and_b32 s17, s4, s8
	s_and_saveexec_b32 s12, s17
	s_cbranch_execnz .LBB20_123
.LBB20_104:
	s_or_b32 exec_lo, exec_lo, s12
	s_and_b32 s17, s5, s8
	s_and_saveexec_b32 s12, s17
	s_cbranch_execnz .LBB20_127
.LBB20_105:
	s_or_b32 exec_lo, exec_lo, s12
	s_and_b32 s17, s6, s8
	s_and_saveexec_b32 s12, s17
	s_cbranch_execnz .LBB20_131
.LBB20_106:
	s_or_b32 exec_lo, exec_lo, s12
	s_and_b32 s12, s7, s8
	s_and_saveexec_b32 s8, s12
	s_cbranch_execnz .LBB20_135
	s_branch .LBB20_139
.LBB20_107:
	v_cmp_ne_u32_e32 vcc_lo, 1, v123
	v_lshlrev_b64 v[62:63], 2, v[0:1]
	s_cbranch_vccnz .LBB20_109
; %bb.108:
	v_add_co_u32 v140, vcc_lo, v80, v62
	v_add_co_ci_u32_e64 v141, null, v81, v63, vcc_lo
	flat_load_dword v140, v[140:141]
	s_waitcnt vmcnt(0) lgkmcnt(0)
	v_mul_f32_e32 v140, s24, v140
	s_branch .LBB20_110
.LBB20_109:
	v_mov_b32_e32 v140, 0
.LBB20_110:
	v_add_f32_e32 v141, v35, v59
	v_add_f32_e32 v142, v34, v58
	;; [unrolled: 1-line block ×4, first 2 shown]
	v_add_co_u32 v62, vcc_lo, v64, v62
	v_min3_f32 v139, v142, v141, v139
	v_add_co_ci_u32_e64 v63, null, v65, v63, vcc_lo
	v_min_f32_e32 v141, v144, v143
	v_min3_f32 v139, v140, v141, v139
	flat_store_dword v[62:63], v139
	s_or_b32 exec_lo, exec_lo, s12
	s_and_b32 s17, s1, s8
	s_and_saveexec_b32 s12, s17
	s_cbranch_execz .LBB20_101
.LBB20_111:
	v_cmp_ne_u32_e32 vcc_lo, 1, v123
	v_lshlrev_b64 v[62:63], 2, v[66:67]
	s_cbranch_vccnz .LBB20_113
; %bb.112:
	v_add_co_u32 v139, vcc_lo, v80, v62
	v_add_co_ci_u32_e64 v140, null, v81, v63, vcc_lo
	flat_load_dword v139, v[139:140]
	s_waitcnt vmcnt(0) lgkmcnt(0)
	v_mul_f32_e32 v139, s24, v139
	s_branch .LBB20_114
.LBB20_113:
	v_mov_b32_e32 v139, 0
.LBB20_114:
	v_add_f32_e32 v140, v31, v59
	v_add_f32_e32 v141, v30, v58
	;; [unrolled: 1-line block ×4, first 2 shown]
	v_add_co_u32 v62, vcc_lo, v64, v62
	v_min3_f32 v138, v141, v140, v138
	v_add_co_ci_u32_e64 v63, null, v65, v63, vcc_lo
	v_min_f32_e32 v140, v143, v142
	v_min3_f32 v138, v139, v140, v138
	flat_store_dword v[62:63], v138
	s_or_b32 exec_lo, exec_lo, s12
	s_and_b32 s17, s2, s8
	s_and_saveexec_b32 s12, s17
	s_cbranch_execz .LBB20_102
.LBB20_115:
	v_cmp_ne_u32_e32 vcc_lo, 1, v123
	v_lshlrev_b64 v[62:63], 2, v[68:69]
	s_cbranch_vccnz .LBB20_117
; %bb.116:
	v_add_co_u32 v138, vcc_lo, v80, v62
	v_add_co_ci_u32_e64 v139, null, v81, v63, vcc_lo
	flat_load_dword v138, v[138:139]
	s_waitcnt vmcnt(0) lgkmcnt(0)
	v_mul_f32_e32 v138, s24, v138
	s_branch .LBB20_118
.LBB20_117:
	v_mov_b32_e32 v138, 0
.LBB20_118:
	v_add_f32_e32 v139, v27, v59
	v_add_f32_e32 v140, v26, v58
	;; [unrolled: 1-line block ×4, first 2 shown]
	v_add_co_u32 v62, vcc_lo, v64, v62
	v_min3_f32 v137, v140, v139, v137
	v_add_co_ci_u32_e64 v63, null, v65, v63, vcc_lo
	v_min_f32_e32 v139, v142, v141
	v_min3_f32 v137, v138, v139, v137
	flat_store_dword v[62:63], v137
	s_or_b32 exec_lo, exec_lo, s12
	s_and_b32 s17, s3, s8
	s_and_saveexec_b32 s12, s17
	s_cbranch_execz .LBB20_103
.LBB20_119:
	v_cmp_ne_u32_e32 vcc_lo, 1, v123
	v_lshlrev_b64 v[62:63], 2, v[70:71]
	s_cbranch_vccnz .LBB20_121
; %bb.120:
	v_add_co_u32 v137, vcc_lo, v80, v62
	v_add_co_ci_u32_e64 v138, null, v81, v63, vcc_lo
	flat_load_dword v137, v[137:138]
	s_waitcnt vmcnt(0) lgkmcnt(0)
	v_mul_f32_e32 v137, s24, v137
	s_branch .LBB20_122
.LBB20_121:
	v_mov_b32_e32 v137, 0
.LBB20_122:
	v_add_f32_e32 v138, v23, v59
	v_add_f32_e32 v139, v22, v58
	v_add_f32_e32 v140, v25, v61
	v_add_f32_e32 v141, v24, v60
	v_add_co_u32 v62, vcc_lo, v64, v62
	v_min3_f32 v136, v139, v138, v136
	v_add_co_ci_u32_e64 v63, null, v65, v63, vcc_lo
	v_min_f32_e32 v138, v141, v140
	v_min3_f32 v136, v137, v138, v136
	flat_store_dword v[62:63], v136
	s_or_b32 exec_lo, exec_lo, s12
	s_and_b32 s17, s4, s8
	s_and_saveexec_b32 s12, s17
	s_cbranch_execz .LBB20_104
.LBB20_123:
	v_cmp_ne_u32_e32 vcc_lo, 1, v123
	v_lshlrev_b64 v[62:63], 2, v[72:73]
	s_cbranch_vccnz .LBB20_125
; %bb.124:
	v_add_co_u32 v136, vcc_lo, v80, v62
	v_add_co_ci_u32_e64 v137, null, v81, v63, vcc_lo
	flat_load_dword v136, v[136:137]
	s_waitcnt vmcnt(0) lgkmcnt(0)
	v_mul_f32_e32 v136, s24, v136
	s_branch .LBB20_126
.LBB20_125:
	v_mov_b32_e32 v136, 0
.LBB20_126:
	v_add_f32_e32 v137, v19, v59
	v_add_f32_e32 v138, v18, v58
	;; [unrolled: 1-line block ×4, first 2 shown]
	v_add_co_u32 v62, vcc_lo, v64, v62
	v_min3_f32 v135, v138, v137, v135
	v_add_co_ci_u32_e64 v63, null, v65, v63, vcc_lo
	v_min_f32_e32 v137, v140, v139
	v_min3_f32 v135, v136, v137, v135
	flat_store_dword v[62:63], v135
	s_or_b32 exec_lo, exec_lo, s12
	s_and_b32 s17, s5, s8
	s_and_saveexec_b32 s12, s17
	s_cbranch_execz .LBB20_105
.LBB20_127:
	v_cmp_ne_u32_e32 vcc_lo, 1, v123
	v_lshlrev_b64 v[62:63], 2, v[74:75]
	s_cbranch_vccnz .LBB20_129
; %bb.128:
	v_add_co_u32 v135, vcc_lo, v80, v62
	v_add_co_ci_u32_e64 v136, null, v81, v63, vcc_lo
	flat_load_dword v135, v[135:136]
	s_waitcnt vmcnt(0) lgkmcnt(0)
	v_mul_f32_e32 v135, s24, v135
	s_branch .LBB20_130
.LBB20_129:
	v_mov_b32_e32 v135, 0
.LBB20_130:
	v_add_f32_e32 v136, v15, v59
	v_add_f32_e32 v137, v14, v58
	;; [unrolled: 1-line block ×4, first 2 shown]
	v_add_co_u32 v62, vcc_lo, v64, v62
	v_min3_f32 v134, v137, v136, v134
	v_add_co_ci_u32_e64 v63, null, v65, v63, vcc_lo
	v_min_f32_e32 v136, v139, v138
	v_min3_f32 v134, v135, v136, v134
	flat_store_dword v[62:63], v134
	s_or_b32 exec_lo, exec_lo, s12
	s_and_b32 s17, s6, s8
	s_and_saveexec_b32 s12, s17
	s_cbranch_execz .LBB20_106
.LBB20_131:
	v_cmp_ne_u32_e32 vcc_lo, 1, v123
	v_lshlrev_b64 v[62:63], 2, v[76:77]
	s_cbranch_vccnz .LBB20_133
; %bb.132:
	v_add_co_u32 v134, vcc_lo, v80, v62
	v_add_co_ci_u32_e64 v135, null, v81, v63, vcc_lo
	flat_load_dword v134, v[134:135]
	s_waitcnt vmcnt(0) lgkmcnt(0)
	v_mul_f32_e32 v134, s24, v134
	s_branch .LBB20_134
.LBB20_133:
	v_mov_b32_e32 v134, 0
.LBB20_134:
	v_add_f32_e32 v135, v11, v59
	v_add_f32_e32 v136, v10, v58
	;; [unrolled: 1-line block ×4, first 2 shown]
	v_add_co_u32 v62, vcc_lo, v64, v62
	v_min3_f32 v133, v136, v135, v133
	v_add_co_ci_u32_e64 v63, null, v65, v63, vcc_lo
	v_min_f32_e32 v135, v138, v137
	v_min3_f32 v133, v134, v135, v133
	flat_store_dword v[62:63], v133
	s_or_b32 exec_lo, exec_lo, s12
	s_and_b32 s12, s7, s8
	s_and_saveexec_b32 s8, s12
	s_cbranch_execz .LBB20_139
.LBB20_135:
	v_cmp_ne_u32_e32 vcc_lo, 1, v123
	v_lshlrev_b64 v[62:63], 2, v[78:79]
	s_cbranch_vccnz .LBB20_137
; %bb.136:
	v_add_co_u32 v80, vcc_lo, v80, v62
	v_add_co_ci_u32_e64 v81, null, v81, v63, vcc_lo
	flat_load_dword v80, v[80:81]
	s_waitcnt vmcnt(0) lgkmcnt(0)
	v_mul_f32_e32 v80, s24, v80
	s_branch .LBB20_138
.LBB20_137:
	v_mov_b32_e32 v80, 0
.LBB20_138:
	v_add_f32_e32 v59, v3, v59
	v_add_f32_e32 v58, v2, v58
	;; [unrolled: 1-line block ×4, first 2 shown]
	v_min3_f32 v58, v58, v59, v131
	v_min_f32_e32 v59, v60, v61
	v_min3_f32 v60, v80, v59, v58
	v_add_co_u32 v58, vcc_lo, v64, v62
	v_add_co_ci_u32_e64 v59, null, v65, v63, vcc_lo
	flat_store_dword v[58:59], v60
.LBB20_139:
	s_or_b32 exec_lo, exec_lo, s8
	v_add_nc_u32_e32 v62, 64, v132
	v_mad_i64_i32 v[58:59], null, v62, s14, 0
	v_mad_i64_i32 v[60:61], null, v62, s9, 0
	v_cmp_gt_i32_e64 s8, s13, v62
	v_lshlrev_b64 v[58:59], 2, v[58:59]
	s_and_b32 s17, s0, s8
	v_lshlrev_b64 v[60:61], 2, v[60:61]
	v_add_co_u32 v62, vcc_lo, s10, v58
	v_add_co_ci_u32_e64 v63, null, s11, v59, vcc_lo
	v_add_co_u32 v60, vcc_lo, s15, v60
	v_add_co_ci_u32_e64 v61, null, s16, v61, vcc_lo
	s_and_saveexec_b32 s12, s17
	s_cbranch_execnz .LBB20_147
; %bb.140:
	s_or_b32 exec_lo, exec_lo, s12
	s_and_b32 s17, s1, s8
	s_and_saveexec_b32 s12, s17
	s_cbranch_execnz .LBB20_151
.LBB20_141:
	s_or_b32 exec_lo, exec_lo, s12
	s_and_b32 s17, s2, s8
	s_and_saveexec_b32 s12, s17
	s_cbranch_execnz .LBB20_155
.LBB20_142:
	s_or_b32 exec_lo, exec_lo, s12
	s_and_b32 s17, s3, s8
	s_and_saveexec_b32 s12, s17
	s_cbranch_execnz .LBB20_159
.LBB20_143:
	s_or_b32 exec_lo, exec_lo, s12
	s_and_b32 s17, s4, s8
	s_and_saveexec_b32 s12, s17
	s_cbranch_execnz .LBB20_163
.LBB20_144:
	s_or_b32 exec_lo, exec_lo, s12
	s_and_b32 s17, s5, s8
	s_and_saveexec_b32 s12, s17
	s_cbranch_execnz .LBB20_167
.LBB20_145:
	s_or_b32 exec_lo, exec_lo, s12
	s_and_b32 s17, s6, s8
	s_and_saveexec_b32 s12, s17
	s_cbranch_execnz .LBB20_171
.LBB20_146:
	s_or_b32 exec_lo, exec_lo, s12
	s_and_b32 s12, s7, s8
	s_and_saveexec_b32 s8, s12
	s_cbranch_execnz .LBB20_175
	s_branch .LBB20_179
.LBB20_147:
	v_cmp_ne_u32_e32 vcc_lo, 1, v123
	v_lshlrev_b64 v[58:59], 2, v[0:1]
	s_cbranch_vccnz .LBB20_149
; %bb.148:
	v_add_co_u32 v64, vcc_lo, v62, v58
	v_add_co_ci_u32_e64 v65, null, v63, v59, vcc_lo
	flat_load_dword v64, v[64:65]
	s_waitcnt vmcnt(0) lgkmcnt(0)
	v_mul_f32_e32 v64, s24, v64
	s_branch .LBB20_150
.LBB20_149:
	v_mov_b32_e32 v64, 0
.LBB20_150:
	v_add_f32_e32 v65, v35, v55
	v_add_f32_e32 v80, v34, v54
	;; [unrolled: 1-line block ×4, first 2 shown]
	v_add_co_u32 v58, vcc_lo, v60, v58
	v_min3_f32 v65, v80, v65, v130
	v_add_co_ci_u32_e64 v59, null, v61, v59, vcc_lo
	v_min_f32_e32 v80, v131, v81
	v_min3_f32 v64, v64, v80, v65
	flat_store_dword v[58:59], v64
	s_or_b32 exec_lo, exec_lo, s12
	s_and_b32 s17, s1, s8
	s_and_saveexec_b32 s12, s17
	s_cbranch_execz .LBB20_141
.LBB20_151:
	v_cmp_ne_u32_e32 vcc_lo, 1, v123
	v_lshlrev_b64 v[58:59], 2, v[66:67]
	s_cbranch_vccnz .LBB20_153
; %bb.152:
	v_add_co_u32 v64, vcc_lo, v62, v58
	v_add_co_ci_u32_e64 v65, null, v63, v59, vcc_lo
	flat_load_dword v64, v[64:65]
	s_waitcnt vmcnt(0) lgkmcnt(0)
	v_mul_f32_e32 v64, s24, v64
	s_branch .LBB20_154
.LBB20_153:
	v_mov_b32_e32 v64, 0
.LBB20_154:
	v_add_f32_e32 v65, v31, v55
	v_add_f32_e32 v80, v30, v54
	;; [unrolled: 1-line block ×4, first 2 shown]
	v_add_co_u32 v58, vcc_lo, v60, v58
	v_min3_f32 v65, v80, v65, v129
	v_add_co_ci_u32_e64 v59, null, v61, v59, vcc_lo
	v_min_f32_e32 v80, v130, v81
	v_min3_f32 v64, v64, v80, v65
	flat_store_dword v[58:59], v64
	s_or_b32 exec_lo, exec_lo, s12
	s_and_b32 s17, s2, s8
	s_and_saveexec_b32 s12, s17
	s_cbranch_execz .LBB20_142
.LBB20_155:
	v_cmp_ne_u32_e32 vcc_lo, 1, v123
	v_lshlrev_b64 v[58:59], 2, v[68:69]
	s_cbranch_vccnz .LBB20_157
; %bb.156:
	v_add_co_u32 v64, vcc_lo, v62, v58
	v_add_co_ci_u32_e64 v65, null, v63, v59, vcc_lo
	flat_load_dword v64, v[64:65]
	s_waitcnt vmcnt(0) lgkmcnt(0)
	v_mul_f32_e32 v64, s24, v64
	s_branch .LBB20_158
.LBB20_157:
	v_mov_b32_e32 v64, 0
.LBB20_158:
	v_add_f32_e32 v65, v27, v55
	v_add_f32_e32 v80, v26, v54
	;; [unrolled: 1-line block ×4, first 2 shown]
	v_add_co_u32 v58, vcc_lo, v60, v58
	v_min3_f32 v65, v80, v65, v128
	v_add_co_ci_u32_e64 v59, null, v61, v59, vcc_lo
	v_min_f32_e32 v80, v129, v81
	v_min3_f32 v64, v64, v80, v65
	flat_store_dword v[58:59], v64
	s_or_b32 exec_lo, exec_lo, s12
	s_and_b32 s17, s3, s8
	s_and_saveexec_b32 s12, s17
	s_cbranch_execz .LBB20_143
.LBB20_159:
	v_cmp_ne_u32_e32 vcc_lo, 1, v123
	v_lshlrev_b64 v[58:59], 2, v[70:71]
	s_cbranch_vccnz .LBB20_161
; %bb.160:
	v_add_co_u32 v64, vcc_lo, v62, v58
	v_add_co_ci_u32_e64 v65, null, v63, v59, vcc_lo
	flat_load_dword v64, v[64:65]
	s_waitcnt vmcnt(0) lgkmcnt(0)
	v_mul_f32_e32 v64, s24, v64
	s_branch .LBB20_162
.LBB20_161:
	v_mov_b32_e32 v64, 0
.LBB20_162:
	v_add_f32_e32 v65, v23, v55
	v_add_f32_e32 v80, v22, v54
	v_add_f32_e32 v81, v25, v57
	v_add_f32_e32 v128, v24, v56
	v_add_co_u32 v58, vcc_lo, v60, v58
	v_min3_f32 v65, v80, v65, v127
	v_add_co_ci_u32_e64 v59, null, v61, v59, vcc_lo
	v_min_f32_e32 v80, v128, v81
	v_min3_f32 v64, v64, v80, v65
	flat_store_dword v[58:59], v64
	s_or_b32 exec_lo, exec_lo, s12
	s_and_b32 s17, s4, s8
	s_and_saveexec_b32 s12, s17
	s_cbranch_execz .LBB20_144
.LBB20_163:
	v_cmp_ne_u32_e32 vcc_lo, 1, v123
	v_lshlrev_b64 v[58:59], 2, v[72:73]
	s_cbranch_vccnz .LBB20_165
; %bb.164:
	v_add_co_u32 v64, vcc_lo, v62, v58
	v_add_co_ci_u32_e64 v65, null, v63, v59, vcc_lo
	flat_load_dword v64, v[64:65]
	s_waitcnt vmcnt(0) lgkmcnt(0)
	v_mul_f32_e32 v64, s24, v64
	s_branch .LBB20_166
.LBB20_165:
	v_mov_b32_e32 v64, 0
.LBB20_166:
	v_add_f32_e32 v65, v19, v55
	v_add_f32_e32 v80, v18, v54
	;; [unrolled: 1-line block ×4, first 2 shown]
	v_add_co_u32 v58, vcc_lo, v60, v58
	v_min3_f32 v65, v80, v65, v126
	v_add_co_ci_u32_e64 v59, null, v61, v59, vcc_lo
	v_min_f32_e32 v80, v127, v81
	v_min3_f32 v64, v64, v80, v65
	flat_store_dword v[58:59], v64
	s_or_b32 exec_lo, exec_lo, s12
	s_and_b32 s17, s5, s8
	s_and_saveexec_b32 s12, s17
	s_cbranch_execz .LBB20_145
.LBB20_167:
	v_cmp_ne_u32_e32 vcc_lo, 1, v123
	v_lshlrev_b64 v[58:59], 2, v[74:75]
	s_cbranch_vccnz .LBB20_169
; %bb.168:
	v_add_co_u32 v64, vcc_lo, v62, v58
	v_add_co_ci_u32_e64 v65, null, v63, v59, vcc_lo
	flat_load_dword v64, v[64:65]
	s_waitcnt vmcnt(0) lgkmcnt(0)
	v_mul_f32_e32 v64, s24, v64
	s_branch .LBB20_170
.LBB20_169:
	v_mov_b32_e32 v64, 0
.LBB20_170:
	v_add_f32_e32 v65, v15, v55
	v_add_f32_e32 v80, v14, v54
	;; [unrolled: 1-line block ×4, first 2 shown]
	v_add_co_u32 v58, vcc_lo, v60, v58
	v_min3_f32 v65, v80, v65, v125
	v_add_co_ci_u32_e64 v59, null, v61, v59, vcc_lo
	v_min_f32_e32 v80, v126, v81
	v_min3_f32 v64, v64, v80, v65
	flat_store_dword v[58:59], v64
	s_or_b32 exec_lo, exec_lo, s12
	s_and_b32 s17, s6, s8
	s_and_saveexec_b32 s12, s17
	s_cbranch_execz .LBB20_146
.LBB20_171:
	v_cmp_ne_u32_e32 vcc_lo, 1, v123
	v_lshlrev_b64 v[58:59], 2, v[76:77]
	s_cbranch_vccnz .LBB20_173
; %bb.172:
	v_add_co_u32 v64, vcc_lo, v62, v58
	v_add_co_ci_u32_e64 v65, null, v63, v59, vcc_lo
	flat_load_dword v64, v[64:65]
	s_waitcnt vmcnt(0) lgkmcnt(0)
	v_mul_f32_e32 v64, s24, v64
	s_branch .LBB20_174
.LBB20_173:
	v_mov_b32_e32 v64, 0
.LBB20_174:
	v_add_f32_e32 v65, v11, v55
	v_add_f32_e32 v80, v10, v54
	;; [unrolled: 1-line block ×4, first 2 shown]
	v_add_co_u32 v58, vcc_lo, v60, v58
	v_min3_f32 v65, v80, v65, v124
	v_add_co_ci_u32_e64 v59, null, v61, v59, vcc_lo
	v_min_f32_e32 v80, v125, v81
	v_min3_f32 v64, v64, v80, v65
	flat_store_dword v[58:59], v64
	s_or_b32 exec_lo, exec_lo, s12
	s_and_b32 s12, s7, s8
	s_and_saveexec_b32 s8, s12
	s_cbranch_execz .LBB20_179
.LBB20_175:
	v_cmp_ne_u32_e32 vcc_lo, 1, v123
	v_lshlrev_b64 v[58:59], 2, v[78:79]
	s_cbranch_vccnz .LBB20_177
; %bb.176:
	v_add_co_u32 v62, vcc_lo, v62, v58
	v_add_co_ci_u32_e64 v63, null, v63, v59, vcc_lo
	flat_load_dword v62, v[62:63]
	s_waitcnt vmcnt(0) lgkmcnt(0)
	v_mul_f32_e32 v62, s24, v62
	s_branch .LBB20_178
.LBB20_177:
	v_mov_b32_e32 v62, 0
.LBB20_178:
	v_add_f32_e32 v55, v3, v55
	v_add_f32_e32 v54, v2, v54
	v_add_f32_e32 v57, v5, v57
	v_add_f32_e32 v56, v4, v56
	v_min3_f32 v54, v54, v55, v121
	v_min_f32_e32 v55, v56, v57
	v_min3_f32 v56, v62, v55, v54
	v_add_co_u32 v54, vcc_lo, v60, v58
	v_add_co_ci_u32_e64 v55, null, v61, v59, vcc_lo
	flat_store_dword v[54:55], v56
.LBB20_179:
	s_or_b32 exec_lo, exec_lo, s8
	v_add_nc_u32_e32 v58, 0x60, v132
	v_mad_i64_i32 v[54:55], null, v58, s14, 0
	v_mad_i64_i32 v[56:57], null, v58, s9, 0
	v_cmp_gt_i32_e64 s8, s13, v58
	v_lshlrev_b64 v[54:55], 2, v[54:55]
	s_and_b32 s17, s0, s8
	v_lshlrev_b64 v[56:57], 2, v[56:57]
	v_add_co_u32 v58, vcc_lo, s10, v54
	v_add_co_ci_u32_e64 v59, null, s11, v55, vcc_lo
	v_add_co_u32 v56, vcc_lo, s15, v56
	v_add_co_ci_u32_e64 v57, null, s16, v57, vcc_lo
	s_and_saveexec_b32 s12, s17
	s_cbranch_execnz .LBB20_187
; %bb.180:
	s_or_b32 exec_lo, exec_lo, s12
	s_and_b32 s17, s1, s8
	s_and_saveexec_b32 s12, s17
	s_cbranch_execnz .LBB20_191
.LBB20_181:
	s_or_b32 exec_lo, exec_lo, s12
	s_and_b32 s17, s2, s8
	s_and_saveexec_b32 s12, s17
	s_cbranch_execnz .LBB20_195
.LBB20_182:
	s_or_b32 exec_lo, exec_lo, s12
	s_and_b32 s17, s3, s8
	s_and_saveexec_b32 s12, s17
	s_cbranch_execnz .LBB20_199
.LBB20_183:
	s_or_b32 exec_lo, exec_lo, s12
	s_and_b32 s17, s4, s8
	s_and_saveexec_b32 s12, s17
	s_cbranch_execnz .LBB20_203
.LBB20_184:
	s_or_b32 exec_lo, exec_lo, s12
	s_and_b32 s17, s5, s8
	s_and_saveexec_b32 s12, s17
	s_cbranch_execnz .LBB20_207
.LBB20_185:
	s_or_b32 exec_lo, exec_lo, s12
	s_and_b32 s17, s6, s8
	s_and_saveexec_b32 s12, s17
	s_cbranch_execnz .LBB20_211
.LBB20_186:
	s_or_b32 exec_lo, exec_lo, s12
	s_and_b32 s12, s7, s8
	s_and_saveexec_b32 s8, s12
	s_cbranch_execnz .LBB20_215
	s_branch .LBB20_219
.LBB20_187:
	v_cmp_ne_u32_e32 vcc_lo, 1, v123
	v_lshlrev_b64 v[54:55], 2, v[0:1]
	s_cbranch_vccnz .LBB20_189
; %bb.188:
	v_add_co_u32 v60, vcc_lo, v58, v54
	v_add_co_ci_u32_e64 v61, null, v59, v55, vcc_lo
	flat_load_dword v60, v[60:61]
	s_waitcnt vmcnt(0) lgkmcnt(0)
	v_mul_f32_e32 v60, s24, v60
	s_branch .LBB20_190
.LBB20_189:
	v_mov_b32_e32 v60, 0
.LBB20_190:
	v_add_f32_e32 v61, v35, v51
	v_add_f32_e32 v62, v34, v50
	;; [unrolled: 1-line block ×4, first 2 shown]
	v_add_co_u32 v54, vcc_lo, v56, v54
	v_min3_f32 v61, v62, v61, v122
	v_add_co_ci_u32_e64 v55, null, v57, v55, vcc_lo
	v_min_f32_e32 v62, v64, v63
	v_min3_f32 v60, v60, v62, v61
	flat_store_dword v[54:55], v60
	s_or_b32 exec_lo, exec_lo, s12
	s_and_b32 s17, s1, s8
	s_and_saveexec_b32 s12, s17
	s_cbranch_execz .LBB20_181
.LBB20_191:
	v_cmp_ne_u32_e32 vcc_lo, 1, v123
	v_lshlrev_b64 v[54:55], 2, v[66:67]
	s_cbranch_vccnz .LBB20_193
; %bb.192:
	v_add_co_u32 v60, vcc_lo, v58, v54
	v_add_co_ci_u32_e64 v61, null, v59, v55, vcc_lo
	flat_load_dword v60, v[60:61]
	s_waitcnt vmcnt(0) lgkmcnt(0)
	v_mul_f32_e32 v60, s24, v60
	s_branch .LBB20_194
.LBB20_193:
	v_mov_b32_e32 v60, 0
.LBB20_194:
	v_add_f32_e32 v61, v31, v51
	v_add_f32_e32 v62, v30, v50
	;; [unrolled: 1-line block ×4, first 2 shown]
	v_add_co_u32 v54, vcc_lo, v56, v54
	v_min3_f32 v61, v62, v61, v120
	v_add_co_ci_u32_e64 v55, null, v57, v55, vcc_lo
	v_min_f32_e32 v62, v64, v63
	v_min3_f32 v60, v60, v62, v61
	flat_store_dword v[54:55], v60
	s_or_b32 exec_lo, exec_lo, s12
	s_and_b32 s17, s2, s8
	s_and_saveexec_b32 s12, s17
	s_cbranch_execz .LBB20_182
.LBB20_195:
	v_cmp_ne_u32_e32 vcc_lo, 1, v123
	v_lshlrev_b64 v[54:55], 2, v[68:69]
	s_cbranch_vccnz .LBB20_197
; %bb.196:
	v_add_co_u32 v60, vcc_lo, v58, v54
	v_add_co_ci_u32_e64 v61, null, v59, v55, vcc_lo
	flat_load_dword v60, v[60:61]
	s_waitcnt vmcnt(0) lgkmcnt(0)
	v_mul_f32_e32 v60, s24, v60
	s_branch .LBB20_198
.LBB20_197:
	v_mov_b32_e32 v60, 0
.LBB20_198:
	v_add_f32_e32 v61, v27, v51
	v_add_f32_e32 v62, v26, v50
	;; [unrolled: 1-line block ×4, first 2 shown]
	v_add_co_u32 v54, vcc_lo, v56, v54
	v_min3_f32 v61, v62, v61, v119
	v_add_co_ci_u32_e64 v55, null, v57, v55, vcc_lo
	v_min_f32_e32 v62, v64, v63
	v_min3_f32 v60, v60, v62, v61
	flat_store_dword v[54:55], v60
	s_or_b32 exec_lo, exec_lo, s12
	s_and_b32 s17, s3, s8
	s_and_saveexec_b32 s12, s17
	s_cbranch_execz .LBB20_183
.LBB20_199:
	v_cmp_ne_u32_e32 vcc_lo, 1, v123
	v_lshlrev_b64 v[54:55], 2, v[70:71]
	s_cbranch_vccnz .LBB20_201
; %bb.200:
	v_add_co_u32 v60, vcc_lo, v58, v54
	v_add_co_ci_u32_e64 v61, null, v59, v55, vcc_lo
	flat_load_dword v60, v[60:61]
	s_waitcnt vmcnt(0) lgkmcnt(0)
	v_mul_f32_e32 v60, s24, v60
	s_branch .LBB20_202
.LBB20_201:
	v_mov_b32_e32 v60, 0
.LBB20_202:
	v_add_f32_e32 v61, v23, v51
	v_add_f32_e32 v62, v22, v50
	v_add_f32_e32 v63, v25, v53
	v_add_f32_e32 v64, v24, v52
	v_add_co_u32 v54, vcc_lo, v56, v54
	v_min3_f32 v61, v62, v61, v118
	v_add_co_ci_u32_e64 v55, null, v57, v55, vcc_lo
	v_min_f32_e32 v62, v64, v63
	v_min3_f32 v60, v60, v62, v61
	flat_store_dword v[54:55], v60
	s_or_b32 exec_lo, exec_lo, s12
	s_and_b32 s17, s4, s8
	s_and_saveexec_b32 s12, s17
	s_cbranch_execz .LBB20_184
.LBB20_203:
	v_cmp_ne_u32_e32 vcc_lo, 1, v123
	v_lshlrev_b64 v[54:55], 2, v[72:73]
	s_cbranch_vccnz .LBB20_205
; %bb.204:
	v_add_co_u32 v60, vcc_lo, v58, v54
	v_add_co_ci_u32_e64 v61, null, v59, v55, vcc_lo
	flat_load_dword v60, v[60:61]
	s_waitcnt vmcnt(0) lgkmcnt(0)
	v_mul_f32_e32 v60, s24, v60
	s_branch .LBB20_206
.LBB20_205:
	v_mov_b32_e32 v60, 0
.LBB20_206:
	v_add_f32_e32 v61, v19, v51
	v_add_f32_e32 v62, v18, v50
	;; [unrolled: 1-line block ×4, first 2 shown]
	v_add_co_u32 v54, vcc_lo, v56, v54
	v_min3_f32 v61, v62, v61, v117
	v_add_co_ci_u32_e64 v55, null, v57, v55, vcc_lo
	v_min_f32_e32 v62, v64, v63
	v_min3_f32 v60, v60, v62, v61
	flat_store_dword v[54:55], v60
	s_or_b32 exec_lo, exec_lo, s12
	s_and_b32 s17, s5, s8
	s_and_saveexec_b32 s12, s17
	s_cbranch_execz .LBB20_185
.LBB20_207:
	v_cmp_ne_u32_e32 vcc_lo, 1, v123
	v_lshlrev_b64 v[54:55], 2, v[74:75]
	s_cbranch_vccnz .LBB20_209
; %bb.208:
	v_add_co_u32 v60, vcc_lo, v58, v54
	v_add_co_ci_u32_e64 v61, null, v59, v55, vcc_lo
	flat_load_dword v60, v[60:61]
	s_waitcnt vmcnt(0) lgkmcnt(0)
	v_mul_f32_e32 v60, s24, v60
	s_branch .LBB20_210
.LBB20_209:
	v_mov_b32_e32 v60, 0
.LBB20_210:
	v_add_f32_e32 v61, v15, v51
	v_add_f32_e32 v62, v14, v50
	;; [unrolled: 1-line block ×4, first 2 shown]
	v_add_co_u32 v54, vcc_lo, v56, v54
	v_min3_f32 v61, v62, v61, v116
	v_add_co_ci_u32_e64 v55, null, v57, v55, vcc_lo
	v_min_f32_e32 v62, v64, v63
	v_min3_f32 v60, v60, v62, v61
	flat_store_dword v[54:55], v60
	s_or_b32 exec_lo, exec_lo, s12
	s_and_b32 s17, s6, s8
	s_and_saveexec_b32 s12, s17
	s_cbranch_execz .LBB20_186
.LBB20_211:
	v_cmp_ne_u32_e32 vcc_lo, 1, v123
	v_lshlrev_b64 v[54:55], 2, v[76:77]
	s_cbranch_vccnz .LBB20_213
; %bb.212:
	v_add_co_u32 v60, vcc_lo, v58, v54
	v_add_co_ci_u32_e64 v61, null, v59, v55, vcc_lo
	flat_load_dword v60, v[60:61]
	s_waitcnt vmcnt(0) lgkmcnt(0)
	v_mul_f32_e32 v60, s24, v60
	s_branch .LBB20_214
.LBB20_213:
	v_mov_b32_e32 v60, 0
.LBB20_214:
	v_add_f32_e32 v61, v11, v51
	v_add_f32_e32 v62, v10, v50
	;; [unrolled: 1-line block ×4, first 2 shown]
	v_add_co_u32 v54, vcc_lo, v56, v54
	v_min3_f32 v61, v62, v61, v115
	v_add_co_ci_u32_e64 v55, null, v57, v55, vcc_lo
	v_min_f32_e32 v62, v64, v63
	v_min3_f32 v60, v60, v62, v61
	flat_store_dword v[54:55], v60
	s_or_b32 exec_lo, exec_lo, s12
	s_and_b32 s12, s7, s8
	s_and_saveexec_b32 s8, s12
	s_cbranch_execz .LBB20_219
.LBB20_215:
	v_cmp_ne_u32_e32 vcc_lo, 1, v123
	v_lshlrev_b64 v[54:55], 2, v[78:79]
	s_cbranch_vccnz .LBB20_217
; %bb.216:
	v_add_co_u32 v58, vcc_lo, v58, v54
	v_add_co_ci_u32_e64 v59, null, v59, v55, vcc_lo
	flat_load_dword v58, v[58:59]
	s_waitcnt vmcnt(0) lgkmcnt(0)
	v_mul_f32_e32 v58, s24, v58
	s_branch .LBB20_218
.LBB20_217:
	v_mov_b32_e32 v58, 0
.LBB20_218:
	v_add_f32_e32 v51, v3, v51
	v_add_f32_e32 v50, v2, v50
	;; [unrolled: 1-line block ×4, first 2 shown]
	v_min3_f32 v50, v50, v51, v114
	v_min_f32_e32 v51, v52, v53
	v_min3_f32 v52, v58, v51, v50
	v_add_co_u32 v50, vcc_lo, v56, v54
	v_add_co_ci_u32_e64 v51, null, v57, v55, vcc_lo
	flat_store_dword v[50:51], v52
.LBB20_219:
	s_or_b32 exec_lo, exec_lo, s8
	v_add_nc_u32_e32 v54, 0x80, v132
	v_mad_i64_i32 v[50:51], null, v54, s14, 0
	v_mad_i64_i32 v[52:53], null, v54, s9, 0
	v_cmp_gt_i32_e64 s8, s13, v54
	v_lshlrev_b64 v[50:51], 2, v[50:51]
	s_and_b32 s17, s0, s8
	v_lshlrev_b64 v[52:53], 2, v[52:53]
	v_add_co_u32 v54, vcc_lo, s10, v50
	v_add_co_ci_u32_e64 v55, null, s11, v51, vcc_lo
	v_add_co_u32 v52, vcc_lo, s15, v52
	v_add_co_ci_u32_e64 v53, null, s16, v53, vcc_lo
	s_and_saveexec_b32 s12, s17
	s_cbranch_execnz .LBB20_227
; %bb.220:
	s_or_b32 exec_lo, exec_lo, s12
	s_and_b32 s17, s1, s8
	s_and_saveexec_b32 s12, s17
	s_cbranch_execnz .LBB20_231
.LBB20_221:
	s_or_b32 exec_lo, exec_lo, s12
	s_and_b32 s17, s2, s8
	s_and_saveexec_b32 s12, s17
	s_cbranch_execnz .LBB20_235
.LBB20_222:
	s_or_b32 exec_lo, exec_lo, s12
	s_and_b32 s17, s3, s8
	s_and_saveexec_b32 s12, s17
	s_cbranch_execnz .LBB20_239
.LBB20_223:
	s_or_b32 exec_lo, exec_lo, s12
	s_and_b32 s17, s4, s8
	s_and_saveexec_b32 s12, s17
	s_cbranch_execnz .LBB20_243
.LBB20_224:
	s_or_b32 exec_lo, exec_lo, s12
	s_and_b32 s17, s5, s8
	s_and_saveexec_b32 s12, s17
	s_cbranch_execnz .LBB20_247
.LBB20_225:
	s_or_b32 exec_lo, exec_lo, s12
	s_and_b32 s17, s6, s8
	s_and_saveexec_b32 s12, s17
	s_cbranch_execnz .LBB20_251
.LBB20_226:
	s_or_b32 exec_lo, exec_lo, s12
	s_and_b32 s12, s7, s8
	s_and_saveexec_b32 s8, s12
	s_cbranch_execnz .LBB20_255
	s_branch .LBB20_259
.LBB20_227:
	v_cmp_ne_u32_e32 vcc_lo, 1, v123
	v_lshlrev_b64 v[50:51], 2, v[0:1]
	s_cbranch_vccnz .LBB20_229
; %bb.228:
	v_add_co_u32 v56, vcc_lo, v54, v50
	v_add_co_ci_u32_e64 v57, null, v55, v51, vcc_lo
	flat_load_dword v56, v[56:57]
	s_waitcnt vmcnt(0) lgkmcnt(0)
	v_mul_f32_e32 v56, s24, v56
	s_branch .LBB20_230
.LBB20_229:
	v_mov_b32_e32 v56, 0
.LBB20_230:
	v_add_f32_e32 v57, v35, v47
	v_add_f32_e32 v58, v34, v46
	;; [unrolled: 1-line block ×4, first 2 shown]
	v_add_co_u32 v50, vcc_lo, v52, v50
	v_min3_f32 v57, v58, v57, v113
	v_add_co_ci_u32_e64 v51, null, v53, v51, vcc_lo
	v_min_f32_e32 v58, v60, v59
	v_min3_f32 v56, v56, v58, v57
	flat_store_dword v[50:51], v56
	s_or_b32 exec_lo, exec_lo, s12
	s_and_b32 s17, s1, s8
	s_and_saveexec_b32 s12, s17
	s_cbranch_execz .LBB20_221
.LBB20_231:
	v_cmp_ne_u32_e32 vcc_lo, 1, v123
	v_lshlrev_b64 v[50:51], 2, v[66:67]
	s_cbranch_vccnz .LBB20_233
; %bb.232:
	v_add_co_u32 v56, vcc_lo, v54, v50
	v_add_co_ci_u32_e64 v57, null, v55, v51, vcc_lo
	flat_load_dword v56, v[56:57]
	s_waitcnt vmcnt(0) lgkmcnt(0)
	v_mul_f32_e32 v56, s24, v56
	s_branch .LBB20_234
.LBB20_233:
	v_mov_b32_e32 v56, 0
.LBB20_234:
	v_add_f32_e32 v57, v31, v47
	v_add_f32_e32 v58, v30, v46
	;; [unrolled: 1-line block ×4, first 2 shown]
	v_add_co_u32 v50, vcc_lo, v52, v50
	v_min3_f32 v57, v58, v57, v112
	v_add_co_ci_u32_e64 v51, null, v53, v51, vcc_lo
	v_min_f32_e32 v58, v60, v59
	v_min3_f32 v56, v56, v58, v57
	flat_store_dword v[50:51], v56
	s_or_b32 exec_lo, exec_lo, s12
	s_and_b32 s17, s2, s8
	s_and_saveexec_b32 s12, s17
	s_cbranch_execz .LBB20_222
.LBB20_235:
	v_cmp_ne_u32_e32 vcc_lo, 1, v123
	v_lshlrev_b64 v[50:51], 2, v[68:69]
	s_cbranch_vccnz .LBB20_237
; %bb.236:
	v_add_co_u32 v56, vcc_lo, v54, v50
	v_add_co_ci_u32_e64 v57, null, v55, v51, vcc_lo
	flat_load_dword v56, v[56:57]
	s_waitcnt vmcnt(0) lgkmcnt(0)
	v_mul_f32_e32 v56, s24, v56
	s_branch .LBB20_238
.LBB20_237:
	v_mov_b32_e32 v56, 0
.LBB20_238:
	v_add_f32_e32 v57, v27, v47
	v_add_f32_e32 v58, v26, v46
	;; [unrolled: 1-line block ×4, first 2 shown]
	v_add_co_u32 v50, vcc_lo, v52, v50
	v_min3_f32 v57, v58, v57, v111
	v_add_co_ci_u32_e64 v51, null, v53, v51, vcc_lo
	v_min_f32_e32 v58, v60, v59
	v_min3_f32 v56, v56, v58, v57
	flat_store_dword v[50:51], v56
	s_or_b32 exec_lo, exec_lo, s12
	s_and_b32 s17, s3, s8
	s_and_saveexec_b32 s12, s17
	s_cbranch_execz .LBB20_223
.LBB20_239:
	v_cmp_ne_u32_e32 vcc_lo, 1, v123
	v_lshlrev_b64 v[50:51], 2, v[70:71]
	s_cbranch_vccnz .LBB20_241
; %bb.240:
	v_add_co_u32 v56, vcc_lo, v54, v50
	v_add_co_ci_u32_e64 v57, null, v55, v51, vcc_lo
	flat_load_dword v56, v[56:57]
	s_waitcnt vmcnt(0) lgkmcnt(0)
	v_mul_f32_e32 v56, s24, v56
	s_branch .LBB20_242
.LBB20_241:
	v_mov_b32_e32 v56, 0
.LBB20_242:
	v_add_f32_e32 v57, v23, v47
	v_add_f32_e32 v58, v22, v46
	;; [unrolled: 1-line block ×4, first 2 shown]
	v_add_co_u32 v50, vcc_lo, v52, v50
	v_min3_f32 v57, v58, v57, v110
	v_add_co_ci_u32_e64 v51, null, v53, v51, vcc_lo
	v_min_f32_e32 v58, v60, v59
	v_min3_f32 v56, v56, v58, v57
	flat_store_dword v[50:51], v56
	s_or_b32 exec_lo, exec_lo, s12
	s_and_b32 s17, s4, s8
	s_and_saveexec_b32 s12, s17
	s_cbranch_execz .LBB20_224
.LBB20_243:
	v_cmp_ne_u32_e32 vcc_lo, 1, v123
	v_lshlrev_b64 v[50:51], 2, v[72:73]
	s_cbranch_vccnz .LBB20_245
; %bb.244:
	v_add_co_u32 v56, vcc_lo, v54, v50
	v_add_co_ci_u32_e64 v57, null, v55, v51, vcc_lo
	flat_load_dword v56, v[56:57]
	s_waitcnt vmcnt(0) lgkmcnt(0)
	v_mul_f32_e32 v56, s24, v56
	s_branch .LBB20_246
.LBB20_245:
	v_mov_b32_e32 v56, 0
.LBB20_246:
	v_add_f32_e32 v57, v19, v47
	v_add_f32_e32 v58, v18, v46
	;; [unrolled: 1-line block ×4, first 2 shown]
	v_add_co_u32 v50, vcc_lo, v52, v50
	v_min3_f32 v57, v58, v57, v109
	v_add_co_ci_u32_e64 v51, null, v53, v51, vcc_lo
	v_min_f32_e32 v58, v60, v59
	v_min3_f32 v56, v56, v58, v57
	flat_store_dword v[50:51], v56
	s_or_b32 exec_lo, exec_lo, s12
	s_and_b32 s17, s5, s8
	s_and_saveexec_b32 s12, s17
	s_cbranch_execz .LBB20_225
.LBB20_247:
	v_cmp_ne_u32_e32 vcc_lo, 1, v123
	v_lshlrev_b64 v[50:51], 2, v[74:75]
	s_cbranch_vccnz .LBB20_249
; %bb.248:
	v_add_co_u32 v56, vcc_lo, v54, v50
	v_add_co_ci_u32_e64 v57, null, v55, v51, vcc_lo
	flat_load_dword v56, v[56:57]
	s_waitcnt vmcnt(0) lgkmcnt(0)
	v_mul_f32_e32 v56, s24, v56
	s_branch .LBB20_250
.LBB20_249:
	v_mov_b32_e32 v56, 0
.LBB20_250:
	v_add_f32_e32 v57, v15, v47
	v_add_f32_e32 v58, v14, v46
	;; [unrolled: 1-line block ×4, first 2 shown]
	v_add_co_u32 v50, vcc_lo, v52, v50
	v_min3_f32 v57, v58, v57, v108
	v_add_co_ci_u32_e64 v51, null, v53, v51, vcc_lo
	v_min_f32_e32 v58, v60, v59
	v_min3_f32 v56, v56, v58, v57
	flat_store_dword v[50:51], v56
	s_or_b32 exec_lo, exec_lo, s12
	s_and_b32 s17, s6, s8
	s_and_saveexec_b32 s12, s17
	s_cbranch_execz .LBB20_226
.LBB20_251:
	v_cmp_ne_u32_e32 vcc_lo, 1, v123
	v_lshlrev_b64 v[50:51], 2, v[76:77]
	s_cbranch_vccnz .LBB20_253
; %bb.252:
	v_add_co_u32 v56, vcc_lo, v54, v50
	v_add_co_ci_u32_e64 v57, null, v55, v51, vcc_lo
	flat_load_dword v56, v[56:57]
	s_waitcnt vmcnt(0) lgkmcnt(0)
	v_mul_f32_e32 v56, s24, v56
	s_branch .LBB20_254
.LBB20_253:
	v_mov_b32_e32 v56, 0
.LBB20_254:
	v_add_f32_e32 v57, v11, v47
	v_add_f32_e32 v58, v10, v46
	;; [unrolled: 1-line block ×4, first 2 shown]
	v_add_co_u32 v50, vcc_lo, v52, v50
	v_min3_f32 v57, v58, v57, v107
	v_add_co_ci_u32_e64 v51, null, v53, v51, vcc_lo
	v_min_f32_e32 v58, v60, v59
	v_min3_f32 v56, v56, v58, v57
	flat_store_dword v[50:51], v56
	s_or_b32 exec_lo, exec_lo, s12
	s_and_b32 s12, s7, s8
	s_and_saveexec_b32 s8, s12
	s_cbranch_execz .LBB20_259
.LBB20_255:
	v_cmp_ne_u32_e32 vcc_lo, 1, v123
	v_lshlrev_b64 v[50:51], 2, v[78:79]
	s_cbranch_vccnz .LBB20_257
; %bb.256:
	v_add_co_u32 v54, vcc_lo, v54, v50
	v_add_co_ci_u32_e64 v55, null, v55, v51, vcc_lo
	flat_load_dword v54, v[54:55]
	s_waitcnt vmcnt(0) lgkmcnt(0)
	v_mul_f32_e32 v54, s24, v54
	s_branch .LBB20_258
.LBB20_257:
	v_mov_b32_e32 v54, 0
.LBB20_258:
	v_add_f32_e32 v47, v3, v47
	v_add_f32_e32 v46, v2, v46
	;; [unrolled: 1-line block ×4, first 2 shown]
	v_min3_f32 v46, v46, v47, v106
	v_min_f32_e32 v47, v48, v49
	v_min3_f32 v48, v54, v47, v46
	v_add_co_u32 v46, vcc_lo, v52, v50
	v_add_co_ci_u32_e64 v47, null, v53, v51, vcc_lo
	flat_store_dword v[46:47], v48
.LBB20_259:
	s_or_b32 exec_lo, exec_lo, s8
	v_add_nc_u32_e32 v50, 0xa0, v132
	v_mad_i64_i32 v[46:47], null, v50, s14, 0
	v_mad_i64_i32 v[48:49], null, v50, s9, 0
	v_cmp_gt_i32_e64 s8, s13, v50
	v_lshlrev_b64 v[46:47], 2, v[46:47]
	s_and_b32 s17, s0, s8
	v_lshlrev_b64 v[48:49], 2, v[48:49]
	v_add_co_u32 v50, vcc_lo, s10, v46
	v_add_co_ci_u32_e64 v51, null, s11, v47, vcc_lo
	v_add_co_u32 v48, vcc_lo, s15, v48
	v_add_co_ci_u32_e64 v49, null, s16, v49, vcc_lo
	s_and_saveexec_b32 s12, s17
	s_cbranch_execnz .LBB20_267
; %bb.260:
	s_or_b32 exec_lo, exec_lo, s12
	s_and_b32 s17, s1, s8
	s_and_saveexec_b32 s12, s17
	s_cbranch_execnz .LBB20_271
.LBB20_261:
	s_or_b32 exec_lo, exec_lo, s12
	s_and_b32 s17, s2, s8
	s_and_saveexec_b32 s12, s17
	s_cbranch_execnz .LBB20_275
.LBB20_262:
	s_or_b32 exec_lo, exec_lo, s12
	s_and_b32 s17, s3, s8
	s_and_saveexec_b32 s12, s17
	s_cbranch_execnz .LBB20_279
.LBB20_263:
	s_or_b32 exec_lo, exec_lo, s12
	s_and_b32 s17, s4, s8
	s_and_saveexec_b32 s12, s17
	s_cbranch_execnz .LBB20_283
.LBB20_264:
	s_or_b32 exec_lo, exec_lo, s12
	s_and_b32 s17, s5, s8
	s_and_saveexec_b32 s12, s17
	s_cbranch_execnz .LBB20_287
.LBB20_265:
	s_or_b32 exec_lo, exec_lo, s12
	s_and_b32 s17, s6, s8
	s_and_saveexec_b32 s12, s17
	s_cbranch_execnz .LBB20_291
.LBB20_266:
	s_or_b32 exec_lo, exec_lo, s12
	s_and_b32 s12, s7, s8
	s_and_saveexec_b32 s8, s12
	s_cbranch_execnz .LBB20_295
	s_branch .LBB20_299
.LBB20_267:
	v_cmp_ne_u32_e32 vcc_lo, 1, v123
	v_lshlrev_b64 v[46:47], 2, v[0:1]
	s_cbranch_vccnz .LBB20_269
; %bb.268:
	v_add_co_u32 v52, vcc_lo, v50, v46
	v_add_co_ci_u32_e64 v53, null, v51, v47, vcc_lo
	flat_load_dword v52, v[52:53]
	s_waitcnt vmcnt(0) lgkmcnt(0)
	v_mul_f32_e32 v52, s24, v52
	s_branch .LBB20_270
.LBB20_269:
	v_mov_b32_e32 v52, 0
.LBB20_270:
	v_add_f32_e32 v53, v35, v43
	v_add_f32_e32 v54, v34, v42
	;; [unrolled: 1-line block ×4, first 2 shown]
	v_add_co_u32 v46, vcc_lo, v48, v46
	v_min3_f32 v53, v54, v53, v105
	v_add_co_ci_u32_e64 v47, null, v49, v47, vcc_lo
	v_min_f32_e32 v54, v56, v55
	v_min3_f32 v52, v52, v54, v53
	flat_store_dword v[46:47], v52
	s_or_b32 exec_lo, exec_lo, s12
	s_and_b32 s17, s1, s8
	s_and_saveexec_b32 s12, s17
	s_cbranch_execz .LBB20_261
.LBB20_271:
	v_cmp_ne_u32_e32 vcc_lo, 1, v123
	v_lshlrev_b64 v[46:47], 2, v[66:67]
	s_cbranch_vccnz .LBB20_273
; %bb.272:
	v_add_co_u32 v52, vcc_lo, v50, v46
	v_add_co_ci_u32_e64 v53, null, v51, v47, vcc_lo
	flat_load_dword v52, v[52:53]
	s_waitcnt vmcnt(0) lgkmcnt(0)
	v_mul_f32_e32 v52, s24, v52
	s_branch .LBB20_274
.LBB20_273:
	v_mov_b32_e32 v52, 0
.LBB20_274:
	v_add_f32_e32 v53, v31, v43
	v_add_f32_e32 v54, v30, v42
	;; [unrolled: 1-line block ×4, first 2 shown]
	v_add_co_u32 v46, vcc_lo, v48, v46
	v_min3_f32 v53, v54, v53, v104
	v_add_co_ci_u32_e64 v47, null, v49, v47, vcc_lo
	v_min_f32_e32 v54, v56, v55
	v_min3_f32 v52, v52, v54, v53
	flat_store_dword v[46:47], v52
	s_or_b32 exec_lo, exec_lo, s12
	s_and_b32 s17, s2, s8
	s_and_saveexec_b32 s12, s17
	s_cbranch_execz .LBB20_262
.LBB20_275:
	v_cmp_ne_u32_e32 vcc_lo, 1, v123
	v_lshlrev_b64 v[46:47], 2, v[68:69]
	s_cbranch_vccnz .LBB20_277
; %bb.276:
	v_add_co_u32 v52, vcc_lo, v50, v46
	v_add_co_ci_u32_e64 v53, null, v51, v47, vcc_lo
	flat_load_dword v52, v[52:53]
	s_waitcnt vmcnt(0) lgkmcnt(0)
	v_mul_f32_e32 v52, s24, v52
	s_branch .LBB20_278
.LBB20_277:
	v_mov_b32_e32 v52, 0
.LBB20_278:
	v_add_f32_e32 v53, v27, v43
	v_add_f32_e32 v54, v26, v42
	;; [unrolled: 1-line block ×4, first 2 shown]
	v_add_co_u32 v46, vcc_lo, v48, v46
	v_min3_f32 v53, v54, v53, v103
	v_add_co_ci_u32_e64 v47, null, v49, v47, vcc_lo
	v_min_f32_e32 v54, v56, v55
	v_min3_f32 v52, v52, v54, v53
	flat_store_dword v[46:47], v52
	s_or_b32 exec_lo, exec_lo, s12
	s_and_b32 s17, s3, s8
	s_and_saveexec_b32 s12, s17
	s_cbranch_execz .LBB20_263
.LBB20_279:
	v_cmp_ne_u32_e32 vcc_lo, 1, v123
	v_lshlrev_b64 v[46:47], 2, v[70:71]
	s_cbranch_vccnz .LBB20_281
; %bb.280:
	v_add_co_u32 v52, vcc_lo, v50, v46
	v_add_co_ci_u32_e64 v53, null, v51, v47, vcc_lo
	flat_load_dword v52, v[52:53]
	s_waitcnt vmcnt(0) lgkmcnt(0)
	v_mul_f32_e32 v52, s24, v52
	s_branch .LBB20_282
.LBB20_281:
	v_mov_b32_e32 v52, 0
.LBB20_282:
	v_add_f32_e32 v53, v23, v43
	v_add_f32_e32 v54, v22, v42
	;; [unrolled: 1-line block ×4, first 2 shown]
	v_add_co_u32 v46, vcc_lo, v48, v46
	v_min3_f32 v53, v54, v53, v102
	v_add_co_ci_u32_e64 v47, null, v49, v47, vcc_lo
	v_min_f32_e32 v54, v56, v55
	v_min3_f32 v52, v52, v54, v53
	flat_store_dword v[46:47], v52
	s_or_b32 exec_lo, exec_lo, s12
	s_and_b32 s17, s4, s8
	s_and_saveexec_b32 s12, s17
	s_cbranch_execz .LBB20_264
.LBB20_283:
	v_cmp_ne_u32_e32 vcc_lo, 1, v123
	v_lshlrev_b64 v[46:47], 2, v[72:73]
	s_cbranch_vccnz .LBB20_285
; %bb.284:
	v_add_co_u32 v52, vcc_lo, v50, v46
	v_add_co_ci_u32_e64 v53, null, v51, v47, vcc_lo
	flat_load_dword v52, v[52:53]
	s_waitcnt vmcnt(0) lgkmcnt(0)
	v_mul_f32_e32 v52, s24, v52
	s_branch .LBB20_286
.LBB20_285:
	v_mov_b32_e32 v52, 0
.LBB20_286:
	v_add_f32_e32 v53, v19, v43
	v_add_f32_e32 v54, v18, v42
	;; [unrolled: 1-line block ×4, first 2 shown]
	v_add_co_u32 v46, vcc_lo, v48, v46
	v_min3_f32 v53, v54, v53, v101
	v_add_co_ci_u32_e64 v47, null, v49, v47, vcc_lo
	v_min_f32_e32 v54, v56, v55
	v_min3_f32 v52, v52, v54, v53
	flat_store_dword v[46:47], v52
	s_or_b32 exec_lo, exec_lo, s12
	s_and_b32 s17, s5, s8
	s_and_saveexec_b32 s12, s17
	s_cbranch_execz .LBB20_265
.LBB20_287:
	v_cmp_ne_u32_e32 vcc_lo, 1, v123
	v_lshlrev_b64 v[46:47], 2, v[74:75]
	s_cbranch_vccnz .LBB20_289
; %bb.288:
	v_add_co_u32 v52, vcc_lo, v50, v46
	v_add_co_ci_u32_e64 v53, null, v51, v47, vcc_lo
	flat_load_dword v52, v[52:53]
	s_waitcnt vmcnt(0) lgkmcnt(0)
	v_mul_f32_e32 v52, s24, v52
	s_branch .LBB20_290
.LBB20_289:
	v_mov_b32_e32 v52, 0
.LBB20_290:
	v_add_f32_e32 v53, v15, v43
	v_add_f32_e32 v54, v14, v42
	;; [unrolled: 1-line block ×4, first 2 shown]
	v_add_co_u32 v46, vcc_lo, v48, v46
	v_min3_f32 v53, v54, v53, v100
	v_add_co_ci_u32_e64 v47, null, v49, v47, vcc_lo
	v_min_f32_e32 v54, v56, v55
	v_min3_f32 v52, v52, v54, v53
	flat_store_dword v[46:47], v52
	s_or_b32 exec_lo, exec_lo, s12
	s_and_b32 s17, s6, s8
	s_and_saveexec_b32 s12, s17
	s_cbranch_execz .LBB20_266
.LBB20_291:
	v_cmp_ne_u32_e32 vcc_lo, 1, v123
	v_lshlrev_b64 v[46:47], 2, v[76:77]
	s_cbranch_vccnz .LBB20_293
; %bb.292:
	v_add_co_u32 v52, vcc_lo, v50, v46
	v_add_co_ci_u32_e64 v53, null, v51, v47, vcc_lo
	flat_load_dword v52, v[52:53]
	s_waitcnt vmcnt(0) lgkmcnt(0)
	v_mul_f32_e32 v52, s24, v52
	s_branch .LBB20_294
.LBB20_293:
	v_mov_b32_e32 v52, 0
.LBB20_294:
	v_add_f32_e32 v53, v11, v43
	v_add_f32_e32 v54, v10, v42
	;; [unrolled: 1-line block ×4, first 2 shown]
	v_add_co_u32 v46, vcc_lo, v48, v46
	v_min3_f32 v53, v54, v53, v99
	v_add_co_ci_u32_e64 v47, null, v49, v47, vcc_lo
	v_min_f32_e32 v54, v56, v55
	v_min3_f32 v52, v52, v54, v53
	flat_store_dword v[46:47], v52
	s_or_b32 exec_lo, exec_lo, s12
	s_and_b32 s12, s7, s8
	s_and_saveexec_b32 s8, s12
	s_cbranch_execz .LBB20_299
.LBB20_295:
	v_cmp_ne_u32_e32 vcc_lo, 1, v123
	v_lshlrev_b64 v[46:47], 2, v[78:79]
	s_cbranch_vccnz .LBB20_297
; %bb.296:
	v_add_co_u32 v50, vcc_lo, v50, v46
	v_add_co_ci_u32_e64 v51, null, v51, v47, vcc_lo
	flat_load_dword v50, v[50:51]
	s_waitcnt vmcnt(0) lgkmcnt(0)
	v_mul_f32_e32 v50, s24, v50
	s_branch .LBB20_298
.LBB20_297:
	v_mov_b32_e32 v50, 0
.LBB20_298:
	v_add_f32_e32 v43, v3, v43
	v_add_f32_e32 v42, v2, v42
	v_add_f32_e32 v45, v5, v45
	v_add_f32_e32 v44, v4, v44
	v_min3_f32 v42, v42, v43, v98
	v_min_f32_e32 v43, v44, v45
	v_min3_f32 v44, v50, v43, v42
	v_add_co_u32 v42, vcc_lo, v48, v46
	v_add_co_ci_u32_e64 v43, null, v49, v47, vcc_lo
	flat_store_dword v[42:43], v44
.LBB20_299:
	s_or_b32 exec_lo, exec_lo, s8
	v_add_nc_u32_e32 v46, 0xc0, v132
	v_mad_i64_i32 v[42:43], null, v46, s14, 0
	v_mad_i64_i32 v[44:45], null, v46, s9, 0
	v_cmp_gt_i32_e64 s8, s13, v46
	v_lshlrev_b64 v[42:43], 2, v[42:43]
	s_and_b32 s17, s0, s8
	v_lshlrev_b64 v[44:45], 2, v[44:45]
	v_add_co_u32 v46, vcc_lo, s10, v42
	v_add_co_ci_u32_e64 v47, null, s11, v43, vcc_lo
	v_add_co_u32 v44, vcc_lo, s15, v44
	v_add_co_ci_u32_e64 v45, null, s16, v45, vcc_lo
	s_and_saveexec_b32 s12, s17
	s_cbranch_execnz .LBB20_307
; %bb.300:
	s_or_b32 exec_lo, exec_lo, s12
	s_and_b32 s17, s1, s8
	s_and_saveexec_b32 s12, s17
	s_cbranch_execnz .LBB20_311
.LBB20_301:
	s_or_b32 exec_lo, exec_lo, s12
	s_and_b32 s17, s2, s8
	s_and_saveexec_b32 s12, s17
	s_cbranch_execnz .LBB20_315
.LBB20_302:
	s_or_b32 exec_lo, exec_lo, s12
	s_and_b32 s17, s3, s8
	s_and_saveexec_b32 s12, s17
	s_cbranch_execnz .LBB20_319
.LBB20_303:
	s_or_b32 exec_lo, exec_lo, s12
	s_and_b32 s17, s4, s8
	s_and_saveexec_b32 s12, s17
	s_cbranch_execnz .LBB20_323
.LBB20_304:
	s_or_b32 exec_lo, exec_lo, s12
	s_and_b32 s17, s5, s8
	s_and_saveexec_b32 s12, s17
	s_cbranch_execnz .LBB20_327
.LBB20_305:
	s_or_b32 exec_lo, exec_lo, s12
	s_and_b32 s17, s6, s8
	s_and_saveexec_b32 s12, s17
	s_cbranch_execnz .LBB20_331
.LBB20_306:
	s_or_b32 exec_lo, exec_lo, s12
	s_and_b32 s12, s7, s8
	s_and_saveexec_b32 s8, s12
	s_cbranch_execnz .LBB20_335
	s_branch .LBB20_339
.LBB20_307:
	v_cmp_ne_u32_e32 vcc_lo, 1, v123
	v_lshlrev_b64 v[42:43], 2, v[0:1]
	s_cbranch_vccnz .LBB20_309
; %bb.308:
	v_add_co_u32 v48, vcc_lo, v46, v42
	v_add_co_ci_u32_e64 v49, null, v47, v43, vcc_lo
	flat_load_dword v48, v[48:49]
	s_waitcnt vmcnt(0) lgkmcnt(0)
	v_mul_f32_e32 v48, s24, v48
	s_branch .LBB20_310
.LBB20_309:
	v_mov_b32_e32 v48, 0
.LBB20_310:
	v_add_f32_e32 v49, v35, v39
	v_add_f32_e32 v50, v34, v38
	;; [unrolled: 1-line block ×4, first 2 shown]
	v_add_co_u32 v42, vcc_lo, v44, v42
	v_min3_f32 v49, v50, v49, v97
	v_add_co_ci_u32_e64 v43, null, v45, v43, vcc_lo
	v_min_f32_e32 v50, v52, v51
	v_min3_f32 v48, v48, v50, v49
	flat_store_dword v[42:43], v48
	s_or_b32 exec_lo, exec_lo, s12
	s_and_b32 s17, s1, s8
	s_and_saveexec_b32 s12, s17
	s_cbranch_execz .LBB20_301
.LBB20_311:
	v_cmp_ne_u32_e32 vcc_lo, 1, v123
	v_lshlrev_b64 v[42:43], 2, v[66:67]
	s_cbranch_vccnz .LBB20_313
; %bb.312:
	v_add_co_u32 v48, vcc_lo, v46, v42
	v_add_co_ci_u32_e64 v49, null, v47, v43, vcc_lo
	flat_load_dword v48, v[48:49]
	s_waitcnt vmcnt(0) lgkmcnt(0)
	v_mul_f32_e32 v48, s24, v48
	s_branch .LBB20_314
.LBB20_313:
	v_mov_b32_e32 v48, 0
.LBB20_314:
	v_add_f32_e32 v49, v31, v39
	v_add_f32_e32 v50, v30, v38
	v_add_f32_e32 v51, v33, v41
	v_add_f32_e32 v52, v32, v40
	v_add_co_u32 v42, vcc_lo, v44, v42
	v_min3_f32 v49, v50, v49, v96
	v_add_co_ci_u32_e64 v43, null, v45, v43, vcc_lo
	v_min_f32_e32 v50, v52, v51
	v_min3_f32 v48, v48, v50, v49
	flat_store_dword v[42:43], v48
	s_or_b32 exec_lo, exec_lo, s12
	s_and_b32 s17, s2, s8
	s_and_saveexec_b32 s12, s17
	s_cbranch_execz .LBB20_302
.LBB20_315:
	v_cmp_ne_u32_e32 vcc_lo, 1, v123
	v_lshlrev_b64 v[42:43], 2, v[68:69]
	s_cbranch_vccnz .LBB20_317
; %bb.316:
	v_add_co_u32 v48, vcc_lo, v46, v42
	v_add_co_ci_u32_e64 v49, null, v47, v43, vcc_lo
	flat_load_dword v48, v[48:49]
	s_waitcnt vmcnt(0) lgkmcnt(0)
	v_mul_f32_e32 v48, s24, v48
	s_branch .LBB20_318
.LBB20_317:
	v_mov_b32_e32 v48, 0
.LBB20_318:
	v_add_f32_e32 v49, v27, v39
	v_add_f32_e32 v50, v26, v38
	;; [unrolled: 1-line block ×4, first 2 shown]
	v_add_co_u32 v42, vcc_lo, v44, v42
	v_min3_f32 v49, v50, v49, v95
	v_add_co_ci_u32_e64 v43, null, v45, v43, vcc_lo
	v_min_f32_e32 v50, v52, v51
	v_min3_f32 v48, v48, v50, v49
	flat_store_dword v[42:43], v48
	s_or_b32 exec_lo, exec_lo, s12
	s_and_b32 s17, s3, s8
	s_and_saveexec_b32 s12, s17
	s_cbranch_execz .LBB20_303
.LBB20_319:
	v_cmp_ne_u32_e32 vcc_lo, 1, v123
	v_lshlrev_b64 v[42:43], 2, v[70:71]
	s_cbranch_vccnz .LBB20_321
; %bb.320:
	v_add_co_u32 v48, vcc_lo, v46, v42
	v_add_co_ci_u32_e64 v49, null, v47, v43, vcc_lo
	flat_load_dword v48, v[48:49]
	s_waitcnt vmcnt(0) lgkmcnt(0)
	v_mul_f32_e32 v48, s24, v48
	s_branch .LBB20_322
.LBB20_321:
	v_mov_b32_e32 v48, 0
.LBB20_322:
	v_add_f32_e32 v49, v23, v39
	v_add_f32_e32 v50, v22, v38
	v_add_f32_e32 v51, v25, v41
	v_add_f32_e32 v52, v24, v40
	v_add_co_u32 v42, vcc_lo, v44, v42
	v_min3_f32 v49, v50, v49, v94
	v_add_co_ci_u32_e64 v43, null, v45, v43, vcc_lo
	v_min_f32_e32 v50, v52, v51
	v_min3_f32 v48, v48, v50, v49
	flat_store_dword v[42:43], v48
	s_or_b32 exec_lo, exec_lo, s12
	s_and_b32 s17, s4, s8
	s_and_saveexec_b32 s12, s17
	s_cbranch_execz .LBB20_304
.LBB20_323:
	v_cmp_ne_u32_e32 vcc_lo, 1, v123
	v_lshlrev_b64 v[42:43], 2, v[72:73]
	s_cbranch_vccnz .LBB20_325
; %bb.324:
	v_add_co_u32 v48, vcc_lo, v46, v42
	v_add_co_ci_u32_e64 v49, null, v47, v43, vcc_lo
	flat_load_dword v48, v[48:49]
	s_waitcnt vmcnt(0) lgkmcnt(0)
	v_mul_f32_e32 v48, s24, v48
	s_branch .LBB20_326
.LBB20_325:
	v_mov_b32_e32 v48, 0
.LBB20_326:
	v_add_f32_e32 v49, v19, v39
	v_add_f32_e32 v50, v18, v38
	;; [unrolled: 1-line block ×4, first 2 shown]
	v_add_co_u32 v42, vcc_lo, v44, v42
	v_min3_f32 v49, v50, v49, v93
	v_add_co_ci_u32_e64 v43, null, v45, v43, vcc_lo
	v_min_f32_e32 v50, v52, v51
	v_min3_f32 v48, v48, v50, v49
	flat_store_dword v[42:43], v48
	s_or_b32 exec_lo, exec_lo, s12
	s_and_b32 s17, s5, s8
	s_and_saveexec_b32 s12, s17
	s_cbranch_execz .LBB20_305
.LBB20_327:
	v_cmp_ne_u32_e32 vcc_lo, 1, v123
	v_lshlrev_b64 v[42:43], 2, v[74:75]
	s_cbranch_vccnz .LBB20_329
; %bb.328:
	v_add_co_u32 v48, vcc_lo, v46, v42
	v_add_co_ci_u32_e64 v49, null, v47, v43, vcc_lo
	flat_load_dword v48, v[48:49]
	s_waitcnt vmcnt(0) lgkmcnt(0)
	v_mul_f32_e32 v48, s24, v48
	s_branch .LBB20_330
.LBB20_329:
	v_mov_b32_e32 v48, 0
.LBB20_330:
	v_add_f32_e32 v49, v15, v39
	v_add_f32_e32 v50, v14, v38
	;; [unrolled: 1-line block ×4, first 2 shown]
	v_add_co_u32 v42, vcc_lo, v44, v42
	v_min3_f32 v49, v50, v49, v91
	v_add_co_ci_u32_e64 v43, null, v45, v43, vcc_lo
	v_min_f32_e32 v50, v52, v51
	v_min3_f32 v48, v48, v50, v49
	flat_store_dword v[42:43], v48
	s_or_b32 exec_lo, exec_lo, s12
	s_and_b32 s17, s6, s8
	s_and_saveexec_b32 s12, s17
	s_cbranch_execz .LBB20_306
.LBB20_331:
	v_cmp_ne_u32_e32 vcc_lo, 1, v123
	v_lshlrev_b64 v[42:43], 2, v[76:77]
	s_cbranch_vccnz .LBB20_333
; %bb.332:
	v_add_co_u32 v48, vcc_lo, v46, v42
	v_add_co_ci_u32_e64 v49, null, v47, v43, vcc_lo
	flat_load_dword v48, v[48:49]
	s_waitcnt vmcnt(0) lgkmcnt(0)
	v_mul_f32_e32 v48, s24, v48
	s_branch .LBB20_334
.LBB20_333:
	v_mov_b32_e32 v48, 0
.LBB20_334:
	v_add_f32_e32 v49, v11, v39
	v_add_f32_e32 v50, v10, v38
	;; [unrolled: 1-line block ×4, first 2 shown]
	v_add_co_u32 v42, vcc_lo, v44, v42
	v_min3_f32 v49, v50, v49, v90
	v_add_co_ci_u32_e64 v43, null, v45, v43, vcc_lo
	v_min_f32_e32 v50, v52, v51
	v_min3_f32 v48, v48, v50, v49
	flat_store_dword v[42:43], v48
	s_or_b32 exec_lo, exec_lo, s12
	s_and_b32 s12, s7, s8
	s_and_saveexec_b32 s8, s12
	s_cbranch_execz .LBB20_339
.LBB20_335:
	v_cmp_ne_u32_e32 vcc_lo, 1, v123
	v_lshlrev_b64 v[42:43], 2, v[78:79]
	s_cbranch_vccnz .LBB20_337
; %bb.336:
	v_add_co_u32 v46, vcc_lo, v46, v42
	v_add_co_ci_u32_e64 v47, null, v47, v43, vcc_lo
	flat_load_dword v46, v[46:47]
	s_waitcnt vmcnt(0) lgkmcnt(0)
	v_mul_f32_e32 v46, s24, v46
	s_branch .LBB20_338
.LBB20_337:
	v_mov_b32_e32 v46, 0
.LBB20_338:
	v_add_f32_e32 v39, v3, v39
	v_add_f32_e32 v38, v2, v38
	;; [unrolled: 1-line block ×4, first 2 shown]
	v_min3_f32 v38, v38, v39, v89
	v_min_f32_e32 v39, v40, v41
	v_min3_f32 v40, v46, v39, v38
	v_add_co_u32 v38, vcc_lo, v44, v42
	v_add_co_ci_u32_e64 v39, null, v45, v43, vcc_lo
	flat_store_dword v[38:39], v40
.LBB20_339:
	s_or_b32 exec_lo, exec_lo, s8
	v_add_nc_u32_e32 v42, 0xe0, v132
	v_mad_i64_i32 v[38:39], null, v42, s14, 0
	v_mad_i64_i32 v[40:41], null, v42, s9, 0
	v_cmp_gt_i32_e64 s8, s13, v42
	v_lshlrev_b64 v[38:39], 2, v[38:39]
	s_and_b32 s9, s0, s8
	v_lshlrev_b64 v[42:43], 2, v[40:41]
	v_add_co_u32 v40, vcc_lo, s10, v38
	v_add_co_ci_u32_e64 v41, null, s11, v39, vcc_lo
	v_add_co_u32 v38, vcc_lo, s15, v42
	v_add_co_ci_u32_e64 v39, null, s16, v43, vcc_lo
	s_and_saveexec_b32 s0, s9
	s_cbranch_execnz .LBB20_348
; %bb.340:
	s_or_b32 exec_lo, exec_lo, s0
	s_and_b32 s1, s1, s8
	s_and_saveexec_b32 s0, s1
	s_cbranch_execnz .LBB20_352
.LBB20_341:
	s_or_b32 exec_lo, exec_lo, s0
	s_and_b32 s1, s2, s8
	s_and_saveexec_b32 s0, s1
	s_cbranch_execnz .LBB20_356
.LBB20_342:
	s_or_b32 exec_lo, exec_lo, s0
	s_and_b32 s1, s3, s8
	s_and_saveexec_b32 s0, s1
	s_cbranch_execnz .LBB20_360
.LBB20_343:
	s_or_b32 exec_lo, exec_lo, s0
	s_and_b32 s1, s4, s8
	s_and_saveexec_b32 s0, s1
	s_cbranch_execnz .LBB20_364
.LBB20_344:
	s_or_b32 exec_lo, exec_lo, s0
	s_and_b32 s1, s5, s8
	s_and_saveexec_b32 s0, s1
	s_cbranch_execnz .LBB20_368
.LBB20_345:
	s_or_b32 exec_lo, exec_lo, s0
	s_and_b32 s1, s6, s8
	s_and_saveexec_b32 s0, s1
	s_cbranch_execnz .LBB20_372
.LBB20_346:
	s_or_b32 exec_lo, exec_lo, s0
	s_and_b32 s0, s7, s8
	s_and_saveexec_b32 s1, s0
	s_cbranch_execnz .LBB20_376
.LBB20_347:
	s_endpgm
.LBB20_348:
	v_cmp_ne_u32_e32 vcc_lo, 1, v123
	v_lshlrev_b64 v[0:1], 2, v[0:1]
	s_cbranch_vccnz .LBB20_350
; %bb.349:
	v_add_co_u32 v42, vcc_lo, v40, v0
	v_add_co_ci_u32_e64 v43, null, v41, v1, vcc_lo
	flat_load_dword v42, v[42:43]
	s_waitcnt vmcnt(0) lgkmcnt(0)
	v_mul_f32_e32 v42, s24, v42
	s_branch .LBB20_351
.LBB20_350:
	v_mov_b32_e32 v42, 0
.LBB20_351:
	v_add_f32_e32 v35, v35, v7
	v_add_f32_e32 v34, v34, v6
	;; [unrolled: 1-line block ×4, first 2 shown]
	v_add_co_u32 v0, vcc_lo, v38, v0
	v_min3_f32 v34, v34, v35, v88
	v_add_co_ci_u32_e64 v1, null, v39, v1, vcc_lo
	v_min_f32_e32 v35, v36, v37
	v_min3_f32 v34, v42, v35, v34
	flat_store_dword v[0:1], v34
	s_or_b32 exec_lo, exec_lo, s0
	s_and_b32 s1, s1, s8
	s_and_saveexec_b32 s0, s1
	s_cbranch_execz .LBB20_341
.LBB20_352:
	v_cmp_ne_u32_e32 vcc_lo, 1, v123
	v_lshlrev_b64 v[0:1], 2, v[66:67]
	s_cbranch_vccnz .LBB20_354
; %bb.353:
	v_add_co_u32 v34, vcc_lo, v40, v0
	v_add_co_ci_u32_e64 v35, null, v41, v1, vcc_lo
	flat_load_dword v34, v[34:35]
	s_waitcnt vmcnt(0) lgkmcnt(0)
	v_mul_f32_e32 v34, s24, v34
	s_branch .LBB20_355
.LBB20_354:
	v_mov_b32_e32 v34, 0
.LBB20_355:
	v_add_f32_e32 v31, v31, v7
	v_add_f32_e32 v30, v30, v6
	;; [unrolled: 1-line block ×4, first 2 shown]
	v_add_co_u32 v0, vcc_lo, v38, v0
	v_min3_f32 v30, v30, v31, v87
	v_add_co_ci_u32_e64 v1, null, v39, v1, vcc_lo
	v_min_f32_e32 v31, v32, v33
	v_min3_f32 v30, v34, v31, v30
	flat_store_dword v[0:1], v30
	s_or_b32 exec_lo, exec_lo, s0
	s_and_b32 s1, s2, s8
	s_and_saveexec_b32 s0, s1
	s_cbranch_execz .LBB20_342
.LBB20_356:
	v_cmp_ne_u32_e32 vcc_lo, 1, v123
	v_lshlrev_b64 v[0:1], 2, v[68:69]
	s_cbranch_vccnz .LBB20_358
; %bb.357:
	v_add_co_u32 v30, vcc_lo, v40, v0
	v_add_co_ci_u32_e64 v31, null, v41, v1, vcc_lo
	flat_load_dword v30, v[30:31]
	s_waitcnt vmcnt(0) lgkmcnt(0)
	v_mul_f32_e32 v30, s24, v30
	s_branch .LBB20_359
.LBB20_358:
	v_mov_b32_e32 v30, 0
.LBB20_359:
	v_add_f32_e32 v27, v27, v7
	v_add_f32_e32 v26, v26, v6
	;; [unrolled: 1-line block ×4, first 2 shown]
	v_add_co_u32 v0, vcc_lo, v38, v0
	v_min3_f32 v26, v26, v27, v86
	v_add_co_ci_u32_e64 v1, null, v39, v1, vcc_lo
	v_min_f32_e32 v27, v28, v29
	v_min3_f32 v26, v30, v27, v26
	flat_store_dword v[0:1], v26
	s_or_b32 exec_lo, exec_lo, s0
	s_and_b32 s1, s3, s8
	s_and_saveexec_b32 s0, s1
	s_cbranch_execz .LBB20_343
.LBB20_360:
	v_cmp_ne_u32_e32 vcc_lo, 1, v123
	v_lshlrev_b64 v[0:1], 2, v[70:71]
	s_cbranch_vccnz .LBB20_362
; %bb.361:
	v_add_co_u32 v26, vcc_lo, v40, v0
	v_add_co_ci_u32_e64 v27, null, v41, v1, vcc_lo
	flat_load_dword v26, v[26:27]
	s_waitcnt vmcnt(0) lgkmcnt(0)
	v_mul_f32_e32 v26, s24, v26
	s_branch .LBB20_363
.LBB20_362:
	v_mov_b32_e32 v26, 0
.LBB20_363:
	v_add_f32_e32 v23, v23, v7
	v_add_f32_e32 v22, v22, v6
	v_add_f32_e32 v25, v25, v9
	v_add_f32_e32 v24, v24, v8
	v_add_co_u32 v0, vcc_lo, v38, v0
	v_min3_f32 v22, v22, v23, v85
	v_add_co_ci_u32_e64 v1, null, v39, v1, vcc_lo
	v_min_f32_e32 v23, v24, v25
	v_min3_f32 v22, v26, v23, v22
	flat_store_dword v[0:1], v22
	s_or_b32 exec_lo, exec_lo, s0
	s_and_b32 s1, s4, s8
	s_and_saveexec_b32 s0, s1
	s_cbranch_execz .LBB20_344
.LBB20_364:
	v_cmp_ne_u32_e32 vcc_lo, 1, v123
	v_lshlrev_b64 v[0:1], 2, v[72:73]
	s_cbranch_vccnz .LBB20_366
; %bb.365:
	v_add_co_u32 v22, vcc_lo, v40, v0
	v_add_co_ci_u32_e64 v23, null, v41, v1, vcc_lo
	flat_load_dword v22, v[22:23]
	s_waitcnt vmcnt(0) lgkmcnt(0)
	v_mul_f32_e32 v22, s24, v22
	s_branch .LBB20_367
.LBB20_366:
	v_mov_b32_e32 v22, 0
.LBB20_367:
	v_add_f32_e32 v19, v19, v7
	v_add_f32_e32 v18, v18, v6
	;; [unrolled: 1-line block ×4, first 2 shown]
	v_add_co_u32 v0, vcc_lo, v38, v0
	v_min3_f32 v18, v18, v19, v84
	v_add_co_ci_u32_e64 v1, null, v39, v1, vcc_lo
	v_min_f32_e32 v19, v20, v21
	v_min3_f32 v18, v22, v19, v18
	flat_store_dword v[0:1], v18
	s_or_b32 exec_lo, exec_lo, s0
	s_and_b32 s1, s5, s8
	s_and_saveexec_b32 s0, s1
	s_cbranch_execz .LBB20_345
.LBB20_368:
	v_cmp_ne_u32_e32 vcc_lo, 1, v123
	v_lshlrev_b64 v[0:1], 2, v[74:75]
	s_cbranch_vccnz .LBB20_370
; %bb.369:
	v_add_co_u32 v18, vcc_lo, v40, v0
	v_add_co_ci_u32_e64 v19, null, v41, v1, vcc_lo
	flat_load_dword v18, v[18:19]
	s_waitcnt vmcnt(0) lgkmcnt(0)
	v_mul_f32_e32 v18, s24, v18
	s_branch .LBB20_371
.LBB20_370:
	v_mov_b32_e32 v18, 0
.LBB20_371:
	v_add_f32_e32 v15, v15, v7
	v_add_f32_e32 v14, v14, v6
	;; [unrolled: 1-line block ×4, first 2 shown]
	v_add_co_u32 v0, vcc_lo, v38, v0
	v_min3_f32 v14, v14, v15, v83
	v_add_co_ci_u32_e64 v1, null, v39, v1, vcc_lo
	v_min_f32_e32 v15, v16, v17
	v_min3_f32 v14, v18, v15, v14
	flat_store_dword v[0:1], v14
	s_or_b32 exec_lo, exec_lo, s0
	s_and_b32 s1, s6, s8
	s_and_saveexec_b32 s0, s1
	s_cbranch_execz .LBB20_346
.LBB20_372:
	v_cmp_ne_u32_e32 vcc_lo, 1, v123
	v_lshlrev_b64 v[0:1], 2, v[76:77]
	s_cbranch_vccnz .LBB20_374
; %bb.373:
	v_add_co_u32 v14, vcc_lo, v40, v0
	v_add_co_ci_u32_e64 v15, null, v41, v1, vcc_lo
	flat_load_dword v14, v[14:15]
	s_waitcnt vmcnt(0) lgkmcnt(0)
	v_mul_f32_e32 v14, s24, v14
	s_branch .LBB20_375
.LBB20_374:
	v_mov_b32_e32 v14, 0
.LBB20_375:
	v_add_f32_e32 v11, v11, v7
	v_add_f32_e32 v10, v10, v6
	;; [unrolled: 1-line block ×4, first 2 shown]
	v_add_co_u32 v0, vcc_lo, v38, v0
	v_min3_f32 v10, v10, v11, v82
	v_add_co_ci_u32_e64 v1, null, v39, v1, vcc_lo
	v_min_f32_e32 v11, v12, v13
	v_min3_f32 v10, v14, v11, v10
	flat_store_dword v[0:1], v10
	s_or_b32 exec_lo, exec_lo, s0
	s_and_b32 s0, s7, s8
	s_and_saveexec_b32 s1, s0
	s_cbranch_execz .LBB20_347
.LBB20_376:
	v_cmp_ne_u32_e32 vcc_lo, 1, v123
	v_lshlrev_b64 v[0:1], 2, v[78:79]
	s_cbranch_vccnz .LBB20_378
; %bb.377:
	v_add_co_u32 v10, vcc_lo, v40, v0
	v_add_co_ci_u32_e64 v11, null, v41, v1, vcc_lo
	flat_load_dword v10, v[10:11]
	s_waitcnt vmcnt(0) lgkmcnt(0)
	v_mul_f32_e32 v10, s24, v10
	s_branch .LBB20_379
.LBB20_378:
	v_mov_b32_e32 v10, 0
.LBB20_379:
	v_add_f32_e32 v3, v3, v7
	v_add_f32_e32 v2, v2, v6
	;; [unrolled: 1-line block ×4, first 2 shown]
	v_add_co_u32 v0, vcc_lo, v38, v0
	v_min3_f32 v2, v2, v3, v92
	v_add_co_ci_u32_e64 v1, null, v39, v1, vcc_lo
	v_min_f32_e32 v3, v4, v5
	v_min3_f32 v2, v10, v3, v2
	flat_store_dword v[0:1], v2
	s_endpgm
	.section	.rodata,"a",@progbits
	.p2align	6, 0x0
	.amdhsa_kernel _ZN12_GLOBAL__N_120geam_min_plus_kernelIf15HIP_vector_typeIfLj2EEfLi8ELi32ELi64ELi256ELi4ELi64ELi4ELi64ELi4ELc78ELc84ELb0ELb1ELb1EfKPKfKPfEEviiiT16_PT17_ilSA_ilS8_SA_ilPT18_ili26rocblas_geam_ex_operation_
		.amdhsa_group_segment_fixed_size 10240
		.amdhsa_private_segment_fixed_size 0
		.amdhsa_kernarg_size 128
		.amdhsa_user_sgpr_count 6
		.amdhsa_user_sgpr_private_segment_buffer 1
		.amdhsa_user_sgpr_dispatch_ptr 0
		.amdhsa_user_sgpr_queue_ptr 0
		.amdhsa_user_sgpr_kernarg_segment_ptr 1
		.amdhsa_user_sgpr_dispatch_id 0
		.amdhsa_user_sgpr_flat_scratch_init 0
		.amdhsa_user_sgpr_private_segment_size 0
		.amdhsa_wavefront_size32 1
		.amdhsa_uses_dynamic_stack 0
		.amdhsa_system_sgpr_private_segment_wavefront_offset 0
		.amdhsa_system_sgpr_workgroup_id_x 1
		.amdhsa_system_sgpr_workgroup_id_y 0
		.amdhsa_system_sgpr_workgroup_id_z 1
		.amdhsa_system_sgpr_workgroup_info 0
		.amdhsa_system_vgpr_workitem_id 1
		.amdhsa_next_free_vgpr 159
		.amdhsa_next_free_sgpr 31
		.amdhsa_reserve_vcc 1
		.amdhsa_reserve_flat_scratch 0
		.amdhsa_float_round_mode_32 0
		.amdhsa_float_round_mode_16_64 0
		.amdhsa_float_denorm_mode_32 3
		.amdhsa_float_denorm_mode_16_64 3
		.amdhsa_dx10_clamp 1
		.amdhsa_ieee_mode 1
		.amdhsa_fp16_overflow 0
		.amdhsa_workgroup_processor_mode 1
		.amdhsa_memory_ordered 1
		.amdhsa_forward_progress 1
		.amdhsa_shared_vgpr_count 0
		.amdhsa_exception_fp_ieee_invalid_op 0
		.amdhsa_exception_fp_denorm_src 0
		.amdhsa_exception_fp_ieee_div_zero 0
		.amdhsa_exception_fp_ieee_overflow 0
		.amdhsa_exception_fp_ieee_underflow 0
		.amdhsa_exception_fp_ieee_inexact 0
		.amdhsa_exception_int_div_zero 0
	.end_amdhsa_kernel
	.section	.text._ZN12_GLOBAL__N_120geam_min_plus_kernelIf15HIP_vector_typeIfLj2EEfLi8ELi32ELi64ELi256ELi4ELi64ELi4ELi64ELi4ELc78ELc84ELb0ELb1ELb1EfKPKfKPfEEviiiT16_PT17_ilSA_ilS8_SA_ilPT18_ili26rocblas_geam_ex_operation_,"axG",@progbits,_ZN12_GLOBAL__N_120geam_min_plus_kernelIf15HIP_vector_typeIfLj2EEfLi8ELi32ELi64ELi256ELi4ELi64ELi4ELi64ELi4ELc78ELc84ELb0ELb1ELb1EfKPKfKPfEEviiiT16_PT17_ilSA_ilS8_SA_ilPT18_ili26rocblas_geam_ex_operation_,comdat
.Lfunc_end20:
	.size	_ZN12_GLOBAL__N_120geam_min_plus_kernelIf15HIP_vector_typeIfLj2EEfLi8ELi32ELi64ELi256ELi4ELi64ELi4ELi64ELi4ELc78ELc84ELb0ELb1ELb1EfKPKfKPfEEviiiT16_PT17_ilSA_ilS8_SA_ilPT18_ili26rocblas_geam_ex_operation_, .Lfunc_end20-_ZN12_GLOBAL__N_120geam_min_plus_kernelIf15HIP_vector_typeIfLj2EEfLi8ELi32ELi64ELi256ELi4ELi64ELi4ELi64ELi4ELc78ELc84ELb0ELb1ELb1EfKPKfKPfEEviiiT16_PT17_ilSA_ilS8_SA_ilPT18_ili26rocblas_geam_ex_operation_
                                        ; -- End function
	.set _ZN12_GLOBAL__N_120geam_min_plus_kernelIf15HIP_vector_typeIfLj2EEfLi8ELi32ELi64ELi256ELi4ELi64ELi4ELi64ELi4ELc78ELc84ELb0ELb1ELb1EfKPKfKPfEEviiiT16_PT17_ilSA_ilS8_SA_ilPT18_ili26rocblas_geam_ex_operation_.num_vgpr, 159
	.set _ZN12_GLOBAL__N_120geam_min_plus_kernelIf15HIP_vector_typeIfLj2EEfLi8ELi32ELi64ELi256ELi4ELi64ELi4ELi64ELi4ELc78ELc84ELb0ELb1ELb1EfKPKfKPfEEviiiT16_PT17_ilSA_ilS8_SA_ilPT18_ili26rocblas_geam_ex_operation_.num_agpr, 0
	.set _ZN12_GLOBAL__N_120geam_min_plus_kernelIf15HIP_vector_typeIfLj2EEfLi8ELi32ELi64ELi256ELi4ELi64ELi4ELi64ELi4ELc78ELc84ELb0ELb1ELb1EfKPKfKPfEEviiiT16_PT17_ilSA_ilS8_SA_ilPT18_ili26rocblas_geam_ex_operation_.numbered_sgpr, 31
	.set _ZN12_GLOBAL__N_120geam_min_plus_kernelIf15HIP_vector_typeIfLj2EEfLi8ELi32ELi64ELi256ELi4ELi64ELi4ELi64ELi4ELc78ELc84ELb0ELb1ELb1EfKPKfKPfEEviiiT16_PT17_ilSA_ilS8_SA_ilPT18_ili26rocblas_geam_ex_operation_.num_named_barrier, 0
	.set _ZN12_GLOBAL__N_120geam_min_plus_kernelIf15HIP_vector_typeIfLj2EEfLi8ELi32ELi64ELi256ELi4ELi64ELi4ELi64ELi4ELc78ELc84ELb0ELb1ELb1EfKPKfKPfEEviiiT16_PT17_ilSA_ilS8_SA_ilPT18_ili26rocblas_geam_ex_operation_.private_seg_size, 0
	.set _ZN12_GLOBAL__N_120geam_min_plus_kernelIf15HIP_vector_typeIfLj2EEfLi8ELi32ELi64ELi256ELi4ELi64ELi4ELi64ELi4ELc78ELc84ELb0ELb1ELb1EfKPKfKPfEEviiiT16_PT17_ilSA_ilS8_SA_ilPT18_ili26rocblas_geam_ex_operation_.uses_vcc, 1
	.set _ZN12_GLOBAL__N_120geam_min_plus_kernelIf15HIP_vector_typeIfLj2EEfLi8ELi32ELi64ELi256ELi4ELi64ELi4ELi64ELi4ELc78ELc84ELb0ELb1ELb1EfKPKfKPfEEviiiT16_PT17_ilSA_ilS8_SA_ilPT18_ili26rocblas_geam_ex_operation_.uses_flat_scratch, 0
	.set _ZN12_GLOBAL__N_120geam_min_plus_kernelIf15HIP_vector_typeIfLj2EEfLi8ELi32ELi64ELi256ELi4ELi64ELi4ELi64ELi4ELc78ELc84ELb0ELb1ELb1EfKPKfKPfEEviiiT16_PT17_ilSA_ilS8_SA_ilPT18_ili26rocblas_geam_ex_operation_.has_dyn_sized_stack, 0
	.set _ZN12_GLOBAL__N_120geam_min_plus_kernelIf15HIP_vector_typeIfLj2EEfLi8ELi32ELi64ELi256ELi4ELi64ELi4ELi64ELi4ELc78ELc84ELb0ELb1ELb1EfKPKfKPfEEviiiT16_PT17_ilSA_ilS8_SA_ilPT18_ili26rocblas_geam_ex_operation_.has_recursion, 0
	.set _ZN12_GLOBAL__N_120geam_min_plus_kernelIf15HIP_vector_typeIfLj2EEfLi8ELi32ELi64ELi256ELi4ELi64ELi4ELi64ELi4ELc78ELc84ELb0ELb1ELb1EfKPKfKPfEEviiiT16_PT17_ilSA_ilS8_SA_ilPT18_ili26rocblas_geam_ex_operation_.has_indirect_call, 0
	.section	.AMDGPU.csdata,"",@progbits
; Kernel info:
; codeLenInByte = 19680
; TotalNumSgprs: 33
; NumVgprs: 159
; ScratchSize: 0
; MemoryBound: 0
; FloatMode: 240
; IeeeMode: 1
; LDSByteSize: 10240 bytes/workgroup (compile time only)
; SGPRBlocks: 0
; VGPRBlocks: 19
; NumSGPRsForWavesPerEU: 33
; NumVGPRsForWavesPerEU: 159
; Occupancy: 6
; WaveLimiterHint : 1
; COMPUTE_PGM_RSRC2:SCRATCH_EN: 0
; COMPUTE_PGM_RSRC2:USER_SGPR: 6
; COMPUTE_PGM_RSRC2:TRAP_HANDLER: 0
; COMPUTE_PGM_RSRC2:TGID_X_EN: 1
; COMPUTE_PGM_RSRC2:TGID_Y_EN: 0
; COMPUTE_PGM_RSRC2:TGID_Z_EN: 1
; COMPUTE_PGM_RSRC2:TIDIG_COMP_CNT: 1
	.section	.text._ZN12_GLOBAL__N_120geam_min_plus_kernelIf15HIP_vector_typeIfLj2EEfLi8ELi32ELi64ELi256ELi4ELi4ELi64ELi64ELi4ELc84ELc84ELb0ELb0ELb1EPKfKS4_KPfEEviiiT16_PT17_ilSA_ilS8_SA_ilPT18_ili26rocblas_geam_ex_operation_,"axG",@progbits,_ZN12_GLOBAL__N_120geam_min_plus_kernelIf15HIP_vector_typeIfLj2EEfLi8ELi32ELi64ELi256ELi4ELi4ELi64ELi64ELi4ELc84ELc84ELb0ELb0ELb1EPKfKS4_KPfEEviiiT16_PT17_ilSA_ilS8_SA_ilPT18_ili26rocblas_geam_ex_operation_,comdat
	.globl	_ZN12_GLOBAL__N_120geam_min_plus_kernelIf15HIP_vector_typeIfLj2EEfLi8ELi32ELi64ELi256ELi4ELi4ELi64ELi64ELi4ELc84ELc84ELb0ELb0ELb1EPKfKS4_KPfEEviiiT16_PT17_ilSA_ilS8_SA_ilPT18_ili26rocblas_geam_ex_operation_ ; -- Begin function _ZN12_GLOBAL__N_120geam_min_plus_kernelIf15HIP_vector_typeIfLj2EEfLi8ELi32ELi64ELi256ELi4ELi4ELi64ELi64ELi4ELc84ELc84ELb0ELb0ELb1EPKfKS4_KPfEEviiiT16_PT17_ilSA_ilS8_SA_ilPT18_ili26rocblas_geam_ex_operation_
	.p2align	8
	.type	_ZN12_GLOBAL__N_120geam_min_plus_kernelIf15HIP_vector_typeIfLj2EEfLi8ELi32ELi64ELi256ELi4ELi4ELi64ELi64ELi4ELc84ELc84ELb0ELb0ELb1EPKfKS4_KPfEEviiiT16_PT17_ilSA_ilS8_SA_ilPT18_ili26rocblas_geam_ex_operation_,@function
_ZN12_GLOBAL__N_120geam_min_plus_kernelIf15HIP_vector_typeIfLj2EEfLi8ELi32ELi64ELi256ELi4ELi4ELi64ELi64ELi4ELc84ELc84ELb0ELb0ELb1EPKfKS4_KPfEEviiiT16_PT17_ilSA_ilS8_SA_ilPT18_ili26rocblas_geam_ex_operation_: ; @_ZN12_GLOBAL__N_120geam_min_plus_kernelIf15HIP_vector_typeIfLj2EEfLi8ELi32ELi64ELi256ELi4ELi4ELi64ELi64ELi4ELc84ELc84ELb0ELb0ELb1EPKfKS4_KPfEEviiiT16_PT17_ilSA_ilS8_SA_ilPT18_ili26rocblas_geam_ex_operation_
; %bb.0:
	s_clause 0x1
	s_load_dwordx4 s[0:3], s[4:5], 0x10
	s_load_dwordx4 s[8:11], s[4:5], 0x28
	s_mov_b32 s18, s7
	s_mov_b32 s19, 0
	s_lshl_b64 s[16:17], s[18:19], 2
	s_waitcnt lgkmcnt(0)
	s_add_u32 s0, s0, s16
	s_addc_u32 s1, s1, s17
	s_load_dword s24, s[0:1], 0x0
	s_clause 0x1
	s_load_dwordx4 s[12:15], s[4:5], 0x40
	s_load_dwordx2 s[20:21], s[4:5], 0x50
	s_waitcnt lgkmcnt(0)
	v_cmp_eq_f32_e64 s1, s24, 0
	s_add_u32 s22, s14, s16
	v_cmp_neq_f32_e64 s0, s24, 0
	s_addc_u32 s23, s15, s17
	s_mov_b64 s[14:15], 0
	s_and_b32 s1, exec_lo, s1
	s_mov_b64 s[16:17], 0
	s_mov_b32 vcc_lo, s1
	s_cbranch_vccnz .LBB21_2
; %bb.1:
	s_lshl_b64 s[16:17], s[18:19], 3
	s_add_u32 s2, s2, s16
	s_addc_u32 s3, s3, s17
	s_lshl_b64 s[8:9], s[8:9], 2
	s_load_dwordx2 s[2:3], s[2:3], 0x0
	s_waitcnt lgkmcnt(0)
	s_add_u32 s16, s2, s8
	s_addc_u32 s17, s3, s9
.LBB21_2:
	s_load_dword s3, s[22:23], 0x0
	v_cndmask_b32_e64 v2, 0, 1, s0
	s_andn2_b32 vcc_lo, exec_lo, s0
	v_cmp_ne_u32_e64 s2, 1, v2
	s_cbranch_vccnz .LBB21_4
; %bb.3:
	s_lshl_b64 s[8:9], s[18:19], 3
	s_add_u32 s8, s10, s8
	s_addc_u32 s9, s11, s9
	s_lshl_b64 s[10:11], s[12:13], 2
	s_load_dwordx2 s[8:9], s[8:9], 0x0
	s_waitcnt lgkmcnt(0)
	s_add_u32 s14, s8, s10
	s_addc_u32 s15, s9, s11
.LBB21_4:
	s_load_dwordx4 s[8:11], s[4:5], 0x60
	s_waitcnt lgkmcnt(0)
	v_cmp_eq_f32_e64 s0, s3, 0
	s_and_b32 s0, exec_lo, s0
	s_mov_b32 vcc_lo, s0
	s_cbranch_vccnz .LBB21_6
; %bb.5:
	s_lshl_b64 s[12:13], s[18:19], 3
	s_add_u32 s12, s20, s12
	s_addc_u32 s13, s21, s13
	s_lshl_b64 s[8:9], s[8:9], 2
	s_load_dwordx2 s[12:13], s[12:13], 0x0
	s_waitcnt lgkmcnt(0)
	s_add_u32 s8, s12, s8
	s_addc_u32 s9, s13, s9
	s_branch .LBB21_7
.LBB21_6:
	s_mov_b64 s[8:9], 0
.LBB21_7:
	s_clause 0x1
	s_load_dword s20, s[4:5], 0x0
	s_load_dword s7, s[4:5], 0x20
	s_lshl_b64 s[12:13], s[18:19], 3
	v_and_b32_e32 v3, 3, v0
	s_add_u32 s10, s10, s12
	s_addc_u32 s11, s11, s13
	v_mov_b32_e32 v4, 0
	v_mov_b32_e32 v5, 0
	v_lshlrev_b32_e32 v66, 2, v3
	s_waitcnt lgkmcnt(0)
	s_add_i32 s12, s20, -1
	s_ashr_i32 s13, s12, 31
	s_lshr_b32 s13, s13, 26
	s_add_i32 s12, s12, s13
	s_ashr_i32 s12, s12, 6
	s_add_i32 s18, s12, 1
	s_not_b32 s12, s12
	v_cvt_f32_u32_e32 v2, s18
	v_rcp_iflag_f32_e32 v2, v2
	v_mul_f32_e32 v2, 0x4f7ffffe, v2
	v_cvt_u32_f32_e32 v2, v2
	v_readfirstlane_b32 s13, v2
	v_lshl_add_u32 v2, v1, 3, v0
	s_mul_i32 s12, s12, s13
	v_lshrrev_b32_e32 v68, 2, v2
	s_mul_hi_u32 s12, s13, s12
	s_add_i32 s13, s13, s12
	s_mul_hi_u32 s12, s6, s13
	s_mul_i32 s13, s12, s18
	s_add_i32 s19, s12, 1
	s_sub_i32 s13, s6, s13
	s_sub_i32 s20, s13, s18
	s_cmp_ge_u32 s13, s18
	s_cselect_b32 s12, s19, s12
	s_cselect_b32 s13, s20, s13
	s_add_i32 s19, s12, 1
	s_cmp_ge_u32 s13, s18
	s_cselect_b32 s13, s19, s12
	s_and_b32 vcc_lo, exec_lo, s2
	s_mul_i32 s20, s13, s18
	s_sub_i32 s12, s6, s20
	s_lshl_b32 s18, s12, 6
	v_add_nc_u32_e32 v9, s18, v68
	s_cbranch_vccnz .LBB21_9
; %bb.8:
	v_mad_i64_i32 v[5:6], null, v9, s7, 0
	v_lshlrev_b64 v[5:6], 2, v[5:6]
	v_add_co_u32 v3, vcc_lo, s16, v5
	v_add_co_ci_u32_e64 v6, null, s17, v6, vcc_lo
	v_add_co_u32 v5, vcc_lo, v3, v66
	v_add_co_ci_u32_e64 v6, null, 0, v6, vcc_lo
	flat_load_dword v3, v[5:6]
	s_waitcnt vmcnt(0) lgkmcnt(0)
	v_mul_f32_e32 v5, s24, v3
.LBB21_9:
	s_load_dword s12, s[4:5], 0x38
	v_lshrrev_b32_e32 v67, 6, v2
	v_and_b32_e32 v69, 63, v2
	s_lshl_b32 s19, s13, 8
	v_or_b32_e32 v2, s19, v69
	v_ashrrev_i32_e32 v3, 31, v2
	s_waitcnt lgkmcnt(0)
	v_mad_i64_i32 v[6:7], null, s12, v67, 0
	v_lshlrev_b64 v[6:7], 2, v[6:7]
	v_add_co_u32 v10, vcc_lo, s14, v6
	v_add_co_ci_u32_e64 v11, null, s15, v7, vcc_lo
	v_mov_b32_e32 v6, 0
	s_and_b32 vcc_lo, exec_lo, s2
	s_cbranch_vccnz .LBB21_11
; %bb.10:
	v_lshlrev_b64 v[6:7], 2, v[2:3]
	v_add_co_u32 v6, vcc_lo, v10, v6
	v_add_co_ci_u32_e64 v7, null, v11, v7, vcc_lo
	s_clause 0x1
	flat_load_dword v4, v[6:7]
	flat_load_dword v7, v[6:7] offset:256
	s_waitcnt vmcnt(1) lgkmcnt(1)
	v_mul_f32_e32 v6, s24, v4
	s_waitcnt vmcnt(0) lgkmcnt(0)
	v_mul_f32_e32 v4, s24, v7
.LBB21_11:
	v_mov_b32_e32 v7, 0
	s_ashr_i32 s13, s12, 31
	s_mov_b32 vcc_lo, s1
	s_cbranch_vccz .LBB21_13
; %bb.12:
	s_mov_b32 s21, 0
	v_mov_b32_e32 v8, s21
	s_cbranch_execz .LBB21_14
	s_branch .LBB21_15
.LBB21_13:
                                        ; implicit-def: $vgpr8
.LBB21_14:
	v_lshlrev_b64 v[7:8], 2, v[2:3]
	v_add_co_u32 v7, vcc_lo, v10, v7
	v_add_co_ci_u32_e64 v8, null, v11, v8, vcc_lo
	s_clause 0x1
	flat_load_dword v10, v[7:8] offset:512
	flat_load_dword v7, v[7:8] offset:768
	s_waitcnt vmcnt(1) lgkmcnt(1)
	v_mul_f32_e32 v8, s24, v10
	s_waitcnt vmcnt(0) lgkmcnt(0)
	v_mul_f32_e32 v7, s24, v7
.LBB21_15:
	v_mov_b32_e32 v70, 0
	v_mov_b32_e32 v71, 0
	s_and_b32 vcc_lo, exec_lo, s2
	s_cbranch_vccnz .LBB21_17
; %bb.16:
	v_mad_i64_i32 v[9:10], null, v9, s7, 0
	v_lshlrev_b64 v[9:10], 2, v[9:10]
	v_add_co_u32 v9, vcc_lo, s16, v9
	v_add_co_ci_u32_e64 v10, null, s17, v10, vcc_lo
	v_add_co_u32 v9, vcc_lo, v9, v66
	v_add_co_ci_u32_e64 v10, null, 0, v10, vcc_lo
	flat_load_dword v9, v[9:10] offset:16
	s_waitcnt vmcnt(0) lgkmcnt(0)
	v_mul_f32_e32 v71, s24, v9
.LBB21_17:
	v_add_nc_u32_e32 v9, 4, v67
	v_mov_b32_e32 v72, 0
	v_mad_i64_i32 v[9:10], null, s12, v9, 0
	v_lshlrev_b64 v[9:10], 2, v[9:10]
	v_add_co_u32 v9, vcc_lo, s14, v9
	v_add_co_ci_u32_e64 v10, null, s15, v10, vcc_lo
	s_and_b32 vcc_lo, exec_lo, s2
	s_cbranch_vccnz .LBB21_19
; %bb.18:
	v_lshlrev_b64 v[11:12], 2, v[2:3]
	v_add_co_u32 v11, vcc_lo, v9, v11
	v_add_co_ci_u32_e64 v12, null, v10, v12, vcc_lo
	s_clause 0x1
	flat_load_dword v13, v[11:12]
	flat_load_dword v11, v[11:12] offset:256
	s_waitcnt vmcnt(1) lgkmcnt(1)
	v_mul_f32_e32 v72, s24, v13
	s_waitcnt vmcnt(0) lgkmcnt(0)
	v_mul_f32_e32 v70, s24, v11
.LBB21_19:
	v_mov_b32_e32 v74, 0
	s_mov_b32 vcc_lo, s1
	s_cbranch_vccz .LBB21_21
; %bb.20:
	s_mov_b32 s21, 0
	v_mov_b32_e32 v75, s21
	s_cbranch_execz .LBB21_22
	s_branch .LBB21_23
.LBB21_21:
                                        ; implicit-def: $vgpr75
.LBB21_22:
	v_lshlrev_b64 v[2:3], 2, v[2:3]
	v_add_co_u32 v2, vcc_lo, v9, v2
	v_add_co_ci_u32_e64 v3, null, v10, v3, vcc_lo
	s_clause 0x1
	flat_load_dword v9, v[2:3] offset:512
	flat_load_dword v2, v[2:3] offset:768
	s_waitcnt vmcnt(1) lgkmcnt(1)
	v_mul_f32_e32 v75, s24, v9
	s_waitcnt vmcnt(0) lgkmcnt(0)
	v_mul_f32_e32 v74, s24, v2
.LBB21_23:
	v_lshlrev_b32_e32 v2, 4, v69
	v_lshl_or_b32 v73, v68, 4, v66
	v_lshlrev_b32_e32 v76, 4, v0
	s_load_dwordx2 s[10:11], s[10:11], 0x0
	s_load_dword s21, s[4:5], 0x8
	v_lshlrev_b32_e32 v77, 4, v1
	v_lshl_add_u32 v78, v67, 2, v2
	ds_write_b32 v73, v5 offset:8192
	ds_write2st64_b32 v78, v6, v4 offset1:4
	ds_write2st64_b32 v78, v8, v7 offset0:8 offset1:12
	s_waitcnt lgkmcnt(0)
	s_barrier
	buffer_gl0_inv
	ds_read_b128 v[34:37], v76 offset:8192
	ds_read_b128 v[30:33], v76 offset:8320
	ds_read_b128 v[26:29], v76 offset:8448
	ds_read_b128 v[18:21], v76 offset:8576
	ds_read_b128 v[14:17], v76 offset:8704
	ds_read_b128 v[10:13], v76 offset:8832
	ds_read_b128 v[6:9], v76 offset:8960
	ds_read_b128 v[2:5], v76 offset:9088
	ds_read_b128 v[62:65], v77
	ds_read_b128 v[58:61], v77 offset:512
	ds_read_b128 v[54:57], v77 offset:1024
	;; [unrolled: 1-line block ×7, first 2 shown]
	ds_write_b32 v73, v71 offset:9216
	ds_write2st64_b32 v78, v72, v70 offset0:16 offset1:20
	ds_write2st64_b32 v78, v75, v74 offset0:24 offset1:28
	s_waitcnt lgkmcnt(0)
	s_barrier
	buffer_gl0_inv
	s_cmp_lt_i32 s21, 9
	v_add_f32_e32 v79, v35, v63
	v_add_f32_e32 v80, v34, v62
	;; [unrolled: 1-line block ×3, first 2 shown]
	v_min3_f32 v79, v80, v79, 0x7f7fffff
	v_add_f32_e32 v80, v31, v63
	v_add_f32_e32 v122, v6, v38
	v_min3_f32 v115, v81, v80, 0x7f7fffff
	v_add_f32_e32 v80, v27, v63
	v_add_f32_e32 v81, v26, v62
	v_min3_f32 v116, v81, v80, 0x7f7fffff
	v_add_f32_e32 v80, v19, v63
	v_add_f32_e32 v81, v18, v62
	v_min3_f32 v117, v81, v80, 0x7f7fffff
	v_add_f32_e32 v80, v15, v63
	v_add_f32_e32 v81, v14, v62
	v_min3_f32 v118, v81, v80, 0x7f7fffff
	v_add_f32_e32 v80, v11, v63
	v_add_f32_e32 v81, v10, v62
	v_min3_f32 v119, v81, v80, 0x7f7fffff
	v_add_f32_e32 v80, v7, v63
	v_add_f32_e32 v81, v6, v62
	v_add_f32_e32 v63, v3, v63
	v_add_f32_e32 v62, v2, v62
	v_min3_f32 v120, v81, v80, 0x7f7fffff
	v_min3_f32 v121, v62, v63, 0x7f7fffff
	v_add_f32_e32 v62, v35, v59
	v_add_f32_e32 v63, v34, v58
	v_min3_f32 v114, v63, v62, 0x7f7fffff
	v_add_f32_e32 v62, v31, v59
	v_add_f32_e32 v63, v30, v58
	v_min3_f32 v113, v63, v62, 0x7f7fffff
	v_add_f32_e32 v62, v27, v59
	v_add_f32_e32 v63, v26, v58
	v_min3_f32 v112, v63, v62, 0x7f7fffff
	v_add_f32_e32 v62, v19, v59
	v_add_f32_e32 v63, v18, v58
	v_min3_f32 v111, v63, v62, 0x7f7fffff
	v_add_f32_e32 v62, v15, v59
	v_add_f32_e32 v63, v14, v58
	v_min3_f32 v110, v63, v62, 0x7f7fffff
	v_add_f32_e32 v62, v11, v59
	v_add_f32_e32 v63, v10, v58
	v_min3_f32 v109, v63, v62, 0x7f7fffff
	v_add_f32_e32 v62, v7, v59
	v_add_f32_e32 v63, v6, v58
	v_add_f32_e32 v59, v3, v59
	v_add_f32_e32 v58, v2, v58
	v_min3_f32 v108, v63, v62, 0x7f7fffff
	v_min3_f32 v107, v58, v59, 0x7f7fffff
	v_add_f32_e32 v58, v35, v55
	v_add_f32_e32 v59, v34, v54
	;; [unrolled: 24-line block ×5, first 2 shown]
	v_min3_f32 v82, v47, v46, 0x7f7fffff
	v_add_f32_e32 v46, v31, v43
	v_add_f32_e32 v47, v30, v42
	v_min3_f32 v81, v47, v46, 0x7f7fffff
	v_add_f32_e32 v46, v27, v43
	v_add_f32_e32 v47, v26, v42
	;; [unrolled: 3-line block ×6, first 2 shown]
	v_add_f32_e32 v43, v3, v43
	v_add_f32_e32 v42, v2, v42
	;; [unrolled: 1-line block ×3, first 2 shown]
	v_min3_f32 v58, v47, v46, 0x7f7fffff
	v_min3_f32 v55, v42, v43, 0x7f7fffff
	v_add_f32_e32 v42, v35, v39
	v_add_f32_e32 v43, v34, v38
	;; [unrolled: 1-line block ×4, first 2 shown]
	v_min3_f32 v54, v43, v42, 0x7f7fffff
	v_add_f32_e32 v42, v31, v39
	v_add_f32_e32 v43, v30, v38
	v_min3_f32 v34, v34, v35, 0x7f7fffff
	v_add_f32_e32 v31, v31, v23
	v_add_f32_e32 v30, v30, v22
	;; [unrolled: 3-line block ×9, first 2 shown]
	v_add_f32_e32 v38, v2, v38
	v_add_f32_e32 v2, v2, v22
	v_min3_f32 v14, v14, v15, 0x7f7fffff
	v_add_f32_e32 v11, v11, v23
	v_min3_f32 v43, v43, v42, 0x7f7fffff
	v_add_f32_e32 v42, v7, v39
	v_add_f32_e32 v39, v3, v39
	;; [unrolled: 1-line block ×5, first 2 shown]
	v_min3_f32 v42, v122, v42, 0x7f7fffff
	v_min3_f32 v38, v38, v39, 0x7f7fffff
	;; [unrolled: 1-line block ×4, first 2 shown]
	v_add_f32_e32 v3, v37, v65
	v_add_f32_e32 v7, v36, v64
	v_min3_f32 v10, v10, v11, 0x7f7fffff
	v_min3_f32 v143, v7, v3, v79
	v_add_f32_e32 v3, v33, v65
	v_add_f32_e32 v7, v32, v64
	v_min3_f32 v140, v7, v3, v115
	v_add_f32_e32 v3, v29, v65
	v_add_f32_e32 v7, v28, v64
	;; [unrolled: 3-line block ×55, first 2 shown]
	v_add_f32_e32 v4, v4, v24
	v_min3_f32 v87, v7, v3, v38
	v_add_f32_e32 v3, v37, v25
	v_add_f32_e32 v7, v36, v24
	v_min3_f32 v88, v7, v3, v34
	v_add_f32_e32 v3, v33, v25
	;; [unrolled: 3-line block ×8, first 2 shown]
	v_min3_f32 v84, v4, v3, v2
	s_cbranch_scc1 .LBB21_46
; %bb.24:
	v_lshl_add_u32 v2, s6, 6, v68
	s_lshl_b32 s6, s20, 6
	v_add_nc_u32_e32 v5, 8, v67
	v_add_nc_u32_e32 v4, s19, v69
	;; [unrolled: 1-line block ×3, first 2 shown]
	v_subrev_nc_u32_e32 v2, s6, v2
	v_add_nc_u32_e32 v139, 0x2000, v73
	v_mad_i64_i32 v[6:7], null, v5, s12, 0
	v_ashrrev_i32_e32 v5, 31, v4
	v_mad_i64_i32 v[2:3], null, s7, v2, 0
	v_mad_i64_i32 v[8:9], null, v8, s12, 0
	v_add_nc_u32_e32 v145, 0x2400, v73
	v_lshlrev_b64 v[70:71], 2, v[6:7]
	v_or_b32_e32 v144, 0x2000, v76
	v_or_b32_e32 v146, 0x1000, v78
	v_lshlrev_b64 v[2:3], 2, v[2:3]
	v_lshl_add_u32 v147, v0, 4, 0x2400
	v_lshlrev_b64 v[74:75], 2, v[8:9]
	v_lshl_or_b32 v148, v1, 4, 0x1000
	s_add_i32 s20, s21, -8
	s_lshl_b64 s[6:7], s[12:13], 5
	v_add_co_u32 v10, vcc_lo, v2, v66
	v_add_co_ci_u32_e64 v11, null, 0, v3, vcc_lo
	v_lshlrev_b64 v[2:3], 2, v[4:5]
	v_add_co_u32 v4, vcc_lo, s16, v10
	v_add_co_ci_u32_e64 v5, null, s17, v11, vcc_lo
	s_mov_b32 s12, 0
	v_add_co_u32 v72, vcc_lo, v4, 32
	v_add_co_ci_u32_e64 v73, null, 0, v5, vcc_lo
	v_add_co_u32 v149, vcc_lo, s14, v2
	v_add_co_ci_u32_e64 v150, null, s15, v3, vcc_lo
	s_mov_b32 s13, 0
	s_branch .LBB21_26
.LBB21_25:                              ;   in Loop: Header=BB21_26 Depth=1
	v_add_f32_e32 v3, v39, v67
	v_add_f32_e32 v4, v38, v66
	;; [unrolled: 1-line block ×6, first 2 shown]
	v_min3_f32 v143, v4, v3, v143
	v_add_f32_e32 v3, v27, v67
	v_min3_f32 v155, v155, v5, v140
	v_add_f32_e32 v4, v26, v66
	v_min3_f32 v156, v157, v156, v141
	v_add_f32_e32 v5, v23, v67
	v_add_f32_e32 v140, v22, v66
	v_add_f32_e32 v157, v19, v67
	;; [unrolled: 1-line block ×7, first 2 shown]
	v_min3_f32 v161, v4, v3, v79
	v_min3_f32 v141, v140, v5, v142
	v_add_f32_e32 v3, v39, v63
	v_add_f32_e32 v4, v38, v62
	v_min3_f32 v140, v66, v67, v135
	v_add_f32_e32 v5, v35, v63
	v_add_f32_e32 v66, v34, v62
	v_min3_f32 v137, v158, v157, v137
	v_min3_f32 v138, v160, v159, v138
	v_add_f32_e32 v67, v31, v63
	v_add_f32_e32 v79, v30, v62
	v_add_f32_e32 v142, v27, v63
	v_add_f32_e32 v157, v26, v62
	v_add_f32_e32 v158, v23, v63
	v_add_f32_e32 v159, v22, v62
	v_min3_f32 v136, v4, v3, v136
	v_min3_f32 v135, v66, v5, v133
	v_add_f32_e32 v3, v19, v63
	v_add_f32_e32 v4, v18, v62
	v_add_f32_e32 v5, v15, v63
	v_add_f32_e32 v66, v14, v62
	;; [unrolled: 8-line block ×3, first 2 shown]
	v_min3_f32 v134, v4, v3, v128
	v_min3_f32 v128, v66, v5, v130
	;; [unrolled: 1-line block ×3, first 2 shown]
	v_add_f32_e32 v3, v31, v59
	v_add_f32_e32 v4, v30, v58
	v_add_f32_e32 v5, v27, v59
	v_add_f32_e32 v62, v26, v58
	v_min3_f32 v129, v79, v67, v129
	v_min3_f32 v126, v157, v142, v126
	v_add_f32_e32 v63, v23, v59
	v_add_f32_e32 v66, v22, v58
	v_add_f32_e32 v67, v19, v59
	v_add_f32_e32 v79, v18, v58
	v_add_f32_e32 v142, v15, v59
	v_add_f32_e32 v157, v14, v58
	v_min3_f32 v130, v4, v3, v125
	v_min3_f32 v123, v62, v5, v123
	v_add_f32_e32 v3, v7, v59
	v_add_f32_e32 v4, v6, v58
	;; [unrolled: 8-line block ×3, first 2 shown]
	v_add_f32_e32 v67, v27, v55
	v_add_f32_e32 v79, v26, v54
	v_min3_f32 v125, v4, v3, v119
	v_min3_f32 v119, v58, v5, v120
	;; [unrolled: 1-line block ×3, first 2 shown]
	v_add_f32_e32 v3, v23, v55
	v_add_f32_e32 v4, v22, v54
	;; [unrolled: 1-line block ×8, first 2 shown]
	v_min3_f32 v118, v66, v63, v118
	v_add_f32_e32 v63, v39, v51
	v_add_f32_e32 v66, v38, v50
	v_min3_f32 v115, v4, v3, v115
	v_min3_f32 v113, v58, v5, v113
	;; [unrolled: 1-line block ×4, first 2 shown]
	v_add_f32_e32 v3, v35, v51
	v_add_f32_e32 v4, v34, v50
	;; [unrolled: 1-line block ×8, first 2 shown]
	v_min3_f32 v116, v79, v67, v116
	v_min3_f32 v112, v66, v63, v112
	v_add_f32_e32 v63, v19, v51
	v_add_f32_e32 v66, v18, v50
	v_min3_f32 v109, v4, v3, v109
	v_min3_f32 v79, v54, v5, v110
	;; [unrolled: 1-line block ×4, first 2 shown]
	v_add_f32_e32 v3, v15, v51
	v_add_f32_e32 v4, v14, v50
	;; [unrolled: 1-line block ×10, first 2 shown]
	v_min3_f32 v106, v66, v63, v106
	v_min3_f32 v105, v4, v3, v105
	;; [unrolled: 1-line block ×6, first 2 shown]
	v_add_f32_e32 v3, v27, v47
	v_add_f32_e32 v4, v26, v46
	;; [unrolled: 1-line block ×10, first 2 shown]
	v_min3_f32 v99, v4, v3, v99
	v_min3_f32 v54, v50, v5, v100
	;; [unrolled: 1-line block ×5, first 2 shown]
	v_add_f32_e32 v3, v39, v43
	v_add_f32_e32 v4, v38, v42
	;; [unrolled: 1-line block ×10, first 2 shown]
	v_min3_f32 v95, v4, v3, v96
	v_min3_f32 v46, v46, v5, v93
	;; [unrolled: 1-line block ×4, first 2 shown]
	v_add_f32_e32 v3, v19, v43
	v_add_f32_e32 v4, v18, v42
	;; [unrolled: 1-line block ×6, first 2 shown]
	v_min3_f32 v51, v100, v98, v92
	v_add_f32_e32 v92, v35, v11
	v_min3_f32 v35, v4, v3, v89
	v_min3_f32 v3, v91, v5, v90
	;; [unrolled: 1-line block ×3, first 2 shown]
	v_add_f32_e32 v31, v31, v11
	v_add_f32_e32 v30, v30, v10
	;; [unrolled: 1-line block ×13, first 2 shown]
	v_min3_f32 v14, v30, v31, v85
	v_min3_f32 v22, v26, v27, v82
	;; [unrolled: 1-line block ×5, first 2 shown]
	v_add_f32_e32 v7, v7, v11
	v_add_f32_e32 v6, v6, v10
	v_add_f32_e32 v10, v41, v69
	v_add_f32_e32 v11, v40, v68
	v_add_f32_e32 v15, v37, v69
	v_add_f32_e32 v18, v36, v68
	v_add_f32_e32 v19, v33, v69
	v_add_f32_e32 v30, v32, v68
	v_add_f32_e32 v31, v29, v69
	v_add_f32_e32 v38, v28, v68
	v_min3_f32 v4, v42, v43, v87
	v_min3_f32 v7, v6, v7, v84
	;; [unrolled: 1-line block ×6, first 2 shown]
	v_add_f32_e32 v6, v25, v69
	v_add_f32_e32 v10, v24, v68
	;; [unrolled: 1-line block ×10, first 2 shown]
	v_min3_f32 v132, v159, v158, v132
	v_min3_f32 v34, v34, v92, v86
	;; [unrolled: 1-line block ×7, first 2 shown]
	v_add_f32_e32 v6, v37, v65
	v_add_f32_e32 v10, v36, v64
	;; [unrolled: 1-line block ×10, first 2 shown]
	v_min3_f32 v87, v10, v6, v135
	v_min3_f32 v88, v18, v15, v133
	;; [unrolled: 1-line block ×5, first 2 shown]
	v_add_f32_e32 v6, v17, v65
	v_add_f32_e32 v10, v16, v64
	;; [unrolled: 1-line block ×10, first 2 shown]
	v_min3_f32 v122, v157, v142, v122
	v_min3_f32 v92, v10, v6, v128
	;; [unrolled: 1-line block ×6, first 2 shown]
	v_add_f32_e32 v6, v29, v61
	v_add_f32_e32 v10, v28, v60
	v_add_f32_e32 v15, v25, v61
	v_add_f32_e32 v18, v24, v60
	v_add_f32_e32 v19, v21, v61
	v_add_f32_e32 v30, v20, v60
	v_add_f32_e32 v31, v17, v61
	v_add_f32_e32 v38, v16, v60
	v_add_f32_e32 v39, v9, v61
	v_add_f32_e32 v42, v8, v60
	v_min3_f32 v98, v10, v6, v123
	v_min3_f32 v100, v18, v15, v124
	v_min3_f32 v101, v30, v19, v121
	v_min3_f32 v102, v38, v31, v122
	v_min3_f32 v103, v42, v39, v125
	v_add_f32_e32 v6, v41, v57
	v_add_f32_e32 v10, v40, v56
	v_add_f32_e32 v15, v37, v57
	v_add_f32_e32 v18, v36, v56
	v_add_f32_e32 v19, v33, v57
	v_add_f32_e32 v30, v32, v56
	v_add_f32_e32 v31, v29, v57
	v_add_f32_e32 v38, v28, v56
	v_add_f32_e32 v39, v25, v57
	v_add_f32_e32 v42, v24, v56
	v_min3_f32 v104, v10, v6, v119
	v_min3_f32 v110, v18, v15, v117
	v_min3_f32 v117, v30, v19, v118
	v_min3_f32 v116, v38, v31, v116
	v_min3_f32 v115, v42, v39, v115
	;; [unrolled: 15-line block ×8, first 2 shown]
	v_add_f32_e32 v10, v29, v13
	v_add_f32_e32 v25, v25, v13
	;; [unrolled: 1-line block ×6, first 2 shown]
	ds_read_b128 v[3:6], v144
	ds_read_b128 v[61:64], v77
	v_add_f32_e32 v9, v9, v13
	ds_read_b128 v[13:16], v144 offset:128
	ds_read_b128 v[17:20], v144 offset:256
	v_add_f32_e32 v28, v28, v12
	v_add_f32_e32 v24, v24, v12
	v_add_f32_e32 v8, v8, v12
	v_min3_f32 v137, v29, v21, v26
	v_min3_f32 v138, v31, v30, v27
	;; [unrolled: 1-line block ×5, first 2 shown]
	ds_read_b128 v[33:36], v144 offset:384
	ds_read_b128 v[29:32], v144 offset:512
	;; [unrolled: 1-line block ×12, first 2 shown]
	v_add_co_u32 v72, vcc_lo, v72, 32
	v_add_co_ci_u32_e64 v73, null, 0, v73, vcc_lo
	v_add_co_u32 v149, vcc_lo, v149, s6
	s_waitcnt lgkmcnt(14)
	v_add_f32_e32 v141, v4, v62
	v_add_f32_e32 v142, v3, v61
	s_waitcnt lgkmcnt(13)
	v_add_f32_e32 v143, v14, v62
	v_add_f32_e32 v155, v13, v61
	;; [unrolled: 3-line block ×3, first 2 shown]
	v_min3_f32 v11, v142, v141, v11
	s_waitcnt lgkmcnt(11)
	v_add_f32_e32 v141, v34, v62
	v_min3_f32 v80, v155, v143, v80
	v_add_f32_e32 v142, v33, v61
	v_min3_f32 v81, v157, v156, v81
	s_waitcnt lgkmcnt(10)
	v_add_f32_e32 v143, v30, v62
	v_add_f32_e32 v155, v29, v61
	s_waitcnt lgkmcnt(9)
	v_add_f32_e32 v156, v26, v62
	v_add_f32_e32 v157, v25, v61
	;; [unrolled: 3-line block ×4, first 2 shown]
	v_min3_f32 v82, v142, v141, v82
	v_min3_f32 v69, v155, v143, v69
	;; [unrolled: 1-line block ×5, first 2 shown]
	s_waitcnt lgkmcnt(6)
	v_add_f32_e32 v62, v4, v66
	v_add_f32_e32 v85, v3, v65
	;; [unrolled: 1-line block ×10, first 2 shown]
	v_min3_f32 v62, v85, v62, v86
	v_min3_f32 v85, v142, v141, v87
	;; [unrolled: 1-line block ×5, first 2 shown]
	v_add_f32_e32 v89, v26, v66
	v_add_f32_e32 v90, v25, v65
	;; [unrolled: 1-line block ×6, first 2 shown]
	s_waitcnt lgkmcnt(5)
	v_add_f32_e32 v143, v4, v58
	v_add_f32_e32 v155, v3, v57
	;; [unrolled: 1-line block ×4, first 2 shown]
	v_min3_f32 v89, v90, v89, v91
	v_min3_f32 v90, v142, v141, v92
	;; [unrolled: 1-line block ×5, first 2 shown]
	v_add_f32_e32 v92, v18, v58
	v_add_f32_e32 v93, v17, v57
	;; [unrolled: 1-line block ×10, first 2 shown]
	v_min3_f32 v92, v93, v92, v97
	v_min3_f32 v93, v96, v94, v98
	;; [unrolled: 1-line block ×5, first 2 shown]
	v_add_f32_e32 v58, v8, v58
	v_add_f32_e32 v57, v7, v57
	s_waitcnt lgkmcnt(4)
	v_add_f32_e32 v98, v4, v54
	v_add_f32_e32 v100, v3, v53
	;; [unrolled: 1-line block ×8, first 2 shown]
	v_min3_f32 v57, v57, v58, v103
	v_min3_f32 v58, v100, v98, v104
	;; [unrolled: 1-line block ×5, first 2 shown]
	v_add_f32_e32 v102, v30, v54
	v_add_f32_e32 v103, v29, v53
	;; [unrolled: 1-line block ×8, first 2 shown]
	s_waitcnt lgkmcnt(3)
	v_add_f32_e32 v141, v4, v50
	v_add_f32_e32 v142, v3, v49
	v_min3_f32 v102, v103, v102, v115
	v_min3_f32 v103, v110, v104, v113
	;; [unrolled: 1-line block ×5, first 2 shown]
	v_add_f32_e32 v110, v14, v50
	v_add_f32_e32 v111, v13, v49
	;; [unrolled: 1-line block ×10, first 2 shown]
	v_min3_f32 v109, v111, v110, v109
	v_min3_f32 v110, v113, v112, v79
	;; [unrolled: 1-line block ×4, first 2 shown]
	v_add_f32_e32 v79, v22, v50
	v_add_f32_e32 v111, v21, v49
	;; [unrolled: 1-line block ×4, first 2 shown]
	s_waitcnt lgkmcnt(2)
	v_add_f32_e32 v112, v4, v46
	v_add_f32_e32 v113, v3, v45
	;; [unrolled: 1-line block ×6, first 2 shown]
	v_min3_f32 v105, v111, v79, v105
	v_min3_f32 v49, v49, v50, v118
	v_min3_f32 v50, v113, v112, v119
	v_min3_f32 v155, v115, v114, v120
	v_min3_f32 v156, v117, v116, v121
	v_add_f32_e32 v79, v34, v46
	v_add_f32_e32 v111, v33, v45
	;; [unrolled: 1-line block ×10, first 2 shown]
	v_min3_f32 v99, v111, v79, v99
	v_min3_f32 v157, v113, v112, v122
	s_waitcnt lgkmcnt(1)
	v_add_f32_e32 v79, v3, v41
	v_add_f32_e32 v111, v14, v42
	v_min3_f32 v45, v45, v46, v125
	v_add_f32_e32 v46, v4, v42
	v_add_f32_e32 v112, v13, v41
	s_waitcnt lgkmcnt(0)
	v_add_f32_e32 v4, v4, v38
	v_add_f32_e32 v3, v3, v37
	;; [unrolled: 1-line block ×4, first 2 shown]
	v_min3_f32 v158, v115, v114, v123
	v_add_f32_e32 v113, v18, v42
	v_add_f32_e32 v114, v17, v41
	v_min3_f32 v160, v112, v111, v126
	v_add_f32_e32 v111, v22, v42
	v_add_f32_e32 v112, v21, v41
	v_min3_f32 v3, v3, v4, v133
	v_min3_f32 v4, v13, v14, v134
	v_add_f32_e32 v13, v18, v38
	v_add_f32_e32 v14, v17, v37
	;; [unrolled: 1-line block ×6, first 2 shown]
	v_min3_f32 v159, v117, v116, v124
	v_add_f32_e32 v115, v34, v42
	v_add_f32_e32 v116, v33, v41
	;; [unrolled: 1-line block ×4, first 2 shown]
	v_min3_f32 v46, v79, v46, v95
	v_add_f32_e32 v79, v26, v42
	v_add_f32_e32 v95, v25, v41
	;; [unrolled: 1-line block ×4, first 2 shown]
	v_min3_f32 v12, v18, v17, v12
	v_min3_f32 v18, v21, v22, v138
	v_add_f32_e32 v8, v8, v38
	v_add_f32_e32 v7, v7, v37
	;; [unrolled: 1-line block ×8, first 2 shown]
	v_min3_f32 v7, v7, v8, v140
	v_min3_f32 v143, v22, v21, v11
	v_add_f32_e32 v8, v32, v64
	v_add_f32_e32 v11, v31, v63
	v_min3_f32 v106, v142, v141, v106
	v_min3_f32 v13, v14, v13, v135
	;; [unrolled: 1-line block ×4, first 2 shown]
	v_add_f32_e32 v25, v16, v64
	v_add_f32_e32 v26, v15, v63
	;; [unrolled: 1-line block ×8, first 2 shown]
	v_min3_f32 v142, v11, v8, v69
	v_add_f32_e32 v8, v16, v68
	v_add_f32_e32 v11, v15, v67
	v_min3_f32 v164, v95, v79, v130
	v_min3_f32 v140, v26, v25, v80
	;; [unrolled: 1-line block ×4, first 2 shown]
	v_add_f32_e32 v25, v24, v64
	v_add_f32_e32 v26, v23, v63
	;; [unrolled: 1-line block ×6, first 2 shown]
	v_min3_f32 v137, v22, v21, v83
	v_add_f32_e32 v21, v20, v68
	v_add_f32_e32 v22, v19, v67
	v_min3_f32 v133, v11, v8, v85
	v_add_f32_e32 v8, v24, v68
	v_add_f32_e32 v11, v23, v67
	v_min3_f32 v138, v26, v25, v84
	v_min3_f32 v135, v30, v29, v61
	;; [unrolled: 1-line block ×3, first 2 shown]
	v_add_f32_e32 v25, v36, v68
	v_add_f32_e32 v26, v35, v67
	;; [unrolled: 1-line block ×6, first 2 shown]
	v_min3_f32 v134, v22, v21, v86
	v_add_f32_e32 v21, v10, v68
	v_add_f32_e32 v22, v9, v67
	v_min3_f32 v130, v11, v8, v90
	v_add_f32_e32 v8, v36, v60
	v_add_f32_e32 v11, v35, v59
	v_min3_f32 v161, v114, v113, v127
	v_min3_f32 v162, v116, v115, v128
	;; [unrolled: 1-line block ×7, first 2 shown]
	v_add_f32_e32 v25, v6, v60
	v_add_f32_e32 v26, v5, v59
	;; [unrolled: 1-line block ×6, first 2 shown]
	v_min3_f32 v127, v22, v21, v65
	v_add_f32_e32 v21, v32, v60
	v_add_f32_e32 v22, v31, v59
	v_min3_f32 v123, v11, v8, v93
	v_add_f32_e32 v8, v6, v56
	v_add_f32_e32 v11, v5, v55
	v_min3_f32 v163, v118, v117, v129
	v_min3_f32 v129, v26, v25, v66
	;; [unrolled: 1-line block ×4, first 2 shown]
	v_add_f32_e32 v25, v28, v60
	v_add_f32_e32 v26, v27, v59
	v_add_f32_e32 v29, v24, v60
	v_add_f32_e32 v30, v23, v59
	v_add_f32_e32 v33, v10, v60
	v_add_f32_e32 v34, v9, v59
	v_min3_f32 v124, v22, v21, v94
	v_add_f32_e32 v21, v16, v56
	v_add_f32_e32 v22, v15, v55
	v_min3_f32 v120, v11, v8, v58
	v_add_f32_e32 v8, v28, v56
	v_add_f32_e32 v11, v27, v55
	v_min3_f32 v121, v26, v25, v96
	v_min3_f32 v122, v30, v29, v97
	v_min3_f32 v119, v34, v33, v57
	v_add_f32_e32 v25, v20, v56
	v_add_f32_e32 v26, v19, v55
	v_add_f32_e32 v29, v36, v56
	v_add_f32_e32 v30, v35, v55
	v_add_f32_e32 v33, v32, v56
	v_add_f32_e32 v34, v31, v55
	v_min3_f32 v117, v22, v21, v98
	v_add_f32_e32 v21, v24, v56
	v_add_f32_e32 v22, v23, v55
	v_min3_f32 v113, v11, v8, v103
	v_add_f32_e32 v8, v20, v52
	v_add_f32_e32 v11, v19, v51
	v_min3_f32 v118, v26, v25, v100
	v_min3_f32 v116, v30, v29, v101
	v_min3_f32 v115, v34, v33, v102
	;; [unrolled: 15-line block ×5, first 2 shown]
	v_add_f32_e32 v25, v24, v48
	v_add_f32_e32 v26, v23, v47
	;; [unrolled: 1-line block ×6, first 2 shown]
	v_min3_f32 v97, v22, v21, v158
	v_add_f32_e32 v21, v20, v44
	v_add_f32_e32 v22, v19, v43
	v_min3_f32 v93, v11, v8, v160
	v_add_f32_e32 v8, v24, v44
	v_add_f32_e32 v11, v23, v43
	;; [unrolled: 1-line block ×8, first 2 shown]
	v_min3_f32 v98, v26, v25, v159
	v_min3_f32 v95, v30, v29, v45
	;; [unrolled: 1-line block ×3, first 2 shown]
	v_add_f32_e32 v25, v36, v44
	v_add_f32_e32 v26, v35, v43
	;; [unrolled: 1-line block ×6, first 2 shown]
	v_min3_f32 v94, v22, v21, v161
	v_add_f32_e32 v21, v10, v44
	v_add_f32_e32 v22, v9, v43
	v_min3_f32 v90, v11, v8, v165
	v_min3_f32 v88, v5, v6, v3
	;; [unrolled: 1-line block ×4, first 2 shown]
	v_add_f32_e32 v3, v36, v40
	v_add_f32_e32 v4, v35, v39
	;; [unrolled: 1-line block ×10, first 2 shown]
	v_min3_f32 v91, v26, v25, v162
	v_min3_f32 v92, v30, v29, v163
	;; [unrolled: 1-line block ×9, first 2 shown]
	v_add_co_ci_u32_e64 v150, null, s7, v150, vcc_lo
	s_add_i32 s13, s13, 8
	ds_write_b32 v145, v151
	ds_write2st64_b32 v146, v2, v152 offset1:4
	ds_write2st64_b32 v146, v153, v154 offset0:8 offset1:12
	s_cmp_ge_i32 s13, s20
	s_waitcnt lgkmcnt(0)
	s_barrier
	buffer_gl0_inv
	s_cbranch_scc1 .LBB21_46
.LBB21_26:                              ; =>This Inner Loop Header: Depth=1
	v_mov_b32_e32 v152, 0
	s_and_b32 vcc_lo, exec_lo, s2
	s_cbranch_vccnz .LBB21_28
; %bb.27:                               ;   in Loop: Header=BB21_26 Depth=1
	flat_load_dword v2, v[72:73]
	s_waitcnt vmcnt(0) lgkmcnt(0)
	v_mul_f32_e32 v152, s24, v2
.LBB21_28:                              ;   in Loop: Header=BB21_26 Depth=1
	s_mov_b32 s14, -1
	s_mov_b32 vcc_lo, s1
                                        ; implicit-def: $vgpr2_vgpr3_vgpr4_vgpr5
	s_cbranch_vccnz .LBB21_39
; %bb.29:                               ;   in Loop: Header=BB21_26 Depth=1
	v_mov_b32_e32 v3, 0
	s_andn2_b32 vcc_lo, exec_lo, s14
	s_cbranch_vccz .LBB21_40
.LBB21_30:                              ;   in Loop: Header=BB21_26 Depth=1
	s_mov_b32 s14, -1
	s_mov_b32 vcc_lo, s1
                                        ; implicit-def: $vgpr4
	s_cbranch_vccnz .LBB21_41
.LBB21_31:                              ;   in Loop: Header=BB21_26 Depth=1
	v_mov_b32_e32 v151, 0
	v_mov_b32_e32 v5, 0
	s_andn2_b32 vcc_lo, exec_lo, s14
	s_cbranch_vccnz .LBB21_33
.LBB21_32:                              ;   in Loop: Header=BB21_26 Depth=1
	v_add_co_u32 v4, vcc_lo, v149, v70
	v_add_co_ci_u32_e64 v5, null, v150, v71, vcc_lo
	s_clause 0x1
	flat_load_dword v6, v[4:5] offset:512
	flat_load_dword v5, v[4:5] offset:768
	s_waitcnt vmcnt(1) lgkmcnt(1)
	v_mul_f32_e32 v4, s24, v6
	s_waitcnt vmcnt(0) lgkmcnt(0)
	v_mul_f32_e32 v5, s24, v5
.LBB21_33:                              ;   in Loop: Header=BB21_26 Depth=1
	ds_read_b128 v[38:41], v147
	ds_read_b128 v[34:37], v147 offset:128
	ds_read_b128 v[30:33], v147 offset:256
	;; [unrolled: 1-line block ×7, first 2 shown]
	ds_read_b128 v[66:69], v148
	ds_read_b128 v[62:65], v148 offset:512
	ds_read_b128 v[58:61], v148 offset:1024
	;; [unrolled: 1-line block ×7, first 2 shown]
	s_and_b32 vcc_lo, exec_lo, s2
	ds_write_b32 v139, v152
	ds_write2st64_b32 v78, v2, v3 offset1:4
	ds_write2st64_b32 v78, v4, v5 offset0:8 offset1:12
	s_waitcnt lgkmcnt(0)
	s_barrier
	buffer_gl0_inv
	s_cbranch_vccnz .LBB21_35
; %bb.34:                               ;   in Loop: Header=BB21_26 Depth=1
	flat_load_dword v2, v[72:73] offset:16
	s_waitcnt vmcnt(0) lgkmcnt(0)
	v_mul_f32_e32 v151, s24, v2
.LBB21_35:                              ;   in Loop: Header=BB21_26 Depth=1
	s_mov_b32 s14, -1
	s_mov_b32 vcc_lo, s1
                                        ; implicit-def: $vgpr2_vgpr3_vgpr4_vgpr5
	s_cbranch_vccnz .LBB21_42
; %bb.36:                               ;   in Loop: Header=BB21_26 Depth=1
	v_mov_b32_e32 v152, 0
	s_andn2_b32 vcc_lo, exec_lo, s14
	s_cbranch_vccz .LBB21_43
.LBB21_37:                              ;   in Loop: Header=BB21_26 Depth=1
	s_mov_b32 s14, -1
	s_mov_b32 vcc_lo, s1
                                        ; implicit-def: $vgpr153
	s_cbranch_vccnz .LBB21_44
.LBB21_38:                              ;   in Loop: Header=BB21_26 Depth=1
	v_mov_b32_e32 v154, 0
	s_andn2_b32 vcc_lo, exec_lo, s14
	s_cbranch_vccnz .LBB21_25
	s_branch .LBB21_45
.LBB21_39:                              ;   in Loop: Header=BB21_26 Depth=1
	v_mov_b32_e32 v2, s12
	v_mov_b32_e32 v3, 0
	s_cbranch_execnz .LBB21_30
.LBB21_40:                              ;   in Loop: Header=BB21_26 Depth=1
	v_add_co_u32 v2, vcc_lo, v149, v70
	v_add_co_ci_u32_e64 v3, null, v150, v71, vcc_lo
	s_clause 0x1
	flat_load_dword v4, v[2:3]
	flat_load_dword v3, v[2:3] offset:256
	s_waitcnt vmcnt(1) lgkmcnt(1)
	v_mul_f32_e32 v2, s24, v4
	s_waitcnt vmcnt(0) lgkmcnt(0)
	v_mul_f32_e32 v3, s24, v3
	s_mov_b32 s14, -1
	s_mov_b32 vcc_lo, s1
                                        ; implicit-def: $vgpr4
	s_cbranch_vccz .LBB21_31
.LBB21_41:                              ;   in Loop: Header=BB21_26 Depth=1
	v_mov_b32_e32 v4, s12
	v_mov_b32_e32 v151, 0
	;; [unrolled: 1-line block ×3, first 2 shown]
	s_cbranch_execz .LBB21_32
	s_branch .LBB21_33
.LBB21_42:                              ;   in Loop: Header=BB21_26 Depth=1
	v_mov_b32_e32 v2, s12
	v_mov_b32_e32 v152, 0
	s_cbranch_execnz .LBB21_37
.LBB21_43:                              ;   in Loop: Header=BB21_26 Depth=1
	v_add_co_u32 v2, vcc_lo, v149, v74
	v_add_co_ci_u32_e64 v3, null, v150, v75, vcc_lo
	s_clause 0x1
	flat_load_dword v4, v[2:3]
	flat_load_dword v3, v[2:3] offset:256
	s_waitcnt vmcnt(1) lgkmcnt(1)
	v_mul_f32_e32 v2, s24, v4
	s_waitcnt vmcnt(0) lgkmcnt(0)
	v_mul_f32_e32 v152, s24, v3
	s_mov_b32 s14, -1
	s_mov_b32 vcc_lo, s1
                                        ; implicit-def: $vgpr153
	s_cbranch_vccz .LBB21_38
.LBB21_44:                              ;   in Loop: Header=BB21_26 Depth=1
	v_mov_b32_e32 v153, s12
	v_mov_b32_e32 v154, 0
	s_cbranch_execnz .LBB21_25
.LBB21_45:                              ;   in Loop: Header=BB21_26 Depth=1
	v_add_co_u32 v3, vcc_lo, v149, v74
	v_add_co_ci_u32_e64 v4, null, v150, v75, vcc_lo
	s_clause 0x1
	flat_load_dword v5, v[3:4] offset:512
	flat_load_dword v3, v[3:4] offset:768
	s_waitcnt vmcnt(1) lgkmcnt(1)
	v_mul_f32_e32 v153, s24, v5
	s_waitcnt vmcnt(0) lgkmcnt(0)
	v_mul_f32_e32 v154, s24, v3
	s_branch .LBB21_25
.LBB21_46:
	ds_read_b128 v[34:37], v76 offset:9216
	ds_read_b128 v[62:65], v77 offset:4096
	s_clause 0x2
	s_load_dwordx2 s[6:7], s[4:5], 0x78
	s_load_dword s1, s[4:5], 0x58
	s_load_dword s2, s[4:5], 0x70
	ds_read_b128 v[30:33], v76 offset:9344
	ds_read_b128 v[26:29], v76 offset:9472
	;; [unrolled: 1-line block ×12, first 2 shown]
	v_add_nc_u32_e32 v139, s19, v1
	v_add_nc_u32_e32 v76, s18, v0
	s_waitcnt lgkmcnt(0)
	s_lshl_b64 s[4:5], s[6:7], 2
	v_add_f32_e32 v0, v35, v63
	v_add_f32_e32 v6, v34, v62
	v_mad_i64_i32 v[66:67], null, v139, s2, 0
	v_mad_i64_i32 v[68:69], null, v139, s1, 0
	v_min3_f32 v1, v6, v0, v143
	ds_read_b128 v[38:41], v77 offset:7168
	ds_read_b128 v[6:9], v77 offset:7680
	v_add_f32_e32 v70, v37, v65
	v_add_f32_e32 v71, v36, v64
	v_lshlrev_b64 v[66:67], 2, v[66:67]
	s_add_u32 s4, s10, s4
	v_lshlrev_b64 v[68:69], 2, v[68:69]
	v_ashrrev_i32_e32 v77, 31, v76
	v_add_nc_u32_e32 v0, 8, v76
	v_min3_f32 v70, v71, v70, v1
	s_addc_u32 s5, s11, s5
	v_add_co_u32 v143, vcc_lo, s4, v66
	v_add_co_ci_u32_e64 v144, null, s5, v67, vcc_lo
	v_add_co_u32 v145, vcc_lo, s8, v68
	v_lshlrev_b64 v[66:67], 2, v[76:77]
	v_ashrrev_i32_e32 v1, 31, v0
	v_add_co_ci_u32_e64 v146, null, s9, v69, vcc_lo
	v_max_f32_e32 v68, v70, v70
	s_mov_b32 s6, -1
	s_mov_b32 vcc_lo, s0
	s_cbranch_vccz .LBB21_48
; %bb.47:
	v_add_co_u32 v69, vcc_lo, v143, v66
	v_min_f32_e32 v71, 0, v68
	v_add_co_ci_u32_e64 v70, null, v144, v67, vcc_lo
	s_mov_b32 s6, 0
	flat_store_dword v[69:70], v71
.LBB21_48:
	v_lshlrev_b64 v[0:1], 2, v[0:1]
	v_mov_b32_e32 v69, 0
	s_andn2_b32 vcc_lo, exec_lo, s6
	s_cbranch_vccnz .LBB21_50
; %bb.49:
	v_add_co_u32 v69, vcc_lo, v145, v66
	v_add_co_ci_u32_e64 v70, null, v146, v67, vcc_lo
	flat_load_dword v69, v[69:70]
	s_waitcnt vmcnt(0) lgkmcnt(0)
	v_mul_f32_e32 v71, s3, v69
	v_add_co_u32 v69, vcc_lo, v143, v66
	v_add_co_ci_u32_e64 v70, null, v144, v67, vcc_lo
	v_min_f32_e32 v68, v71, v68
	v_add_co_u32 v71, vcc_lo, v145, v0
	v_add_co_ci_u32_e64 v72, null, v146, v1, vcc_lo
	flat_store_dword v[69:70], v68
	flat_load_dword v68, v[71:72]
	s_waitcnt vmcnt(0) lgkmcnt(0)
	v_mul_f32_e32 v69, s3, v68
.LBB21_50:
	v_add_f32_e32 v68, v31, v63
	v_add_f32_e32 v70, v30, v62
	;; [unrolled: 1-line block ×6, first 2 shown]
	v_min3_f32 v75, v70, v68, v140
	v_add_nc_u32_e32 v70, 16, v76
	v_min3_f32 v77, v72, v71, v141
	v_add_f32_e32 v78, v28, v64
	v_min_f32_e32 v71, v74, v73
	v_add_f32_e32 v74, v29, v65
	v_add_co_u32 v72, vcc_lo, v143, v0
	v_add_nc_u32_e32 v68, 24, v76
	v_min3_f32 v75, v69, v71, v75
	v_ashrrev_i32_e32 v71, 31, v70
	v_add_co_ci_u32_e64 v73, null, v144, v1, vcc_lo
	v_min3_f32 v74, v78, v74, v77
	v_ashrrev_i32_e32 v69, 31, v68
	v_lshlrev_b64 v[70:71], 2, v[70:71]
	flat_store_dword v[72:73], v75
	s_mov_b32 s6, -1
	v_max_f32_e32 v72, v74, v74
	s_mov_b32 vcc_lo, s0
	s_cbranch_vccz .LBB21_52
; %bb.51:
	v_add_co_u32 v73, vcc_lo, v143, v70
	v_min_f32_e32 v75, 0, v72
	v_add_co_ci_u32_e64 v74, null, v144, v71, vcc_lo
	s_mov_b32 s6, 0
	flat_store_dword v[73:74], v75
.LBB21_52:
	v_lshlrev_b64 v[68:69], 2, v[68:69]
	v_mov_b32_e32 v73, 0
	s_andn2_b32 vcc_lo, exec_lo, s6
	s_cbranch_vccnz .LBB21_54
; %bb.53:
	v_add_co_u32 v73, vcc_lo, v145, v70
	v_add_co_ci_u32_e64 v74, null, v146, v71, vcc_lo
	flat_load_dword v73, v[73:74]
	s_waitcnt vmcnt(0) lgkmcnt(0)
	v_mul_f32_e32 v75, s3, v73
	v_add_co_u32 v73, vcc_lo, v143, v70
	v_add_co_ci_u32_e64 v74, null, v144, v71, vcc_lo
	v_add_co_u32 v77, vcc_lo, v145, v68
	v_min_f32_e32 v72, v75, v72
	v_add_co_ci_u32_e64 v78, null, v146, v69, vcc_lo
	flat_store_dword v[73:74], v72
	flat_load_dword v72, v[77:78]
	s_waitcnt vmcnt(0) lgkmcnt(0)
	v_mul_f32_e32 v73, s3, v72
.LBB21_54:
	v_add_f32_e32 v72, v23, v63
	v_add_f32_e32 v74, v22, v62
	;; [unrolled: 1-line block ×6, first 2 shown]
	v_min3_f32 v79, v74, v72, v79
	v_add_nc_u32_e32 v74, 32, v76
	v_min3_f32 v141, v77, v75, v142
	v_add_f32_e32 v142, v20, v64
	v_min_f32_e32 v75, v140, v78
	v_add_f32_e32 v140, v21, v65
	v_add_co_u32 v77, vcc_lo, v143, v68
	v_add_nc_u32_e32 v72, 40, v76
	v_min3_f32 v79, v73, v75, v79
	v_ashrrev_i32_e32 v75, 31, v74
	v_add_co_ci_u32_e64 v78, null, v144, v69, vcc_lo
	v_min3_f32 v140, v142, v140, v141
	v_ashrrev_i32_e32 v73, 31, v72
	v_lshlrev_b64 v[74:75], 2, v[74:75]
	flat_store_dword v[77:78], v79
	s_mov_b32 s6, -1
	v_max_f32_e32 v77, v140, v140
	s_mov_b32 vcc_lo, s0
	s_cbranch_vccz .LBB21_56
; %bb.55:
	v_add_co_u32 v78, vcc_lo, v143, v74
	v_min_f32_e32 v140, 0, v77
	v_add_co_ci_u32_e64 v79, null, v144, v75, vcc_lo
	s_mov_b32 s6, 0
	flat_store_dword v[78:79], v140
.LBB21_56:
	v_lshlrev_b64 v[72:73], 2, v[72:73]
	v_mov_b32_e32 v79, 0
	s_andn2_b32 vcc_lo, exec_lo, s6
	s_cbranch_vccnz .LBB21_58
; %bb.57:
	v_add_co_u32 v78, vcc_lo, v145, v74
	v_add_co_ci_u32_e64 v79, null, v146, v75, vcc_lo
	flat_load_dword v78, v[78:79]
	s_waitcnt vmcnt(0) lgkmcnt(0)
	v_mul_f32_e32 v140, s3, v78
	v_add_co_u32 v78, vcc_lo, v143, v74
	v_add_co_ci_u32_e64 v79, null, v144, v75, vcc_lo
	v_min_f32_e32 v77, v140, v77
	v_add_co_u32 v140, vcc_lo, v145, v72
	v_add_co_ci_u32_e64 v141, null, v146, v73, vcc_lo
	flat_store_dword v[78:79], v77
	flat_load_dword v77, v[140:141]
	s_waitcnt vmcnt(0) lgkmcnt(0)
	v_mul_f32_e32 v79, s3, v77
.LBB21_58:
	v_add_f32_e32 v77, v15, v63
	v_add_f32_e32 v78, v14, v62
	;; [unrolled: 1-line block ×6, first 2 shown]
	v_min3_f32 v77, v78, v77, v137
	v_add_nc_u32_e32 v137, 48, v76
	v_min3_f32 v140, v141, v140, v138
	v_add_f32_e32 v141, v13, v65
	v_min_f32_e32 v138, v147, v142
	v_add_f32_e32 v142, v12, v64
	v_add_nc_u32_e32 v78, 56, v76
	v_add_co_u32 v76, vcc_lo, v143, v72
	v_min3_f32 v147, v79, v138, v77
	v_add_co_ci_u32_e64 v77, null, v144, v73, vcc_lo
	v_ashrrev_i32_e32 v138, 31, v137
	v_min3_f32 v140, v142, v141, v140
	v_ashrrev_i32_e32 v79, 31, v78
	flat_store_dword v[76:77], v147
	s_mov_b32 s6, -1
	v_lshlrev_b64 v[76:77], 2, v[137:138]
	v_max_f32_e32 v137, v140, v140
	s_mov_b32 vcc_lo, s0
	s_cbranch_vccz .LBB21_60
; %bb.59:
	v_add_co_u32 v140, vcc_lo, v143, v76
	v_min_f32_e32 v138, 0, v137
	v_add_co_ci_u32_e64 v141, null, v144, v77, vcc_lo
	s_mov_b32 s6, 0
	flat_store_dword v[140:141], v138
.LBB21_60:
	v_lshlrev_b64 v[78:79], 2, v[78:79]
	v_mov_b32_e32 v138, 0
	s_andn2_b32 vcc_lo, exec_lo, s6
	s_cbranch_vccnz .LBB21_62
; %bb.61:
	v_add_co_u32 v140, vcc_lo, v145, v76
	v_add_co_ci_u32_e64 v141, null, v146, v77, vcc_lo
	flat_load_dword v138, v[140:141]
	v_add_co_u32 v140, vcc_lo, v143, v76
	v_add_co_ci_u32_e64 v141, null, v144, v77, vcc_lo
	s_waitcnt vmcnt(0) lgkmcnt(0)
	v_mul_f32_e32 v138, s3, v138
	v_min_f32_e32 v142, v138, v137
	v_add_co_u32 v137, vcc_lo, v145, v78
	v_add_co_ci_u32_e64 v138, null, v146, v79, vcc_lo
	flat_store_dword v[140:141], v142
	flat_load_dword v137, v[137:138]
	s_waitcnt vmcnt(0) lgkmcnt(0)
	v_mul_f32_e32 v138, s3, v137
.LBB21_62:
	v_add_f32_e32 v63, v3, v63
	v_add_f32_e32 v62, v2, v62
	;; [unrolled: 1-line block ×6, first 2 shown]
	v_min3_f32 v62, v62, v63, v135
	v_add_f32_e32 v141, v36, v60
	v_min_f32_e32 v63, v64, v65
	v_add_nc_u32_e32 v64, 32, v139
	v_min3_f32 v137, v140, v137, v136
	v_add_f32_e32 v140, v37, v61
	v_add_co_u32 v135, vcc_lo, v143, v78
	v_min3_f32 v138, v138, v63, v62
	v_mad_i64_i32 v[62:63], null, v64, s2, 0
	v_mad_i64_i32 v[64:65], null, v64, s1, 0
	v_add_co_ci_u32_e64 v136, null, v144, v79, vcc_lo
	v_min3_f32 v137, v141, v140, v137
	s_mov_b32 s6, -1
	v_lshlrev_b64 v[62:63], 2, v[62:63]
	flat_store_dword v[135:136], v138
	v_lshlrev_b64 v[64:65], 2, v[64:65]
	v_max_f32_e32 v135, v137, v137
	v_add_co_u32 v62, vcc_lo, s4, v62
	v_add_co_ci_u32_e64 v63, null, s5, v63, vcc_lo
	v_add_co_u32 v64, vcc_lo, s8, v64
	v_add_co_ci_u32_e64 v65, null, s9, v65, vcc_lo
	s_mov_b32 vcc_lo, s0
	s_cbranch_vccz .LBB21_64
; %bb.63:
	v_add_co_u32 v136, vcc_lo, v62, v66
	v_min_f32_e32 v138, 0, v135
	v_add_co_ci_u32_e64 v137, null, v63, v67, vcc_lo
	s_mov_b32 s6, 0
	flat_store_dword v[136:137], v138
.LBB21_64:
	v_mov_b32_e32 v136, 0
	s_andn2_b32 vcc_lo, exec_lo, s6
	s_cbranch_vccnz .LBB21_66
; %bb.65:
	v_add_co_u32 v136, vcc_lo, v64, v66
	v_add_co_ci_u32_e64 v137, null, v65, v67, vcc_lo
	flat_load_dword v136, v[136:137]
	s_waitcnt vmcnt(0) lgkmcnt(0)
	v_mul_f32_e32 v138, s3, v136
	v_add_co_u32 v136, vcc_lo, v62, v66
	v_add_co_ci_u32_e64 v137, null, v63, v67, vcc_lo
	v_add_co_u32 v140, vcc_lo, v64, v0
	v_min_f32_e32 v135, v138, v135
	v_add_co_ci_u32_e64 v141, null, v65, v1, vcc_lo
	flat_store_dword v[136:137], v135
	flat_load_dword v135, v[140:141]
	s_waitcnt vmcnt(0) lgkmcnt(0)
	v_mul_f32_e32 v136, s3, v135
.LBB21_66:
	v_add_f32_e32 v135, v31, v59
	v_add_f32_e32 v137, v30, v58
	;; [unrolled: 1-line block ×6, first 2 shown]
	v_min3_f32 v133, v137, v135, v133
	s_mov_b32 s6, -1
	v_min_f32_e32 v135, v140, v138
	v_add_f32_e32 v138, v29, v61
	v_min3_f32 v137, v142, v141, v134
	v_add_f32_e32 v140, v28, v60
	v_min3_f32 v135, v136, v135, v133
	v_add_co_u32 v133, vcc_lo, v62, v0
	v_add_co_ci_u32_e64 v134, null, v63, v1, vcc_lo
	v_min3_f32 v136, v140, v138, v137
	s_mov_b32 vcc_lo, s0
	flat_store_dword v[133:134], v135
	v_max_f32_e32 v133, v136, v136
	s_cbranch_vccz .LBB21_68
; %bb.67:
	v_add_co_u32 v134, vcc_lo, v62, v70
	v_min_f32_e32 v136, 0, v133
	v_add_co_ci_u32_e64 v135, null, v63, v71, vcc_lo
	s_mov_b32 s6, 0
	flat_store_dword v[134:135], v136
.LBB21_68:
	v_mov_b32_e32 v134, 0
	s_andn2_b32 vcc_lo, exec_lo, s6
	s_cbranch_vccnz .LBB21_70
; %bb.69:
	v_add_co_u32 v134, vcc_lo, v64, v70
	v_add_co_ci_u32_e64 v135, null, v65, v71, vcc_lo
	flat_load_dword v134, v[134:135]
	s_waitcnt vmcnt(0) lgkmcnt(0)
	v_mul_f32_e32 v136, s3, v134
	v_add_co_u32 v134, vcc_lo, v62, v70
	v_add_co_ci_u32_e64 v135, null, v63, v71, vcc_lo
	v_min_f32_e32 v133, v136, v133
	v_add_co_u32 v136, vcc_lo, v64, v68
	v_add_co_ci_u32_e64 v137, null, v65, v69, vcc_lo
	flat_store_dword v[134:135], v133
	flat_load_dword v133, v[136:137]
	s_waitcnt vmcnt(0) lgkmcnt(0)
	v_mul_f32_e32 v134, s3, v133
.LBB21_70:
	v_add_f32_e32 v133, v23, v59
	v_add_f32_e32 v135, v22, v58
	;; [unrolled: 1-line block ×6, first 2 shown]
	v_min3_f32 v131, v135, v133, v131
	s_mov_b32 s6, -1
	v_min_f32_e32 v133, v137, v136
	v_add_f32_e32 v136, v21, v61
	v_min3_f32 v135, v140, v138, v132
	v_add_f32_e32 v137, v20, v60
	v_min3_f32 v133, v134, v133, v131
	v_add_co_u32 v131, vcc_lo, v62, v68
	v_add_co_ci_u32_e64 v132, null, v63, v69, vcc_lo
	v_min3_f32 v134, v137, v136, v135
	s_mov_b32 vcc_lo, s0
	flat_store_dword v[131:132], v133
	v_max_f32_e32 v131, v134, v134
	s_cbranch_vccz .LBB21_72
; %bb.71:
	v_add_co_u32 v132, vcc_lo, v62, v74
	v_min_f32_e32 v134, 0, v131
	v_add_co_ci_u32_e64 v133, null, v63, v75, vcc_lo
	s_mov_b32 s6, 0
	flat_store_dword v[132:133], v134
.LBB21_72:
	v_mov_b32_e32 v132, 0
	s_andn2_b32 vcc_lo, exec_lo, s6
	s_cbranch_vccnz .LBB21_74
; %bb.73:
	v_add_co_u32 v132, vcc_lo, v64, v74
	v_add_co_ci_u32_e64 v133, null, v65, v75, vcc_lo
	flat_load_dword v132, v[132:133]
	s_waitcnt vmcnt(0) lgkmcnt(0)
	v_mul_f32_e32 v134, s3, v132
	v_add_co_u32 v132, vcc_lo, v62, v74
	v_add_co_ci_u32_e64 v133, null, v63, v75, vcc_lo
	v_min_f32_e32 v131, v134, v131
	v_add_co_u32 v134, vcc_lo, v64, v72
	v_add_co_ci_u32_e64 v135, null, v65, v73, vcc_lo
	flat_store_dword v[132:133], v131
	flat_load_dword v131, v[134:135]
	s_waitcnt vmcnt(0) lgkmcnt(0)
	v_mul_f32_e32 v132, s3, v131
.LBB21_74:
	v_add_f32_e32 v131, v15, v59
	v_add_f32_e32 v133, v14, v58
	;; [unrolled: 1-line block ×6, first 2 shown]
	v_min3_f32 v128, v133, v131, v128
	s_mov_b32 s6, -1
	v_min_f32_e32 v131, v135, v134
	v_add_f32_e32 v134, v13, v61
	v_min3_f32 v133, v137, v136, v130
	v_add_f32_e32 v135, v12, v60
	v_add_co_u32 v130, vcc_lo, v62, v72
	v_min3_f32 v128, v132, v131, v128
	v_add_co_ci_u32_e64 v131, null, v63, v73, vcc_lo
	v_min3_f32 v132, v135, v134, v133
	s_mov_b32 vcc_lo, s0
	flat_store_dword v[130:131], v128
	v_max_f32_e32 v128, v132, v132
	s_cbranch_vccz .LBB21_76
; %bb.75:
	v_add_co_u32 v130, vcc_lo, v62, v76
	v_min_f32_e32 v132, 0, v128
	v_add_co_ci_u32_e64 v131, null, v63, v77, vcc_lo
	s_mov_b32 s6, 0
	flat_store_dword v[130:131], v132
.LBB21_76:
	v_mov_b32_e32 v130, 0
	s_andn2_b32 vcc_lo, exec_lo, s6
	s_cbranch_vccnz .LBB21_78
; %bb.77:
	v_add_co_u32 v130, vcc_lo, v64, v76
	v_add_co_ci_u32_e64 v131, null, v65, v77, vcc_lo
	flat_load_dword v130, v[130:131]
	s_waitcnt vmcnt(0) lgkmcnt(0)
	v_mul_f32_e32 v132, s3, v130
	v_add_co_u32 v130, vcc_lo, v62, v76
	v_add_co_ci_u32_e64 v131, null, v63, v77, vcc_lo
	v_add_co_u32 v64, vcc_lo, v64, v78
	v_min_f32_e32 v128, v132, v128
	v_add_co_ci_u32_e64 v65, null, v65, v79, vcc_lo
	flat_store_dword v[130:131], v128
	flat_load_dword v64, v[64:65]
	s_waitcnt vmcnt(0) lgkmcnt(0)
	v_mul_f32_e32 v130, s3, v64
.LBB21_78:
	v_add_f32_e32 v59, v3, v59
	v_add_f32_e32 v58, v2, v58
	;; [unrolled: 1-line block ×6, first 2 shown]
	v_min3_f32 v58, v58, v59, v127
	v_add_f32_e32 v127, v36, v56
	v_min_f32_e32 v59, v60, v61
	v_add_nc_u32_e32 v60, 64, v139
	v_min3_f32 v64, v65, v64, v129
	v_add_f32_e32 v65, v37, v57
	v_add_co_u32 v62, vcc_lo, v62, v78
	v_min3_f32 v128, v130, v59, v58
	v_mad_i64_i32 v[58:59], null, v60, s2, 0
	v_mad_i64_i32 v[60:61], null, v60, s1, 0
	v_add_co_ci_u32_e64 v63, null, v63, v79, vcc_lo
	v_min3_f32 v64, v127, v65, v64
	s_mov_b32 s6, -1
	v_lshlrev_b64 v[58:59], 2, v[58:59]
	flat_store_dword v[62:63], v128
	v_lshlrev_b64 v[60:61], 2, v[60:61]
	v_max_f32_e32 v62, v64, v64
	v_add_co_u32 v58, vcc_lo, s4, v58
	v_add_co_ci_u32_e64 v59, null, s5, v59, vcc_lo
	v_add_co_u32 v60, vcc_lo, s8, v60
	v_add_co_ci_u32_e64 v61, null, s9, v61, vcc_lo
	s_mov_b32 vcc_lo, s0
	s_cbranch_vccz .LBB21_80
; %bb.79:
	v_add_co_u32 v63, vcc_lo, v58, v66
	v_min_f32_e32 v65, 0, v62
	v_add_co_ci_u32_e64 v64, null, v59, v67, vcc_lo
	s_mov_b32 s6, 0
	flat_store_dword v[63:64], v65
.LBB21_80:
	v_mov_b32_e32 v63, 0
	s_andn2_b32 vcc_lo, exec_lo, s6
	s_cbranch_vccnz .LBB21_82
; %bb.81:
	v_add_co_u32 v63, vcc_lo, v60, v66
	v_add_co_ci_u32_e64 v64, null, v61, v67, vcc_lo
	flat_load_dword v63, v[63:64]
	s_waitcnt vmcnt(0) lgkmcnt(0)
	v_mul_f32_e32 v65, s3, v63
	v_add_co_u32 v63, vcc_lo, v58, v66
	v_add_co_ci_u32_e64 v64, null, v59, v67, vcc_lo
	v_add_co_u32 v127, vcc_lo, v60, v0
	v_min_f32_e32 v62, v65, v62
	v_add_co_ci_u32_e64 v128, null, v61, v1, vcc_lo
	flat_store_dword v[63:64], v62
	flat_load_dword v62, v[127:128]
	s_waitcnt vmcnt(0) lgkmcnt(0)
	v_mul_f32_e32 v63, s3, v62
.LBB21_82:
	v_add_f32_e32 v62, v31, v55
	v_add_f32_e32 v64, v30, v54
	v_add_f32_e32 v65, v33, v57
	v_add_f32_e32 v127, v32, v56
	v_add_f32_e32 v128, v27, v55
	v_add_f32_e32 v129, v26, v54
	v_min3_f32 v62, v64, v62, v126
	v_add_f32_e32 v126, v28, v56
	v_min_f32_e32 v64, v127, v65
	s_mov_b32 s6, -1
	v_min3_f32 v65, v129, v128, v125
	v_add_f32_e32 v125, v29, v57
	v_min3_f32 v64, v63, v64, v62
	v_add_co_u32 v62, vcc_lo, v58, v0
	v_add_co_ci_u32_e64 v63, null, v59, v1, vcc_lo
	v_min3_f32 v65, v126, v125, v65
	s_mov_b32 vcc_lo, s0
	flat_store_dword v[62:63], v64
	v_max_f32_e32 v62, v65, v65
	s_cbranch_vccz .LBB21_84
; %bb.83:
	v_add_co_u32 v63, vcc_lo, v58, v70
	v_min_f32_e32 v65, 0, v62
	v_add_co_ci_u32_e64 v64, null, v59, v71, vcc_lo
	s_mov_b32 s6, 0
	flat_store_dword v[63:64], v65
.LBB21_84:
	v_mov_b32_e32 v63, 0
	s_andn2_b32 vcc_lo, exec_lo, s6
	s_cbranch_vccnz .LBB21_86
; %bb.85:
	v_add_co_u32 v63, vcc_lo, v60, v70
	v_add_co_ci_u32_e64 v64, null, v61, v71, vcc_lo
	flat_load_dword v63, v[63:64]
	s_waitcnt vmcnt(0) lgkmcnt(0)
	v_mul_f32_e32 v65, s3, v63
	v_add_co_u32 v63, vcc_lo, v58, v70
	v_add_co_ci_u32_e64 v64, null, v59, v71, vcc_lo
	v_add_co_u32 v125, vcc_lo, v60, v68
	v_min_f32_e32 v62, v65, v62
	v_add_co_ci_u32_e64 v126, null, v61, v69, vcc_lo
	flat_store_dword v[63:64], v62
	flat_load_dword v62, v[125:126]
	s_waitcnt vmcnt(0) lgkmcnt(0)
	v_mul_f32_e32 v63, s3, v62
.LBB21_86:
	v_add_f32_e32 v62, v23, v55
	v_add_f32_e32 v64, v22, v54
	v_add_f32_e32 v65, v25, v57
	v_add_f32_e32 v125, v24, v56
	v_add_f32_e32 v126, v19, v55
	v_add_f32_e32 v127, v18, v54
	v_min3_f32 v62, v64, v62, v123
	v_add_f32_e32 v123, v21, v57
	v_min_f32_e32 v64, v125, v65
	s_mov_b32 s6, -1
	v_min3_f32 v65, v127, v126, v124
	v_add_f32_e32 v124, v20, v56
	v_min3_f32 v64, v63, v64, v62
	v_add_co_u32 v62, vcc_lo, v58, v68
	v_add_co_ci_u32_e64 v63, null, v59, v69, vcc_lo
	v_min3_f32 v65, v124, v123, v65
	s_mov_b32 vcc_lo, s0
	flat_store_dword v[62:63], v64
	v_max_f32_e32 v62, v65, v65
	;; [unrolled: 46-line block ×3, first 2 shown]
	s_cbranch_vccz .LBB21_92
; %bb.91:
	v_add_co_u32 v63, vcc_lo, v58, v76
	v_min_f32_e32 v65, 0, v62
	v_add_co_ci_u32_e64 v64, null, v59, v77, vcc_lo
	s_mov_b32 s6, 0
	flat_store_dword v[63:64], v65
.LBB21_92:
	v_mov_b32_e32 v63, 0
	s_andn2_b32 vcc_lo, exec_lo, s6
	s_cbranch_vccnz .LBB21_94
; %bb.93:
	v_add_co_u32 v63, vcc_lo, v60, v76
	v_add_co_ci_u32_e64 v64, null, v61, v77, vcc_lo
	flat_load_dword v63, v[63:64]
	s_waitcnt vmcnt(0) lgkmcnt(0)
	v_mul_f32_e32 v65, s3, v63
	v_add_co_u32 v63, vcc_lo, v58, v76
	v_add_co_ci_u32_e64 v64, null, v59, v77, vcc_lo
	v_add_co_u32 v60, vcc_lo, v60, v78
	v_min_f32_e32 v62, v65, v62
	v_add_co_ci_u32_e64 v61, null, v61, v79, vcc_lo
	flat_store_dword v[63:64], v62
	flat_load_dword v60, v[60:61]
	s_waitcnt vmcnt(0) lgkmcnt(0)
	v_mul_f32_e32 v63, s3, v60
.LBB21_94:
	v_add_f32_e32 v55, v3, v55
	v_add_f32_e32 v54, v2, v54
	;; [unrolled: 1-line block ×6, first 2 shown]
	v_min3_f32 v54, v54, v55, v119
	v_add_f32_e32 v62, v36, v52
	v_min_f32_e32 v55, v56, v57
	v_add_nc_u32_e32 v56, 0x60, v139
	v_min3_f32 v60, v61, v60, v120
	v_add_f32_e32 v61, v37, v53
	v_add_co_u32 v58, vcc_lo, v58, v78
	v_min3_f32 v63, v63, v55, v54
	v_mad_i64_i32 v[54:55], null, v56, s2, 0
	v_mad_i64_i32 v[56:57], null, v56, s1, 0
	v_add_co_ci_u32_e64 v59, null, v59, v79, vcc_lo
	v_min3_f32 v60, v62, v61, v60
	s_mov_b32 s6, -1
	v_lshlrev_b64 v[54:55], 2, v[54:55]
	flat_store_dword v[58:59], v63
	v_lshlrev_b64 v[56:57], 2, v[56:57]
	v_max_f32_e32 v58, v60, v60
	v_add_co_u32 v54, vcc_lo, s4, v54
	v_add_co_ci_u32_e64 v55, null, s5, v55, vcc_lo
	v_add_co_u32 v56, vcc_lo, s8, v56
	v_add_co_ci_u32_e64 v57, null, s9, v57, vcc_lo
	s_mov_b32 vcc_lo, s0
	s_cbranch_vccz .LBB21_96
; %bb.95:
	v_add_co_u32 v59, vcc_lo, v54, v66
	v_min_f32_e32 v61, 0, v58
	v_add_co_ci_u32_e64 v60, null, v55, v67, vcc_lo
	s_mov_b32 s6, 0
	flat_store_dword v[59:60], v61
.LBB21_96:
	v_mov_b32_e32 v59, 0
	s_andn2_b32 vcc_lo, exec_lo, s6
	s_cbranch_vccnz .LBB21_98
; %bb.97:
	v_add_co_u32 v59, vcc_lo, v56, v66
	v_add_co_ci_u32_e64 v60, null, v57, v67, vcc_lo
	flat_load_dword v59, v[59:60]
	s_waitcnt vmcnt(0) lgkmcnt(0)
	v_mul_f32_e32 v61, s3, v59
	v_add_co_u32 v59, vcc_lo, v54, v66
	v_add_co_ci_u32_e64 v60, null, v55, v67, vcc_lo
	v_min_f32_e32 v58, v61, v58
	v_add_co_u32 v61, vcc_lo, v56, v0
	v_add_co_ci_u32_e64 v62, null, v57, v1, vcc_lo
	flat_store_dword v[59:60], v58
	flat_load_dword v58, v[61:62]
	s_waitcnt vmcnt(0) lgkmcnt(0)
	v_mul_f32_e32 v59, s3, v58
.LBB21_98:
	v_add_f32_e32 v58, v31, v51
	v_add_f32_e32 v60, v30, v50
	v_add_f32_e32 v61, v33, v53
	v_add_f32_e32 v62, v32, v52
	v_add_f32_e32 v63, v27, v51
	v_add_f32_e32 v64, v26, v50
	v_min3_f32 v58, v60, v58, v117
	s_mov_b32 s6, -1
	v_min_f32_e32 v60, v62, v61
	v_add_f32_e32 v62, v29, v53
	v_min3_f32 v61, v64, v63, v118
	v_add_f32_e32 v63, v28, v52
	v_min3_f32 v60, v59, v60, v58
	v_add_co_u32 v58, vcc_lo, v54, v0
	v_add_co_ci_u32_e64 v59, null, v55, v1, vcc_lo
	v_min3_f32 v61, v63, v62, v61
	s_mov_b32 vcc_lo, s0
	flat_store_dword v[58:59], v60
	v_max_f32_e32 v58, v61, v61
	s_cbranch_vccz .LBB21_100
; %bb.99:
	v_add_co_u32 v59, vcc_lo, v54, v70
	v_min_f32_e32 v61, 0, v58
	v_add_co_ci_u32_e64 v60, null, v55, v71, vcc_lo
	s_mov_b32 s6, 0
	flat_store_dword v[59:60], v61
.LBB21_100:
	v_mov_b32_e32 v59, 0
	s_andn2_b32 vcc_lo, exec_lo, s6
	s_cbranch_vccnz .LBB21_102
; %bb.101:
	v_add_co_u32 v59, vcc_lo, v56, v70
	v_add_co_ci_u32_e64 v60, null, v57, v71, vcc_lo
	flat_load_dword v59, v[59:60]
	s_waitcnt vmcnt(0) lgkmcnt(0)
	v_mul_f32_e32 v61, s3, v59
	v_add_co_u32 v59, vcc_lo, v54, v70
	v_add_co_ci_u32_e64 v60, null, v55, v71, vcc_lo
	v_min_f32_e32 v58, v61, v58
	v_add_co_u32 v61, vcc_lo, v56, v68
	v_add_co_ci_u32_e64 v62, null, v57, v69, vcc_lo
	flat_store_dword v[59:60], v58
	flat_load_dword v58, v[61:62]
	s_waitcnt vmcnt(0) lgkmcnt(0)
	v_mul_f32_e32 v59, s3, v58
.LBB21_102:
	v_add_f32_e32 v58, v23, v51
	v_add_f32_e32 v60, v22, v50
	v_add_f32_e32 v61, v25, v53
	v_add_f32_e32 v62, v24, v52
	v_add_f32_e32 v63, v19, v51
	v_add_f32_e32 v64, v18, v50
	v_min3_f32 v58, v60, v58, v116
	s_mov_b32 s6, -1
	v_min_f32_e32 v60, v62, v61
	v_add_f32_e32 v62, v21, v53
	v_min3_f32 v61, v64, v63, v115
	v_add_f32_e32 v63, v20, v52
	v_min3_f32 v60, v59, v60, v58
	v_add_co_u32 v58, vcc_lo, v54, v68
	v_add_co_ci_u32_e64 v59, null, v55, v69, vcc_lo
	v_min3_f32 v61, v63, v62, v61
	s_mov_b32 vcc_lo, s0
	flat_store_dword v[58:59], v60
	v_max_f32_e32 v58, v61, v61
	;; [unrolled: 46-line block ×3, first 2 shown]
	s_cbranch_vccz .LBB21_108
; %bb.107:
	v_add_co_u32 v59, vcc_lo, v54, v76
	v_min_f32_e32 v61, 0, v58
	v_add_co_ci_u32_e64 v60, null, v55, v77, vcc_lo
	s_mov_b32 s6, 0
	flat_store_dword v[59:60], v61
.LBB21_108:
	v_mov_b32_e32 v59, 0
	s_andn2_b32 vcc_lo, exec_lo, s6
	s_cbranch_vccnz .LBB21_110
; %bb.109:
	v_add_co_u32 v59, vcc_lo, v56, v76
	v_add_co_ci_u32_e64 v60, null, v57, v77, vcc_lo
	flat_load_dword v59, v[59:60]
	s_waitcnt vmcnt(0) lgkmcnt(0)
	v_mul_f32_e32 v61, s3, v59
	v_add_co_u32 v59, vcc_lo, v54, v76
	v_add_co_ci_u32_e64 v60, null, v55, v77, vcc_lo
	v_add_co_u32 v56, vcc_lo, v56, v78
	v_min_f32_e32 v58, v61, v58
	v_add_co_ci_u32_e64 v57, null, v57, v79, vcc_lo
	flat_store_dword v[59:60], v58
	flat_load_dword v56, v[56:57]
	s_waitcnt vmcnt(0) lgkmcnt(0)
	v_mul_f32_e32 v59, s3, v56
.LBB21_110:
	v_add_f32_e32 v51, v3, v51
	v_add_f32_e32 v50, v2, v50
	;; [unrolled: 1-line block ×6, first 2 shown]
	v_min3_f32 v50, v50, v51, v111
	v_add_f32_e32 v58, v36, v48
	v_min_f32_e32 v51, v52, v53
	v_add_nc_u32_e32 v52, 0x80, v139
	v_min3_f32 v56, v57, v56, v112
	v_add_f32_e32 v57, v37, v49
	v_add_co_u32 v54, vcc_lo, v54, v78
	v_min3_f32 v59, v59, v51, v50
	v_mad_i64_i32 v[50:51], null, v52, s2, 0
	v_mad_i64_i32 v[52:53], null, v52, s1, 0
	v_add_co_ci_u32_e64 v55, null, v55, v79, vcc_lo
	v_min3_f32 v56, v58, v57, v56
	s_mov_b32 s6, -1
	v_lshlrev_b64 v[50:51], 2, v[50:51]
	flat_store_dword v[54:55], v59
	v_lshlrev_b64 v[52:53], 2, v[52:53]
	v_max_f32_e32 v54, v56, v56
	v_add_co_u32 v50, vcc_lo, s4, v50
	v_add_co_ci_u32_e64 v51, null, s5, v51, vcc_lo
	v_add_co_u32 v52, vcc_lo, s8, v52
	v_add_co_ci_u32_e64 v53, null, s9, v53, vcc_lo
	s_mov_b32 vcc_lo, s0
	s_cbranch_vccz .LBB21_112
; %bb.111:
	v_add_co_u32 v55, vcc_lo, v50, v66
	v_min_f32_e32 v57, 0, v54
	v_add_co_ci_u32_e64 v56, null, v51, v67, vcc_lo
	s_mov_b32 s6, 0
	flat_store_dword v[55:56], v57
.LBB21_112:
	v_mov_b32_e32 v55, 0
	s_andn2_b32 vcc_lo, exec_lo, s6
	s_cbranch_vccnz .LBB21_114
; %bb.113:
	v_add_co_u32 v55, vcc_lo, v52, v66
	v_add_co_ci_u32_e64 v56, null, v53, v67, vcc_lo
	flat_load_dword v55, v[55:56]
	s_waitcnt vmcnt(0) lgkmcnt(0)
	v_mul_f32_e32 v57, s3, v55
	v_add_co_u32 v55, vcc_lo, v50, v66
	v_add_co_ci_u32_e64 v56, null, v51, v67, vcc_lo
	v_min_f32_e32 v54, v57, v54
	v_add_co_u32 v57, vcc_lo, v52, v0
	v_add_co_ci_u32_e64 v58, null, v53, v1, vcc_lo
	flat_store_dword v[55:56], v54
	flat_load_dword v54, v[57:58]
	s_waitcnt vmcnt(0) lgkmcnt(0)
	v_mul_f32_e32 v55, s3, v54
.LBB21_114:
	v_add_f32_e32 v54, v31, v47
	v_add_f32_e32 v56, v30, v46
	v_add_f32_e32 v57, v33, v49
	v_add_f32_e32 v58, v32, v48
	v_add_f32_e32 v59, v27, v47
	v_add_f32_e32 v60, v26, v46
	v_min3_f32 v54, v56, v54, v109
	s_mov_b32 s6, -1
	v_min_f32_e32 v56, v58, v57
	v_add_f32_e32 v58, v29, v49
	v_min3_f32 v57, v60, v59, v110
	v_add_f32_e32 v59, v28, v48
	v_min3_f32 v56, v55, v56, v54
	v_add_co_u32 v54, vcc_lo, v50, v0
	v_add_co_ci_u32_e64 v55, null, v51, v1, vcc_lo
	v_min3_f32 v57, v59, v58, v57
	s_mov_b32 vcc_lo, s0
	flat_store_dword v[54:55], v56
	v_max_f32_e32 v54, v57, v57
	s_cbranch_vccz .LBB21_116
; %bb.115:
	v_add_co_u32 v55, vcc_lo, v50, v70
	v_min_f32_e32 v57, 0, v54
	v_add_co_ci_u32_e64 v56, null, v51, v71, vcc_lo
	s_mov_b32 s6, 0
	flat_store_dword v[55:56], v57
.LBB21_116:
	v_mov_b32_e32 v55, 0
	s_andn2_b32 vcc_lo, exec_lo, s6
	s_cbranch_vccnz .LBB21_118
; %bb.117:
	v_add_co_u32 v55, vcc_lo, v52, v70
	v_add_co_ci_u32_e64 v56, null, v53, v71, vcc_lo
	flat_load_dword v55, v[55:56]
	s_waitcnt vmcnt(0) lgkmcnt(0)
	v_mul_f32_e32 v57, s3, v55
	v_add_co_u32 v55, vcc_lo, v50, v70
	v_add_co_ci_u32_e64 v56, null, v51, v71, vcc_lo
	v_min_f32_e32 v54, v57, v54
	v_add_co_u32 v57, vcc_lo, v52, v68
	v_add_co_ci_u32_e64 v58, null, v53, v69, vcc_lo
	flat_store_dword v[55:56], v54
	flat_load_dword v54, v[57:58]
	s_waitcnt vmcnt(0) lgkmcnt(0)
	v_mul_f32_e32 v55, s3, v54
.LBB21_118:
	v_add_f32_e32 v54, v23, v47
	v_add_f32_e32 v56, v22, v46
	v_add_f32_e32 v57, v25, v49
	v_add_f32_e32 v58, v24, v48
	v_add_f32_e32 v59, v19, v47
	v_add_f32_e32 v60, v18, v46
	v_min3_f32 v54, v56, v54, v107
	s_mov_b32 s6, -1
	v_min_f32_e32 v56, v58, v57
	v_add_f32_e32 v58, v21, v49
	v_min3_f32 v57, v60, v59, v108
	v_add_f32_e32 v59, v20, v48
	v_min3_f32 v56, v55, v56, v54
	v_add_co_u32 v54, vcc_lo, v50, v68
	v_add_co_ci_u32_e64 v55, null, v51, v69, vcc_lo
	v_min3_f32 v57, v59, v58, v57
	s_mov_b32 vcc_lo, s0
	flat_store_dword v[54:55], v56
	v_max_f32_e32 v54, v57, v57
	;; [unrolled: 46-line block ×3, first 2 shown]
	s_cbranch_vccz .LBB21_124
; %bb.123:
	v_add_co_u32 v55, vcc_lo, v50, v76
	v_min_f32_e32 v57, 0, v54
	v_add_co_ci_u32_e64 v56, null, v51, v77, vcc_lo
	s_mov_b32 s6, 0
	flat_store_dword v[55:56], v57
.LBB21_124:
	v_mov_b32_e32 v55, 0
	s_andn2_b32 vcc_lo, exec_lo, s6
	s_cbranch_vccnz .LBB21_126
; %bb.125:
	v_add_co_u32 v55, vcc_lo, v52, v76
	v_add_co_ci_u32_e64 v56, null, v53, v77, vcc_lo
	flat_load_dword v55, v[55:56]
	s_waitcnt vmcnt(0) lgkmcnt(0)
	v_mul_f32_e32 v57, s3, v55
	v_add_co_u32 v55, vcc_lo, v50, v76
	v_add_co_ci_u32_e64 v56, null, v51, v77, vcc_lo
	v_add_co_u32 v52, vcc_lo, v52, v78
	v_min_f32_e32 v54, v57, v54
	v_add_co_ci_u32_e64 v53, null, v53, v79, vcc_lo
	flat_store_dword v[55:56], v54
	flat_load_dword v52, v[52:53]
	s_waitcnt vmcnt(0) lgkmcnt(0)
	v_mul_f32_e32 v55, s3, v52
.LBB21_126:
	v_add_f32_e32 v47, v3, v47
	v_add_f32_e32 v46, v2, v46
	;; [unrolled: 1-line block ×6, first 2 shown]
	v_min3_f32 v46, v46, v47, v103
	v_add_f32_e32 v54, v36, v44
	v_min_f32_e32 v47, v48, v49
	v_add_nc_u32_e32 v48, 0xa0, v139
	v_min3_f32 v52, v53, v52, v104
	v_add_f32_e32 v53, v37, v45
	v_add_co_u32 v50, vcc_lo, v50, v78
	v_min3_f32 v55, v55, v47, v46
	v_mad_i64_i32 v[46:47], null, v48, s2, 0
	v_mad_i64_i32 v[48:49], null, v48, s1, 0
	v_add_co_ci_u32_e64 v51, null, v51, v79, vcc_lo
	v_min3_f32 v52, v54, v53, v52
	s_mov_b32 s6, -1
	v_lshlrev_b64 v[46:47], 2, v[46:47]
	flat_store_dword v[50:51], v55
	v_lshlrev_b64 v[48:49], 2, v[48:49]
	v_max_f32_e32 v50, v52, v52
	v_add_co_u32 v46, vcc_lo, s4, v46
	v_add_co_ci_u32_e64 v47, null, s5, v47, vcc_lo
	v_add_co_u32 v48, vcc_lo, s8, v48
	v_add_co_ci_u32_e64 v49, null, s9, v49, vcc_lo
	s_mov_b32 vcc_lo, s0
	s_cbranch_vccz .LBB21_128
; %bb.127:
	v_add_co_u32 v51, vcc_lo, v46, v66
	v_min_f32_e32 v53, 0, v50
	v_add_co_ci_u32_e64 v52, null, v47, v67, vcc_lo
	s_mov_b32 s6, 0
	flat_store_dword v[51:52], v53
.LBB21_128:
	v_mov_b32_e32 v51, 0
	s_andn2_b32 vcc_lo, exec_lo, s6
	s_cbranch_vccnz .LBB21_130
; %bb.129:
	v_add_co_u32 v51, vcc_lo, v48, v66
	v_add_co_ci_u32_e64 v52, null, v49, v67, vcc_lo
	flat_load_dword v51, v[51:52]
	s_waitcnt vmcnt(0) lgkmcnt(0)
	v_mul_f32_e32 v53, s3, v51
	v_add_co_u32 v51, vcc_lo, v46, v66
	v_add_co_ci_u32_e64 v52, null, v47, v67, vcc_lo
	v_min_f32_e32 v50, v53, v50
	v_add_co_u32 v53, vcc_lo, v48, v0
	v_add_co_ci_u32_e64 v54, null, v49, v1, vcc_lo
	flat_store_dword v[51:52], v50
	flat_load_dword v50, v[53:54]
	s_waitcnt vmcnt(0) lgkmcnt(0)
	v_mul_f32_e32 v51, s3, v50
.LBB21_130:
	v_add_f32_e32 v50, v31, v43
	v_add_f32_e32 v52, v30, v42
	v_add_f32_e32 v53, v33, v45
	v_add_f32_e32 v54, v32, v44
	v_add_f32_e32 v55, v27, v43
	v_add_f32_e32 v56, v26, v42
	v_min3_f32 v50, v52, v50, v101
	s_mov_b32 s6, -1
	v_min_f32_e32 v52, v54, v53
	v_add_f32_e32 v54, v29, v45
	v_min3_f32 v53, v56, v55, v102
	v_add_f32_e32 v55, v28, v44
	v_min3_f32 v52, v51, v52, v50
	v_add_co_u32 v50, vcc_lo, v46, v0
	v_add_co_ci_u32_e64 v51, null, v47, v1, vcc_lo
	v_min3_f32 v53, v55, v54, v53
	s_mov_b32 vcc_lo, s0
	flat_store_dword v[50:51], v52
	v_max_f32_e32 v50, v53, v53
	s_cbranch_vccz .LBB21_132
; %bb.131:
	v_add_co_u32 v51, vcc_lo, v46, v70
	v_min_f32_e32 v53, 0, v50
	v_add_co_ci_u32_e64 v52, null, v47, v71, vcc_lo
	s_mov_b32 s6, 0
	flat_store_dword v[51:52], v53
.LBB21_132:
	v_mov_b32_e32 v51, 0
	s_andn2_b32 vcc_lo, exec_lo, s6
	s_cbranch_vccnz .LBB21_134
; %bb.133:
	v_add_co_u32 v51, vcc_lo, v48, v70
	v_add_co_ci_u32_e64 v52, null, v49, v71, vcc_lo
	flat_load_dword v51, v[51:52]
	s_waitcnt vmcnt(0) lgkmcnt(0)
	v_mul_f32_e32 v53, s3, v51
	v_add_co_u32 v51, vcc_lo, v46, v70
	v_add_co_ci_u32_e64 v52, null, v47, v71, vcc_lo
	v_min_f32_e32 v50, v53, v50
	v_add_co_u32 v53, vcc_lo, v48, v68
	v_add_co_ci_u32_e64 v54, null, v49, v69, vcc_lo
	flat_store_dword v[51:52], v50
	flat_load_dword v50, v[53:54]
	s_waitcnt vmcnt(0) lgkmcnt(0)
	v_mul_f32_e32 v51, s3, v50
.LBB21_134:
	v_add_f32_e32 v50, v23, v43
	v_add_f32_e32 v52, v22, v42
	v_add_f32_e32 v53, v25, v45
	v_add_f32_e32 v54, v24, v44
	v_add_f32_e32 v55, v19, v43
	v_add_f32_e32 v56, v18, v42
	v_min3_f32 v50, v52, v50, v99
	s_mov_b32 s6, -1
	v_min_f32_e32 v52, v54, v53
	v_add_f32_e32 v54, v21, v45
	v_min3_f32 v53, v56, v55, v100
	v_add_f32_e32 v55, v20, v44
	v_min3_f32 v52, v51, v52, v50
	v_add_co_u32 v50, vcc_lo, v46, v68
	v_add_co_ci_u32_e64 v51, null, v47, v69, vcc_lo
	v_min3_f32 v53, v55, v54, v53
	s_mov_b32 vcc_lo, s0
	flat_store_dword v[50:51], v52
	v_max_f32_e32 v50, v53, v53
	;; [unrolled: 46-line block ×3, first 2 shown]
	s_cbranch_vccz .LBB21_140
; %bb.139:
	v_add_co_u32 v51, vcc_lo, v46, v76
	v_min_f32_e32 v53, 0, v50
	v_add_co_ci_u32_e64 v52, null, v47, v77, vcc_lo
	s_mov_b32 s6, 0
	flat_store_dword v[51:52], v53
.LBB21_140:
	v_mov_b32_e32 v51, 0
	s_andn2_b32 vcc_lo, exec_lo, s6
	s_cbranch_vccnz .LBB21_142
; %bb.141:
	v_add_co_u32 v51, vcc_lo, v48, v76
	v_add_co_ci_u32_e64 v52, null, v49, v77, vcc_lo
	flat_load_dword v51, v[51:52]
	s_waitcnt vmcnt(0) lgkmcnt(0)
	v_mul_f32_e32 v53, s3, v51
	v_add_co_u32 v51, vcc_lo, v46, v76
	v_add_co_ci_u32_e64 v52, null, v47, v77, vcc_lo
	v_add_co_u32 v48, vcc_lo, v48, v78
	v_min_f32_e32 v50, v53, v50
	v_add_co_ci_u32_e64 v49, null, v49, v79, vcc_lo
	flat_store_dword v[51:52], v50
	flat_load_dword v48, v[48:49]
	s_waitcnt vmcnt(0) lgkmcnt(0)
	v_mul_f32_e32 v51, s3, v48
.LBB21_142:
	v_add_f32_e32 v43, v3, v43
	v_add_f32_e32 v42, v2, v42
	;; [unrolled: 1-line block ×4, first 2 shown]
	s_waitcnt lgkmcnt(24)
	v_add_f32_e32 v48, v35, v39
	v_add_f32_e32 v49, v34, v38
	v_min3_f32 v42, v42, v43, v95
	v_add_f32_e32 v50, v36, v40
	v_min_f32_e32 v43, v44, v45
	v_add_nc_u32_e32 v44, 0xc0, v139
	v_min3_f32 v48, v49, v48, v96
	v_add_f32_e32 v49, v37, v41
	v_add_co_u32 v46, vcc_lo, v46, v78
	v_min3_f32 v51, v51, v43, v42
	v_mad_i64_i32 v[42:43], null, v44, s2, 0
	v_mad_i64_i32 v[44:45], null, v44, s1, 0
	v_add_co_ci_u32_e64 v47, null, v47, v79, vcc_lo
	v_min3_f32 v48, v50, v49, v48
	s_mov_b32 s6, -1
	v_lshlrev_b64 v[42:43], 2, v[42:43]
	flat_store_dword v[46:47], v51
	v_lshlrev_b64 v[44:45], 2, v[44:45]
	v_max_f32_e32 v46, v48, v48
	v_add_co_u32 v42, vcc_lo, s4, v42
	v_add_co_ci_u32_e64 v43, null, s5, v43, vcc_lo
	v_add_co_u32 v44, vcc_lo, s8, v44
	v_add_co_ci_u32_e64 v45, null, s9, v45, vcc_lo
	s_mov_b32 vcc_lo, s0
	s_cbranch_vccz .LBB21_144
; %bb.143:
	v_add_co_u32 v47, vcc_lo, v42, v66
	v_min_f32_e32 v49, 0, v46
	v_add_co_ci_u32_e64 v48, null, v43, v67, vcc_lo
	s_mov_b32 s6, 0
	flat_store_dword v[47:48], v49
.LBB21_144:
	v_mov_b32_e32 v47, 0
	s_andn2_b32 vcc_lo, exec_lo, s6
	s_cbranch_vccnz .LBB21_146
; %bb.145:
	v_add_co_u32 v47, vcc_lo, v44, v66
	v_add_co_ci_u32_e64 v48, null, v45, v67, vcc_lo
	flat_load_dword v47, v[47:48]
	s_waitcnt vmcnt(0) lgkmcnt(0)
	v_mul_f32_e32 v49, s3, v47
	v_add_co_u32 v47, vcc_lo, v42, v66
	v_add_co_ci_u32_e64 v48, null, v43, v67, vcc_lo
	v_min_f32_e32 v46, v49, v46
	v_add_co_u32 v49, vcc_lo, v44, v0
	v_add_co_ci_u32_e64 v50, null, v45, v1, vcc_lo
	flat_store_dword v[47:48], v46
	flat_load_dword v46, v[49:50]
	s_waitcnt vmcnt(0) lgkmcnt(0)
	v_mul_f32_e32 v47, s3, v46
.LBB21_146:
	v_add_f32_e32 v46, v31, v39
	v_add_f32_e32 v48, v30, v38
	v_add_f32_e32 v49, v33, v41
	v_add_f32_e32 v50, v32, v40
	v_add_f32_e32 v51, v27, v39
	v_add_f32_e32 v52, v26, v38
	v_min3_f32 v46, v48, v46, v93
	s_mov_b32 s6, -1
	v_min_f32_e32 v48, v50, v49
	v_add_f32_e32 v50, v29, v41
	v_min3_f32 v49, v52, v51, v94
	v_add_f32_e32 v51, v28, v40
	v_min3_f32 v48, v47, v48, v46
	v_add_co_u32 v46, vcc_lo, v42, v0
	v_add_co_ci_u32_e64 v47, null, v43, v1, vcc_lo
	v_min3_f32 v49, v51, v50, v49
	s_mov_b32 vcc_lo, s0
	flat_store_dword v[46:47], v48
	v_max_f32_e32 v46, v49, v49
	s_cbranch_vccz .LBB21_148
; %bb.147:
	v_add_co_u32 v47, vcc_lo, v42, v70
	v_min_f32_e32 v49, 0, v46
	v_add_co_ci_u32_e64 v48, null, v43, v71, vcc_lo
	s_mov_b32 s6, 0
	flat_store_dword v[47:48], v49
.LBB21_148:
	v_mov_b32_e32 v47, 0
	s_andn2_b32 vcc_lo, exec_lo, s6
	s_cbranch_vccnz .LBB21_150
; %bb.149:
	v_add_co_u32 v47, vcc_lo, v44, v70
	v_add_co_ci_u32_e64 v48, null, v45, v71, vcc_lo
	flat_load_dword v47, v[47:48]
	s_waitcnt vmcnt(0) lgkmcnt(0)
	v_mul_f32_e32 v49, s3, v47
	v_add_co_u32 v47, vcc_lo, v42, v70
	v_add_co_ci_u32_e64 v48, null, v43, v71, vcc_lo
	v_min_f32_e32 v46, v49, v46
	v_add_co_u32 v49, vcc_lo, v44, v68
	v_add_co_ci_u32_e64 v50, null, v45, v69, vcc_lo
	flat_store_dword v[47:48], v46
	flat_load_dword v46, v[49:50]
	s_waitcnt vmcnt(0) lgkmcnt(0)
	v_mul_f32_e32 v47, s3, v46
.LBB21_150:
	v_add_f32_e32 v46, v23, v39
	v_add_f32_e32 v48, v22, v38
	v_add_f32_e32 v49, v25, v41
	v_add_f32_e32 v50, v24, v40
	v_add_f32_e32 v51, v19, v39
	v_add_f32_e32 v52, v18, v38
	v_min3_f32 v46, v48, v46, v91
	s_mov_b32 s6, -1
	v_min_f32_e32 v48, v50, v49
	v_add_f32_e32 v50, v21, v41
	v_min3_f32 v49, v52, v51, v92
	v_add_f32_e32 v51, v20, v40
	v_min3_f32 v48, v47, v48, v46
	v_add_co_u32 v46, vcc_lo, v42, v68
	v_add_co_ci_u32_e64 v47, null, v43, v69, vcc_lo
	v_min3_f32 v49, v51, v50, v49
	s_mov_b32 vcc_lo, s0
	flat_store_dword v[46:47], v48
	v_max_f32_e32 v46, v49, v49
	;; [unrolled: 46-line block ×3, first 2 shown]
	s_cbranch_vccz .LBB21_156
; %bb.155:
	v_add_co_u32 v47, vcc_lo, v42, v76
	v_min_f32_e32 v49, 0, v46
	v_add_co_ci_u32_e64 v48, null, v43, v77, vcc_lo
	s_mov_b32 s6, 0
	flat_store_dword v[47:48], v49
.LBB21_156:
	v_mov_b32_e32 v47, 0
	s_andn2_b32 vcc_lo, exec_lo, s6
	s_cbranch_vccnz .LBB21_158
; %bb.157:
	v_add_co_u32 v47, vcc_lo, v44, v76
	v_add_co_ci_u32_e64 v48, null, v45, v77, vcc_lo
	flat_load_dword v47, v[47:48]
	s_waitcnt vmcnt(0) lgkmcnt(0)
	v_mul_f32_e32 v49, s3, v47
	v_add_co_u32 v47, vcc_lo, v42, v76
	v_add_co_ci_u32_e64 v48, null, v43, v77, vcc_lo
	v_add_co_u32 v44, vcc_lo, v44, v78
	v_min_f32_e32 v46, v49, v46
	v_add_co_ci_u32_e64 v45, null, v45, v79, vcc_lo
	flat_store_dword v[47:48], v46
	flat_load_dword v44, v[44:45]
	s_waitcnt vmcnt(0) lgkmcnt(0)
	v_mul_f32_e32 v47, s3, v44
.LBB21_158:
	v_add_f32_e32 v39, v3, v39
	v_add_f32_e32 v38, v2, v38
	;; [unrolled: 1-line block ×4, first 2 shown]
	s_waitcnt lgkmcnt(27)
	v_add_f32_e32 v35, v35, v7
	v_add_f32_e32 v34, v34, v6
	v_min3_f32 v38, v38, v39, v87
	v_add_f32_e32 v44, v37, v9
	v_min_f32_e32 v39, v40, v41
	v_add_nc_u32_e32 v41, 0xe0, v139
	v_min3_f32 v40, v34, v35, v88
	v_add_f32_e32 v45, v36, v8
	v_min3_f32 v46, v47, v39, v38
	v_mad_i64_i32 v[34:35], null, v41, s2, 0
	v_mad_i64_i32 v[36:37], null, v41, s1, 0
	v_add_co_u32 v38, vcc_lo, v42, v78
	v_add_co_ci_u32_e64 v39, null, v43, v79, vcc_lo
	v_lshlrev_b64 v[34:35], 2, v[34:35]
	v_min3_f32 v40, v45, v44, v40
	v_lshlrev_b64 v[36:37], 2, v[36:37]
	flat_store_dword v[38:39], v46
	s_mov_b32 s1, -1
	v_add_co_u32 v34, vcc_lo, s4, v34
	v_add_co_ci_u32_e64 v35, null, s5, v35, vcc_lo
	v_add_co_u32 v36, vcc_lo, s8, v36
	v_add_co_ci_u32_e64 v37, null, s9, v37, vcc_lo
	v_max_f32_e32 v38, v40, v40
	s_mov_b32 vcc_lo, s0
	s_cbranch_vccz .LBB21_160
; %bb.159:
	v_add_co_u32 v39, vcc_lo, v34, v66
	v_min_f32_e32 v41, 0, v38
	v_add_co_ci_u32_e64 v40, null, v35, v67, vcc_lo
	s_mov_b32 s1, 0
	flat_store_dword v[39:40], v41
.LBB21_160:
	v_mov_b32_e32 v39, 0
	s_andn2_b32 vcc_lo, exec_lo, s1
	s_cbranch_vccnz .LBB21_162
; %bb.161:
	v_add_co_u32 v39, vcc_lo, v36, v66
	v_add_co_ci_u32_e64 v40, null, v37, v67, vcc_lo
	flat_load_dword v39, v[39:40]
	s_waitcnt vmcnt(0) lgkmcnt(0)
	v_mul_f32_e32 v41, s3, v39
	v_add_co_u32 v39, vcc_lo, v34, v66
	v_add_co_ci_u32_e64 v40, null, v35, v67, vcc_lo
	v_min_f32_e32 v38, v41, v38
	v_add_co_u32 v41, vcc_lo, v36, v0
	v_add_co_ci_u32_e64 v42, null, v37, v1, vcc_lo
	flat_store_dword v[39:40], v38
	flat_load_dword v38, v[41:42]
	s_waitcnt vmcnt(0) lgkmcnt(0)
	v_mul_f32_e32 v39, s3, v38
.LBB21_162:
	v_add_f32_e32 v31, v31, v7
	v_add_f32_e32 v30, v30, v6
	;; [unrolled: 1-line block ×6, first 2 shown]
	v_min3_f32 v30, v30, v31, v86
	v_add_f32_e32 v28, v28, v8
	v_min_f32_e32 v31, v32, v33
	v_add_co_u32 v0, vcc_lo, v34, v0
	v_min3_f32 v26, v26, v27, v85
	v_add_f32_e32 v27, v29, v9
	v_min3_f32 v29, v39, v31, v30
	v_add_co_ci_u32_e64 v1, null, v35, v1, vcc_lo
	s_mov_b32 s1, -1
	v_min3_f32 v26, v28, v27, v26
	s_mov_b32 vcc_lo, s0
	flat_store_dword v[0:1], v29
	v_max_f32_e32 v0, v26, v26
	s_cbranch_vccz .LBB21_164
; %bb.163:
	v_add_co_u32 v26, vcc_lo, v34, v70
	v_min_f32_e32 v1, 0, v0
	v_add_co_ci_u32_e64 v27, null, v35, v71, vcc_lo
	s_mov_b32 s1, 0
	flat_store_dword v[26:27], v1
.LBB21_164:
	v_mov_b32_e32 v1, 0
	s_andn2_b32 vcc_lo, exec_lo, s1
	s_cbranch_vccnz .LBB21_166
; %bb.165:
	v_add_co_u32 v26, vcc_lo, v36, v70
	v_add_co_ci_u32_e64 v27, null, v37, v71, vcc_lo
	flat_load_dword v1, v[26:27]
	v_add_co_u32 v26, vcc_lo, v34, v70
	v_add_co_ci_u32_e64 v27, null, v35, v71, vcc_lo
	s_waitcnt vmcnt(0) lgkmcnt(0)
	v_mul_f32_e32 v1, s3, v1
	v_min_f32_e32 v28, v1, v0
	v_add_co_u32 v0, vcc_lo, v36, v68
	v_add_co_ci_u32_e64 v1, null, v37, v69, vcc_lo
	flat_store_dword v[26:27], v28
	flat_load_dword v0, v[0:1]
	s_waitcnt vmcnt(0) lgkmcnt(0)
	v_mul_f32_e32 v1, s3, v0
.LBB21_166:
	v_add_f32_e32 v0, v23, v7
	v_add_f32_e32 v22, v22, v6
	;; [unrolled: 1-line block ×6, first 2 shown]
	v_min3_f32 v0, v22, v0, v82
	v_add_f32_e32 v20, v20, v8
	v_min_f32_e32 v22, v24, v23
	s_mov_b32 s1, -1
	v_min3_f32 v18, v18, v19, v83
	v_add_f32_e32 v19, v21, v9
	v_min3_f32 v21, v1, v22, v0
	v_add_co_u32 v0, vcc_lo, v34, v68
	v_add_co_ci_u32_e64 v1, null, v35, v69, vcc_lo
	v_min3_f32 v18, v20, v19, v18
	s_mov_b32 vcc_lo, s0
	flat_store_dword v[0:1], v21
	v_max_f32_e32 v0, v18, v18
	s_cbranch_vccz .LBB21_168
; %bb.167:
	v_add_co_u32 v18, vcc_lo, v34, v74
	v_min_f32_e32 v1, 0, v0
	v_add_co_ci_u32_e64 v19, null, v35, v75, vcc_lo
	s_mov_b32 s1, 0
	flat_store_dword v[18:19], v1
.LBB21_168:
	v_mov_b32_e32 v1, 0
	s_andn2_b32 vcc_lo, exec_lo, s1
	s_cbranch_vccnz .LBB21_170
; %bb.169:
	v_add_co_u32 v18, vcc_lo, v36, v74
	v_add_co_ci_u32_e64 v19, null, v37, v75, vcc_lo
	flat_load_dword v1, v[18:19]
	v_add_co_u32 v18, vcc_lo, v34, v74
	v_add_co_ci_u32_e64 v19, null, v35, v75, vcc_lo
	s_waitcnt vmcnt(0) lgkmcnt(0)
	v_mul_f32_e32 v1, s3, v1
	v_min_f32_e32 v20, v1, v0
	v_add_co_u32 v0, vcc_lo, v36, v72
	v_add_co_ci_u32_e64 v1, null, v37, v73, vcc_lo
	flat_store_dword v[18:19], v20
	flat_load_dword v0, v[0:1]
	s_waitcnt vmcnt(0) lgkmcnt(0)
	v_mul_f32_e32 v1, s3, v0
.LBB21_170:
	v_add_f32_e32 v0, v15, v7
	v_add_f32_e32 v14, v14, v6
	;; [unrolled: 1-line block ×6, first 2 shown]
	v_min3_f32 v0, v14, v0, v80
	v_add_f32_e32 v12, v12, v8
	v_min_f32_e32 v14, v16, v15
	s_mov_b32 s1, -1
	v_min3_f32 v10, v10, v11, v81
	v_add_f32_e32 v11, v13, v9
	v_min3_f32 v13, v1, v14, v0
	v_add_co_u32 v0, vcc_lo, v34, v72
	v_add_co_ci_u32_e64 v1, null, v35, v73, vcc_lo
	v_min3_f32 v10, v12, v11, v10
	s_mov_b32 vcc_lo, s0
	flat_store_dword v[0:1], v13
	v_max_f32_e32 v0, v10, v10
	s_cbranch_vccz .LBB21_172
; %bb.171:
	v_add_co_u32 v10, vcc_lo, v34, v76
	v_min_f32_e32 v1, 0, v0
	v_add_co_ci_u32_e64 v11, null, v35, v77, vcc_lo
	s_mov_b32 s1, 0
	flat_store_dword v[10:11], v1
.LBB21_172:
	v_mov_b32_e32 v1, 0
	s_andn2_b32 vcc_lo, exec_lo, s1
	s_cbranch_vccnz .LBB21_174
; %bb.173:
	v_add_co_u32 v10, vcc_lo, v36, v76
	v_add_co_ci_u32_e64 v11, null, v37, v77, vcc_lo
	flat_load_dword v1, v[10:11]
	v_add_co_u32 v10, vcc_lo, v34, v76
	v_add_co_ci_u32_e64 v11, null, v35, v77, vcc_lo
	s_waitcnt vmcnt(0) lgkmcnt(0)
	v_mul_f32_e32 v1, s3, v1
	v_min_f32_e32 v12, v1, v0
	v_add_co_u32 v0, vcc_lo, v36, v78
	v_add_co_ci_u32_e64 v1, null, v37, v79, vcc_lo
	flat_store_dword v[10:11], v12
	flat_load_dword v0, v[0:1]
	s_waitcnt vmcnt(0) lgkmcnt(0)
	v_mul_f32_e32 v1, s3, v0
.LBB21_174:
	v_add_f32_e32 v0, v5, v9
	v_add_f32_e32 v4, v4, v8
	;; [unrolled: 1-line block ×4, first 2 shown]
	v_min_f32_e32 v0, v4, v0
	v_min3_f32 v2, v2, v3, v84
	v_min3_f32 v2, v1, v0, v2
	v_add_co_u32 v0, vcc_lo, v34, v78
	v_add_co_ci_u32_e64 v1, null, v35, v79, vcc_lo
	flat_store_dword v[0:1], v2
	s_endpgm
	.section	.rodata,"a",@progbits
	.p2align	6, 0x0
	.amdhsa_kernel _ZN12_GLOBAL__N_120geam_min_plus_kernelIf15HIP_vector_typeIfLj2EEfLi8ELi32ELi64ELi256ELi4ELi4ELi64ELi64ELi4ELc84ELc84ELb0ELb0ELb1EPKfKS4_KPfEEviiiT16_PT17_ilSA_ilS8_SA_ilPT18_ili26rocblas_geam_ex_operation_
		.amdhsa_group_segment_fixed_size 10240
		.amdhsa_private_segment_fixed_size 0
		.amdhsa_kernarg_size 136
		.amdhsa_user_sgpr_count 6
		.amdhsa_user_sgpr_private_segment_buffer 1
		.amdhsa_user_sgpr_dispatch_ptr 0
		.amdhsa_user_sgpr_queue_ptr 0
		.amdhsa_user_sgpr_kernarg_segment_ptr 1
		.amdhsa_user_sgpr_dispatch_id 0
		.amdhsa_user_sgpr_flat_scratch_init 0
		.amdhsa_user_sgpr_private_segment_size 0
		.amdhsa_wavefront_size32 1
		.amdhsa_uses_dynamic_stack 0
		.amdhsa_system_sgpr_private_segment_wavefront_offset 0
		.amdhsa_system_sgpr_workgroup_id_x 1
		.amdhsa_system_sgpr_workgroup_id_y 0
		.amdhsa_system_sgpr_workgroup_id_z 1
		.amdhsa_system_sgpr_workgroup_info 0
		.amdhsa_system_vgpr_workitem_id 1
		.amdhsa_next_free_vgpr 166
		.amdhsa_next_free_sgpr 25
		.amdhsa_reserve_vcc 1
		.amdhsa_reserve_flat_scratch 1
		.amdhsa_float_round_mode_32 0
		.amdhsa_float_round_mode_16_64 0
		.amdhsa_float_denorm_mode_32 3
		.amdhsa_float_denorm_mode_16_64 3
		.amdhsa_dx10_clamp 1
		.amdhsa_ieee_mode 1
		.amdhsa_fp16_overflow 0
		.amdhsa_workgroup_processor_mode 1
		.amdhsa_memory_ordered 1
		.amdhsa_forward_progress 1
		.amdhsa_shared_vgpr_count 0
		.amdhsa_exception_fp_ieee_invalid_op 0
		.amdhsa_exception_fp_denorm_src 0
		.amdhsa_exception_fp_ieee_div_zero 0
		.amdhsa_exception_fp_ieee_overflow 0
		.amdhsa_exception_fp_ieee_underflow 0
		.amdhsa_exception_fp_ieee_inexact 0
		.amdhsa_exception_int_div_zero 0
	.end_amdhsa_kernel
	.section	.text._ZN12_GLOBAL__N_120geam_min_plus_kernelIf15HIP_vector_typeIfLj2EEfLi8ELi32ELi64ELi256ELi4ELi4ELi64ELi64ELi4ELc84ELc84ELb0ELb0ELb1EPKfKS4_KPfEEviiiT16_PT17_ilSA_ilS8_SA_ilPT18_ili26rocblas_geam_ex_operation_,"axG",@progbits,_ZN12_GLOBAL__N_120geam_min_plus_kernelIf15HIP_vector_typeIfLj2EEfLi8ELi32ELi64ELi256ELi4ELi4ELi64ELi64ELi4ELc84ELc84ELb0ELb0ELb1EPKfKS4_KPfEEviiiT16_PT17_ilSA_ilS8_SA_ilPT18_ili26rocblas_geam_ex_operation_,comdat
.Lfunc_end21:
	.size	_ZN12_GLOBAL__N_120geam_min_plus_kernelIf15HIP_vector_typeIfLj2EEfLi8ELi32ELi64ELi256ELi4ELi4ELi64ELi64ELi4ELc84ELc84ELb0ELb0ELb1EPKfKS4_KPfEEviiiT16_PT17_ilSA_ilS8_SA_ilPT18_ili26rocblas_geam_ex_operation_, .Lfunc_end21-_ZN12_GLOBAL__N_120geam_min_plus_kernelIf15HIP_vector_typeIfLj2EEfLi8ELi32ELi64ELi256ELi4ELi4ELi64ELi64ELi4ELc84ELc84ELb0ELb0ELb1EPKfKS4_KPfEEviiiT16_PT17_ilSA_ilS8_SA_ilPT18_ili26rocblas_geam_ex_operation_
                                        ; -- End function
	.set _ZN12_GLOBAL__N_120geam_min_plus_kernelIf15HIP_vector_typeIfLj2EEfLi8ELi32ELi64ELi256ELi4ELi4ELi64ELi64ELi4ELc84ELc84ELb0ELb0ELb1EPKfKS4_KPfEEviiiT16_PT17_ilSA_ilS8_SA_ilPT18_ili26rocblas_geam_ex_operation_.num_vgpr, 166
	.set _ZN12_GLOBAL__N_120geam_min_plus_kernelIf15HIP_vector_typeIfLj2EEfLi8ELi32ELi64ELi256ELi4ELi4ELi64ELi64ELi4ELc84ELc84ELb0ELb0ELb1EPKfKS4_KPfEEviiiT16_PT17_ilSA_ilS8_SA_ilPT18_ili26rocblas_geam_ex_operation_.num_agpr, 0
	.set _ZN12_GLOBAL__N_120geam_min_plus_kernelIf15HIP_vector_typeIfLj2EEfLi8ELi32ELi64ELi256ELi4ELi4ELi64ELi64ELi4ELc84ELc84ELb0ELb0ELb1EPKfKS4_KPfEEviiiT16_PT17_ilSA_ilS8_SA_ilPT18_ili26rocblas_geam_ex_operation_.numbered_sgpr, 25
	.set _ZN12_GLOBAL__N_120geam_min_plus_kernelIf15HIP_vector_typeIfLj2EEfLi8ELi32ELi64ELi256ELi4ELi4ELi64ELi64ELi4ELc84ELc84ELb0ELb0ELb1EPKfKS4_KPfEEviiiT16_PT17_ilSA_ilS8_SA_ilPT18_ili26rocblas_geam_ex_operation_.num_named_barrier, 0
	.set _ZN12_GLOBAL__N_120geam_min_plus_kernelIf15HIP_vector_typeIfLj2EEfLi8ELi32ELi64ELi256ELi4ELi4ELi64ELi64ELi4ELc84ELc84ELb0ELb0ELb1EPKfKS4_KPfEEviiiT16_PT17_ilSA_ilS8_SA_ilPT18_ili26rocblas_geam_ex_operation_.private_seg_size, 0
	.set _ZN12_GLOBAL__N_120geam_min_plus_kernelIf15HIP_vector_typeIfLj2EEfLi8ELi32ELi64ELi256ELi4ELi4ELi64ELi64ELi4ELc84ELc84ELb0ELb0ELb1EPKfKS4_KPfEEviiiT16_PT17_ilSA_ilS8_SA_ilPT18_ili26rocblas_geam_ex_operation_.uses_vcc, 1
	.set _ZN12_GLOBAL__N_120geam_min_plus_kernelIf15HIP_vector_typeIfLj2EEfLi8ELi32ELi64ELi256ELi4ELi4ELi64ELi64ELi4ELc84ELc84ELb0ELb0ELb1EPKfKS4_KPfEEviiiT16_PT17_ilSA_ilS8_SA_ilPT18_ili26rocblas_geam_ex_operation_.uses_flat_scratch, 1
	.set _ZN12_GLOBAL__N_120geam_min_plus_kernelIf15HIP_vector_typeIfLj2EEfLi8ELi32ELi64ELi256ELi4ELi4ELi64ELi64ELi4ELc84ELc84ELb0ELb0ELb1EPKfKS4_KPfEEviiiT16_PT17_ilSA_ilS8_SA_ilPT18_ili26rocblas_geam_ex_operation_.has_dyn_sized_stack, 0
	.set _ZN12_GLOBAL__N_120geam_min_plus_kernelIf15HIP_vector_typeIfLj2EEfLi8ELi32ELi64ELi256ELi4ELi4ELi64ELi64ELi4ELc84ELc84ELb0ELb0ELb1EPKfKS4_KPfEEviiiT16_PT17_ilSA_ilS8_SA_ilPT18_ili26rocblas_geam_ex_operation_.has_recursion, 0
	.set _ZN12_GLOBAL__N_120geam_min_plus_kernelIf15HIP_vector_typeIfLj2EEfLi8ELi32ELi64ELi256ELi4ELi4ELi64ELi64ELi4ELc84ELc84ELb0ELb0ELb1EPKfKS4_KPfEEviiiT16_PT17_ilSA_ilS8_SA_ilPT18_ili26rocblas_geam_ex_operation_.has_indirect_call, 0
	.section	.AMDGPU.csdata,"",@progbits
; Kernel info:
; codeLenInByte = 17524
; TotalNumSgprs: 27
; NumVgprs: 166
; ScratchSize: 0
; MemoryBound: 0
; FloatMode: 240
; IeeeMode: 1
; LDSByteSize: 10240 bytes/workgroup (compile time only)
; SGPRBlocks: 0
; VGPRBlocks: 20
; NumSGPRsForWavesPerEU: 27
; NumVGPRsForWavesPerEU: 166
; Occupancy: 5
; WaveLimiterHint : 1
; COMPUTE_PGM_RSRC2:SCRATCH_EN: 0
; COMPUTE_PGM_RSRC2:USER_SGPR: 6
; COMPUTE_PGM_RSRC2:TRAP_HANDLER: 0
; COMPUTE_PGM_RSRC2:TGID_X_EN: 1
; COMPUTE_PGM_RSRC2:TGID_Y_EN: 0
; COMPUTE_PGM_RSRC2:TGID_Z_EN: 1
; COMPUTE_PGM_RSRC2:TIDIG_COMP_CNT: 1
	.section	.text._ZN12_GLOBAL__N_120geam_min_plus_kernelIf15HIP_vector_typeIfLj2EEfLi8ELi32ELi64ELi256ELi4ELi4ELi64ELi64ELi4ELc84ELc84ELb1ELb0ELb1EfKPKfKPfEEviiiT16_PT17_ilSA_ilS8_SA_ilPT18_ili26rocblas_geam_ex_operation_,"axG",@progbits,_ZN12_GLOBAL__N_120geam_min_plus_kernelIf15HIP_vector_typeIfLj2EEfLi8ELi32ELi64ELi256ELi4ELi4ELi64ELi64ELi4ELc84ELc84ELb1ELb0ELb1EfKPKfKPfEEviiiT16_PT17_ilSA_ilS8_SA_ilPT18_ili26rocblas_geam_ex_operation_,comdat
	.globl	_ZN12_GLOBAL__N_120geam_min_plus_kernelIf15HIP_vector_typeIfLj2EEfLi8ELi32ELi64ELi256ELi4ELi4ELi64ELi64ELi4ELc84ELc84ELb1ELb0ELb1EfKPKfKPfEEviiiT16_PT17_ilSA_ilS8_SA_ilPT18_ili26rocblas_geam_ex_operation_ ; -- Begin function _ZN12_GLOBAL__N_120geam_min_plus_kernelIf15HIP_vector_typeIfLj2EEfLi8ELi32ELi64ELi256ELi4ELi4ELi64ELi64ELi4ELc84ELc84ELb1ELb0ELb1EfKPKfKPfEEviiiT16_PT17_ilSA_ilS8_SA_ilPT18_ili26rocblas_geam_ex_operation_
	.p2align	8
	.type	_ZN12_GLOBAL__N_120geam_min_plus_kernelIf15HIP_vector_typeIfLj2EEfLi8ELi32ELi64ELi256ELi4ELi4ELi64ELi64ELi4ELc84ELc84ELb1ELb0ELb1EfKPKfKPfEEviiiT16_PT17_ilSA_ilS8_SA_ilPT18_ili26rocblas_geam_ex_operation_,@function
_ZN12_GLOBAL__N_120geam_min_plus_kernelIf15HIP_vector_typeIfLj2EEfLi8ELi32ELi64ELi256ELi4ELi4ELi64ELi64ELi4ELc84ELc84ELb1ELb0ELb1EfKPKfKPfEEviiiT16_PT17_ilSA_ilS8_SA_ilPT18_ili26rocblas_geam_ex_operation_: ; @_ZN12_GLOBAL__N_120geam_min_plus_kernelIf15HIP_vector_typeIfLj2EEfLi8ELi32ELi64ELi256ELi4ELi4ELi64ELi64ELi4ELc84ELc84ELb1ELb0ELb1EfKPKfKPfEEviiiT16_PT17_ilSA_ilS8_SA_ilPT18_ili26rocblas_geam_ex_operation_
; %bb.0:
	s_clause 0x1
	s_load_dwordx2 s[14:15], s[4:5], 0x8
	s_load_dwordx4 s[0:3], s[4:5], 0x20
	s_mov_b32 s8, s7
	s_mov_b32 s9, 0
	s_waitcnt lgkmcnt(0)
	v_cmp_eq_f32_e64 s7, s15, 0
	s_and_b32 vcc_lo, exec_lo, s7
	s_cbranch_vccnz .LBB22_3
; %bb.1:
	s_load_dwordx2 s[10:11], s[4:5], 0x10
	s_lshl_b64 s[12:13], s[8:9], 3
	s_waitcnt lgkmcnt(0)
	s_add_u32 s10, s10, s12
	s_addc_u32 s11, s11, s13
	s_lshl_b64 s[0:1], s[0:1], 2
	s_load_dwordx2 s[10:11], s[10:11], 0x0
	s_waitcnt lgkmcnt(0)
	s_add_u32 s16, s10, s0
	s_addc_u32 s17, s11, s1
	s_andn2_b32 vcc_lo, exec_lo, s7
	s_cbranch_vccnz .LBB22_4
.LBB22_2:
	s_mov_b32 s21, 0
	s_mov_b32 s20, s8
	s_mov_b32 s0, s21
	s_mov_b64 s[12:13], 0
	s_andn2_b32 vcc_lo, exec_lo, s0
	s_mov_b64 s[18:19], 0
	s_cbranch_vccz .LBB22_5
	s_branch .LBB22_6
.LBB22_3:
	s_mov_b64 s[16:17], 0
	s_andn2_b32 vcc_lo, exec_lo, s7
	s_cbranch_vccz .LBB22_2
.LBB22_4:
	s_mov_b64 s[20:21], s[8:9]
	s_mov_b64 s[12:13], 0
	;; [unrolled: 1-line block ×3, first 2 shown]
.LBB22_5:
	s_lshl_b64 s[0:1], s[8:9], 3
	s_load_dwordx2 s[8:9], s[4:5], 0x38
	s_add_u32 s0, s2, s0
	s_addc_u32 s1, s3, s1
	s_load_dwordx2 s[0:1], s[0:1], 0x0
	s_waitcnt lgkmcnt(0)
	s_lshl_b64 s[2:3], s[8:9], 2
	s_add_u32 s18, s0, s2
	s_addc_u32 s19, s1, s3
.LBB22_6:
	s_clause 0x1
	s_load_dword s1, s[4:5], 0x40
	s_load_dwordx4 s[8:11], s[4:5], 0x58
	s_waitcnt lgkmcnt(0)
	v_cmp_eq_f32_e64 s0, s1, 0
	s_and_b32 s0, exec_lo, s0
	s_mov_b32 vcc_lo, s0
	s_cbranch_vccnz .LBB22_8
; %bb.7:
	s_load_dwordx2 s[2:3], s[4:5], 0x48
	s_lshl_b64 s[12:13], s[20:21], 3
	s_waitcnt lgkmcnt(0)
	s_add_u32 s2, s2, s12
	s_addc_u32 s3, s3, s13
	s_lshl_b64 s[8:9], s[8:9], 2
	s_load_dwordx2 s[2:3], s[2:3], 0x0
	s_waitcnt lgkmcnt(0)
	s_add_u32 s12, s2, s8
	s_addc_u32 s13, s3, s9
.LBB22_8:
	s_clause 0x2
	s_load_dword s7, s[4:5], 0x0
	s_load_dword s9, s[4:5], 0x18
	;; [unrolled: 1-line block ×3, first 2 shown]
	s_lshl_b64 s[2:3], s[20:21], 3
	v_and_b32_e32 v4, 3, v0
	s_add_u32 s2, s10, s2
	s_addc_u32 s3, s11, s3
	v_lshlrev_b32_e32 v73, 4, v0
	s_load_dwordx2 s[2:3], s[2:3], 0x0
	v_lshlrev_b32_e32 v71, 2, v4
	v_lshlrev_b32_e32 v72, 4, v1
	s_waitcnt lgkmcnt(0)
	s_add_i32 s7, s7, -1
	s_ashr_i32 s10, s7, 31
	s_lshr_b32 s10, s10, 26
	s_add_i32 s7, s7, s10
	s_ashr_i32 s7, s7, 6
	s_add_i32 s10, s7, 1
	s_not_b32 s7, s7
	v_cvt_f32_u32_e32 v2, s10
	v_rcp_iflag_f32_e32 v2, v2
	v_mul_f32_e32 v2, 0x4f7ffffe, v2
	v_cvt_u32_f32_e32 v2, v2
	v_readfirstlane_b32 s11, v2
	v_lshl_add_u32 v2, v1, 3, v0
	s_mul_i32 s7, s7, s11
	v_lshrrev_b32_e32 v7, 2, v2
	s_mul_hi_u32 s7, s11, s7
	v_and_b32_e32 v8, 63, v2
	s_add_i32 s11, s11, s7
	v_lshrrev_b32_e32 v70, 6, v2
	s_mul_hi_u32 s7, s6, s11
	v_lshl_or_b32 v77, v7, 4, v71
	s_mul_i32 s11, s7, s10
	s_add_i32 s15, s7, 1
	s_sub_i32 s11, s6, s11
	v_mad_i64_i32 v[5:6], null, s8, v70, 0
	s_sub_i32 s20, s11, s10
	s_cmp_ge_u32 s11, s10
	s_cselect_b32 s7, s15, s7
	s_cselect_b32 s11, s20, s11
	s_add_i32 s15, s7, 1
	s_cmp_ge_u32 s11, s10
	v_lshlrev_b64 v[5:6], 2, v[5:6]
	s_cselect_b32 s7, s15, s7
	s_mul_i32 s10, s7, s10
	s_sub_i32 s6, s6, s10
	s_lshl_b32 s10, s7, 8
	s_lshl_b32 s11, s6, 6
	v_or_b32_e32 v4, s10, v8
	v_add_nc_u32_e32 v2, s11, v7
	s_cmp_lt_i32 s14, 9
	v_mad_i64_i32 v[2:3], null, v2, s9, 0
	v_lshlrev_b64 v[66:67], 2, v[2:3]
	v_add_co_u32 v2, vcc_lo, s16, v66
	v_add_co_ci_u32_e64 v3, null, s17, v67, vcc_lo
	v_add_co_u32 v2, vcc_lo, v2, v71
	v_add_co_ci_u32_e64 v3, null, 0, v3, vcc_lo
	v_add_co_u32 v10, vcc_lo, s18, v5
	v_ashrrev_i32_e32 v5, 31, v4
	v_add_co_ci_u32_e64 v6, null, s19, v6, vcc_lo
	flat_load_dword v9, v[2:3]
	v_lshlrev_b64 v[68:69], 2, v[4:5]
	v_add_co_u32 v4, vcc_lo, v10, v68
	v_add_co_ci_u32_e64 v5, null, v6, v69, vcc_lo
	s_clause 0x3
	flat_load_dword v6, v[4:5]
	flat_load_dword v10, v[4:5] offset:256
	flat_load_dword v11, v[4:5] offset:512
	;; [unrolled: 1-line block ×4, first 2 shown]
	v_add_nc_u32_e32 v2, 4, v70
	v_mad_i64_i32 v[2:3], null, s8, v2, 0
	v_lshlrev_b64 v[2:3], 2, v[2:3]
	v_add_co_u32 v2, vcc_lo, s18, v2
	v_add_co_ci_u32_e64 v3, null, s19, v3, vcc_lo
	v_add_co_u32 v2, vcc_lo, v2, v68
	v_add_co_ci_u32_e64 v3, null, v3, v69, vcc_lo
	s_clause 0x3
	flat_load_dword v76, v[2:3]
	flat_load_dword v78, v[2:3] offset:256
	flat_load_dword v79, v[2:3] offset:512
	;; [unrolled: 1-line block ×3, first 2 shown]
	v_lshlrev_b32_e32 v2, 4, v8
	v_lshl_add_u32 v74, v70, 2, v2
	s_waitcnt vmcnt(9) lgkmcnt(9)
	ds_write_b32 v77, v9 offset:8192
	s_waitcnt vmcnt(7) lgkmcnt(8)
	ds_write2st64_b32 v74, v6, v10 offset1:4
	s_waitcnt vmcnt(5) lgkmcnt(7)
	ds_write2st64_b32 v74, v11, v4 offset0:8 offset1:12
	s_waitcnt vmcnt(0) lgkmcnt(0)
	s_barrier
	buffer_gl0_inv
	ds_read_b128 v[34:37], v73 offset:8192
	ds_read_b128 v[26:29], v73 offset:8320
	;; [unrolled: 1-line block ×8, first 2 shown]
	ds_read_b128 v[62:65], v72
	ds_read_b128 v[58:61], v72 offset:512
	ds_read_b128 v[54:57], v72 offset:1024
	;; [unrolled: 1-line block ×7, first 2 shown]
	ds_write_b32 v77, v75 offset:9216
	ds_write2st64_b32 v74, v76, v78 offset0:16 offset1:20
	ds_write2st64_b32 v74, v79, v92 offset0:24 offset1:28
	s_waitcnt lgkmcnt(10)
	v_add_f32_e32 v80, v35, v63
	v_add_f32_e32 v81, v34, v62
	s_waitcnt lgkmcnt(4)
	v_add_f32_e32 v124, v6, v38
	s_waitcnt lgkmcnt(0)
	s_barrier
	buffer_gl0_inv
	v_min3_f32 v116, v81, v80, 0x7f7fffff
	v_add_f32_e32 v80, v27, v63
	v_add_f32_e32 v81, v26, v62
	v_min3_f32 v117, v81, v80, 0x7f7fffff
	v_add_f32_e32 v80, v23, v63
	v_add_f32_e32 v81, v22, v62
	v_min3_f32 v118, v81, v80, 0x7f7fffff
	v_add_f32_e32 v80, v19, v63
	v_add_f32_e32 v81, v18, v62
	v_min3_f32 v119, v81, v80, 0x7f7fffff
	v_add_f32_e32 v80, v15, v63
	v_add_f32_e32 v81, v14, v62
	v_min3_f32 v120, v81, v80, 0x7f7fffff
	v_add_f32_e32 v80, v11, v63
	v_add_f32_e32 v81, v10, v62
	v_min3_f32 v121, v81, v80, 0x7f7fffff
	v_add_f32_e32 v80, v7, v63
	v_add_f32_e32 v81, v6, v62
	v_add_f32_e32 v63, v3, v63
	v_add_f32_e32 v62, v2, v62
	v_min3_f32 v122, v81, v80, 0x7f7fffff
	v_min3_f32 v123, v62, v63, 0x7f7fffff
	v_add_f32_e32 v62, v35, v59
	v_add_f32_e32 v63, v34, v58
	v_min3_f32 v115, v63, v62, 0x7f7fffff
	v_add_f32_e32 v62, v27, v59
	v_add_f32_e32 v63, v26, v58
	v_min3_f32 v114, v63, v62, 0x7f7fffff
	v_add_f32_e32 v62, v23, v59
	v_add_f32_e32 v63, v22, v58
	v_min3_f32 v113, v63, v62, 0x7f7fffff
	v_add_f32_e32 v62, v19, v59
	v_add_f32_e32 v63, v18, v58
	v_min3_f32 v112, v63, v62, 0x7f7fffff
	v_add_f32_e32 v62, v15, v59
	v_add_f32_e32 v63, v14, v58
	v_min3_f32 v111, v63, v62, 0x7f7fffff
	v_add_f32_e32 v62, v11, v59
	v_add_f32_e32 v63, v10, v58
	v_min3_f32 v110, v63, v62, 0x7f7fffff
	v_add_f32_e32 v62, v7, v59
	v_add_f32_e32 v63, v6, v58
	v_add_f32_e32 v59, v3, v59
	v_add_f32_e32 v58, v2, v58
	v_min3_f32 v109, v63, v62, 0x7f7fffff
	v_min3_f32 v108, v58, v59, 0x7f7fffff
	v_add_f32_e32 v58, v35, v55
	v_add_f32_e32 v59, v34, v54
	;; [unrolled: 24-line block ×5, first 2 shown]
	v_min3_f32 v82, v47, v46, 0x7f7fffff
	v_add_f32_e32 v46, v27, v43
	v_add_f32_e32 v47, v26, v42
	v_min3_f32 v81, v47, v46, 0x7f7fffff
	v_add_f32_e32 v46, v23, v43
	v_add_f32_e32 v47, v22, v42
	;; [unrolled: 3-line block ×6, first 2 shown]
	v_add_f32_e32 v43, v3, v43
	v_add_f32_e32 v42, v2, v42
	;; [unrolled: 1-line block ×3, first 2 shown]
	v_min3_f32 v58, v47, v46, 0x7f7fffff
	v_min3_f32 v55, v42, v43, 0x7f7fffff
	v_add_f32_e32 v42, v35, v39
	v_add_f32_e32 v43, v34, v38
	;; [unrolled: 1-line block ×4, first 2 shown]
	v_min3_f32 v54, v43, v42, 0x7f7fffff
	v_add_f32_e32 v42, v27, v39
	v_add_f32_e32 v43, v26, v38
	v_min3_f32 v34, v34, v35, 0x7f7fffff
	v_add_f32_e32 v27, v27, v31
	v_add_f32_e32 v26, v26, v30
	;; [unrolled: 3-line block ×9, first 2 shown]
	v_add_f32_e32 v38, v2, v38
	v_add_f32_e32 v2, v2, v30
	v_min3_f32 v14, v14, v15, 0x7f7fffff
	v_add_f32_e32 v11, v11, v31
	v_min3_f32 v43, v43, v42, 0x7f7fffff
	v_add_f32_e32 v42, v7, v39
	v_add_f32_e32 v39, v3, v39
	;; [unrolled: 1-line block ×5, first 2 shown]
	v_min3_f32 v42, v124, v42, 0x7f7fffff
	v_min3_f32 v38, v38, v39, 0x7f7fffff
	;; [unrolled: 1-line block ×4, first 2 shown]
	v_add_f32_e32 v3, v37, v65
	v_add_f32_e32 v7, v36, v64
	v_min3_f32 v10, v10, v11, 0x7f7fffff
	v_min3_f32 v146, v7, v3, v116
	v_add_f32_e32 v3, v29, v65
	v_add_f32_e32 v7, v28, v64
	v_min3_f32 v143, v7, v3, v117
	v_add_f32_e32 v3, v25, v65
	v_add_f32_e32 v7, v24, v64
	;; [unrolled: 3-line block ×55, first 2 shown]
	v_add_f32_e32 v4, v4, v32
	v_min3_f32 v86, v7, v3, v38
	v_add_f32_e32 v3, v37, v33
	v_add_f32_e32 v7, v36, v32
	v_min3_f32 v87, v7, v3, v34
	v_add_f32_e32 v3, v29, v33
	;; [unrolled: 3-line block ×8, first 2 shown]
	v_min3_f32 v123, v4, v3, v2
	s_cbranch_scc1 .LBB22_11
; %bb.9:
	v_add_nc_u32_e32 v2, 12, v70
	v_add_nc_u32_e32 v4, 8, v70
	v_add_co_u32 v93, vcc_lo, s18, v68
	v_add_co_ci_u32_e64 v94, null, s19, v69, vcc_lo
	v_mad_i64_i32 v[2:3], null, v2, s8, 0
	v_add_co_u32 v6, vcc_lo, v66, v71
	v_add_co_ci_u32_e64 v7, null, 0, v67, vcc_lo
	v_mad_i64_i32 v[4:5], null, v4, s8, 0
	v_lshlrev_b64 v[66:67], 2, v[2:3]
	v_add_co_u32 v2, vcc_lo, s16, v6
	v_add_co_ci_u32_e64 v3, null, s17, v7, vcc_lo
	v_add_nc_u32_e32 v75, 0x2000, v77
	v_add_co_u32 v70, vcc_lo, v2, 32
	v_lshlrev_b64 v[68:69], 2, v[4:5]
	v_or_b32_e32 v76, 0x2000, v73
	v_add_nc_u32_e32 v77, 0x2400, v77
	v_or_b32_e32 v78, 0x1000, v74
	v_lshl_add_u32 v79, v0, 4, 0x2400
	v_lshl_or_b32 v92, v1, 4, 0x1000
	v_add_co_ci_u32_e64 v71, null, 0, v3, vcc_lo
	s_ashr_i32 s9, s8, 31
	s_add_i32 s14, s14, -8
	s_lshl_b64 s[6:7], s[8:9], 5
	s_mov_b32 s8, 0
.LBB22_10:                              ; =>This Inner Loop Header: Depth=1
	v_add_co_u32 v2, vcc_lo, v93, v68
	v_add_co_ci_u32_e64 v3, null, v94, v69, vcc_lo
	flat_load_dword v151, v[70:71]
	s_add_i32 s8, s8, 8
	s_clause 0x3
	flat_load_dword v147, v[2:3]
	flat_load_dword v148, v[2:3] offset:256
	flat_load_dword v149, v[2:3] offset:512
	flat_load_dword v150, v[2:3] offset:768
	ds_read_b128 v[30:33], v79
	ds_read_b128 v[26:29], v79 offset:128
	ds_read_b128 v[22:25], v79 offset:256
	;; [unrolled: 1-line block ×7, first 2 shown]
	ds_read_b128 v[62:65], v92
	ds_read_b128 v[58:61], v92 offset:512
	ds_read_b128 v[54:57], v92 offset:1024
	;; [unrolled: 1-line block ×7, first 2 shown]
	s_cmp_ge_i32 s8, s14
	s_waitcnt vmcnt(4) lgkmcnt(20)
	ds_write_b32 v75, v151
	s_waitcnt vmcnt(2) lgkmcnt(19)
	ds_write2st64_b32 v74, v147, v148 offset1:4
	s_waitcnt vmcnt(0) lgkmcnt(18)
	ds_write2st64_b32 v74, v149, v150 offset0:8 offset1:12
	s_waitcnt lgkmcnt(10)
	v_add_f32_e32 v152, v31, v63
	v_add_f32_e32 v153, v30, v62
	s_waitcnt lgkmcnt(0)
	s_barrier
	buffer_gl0_inv
	flat_load_dword v151, v[70:71] offset:16
	v_min3_f32 v146, v153, v152, v146
	v_add_f32_e32 v152, v27, v63
	v_add_f32_e32 v153, v26, v62
	v_min3_f32 v152, v153, v152, v143
	v_add_f32_e32 v143, v23, v63
	v_add_f32_e32 v153, v22, v62
	v_min3_f32 v153, v153, v143, v144
	v_add_f32_e32 v143, v19, v63
	v_add_f32_e32 v144, v18, v62
	v_min3_f32 v154, v144, v143, v140
	v_add_f32_e32 v140, v15, v63
	v_add_f32_e32 v143, v14, v62
	v_min3_f32 v155, v143, v140, v141
	v_add_f32_e32 v140, v11, v63
	v_add_f32_e32 v141, v10, v62
	v_min3_f32 v156, v141, v140, v135
	v_add_f32_e32 v135, v7, v63
	v_add_f32_e32 v140, v6, v62
	v_add_f32_e32 v63, v3, v63
	v_add_f32_e32 v62, v2, v62
	v_min3_f32 v157, v140, v135, v136
	v_min3_f32 v158, v62, v63, v131
	v_add_f32_e32 v62, v31, v59
	v_add_f32_e32 v63, v30, v58
	v_min3_f32 v144, v63, v62, v145
	v_add_f32_e32 v62, v27, v59
	v_add_f32_e32 v63, v26, v58
	v_min3_f32 v143, v63, v62, v139
	v_add_f32_e32 v62, v23, v59
	v_add_f32_e32 v63, v22, v58
	v_min3_f32 v141, v63, v62, v142
	v_add_f32_e32 v62, v19, v59
	v_add_f32_e32 v63, v18, v58
	v_min3_f32 v140, v63, v62, v137
	v_add_f32_e32 v62, v15, v59
	v_add_f32_e32 v63, v14, v58
	v_min3_f32 v139, v63, v62, v138
	v_add_f32_e32 v62, v11, v59
	v_add_f32_e32 v63, v10, v58
	v_min3_f32 v138, v63, v62, v132
	v_add_f32_e32 v62, v7, v59
	v_add_f32_e32 v63, v6, v58
	v_add_f32_e32 v59, v3, v59
	v_add_f32_e32 v58, v2, v58
	v_min3_f32 v137, v63, v62, v133
	v_min3_f32 v136, v58, v59, v129
	v_add_f32_e32 v58, v31, v55
	v_add_f32_e32 v59, v30, v54
	;; [unrolled: 24-line block ×6, first 2 shown]
	v_add_f32_e32 v31, v31, v35
	v_add_f32_e32 v30, v30, v34
	v_min3_f32 v54, v43, v42, v100
	v_add_f32_e32 v42, v27, v39
	v_add_f32_e32 v43, v26, v38
	v_min3_f32 v30, v30, v31, v87
	;; [unrolled: 3-line block ×3, first 2 shown]
	v_add_f32_e32 v42, v23, v39
	v_add_f32_e32 v43, v22, v38
	;; [unrolled: 1-line block ×4, first 2 shown]
	v_min3_f32 v26, v26, v27, v84
	v_min3_f32 v50, v43, v42, v97
	v_add_f32_e32 v42, v19, v39
	v_add_f32_e32 v43, v18, v38
	v_min3_f32 v22, v22, v23, v85
	v_add_f32_e32 v19, v19, v35
	v_add_f32_e32 v18, v18, v34
	;; [unrolled: 3-line block ×3, first 2 shown]
	v_add_f32_e32 v15, v15, v35
	v_add_f32_e32 v14, v14, v34
	v_min3_f32 v18, v18, v19, v82
	v_min3_f32 v46, v43, v42, v91
	v_add_f32_e32 v42, v11, v39
	v_add_f32_e32 v43, v10, v38
	v_min3_f32 v14, v14, v15, v83
	v_add_f32_e32 v11, v11, v35
	v_add_f32_e32 v10, v10, v34
	;; [unrolled: 3-line block ×3, first 2 shown]
	v_add_f32_e32 v39, v3, v39
	v_add_f32_e32 v38, v2, v38
	;; [unrolled: 1-line block ×6, first 2 shown]
	v_min3_f32 v38, v38, v39, v86
	v_min3_f32 v10, v10, v11, v80
	;; [unrolled: 1-line block ×3, first 2 shown]
	v_add_f32_e32 v7, v32, v64
	v_min3_f32 v2, v2, v3, v123
	v_add_f32_e32 v3, v33, v65
	v_min3_f32 v42, v88, v42, v89
	v_min3_f32 v87, v7, v3, v146
	v_add_f32_e32 v3, v29, v65
	v_add_f32_e32 v7, v28, v64
	v_min3_f32 v86, v7, v3, v152
	v_add_f32_e32 v3, v25, v65
	v_add_f32_e32 v7, v24, v64
	;; [unrolled: 3-line block ×55, first 2 shown]
	v_add_f32_e32 v4, v4, v36
	v_min3_f32 v165, v7, v3, v38
	v_add_f32_e32 v3, v33, v37
	v_add_f32_e32 v7, v32, v36
	v_min3_f32 v166, v7, v3, v30
	v_add_f32_e32 v3, v29, v37
	;; [unrolled: 3-line block ×8, first 2 shown]
	v_min3_f32 v173, v4, v3, v2
	v_add_co_u32 v2, vcc_lo, v93, v66
	v_add_co_ci_u32_e64 v3, null, v94, v67, vcc_lo
	s_clause 0x3
	flat_load_dword v147, v[2:3]
	flat_load_dword v148, v[2:3] offset:256
	flat_load_dword v149, v[2:3] offset:512
	;; [unrolled: 1-line block ×3, first 2 shown]
	ds_read_b128 v[34:37], v76
	ds_read_b128 v[30:33], v76 offset:128
	ds_read_b128 v[26:29], v76 offset:256
	;; [unrolled: 1-line block ×7, first 2 shown]
	ds_read_b128 v[62:65], v72
	ds_read_b128 v[58:61], v72 offset:512
	ds_read_b128 v[54:57], v72 offset:1024
	;; [unrolled: 1-line block ×7, first 2 shown]
	v_add_co_u32 v93, vcc_lo, v93, s6
	v_add_co_ci_u32_e64 v94, null, s7, v94, vcc_lo
	v_add_co_u32 v70, vcc_lo, v70, 32
	v_add_co_ci_u32_e64 v71, null, 0, v71, vcc_lo
	s_waitcnt vmcnt(4) lgkmcnt(20)
	ds_write_b32 v77, v151
	s_waitcnt vmcnt(2) lgkmcnt(19)
	ds_write2st64_b32 v78, v147, v148 offset1:4
	s_waitcnt vmcnt(0) lgkmcnt(18)
	ds_write2st64_b32 v78, v149, v150 offset0:8 offset1:12
	s_waitcnt lgkmcnt(10)
	v_add_f32_e32 v103, v35, v63
	v_add_f32_e32 v104, v34, v62
	s_waitcnt lgkmcnt(0)
	s_barrier
	buffer_gl0_inv
	v_min3_f32 v118, v104, v103, v87
	v_add_f32_e32 v87, v31, v63
	v_add_f32_e32 v103, v30, v62
	v_min3_f32 v119, v103, v87, v86
	v_add_f32_e32 v86, v27, v63
	v_add_f32_e32 v87, v26, v62
	;; [unrolled: 3-line block ×6, first 2 shown]
	v_add_f32_e32 v63, v3, v63
	v_add_f32_e32 v62, v2, v62
	v_min3_f32 v126, v83, v82, v81
	v_min3_f32 v127, v62, v63, v80
	v_add_f32_e32 v62, v35, v59
	v_add_f32_e32 v63, v34, v58
	v_min3_f32 v117, v63, v62, v88
	v_add_f32_e32 v62, v31, v59
	v_add_f32_e32 v63, v30, v58
	;; [unrolled: 3-line block ×7, first 2 shown]
	v_add_f32_e32 v59, v3, v59
	v_add_f32_e32 v58, v2, v58
	v_min3_f32 v111, v63, v62, v97
	v_min3_f32 v110, v58, v59, v98
	v_add_f32_e32 v58, v35, v55
	v_add_f32_e32 v59, v34, v54
	v_min3_f32 v109, v59, v58, v99
	v_add_f32_e32 v58, v31, v55
	v_add_f32_e32 v59, v30, v54
	;; [unrolled: 3-line block ×7, first 2 shown]
	v_add_f32_e32 v55, v3, v55
	v_add_f32_e32 v54, v2, v54
	v_add_f32_e32 v121, v6, v38
	v_min3_f32 v103, v59, v58, v123
	v_min3_f32 v102, v54, v55, v128
	v_add_f32_e32 v54, v35, v51
	v_add_f32_e32 v55, v34, v50
	v_min3_f32 v101, v55, v54, v129
	v_add_f32_e32 v54, v31, v51
	v_add_f32_e32 v55, v30, v50
	v_min3_f32 v100, v55, v54, v130
	v_add_f32_e32 v54, v27, v51
	v_add_f32_e32 v55, v26, v50
	v_min3_f32 v99, v55, v54, v131
	v_add_f32_e32 v54, v23, v51
	v_add_f32_e32 v55, v22, v50
	v_min3_f32 v98, v55, v54, v132
	v_add_f32_e32 v54, v19, v51
	v_add_f32_e32 v55, v18, v50
	v_min3_f32 v97, v55, v54, v133
	v_add_f32_e32 v54, v11, v51
	v_add_f32_e32 v55, v10, v50
	v_min3_f32 v96, v55, v54, v134
	v_add_f32_e32 v54, v7, v51
	v_add_f32_e32 v55, v6, v50
	v_add_f32_e32 v51, v3, v51
	v_add_f32_e32 v50, v2, v50
	v_min3_f32 v95, v55, v54, v135
	v_min3_f32 v91, v50, v51, v136
	v_add_f32_e32 v50, v35, v47
	v_add_f32_e32 v51, v34, v46
	v_min3_f32 v90, v51, v50, v137
	v_add_f32_e32 v50, v31, v47
	v_add_f32_e32 v51, v30, v46
	v_min3_f32 v89, v51, v50, v138
	v_add_f32_e32 v50, v27, v47
	v_add_f32_e32 v51, v26, v46
	v_min3_f32 v88, v51, v50, v139
	v_add_f32_e32 v50, v23, v47
	v_add_f32_e32 v51, v22, v46
	v_min3_f32 v87, v51, v50, v140
	v_add_f32_e32 v50, v19, v47
	v_add_f32_e32 v51, v18, v46
	v_min3_f32 v86, v51, v50, v141
	v_add_f32_e32 v50, v11, v47
	v_add_f32_e32 v51, v10, v46
	v_min3_f32 v85, v51, v50, v142
	v_add_f32_e32 v50, v7, v47
	;; [unrolled: 24-line block ×3, first 2 shown]
	v_add_f32_e32 v47, v6, v42
	v_add_f32_e32 v43, v3, v43
	;; [unrolled: 1-line block ×4, first 2 shown]
	v_min3_f32 v58, v47, v46, v156
	v_min3_f32 v55, v42, v43, v157
	v_add_f32_e32 v42, v35, v39
	v_add_f32_e32 v43, v34, v38
	;; [unrolled: 1-line block ×4, first 2 shown]
	v_min3_f32 v54, v43, v42, v158
	v_add_f32_e32 v42, v31, v39
	v_add_f32_e32 v43, v30, v38
	v_min3_f32 v34, v34, v35, v166
	v_add_f32_e32 v31, v31, v15
	v_add_f32_e32 v30, v30, v14
	;; [unrolled: 3-line block ×9, first 2 shown]
	v_add_f32_e32 v38, v2, v38
	v_add_f32_e32 v2, v2, v14
	v_min3_f32 v18, v18, v19, v170
	v_add_f32_e32 v11, v11, v15
	v_min3_f32 v43, v43, v42, v163
	v_add_f32_e32 v42, v7, v39
	v_add_f32_e32 v39, v3, v39
	v_add_f32_e32 v7, v7, v15
	v_add_f32_e32 v3, v3, v15
	v_add_f32_e32 v10, v10, v14
	v_min3_f32 v42, v121, v42, v164
	v_min3_f32 v38, v38, v39, v165
	;; [unrolled: 1-line block ×4, first 2 shown]
	v_add_f32_e32 v3, v37, v65
	v_add_f32_e32 v7, v36, v64
	v_min3_f32 v10, v10, v11, v171
	v_min3_f32 v146, v7, v3, v118
	v_add_f32_e32 v3, v33, v65
	v_add_f32_e32 v7, v32, v64
	v_min3_f32 v143, v7, v3, v119
	v_add_f32_e32 v3, v29, v65
	v_add_f32_e32 v7, v28, v64
	;; [unrolled: 3-line block ×55, first 2 shown]
	v_add_f32_e32 v4, v4, v16
	v_min3_f32 v86, v7, v3, v38
	v_add_f32_e32 v3, v37, v17
	v_add_f32_e32 v7, v36, v16
	v_min3_f32 v87, v7, v3, v34
	v_add_f32_e32 v3, v33, v17
	v_add_f32_e32 v7, v32, v16
	v_min3_f32 v84, v7, v3, v30
	v_add_f32_e32 v3, v29, v17
	v_add_f32_e32 v7, v28, v16
	v_min3_f32 v85, v7, v3, v26
	v_add_f32_e32 v3, v25, v17
	v_add_f32_e32 v7, v24, v16
	v_min3_f32 v82, v7, v3, v22
	v_add_f32_e32 v3, v21, v17
	v_add_f32_e32 v7, v20, v16
	v_min3_f32 v83, v7, v3, v18
	v_add_f32_e32 v3, v13, v17
	v_add_f32_e32 v7, v12, v16
	v_min3_f32 v80, v7, v3, v10
	v_add_f32_e32 v3, v9, v17
	v_add_f32_e32 v7, v8, v16
	v_min3_f32 v81, v7, v3, v6
	v_add_f32_e32 v3, v5, v17
	v_min3_f32 v123, v4, v3, v2
	s_cbranch_scc0 .LBB22_10
.LBB22_11:
	ds_read_b128 v[34:37], v73 offset:9216
	ds_read_b128 v[62:65], v72 offset:4096
	s_clause 0x2
	s_load_dwordx2 s[8:9], s[4:5], 0x70
	s_load_dword s6, s[4:5], 0x50
	s_load_dword s4, s[4:5], 0x68
	ds_read_b128 v[30:33], v73 offset:9344
	ds_read_b128 v[26:29], v73 offset:9472
	;; [unrolled: 1-line block ×12, first 2 shown]
	v_add_nc_u32_e32 v92, s10, v1
	v_add_nc_u32_e32 v76, s11, v0
	s_mov_b32 s5, -1
	v_ashrrev_i32_e32 v77, 31, v76
	s_waitcnt lgkmcnt(0)
	s_lshl_b64 s[8:9], s[8:9], 2
	v_add_f32_e32 v0, v35, v63
	v_add_f32_e32 v6, v34, v62
	v_mad_i64_i32 v[66:67], null, v92, s4, 0
	v_mad_i64_i32 v[68:69], null, v92, s6, 0
	v_min3_f32 v1, v6, v0, v146
	ds_read_b128 v[38:41], v72 offset:7168
	ds_read_b128 v[6:9], v72 offset:7680
	v_add_f32_e32 v70, v37, v65
	v_add_f32_e32 v71, v36, v64
	v_lshlrev_b64 v[66:67], 2, v[66:67]
	s_add_u32 s2, s2, s8
	v_lshlrev_b64 v[68:69], 2, v[68:69]
	v_add_nc_u32_e32 v0, 8, v76
	v_min3_f32 v70, v71, v70, v1
	s_addc_u32 s3, s3, s9
	v_add_co_u32 v93, vcc_lo, s2, v66
	v_add_co_ci_u32_e64 v94, null, s3, v67, vcc_lo
	v_add_co_u32 v146, vcc_lo, s12, v68
	v_lshlrev_b64 v[66:67], 2, v[76:77]
	v_ashrrev_i32_e32 v1, 31, v0
	v_add_co_ci_u32_e64 v147, null, s13, v69, vcc_lo
	v_max_f32_e32 v68, v70, v70
	s_mov_b32 vcc_lo, s0
	s_cbranch_vccz .LBB22_13
; %bb.12:
	v_add_co_u32 v69, vcc_lo, v93, v66
	v_min_f32_e32 v71, 0, v68
	v_add_co_ci_u32_e64 v70, null, v94, v67, vcc_lo
	s_mov_b32 s5, 0
	flat_store_dword v[69:70], v71
.LBB22_13:
	v_lshlrev_b64 v[0:1], 2, v[0:1]
	v_mov_b32_e32 v69, 0
	s_andn2_b32 vcc_lo, exec_lo, s5
	s_cbranch_vccnz .LBB22_15
; %bb.14:
	v_add_co_u32 v69, vcc_lo, v146, v66
	v_add_co_ci_u32_e64 v70, null, v147, v67, vcc_lo
	flat_load_dword v69, v[69:70]
	s_waitcnt vmcnt(0) lgkmcnt(0)
	v_mul_f32_e32 v71, s1, v69
	v_add_co_u32 v69, vcc_lo, v93, v66
	v_add_co_ci_u32_e64 v70, null, v94, v67, vcc_lo
	v_min_f32_e32 v68, v71, v68
	v_add_co_u32 v71, vcc_lo, v146, v0
	v_add_co_ci_u32_e64 v72, null, v147, v1, vcc_lo
	flat_store_dword v[69:70], v68
	flat_load_dword v68, v[71:72]
	s_waitcnt vmcnt(0) lgkmcnt(0)
	v_mul_f32_e32 v69, s1, v68
.LBB22_15:
	v_add_f32_e32 v68, v31, v63
	v_add_f32_e32 v70, v30, v62
	;; [unrolled: 1-line block ×6, first 2 shown]
	v_min3_f32 v75, v70, v68, v143
	v_add_nc_u32_e32 v70, 16, v76
	v_min3_f32 v77, v72, v71, v144
	v_add_f32_e32 v78, v28, v64
	v_min_f32_e32 v71, v74, v73
	v_add_f32_e32 v74, v29, v65
	v_add_co_u32 v72, vcc_lo, v93, v0
	v_add_nc_u32_e32 v68, 24, v76
	v_min3_f32 v75, v69, v71, v75
	v_ashrrev_i32_e32 v71, 31, v70
	v_add_co_ci_u32_e64 v73, null, v94, v1, vcc_lo
	v_min3_f32 v74, v78, v74, v77
	v_ashrrev_i32_e32 v69, 31, v68
	v_lshlrev_b64 v[70:71], 2, v[70:71]
	flat_store_dword v[72:73], v75
	s_mov_b32 s5, -1
	v_max_f32_e32 v72, v74, v74
	s_mov_b32 vcc_lo, s0
	s_cbranch_vccz .LBB22_17
; %bb.16:
	v_add_co_u32 v73, vcc_lo, v93, v70
	v_min_f32_e32 v75, 0, v72
	v_add_co_ci_u32_e64 v74, null, v94, v71, vcc_lo
	s_mov_b32 s5, 0
	flat_store_dword v[73:74], v75
.LBB22_17:
	v_lshlrev_b64 v[68:69], 2, v[68:69]
	v_mov_b32_e32 v73, 0
	s_andn2_b32 vcc_lo, exec_lo, s5
	s_cbranch_vccnz .LBB22_19
; %bb.18:
	v_add_co_u32 v73, vcc_lo, v146, v70
	v_add_co_ci_u32_e64 v74, null, v147, v71, vcc_lo
	flat_load_dword v73, v[73:74]
	s_waitcnt vmcnt(0) lgkmcnt(0)
	v_mul_f32_e32 v75, s1, v73
	v_add_co_u32 v73, vcc_lo, v93, v70
	v_add_co_ci_u32_e64 v74, null, v94, v71, vcc_lo
	v_add_co_u32 v77, vcc_lo, v146, v68
	v_min_f32_e32 v72, v75, v72
	v_add_co_ci_u32_e64 v78, null, v147, v69, vcc_lo
	flat_store_dword v[73:74], v72
	flat_load_dword v72, v[77:78]
	s_waitcnt vmcnt(0) lgkmcnt(0)
	v_mul_f32_e32 v73, s1, v72
.LBB22_19:
	v_add_f32_e32 v72, v23, v63
	v_add_f32_e32 v74, v22, v62
	;; [unrolled: 1-line block ×6, first 2 shown]
	v_min3_f32 v140, v74, v72, v140
	v_add_nc_u32_e32 v74, 32, v76
	v_min3_f32 v141, v77, v75, v141
	v_add_f32_e32 v143, v20, v64
	v_min_f32_e32 v75, v79, v78
	v_add_f32_e32 v79, v21, v65
	v_add_co_u32 v77, vcc_lo, v93, v68
	v_add_nc_u32_e32 v72, 40, v76
	v_min3_f32 v140, v73, v75, v140
	v_ashrrev_i32_e32 v75, 31, v74
	v_add_co_ci_u32_e64 v78, null, v94, v69, vcc_lo
	v_min3_f32 v79, v143, v79, v141
	v_ashrrev_i32_e32 v73, 31, v72
	v_lshlrev_b64 v[74:75], 2, v[74:75]
	flat_store_dword v[77:78], v140
	s_mov_b32 s5, -1
	v_max_f32_e32 v77, v79, v79
	s_mov_b32 vcc_lo, s0
	s_cbranch_vccz .LBB22_21
; %bb.20:
	v_add_co_u32 v78, vcc_lo, v93, v74
	v_min_f32_e32 v140, 0, v77
	v_add_co_ci_u32_e64 v79, null, v94, v75, vcc_lo
	s_mov_b32 s5, 0
	flat_store_dword v[78:79], v140
.LBB22_21:
	v_lshlrev_b64 v[72:73], 2, v[72:73]
	v_mov_b32_e32 v79, 0
	s_andn2_b32 vcc_lo, exec_lo, s5
	s_cbranch_vccnz .LBB22_23
; %bb.22:
	v_add_co_u32 v78, vcc_lo, v146, v74
	v_add_co_ci_u32_e64 v79, null, v147, v75, vcc_lo
	flat_load_dword v78, v[78:79]
	s_waitcnt vmcnt(0) lgkmcnt(0)
	v_mul_f32_e32 v140, s1, v78
	v_add_co_u32 v78, vcc_lo, v93, v74
	v_add_co_ci_u32_e64 v79, null, v94, v75, vcc_lo
	v_min_f32_e32 v77, v140, v77
	v_add_co_u32 v140, vcc_lo, v146, v72
	v_add_co_ci_u32_e64 v141, null, v147, v73, vcc_lo
	flat_store_dword v[78:79], v77
	flat_load_dword v77, v[140:141]
	s_waitcnt vmcnt(0) lgkmcnt(0)
	v_mul_f32_e32 v79, s1, v77
.LBB22_23:
	v_add_f32_e32 v77, v15, v63
	v_add_f32_e32 v78, v14, v62
	v_add_f32_e32 v140, v11, v63
	v_add_f32_e32 v141, v10, v62
	v_add_f32_e32 v143, v17, v65
	v_add_f32_e32 v144, v16, v64
	v_min3_f32 v77, v78, v77, v135
	v_add_nc_u32_e32 v135, 48, v76
	v_min3_f32 v140, v141, v140, v136
	v_add_f32_e32 v141, v13, v65
	v_min_f32_e32 v136, v144, v143
	v_add_f32_e32 v143, v12, v64
	v_add_nc_u32_e32 v78, 56, v76
	v_add_co_u32 v76, vcc_lo, v93, v72
	v_min3_f32 v144, v79, v136, v77
	v_add_co_ci_u32_e64 v77, null, v94, v73, vcc_lo
	v_ashrrev_i32_e32 v136, 31, v135
	v_min3_f32 v140, v143, v141, v140
	v_ashrrev_i32_e32 v79, 31, v78
	flat_store_dword v[76:77], v144
	s_mov_b32 s5, -1
	v_lshlrev_b64 v[76:77], 2, v[135:136]
	v_max_f32_e32 v135, v140, v140
	s_mov_b32 vcc_lo, s0
	s_cbranch_vccz .LBB22_25
; %bb.24:
	v_add_co_u32 v140, vcc_lo, v93, v76
	v_min_f32_e32 v136, 0, v135
	v_add_co_ci_u32_e64 v141, null, v94, v77, vcc_lo
	s_mov_b32 s5, 0
	flat_store_dword v[140:141], v136
.LBB22_25:
	v_lshlrev_b64 v[78:79], 2, v[78:79]
	v_mov_b32_e32 v136, 0
	s_andn2_b32 vcc_lo, exec_lo, s5
	s_cbranch_vccnz .LBB22_27
; %bb.26:
	v_add_co_u32 v140, vcc_lo, v146, v76
	v_add_co_ci_u32_e64 v141, null, v147, v77, vcc_lo
	flat_load_dword v136, v[140:141]
	v_add_co_u32 v140, vcc_lo, v93, v76
	v_add_co_ci_u32_e64 v141, null, v94, v77, vcc_lo
	s_waitcnt vmcnt(0) lgkmcnt(0)
	v_mul_f32_e32 v136, s1, v136
	v_min_f32_e32 v143, v136, v135
	v_add_co_u32 v135, vcc_lo, v146, v78
	v_add_co_ci_u32_e64 v136, null, v147, v79, vcc_lo
	flat_store_dword v[140:141], v143
	flat_load_dword v135, v[135:136]
	s_waitcnt vmcnt(0) lgkmcnt(0)
	v_mul_f32_e32 v136, s1, v135
.LBB22_27:
	v_add_f32_e32 v63, v3, v63
	v_add_f32_e32 v62, v2, v62
	;; [unrolled: 1-line block ×6, first 2 shown]
	v_min3_f32 v62, v62, v63, v131
	v_add_co_u32 v93, vcc_lo, v93, v78
	v_min_f32_e32 v63, v64, v65
	v_add_nc_u32_e32 v64, 32, v92
	v_min3_f32 v131, v140, v135, v145
	v_add_f32_e32 v135, v37, v61
	v_add_f32_e32 v140, v36, v60
	v_min3_f32 v136, v136, v63, v62
	v_mad_i64_i32 v[62:63], null, v64, s4, 0
	v_mad_i64_i32 v[64:65], null, v64, s6, 0
	v_add_co_ci_u32_e64 v94, null, v94, v79, vcc_lo
	v_min3_f32 v131, v140, v135, v131
	s_mov_b32 s5, -1
	v_lshlrev_b64 v[62:63], 2, v[62:63]
	flat_store_dword v[93:94], v136
	v_lshlrev_b64 v[64:65], 2, v[64:65]
	v_max_f32_e32 v93, v131, v131
	v_add_co_u32 v62, vcc_lo, s2, v62
	v_add_co_ci_u32_e64 v63, null, s3, v63, vcc_lo
	v_add_co_u32 v64, vcc_lo, s12, v64
	v_add_co_ci_u32_e64 v65, null, s13, v65, vcc_lo
	s_mov_b32 vcc_lo, s0
	s_cbranch_vccz .LBB22_29
; %bb.28:
	v_add_co_u32 v135, vcc_lo, v62, v66
	v_min_f32_e32 v94, 0, v93
	v_add_co_ci_u32_e64 v136, null, v63, v67, vcc_lo
	s_mov_b32 s5, 0
	flat_store_dword v[135:136], v94
.LBB22_29:
	v_mov_b32_e32 v94, 0
	s_andn2_b32 vcc_lo, exec_lo, s5
	s_cbranch_vccnz .LBB22_31
; %bb.30:
	v_add_co_u32 v135, vcc_lo, v64, v66
	v_add_co_ci_u32_e64 v136, null, v65, v67, vcc_lo
	flat_load_dword v94, v[135:136]
	v_add_co_u32 v135, vcc_lo, v62, v66
	v_add_co_ci_u32_e64 v136, null, v63, v67, vcc_lo
	s_waitcnt vmcnt(0) lgkmcnt(0)
	v_mul_f32_e32 v94, s1, v94
	v_min_f32_e32 v131, v94, v93
	v_add_co_u32 v93, vcc_lo, v64, v0
	v_add_co_ci_u32_e64 v94, null, v65, v1, vcc_lo
	flat_store_dword v[135:136], v131
	flat_load_dword v93, v[93:94]
	s_waitcnt vmcnt(0) lgkmcnt(0)
	v_mul_f32_e32 v94, s1, v93
.LBB22_31:
	v_add_f32_e32 v93, v31, v59
	v_add_f32_e32 v131, v30, v58
	;; [unrolled: 1-line block ×6, first 2 shown]
	v_min3_f32 v93, v131, v93, v139
	v_add_f32_e32 v139, v28, v60
	v_min_f32_e32 v131, v136, v135
	v_add_f32_e32 v136, v29, v61
	v_min3_f32 v135, v141, v140, v142
	s_mov_b32 s5, -1
	v_min3_f32 v131, v94, v131, v93
	v_add_co_u32 v93, vcc_lo, v62, v0
	v_add_co_ci_u32_e64 v94, null, v63, v1, vcc_lo
	v_min3_f32 v135, v139, v136, v135
	s_mov_b32 vcc_lo, s0
	flat_store_dword v[93:94], v131
	v_max_f32_e32 v93, v135, v135
	s_cbranch_vccz .LBB22_33
; %bb.32:
	v_add_co_u32 v135, vcc_lo, v62, v70
	v_min_f32_e32 v94, 0, v93
	v_add_co_ci_u32_e64 v136, null, v63, v71, vcc_lo
	s_mov_b32 s5, 0
	flat_store_dword v[135:136], v94
.LBB22_33:
	v_mov_b32_e32 v94, 0
	s_andn2_b32 vcc_lo, exec_lo, s5
	s_cbranch_vccnz .LBB22_35
; %bb.34:
	v_add_co_u32 v135, vcc_lo, v64, v70
	v_add_co_ci_u32_e64 v136, null, v65, v71, vcc_lo
	flat_load_dword v94, v[135:136]
	v_add_co_u32 v135, vcc_lo, v62, v70
	v_add_co_ci_u32_e64 v136, null, v63, v71, vcc_lo
	s_waitcnt vmcnt(0) lgkmcnt(0)
	v_mul_f32_e32 v94, s1, v94
	v_min_f32_e32 v131, v94, v93
	v_add_co_u32 v93, vcc_lo, v64, v68
	v_add_co_ci_u32_e64 v94, null, v65, v69, vcc_lo
	flat_store_dword v[135:136], v131
	flat_load_dword v93, v[93:94]
	s_waitcnt vmcnt(0) lgkmcnt(0)
	v_mul_f32_e32 v94, s1, v93
.LBB22_35:
	v_add_f32_e32 v93, v23, v59
	v_add_f32_e32 v131, v22, v58
	;; [unrolled: 1-line block ×6, first 2 shown]
	v_min3_f32 v93, v131, v93, v137
	v_add_f32_e32 v137, v20, v60
	v_min_f32_e32 v131, v136, v135
	v_add_f32_e32 v136, v21, v61
	v_min3_f32 v135, v140, v139, v138
	s_mov_b32 s5, -1
	v_min3_f32 v131, v94, v131, v93
	v_add_co_u32 v93, vcc_lo, v62, v68
	v_add_co_ci_u32_e64 v94, null, v63, v69, vcc_lo
	v_min3_f32 v135, v137, v136, v135
	s_mov_b32 vcc_lo, s0
	flat_store_dword v[93:94], v131
	v_max_f32_e32 v93, v135, v135
	s_cbranch_vccz .LBB22_37
; %bb.36:
	v_add_co_u32 v135, vcc_lo, v62, v74
	v_min_f32_e32 v94, 0, v93
	v_add_co_ci_u32_e64 v136, null, v63, v75, vcc_lo
	s_mov_b32 s5, 0
	flat_store_dword v[135:136], v94
.LBB22_37:
	v_mov_b32_e32 v94, 0
	s_andn2_b32 vcc_lo, exec_lo, s5
	s_cbranch_vccnz .LBB22_39
; %bb.38:
	v_add_co_u32 v135, vcc_lo, v64, v74
	v_add_co_ci_u32_e64 v136, null, v65, v75, vcc_lo
	flat_load_dword v94, v[135:136]
	v_add_co_u32 v135, vcc_lo, v62, v74
	v_add_co_ci_u32_e64 v136, null, v63, v75, vcc_lo
	s_waitcnt vmcnt(0) lgkmcnt(0)
	v_mul_f32_e32 v94, s1, v94
	v_min_f32_e32 v131, v94, v93
	v_add_co_u32 v93, vcc_lo, v64, v72
	v_add_co_ci_u32_e64 v94, null, v65, v73, vcc_lo
	flat_store_dword v[135:136], v131
	flat_load_dword v93, v[93:94]
	s_waitcnt vmcnt(0) lgkmcnt(0)
	v_mul_f32_e32 v94, s1, v93
.LBB22_39:
	v_add_f32_e32 v93, v15, v59
	v_add_f32_e32 v131, v14, v58
	;; [unrolled: 1-line block ×6, first 2 shown]
	v_min3_f32 v93, v131, v93, v132
	s_mov_b32 s5, -1
	v_min_f32_e32 v131, v136, v135
	v_add_f32_e32 v135, v12, v60
	v_min3_f32 v132, v138, v137, v133
	v_add_f32_e32 v133, v13, v61
	v_min3_f32 v131, v94, v131, v93
	v_add_co_u32 v93, vcc_lo, v62, v72
	v_add_co_ci_u32_e64 v94, null, v63, v73, vcc_lo
	v_min3_f32 v132, v135, v133, v132
	s_mov_b32 vcc_lo, s0
	flat_store_dword v[93:94], v131
	v_max_f32_e32 v93, v132, v132
	s_cbranch_vccz .LBB22_41
; %bb.40:
	v_add_co_u32 v131, vcc_lo, v62, v76
	v_min_f32_e32 v94, 0, v93
	v_add_co_ci_u32_e64 v132, null, v63, v77, vcc_lo
	s_mov_b32 s5, 0
	flat_store_dword v[131:132], v94
.LBB22_41:
	v_mov_b32_e32 v94, 0
	s_andn2_b32 vcc_lo, exec_lo, s5
	s_cbranch_vccnz .LBB22_43
; %bb.42:
	v_add_co_u32 v131, vcc_lo, v64, v76
	v_add_co_ci_u32_e64 v132, null, v65, v77, vcc_lo
	flat_load_dword v94, v[131:132]
	v_add_co_u32 v131, vcc_lo, v62, v76
	v_add_co_ci_u32_e64 v132, null, v63, v77, vcc_lo
	v_add_co_u32 v64, vcc_lo, v64, v78
	v_add_co_ci_u32_e64 v65, null, v65, v79, vcc_lo
	s_waitcnt vmcnt(0) lgkmcnt(0)
	v_mul_f32_e32 v94, s1, v94
	v_min_f32_e32 v93, v94, v93
	flat_store_dword v[131:132], v93
	flat_load_dword v64, v[64:65]
	s_waitcnt vmcnt(0) lgkmcnt(0)
	v_mul_f32_e32 v94, s1, v64
.LBB22_43:
	v_add_f32_e32 v59, v3, v59
	v_add_f32_e32 v58, v2, v58
	;; [unrolled: 1-line block ×6, first 2 shown]
	v_min3_f32 v58, v58, v59, v129
	v_add_f32_e32 v93, v36, v56
	v_min_f32_e32 v59, v60, v61
	v_add_nc_u32_e32 v60, 64, v92
	v_min3_f32 v64, v65, v64, v134
	v_add_f32_e32 v65, v37, v57
	v_add_co_u32 v62, vcc_lo, v62, v78
	v_min3_f32 v94, v94, v59, v58
	v_mad_i64_i32 v[58:59], null, v60, s4, 0
	v_mad_i64_i32 v[60:61], null, v60, s6, 0
	v_add_co_ci_u32_e64 v63, null, v63, v79, vcc_lo
	v_min3_f32 v64, v93, v65, v64
	s_mov_b32 s5, -1
	v_lshlrev_b64 v[58:59], 2, v[58:59]
	flat_store_dword v[62:63], v94
	v_lshlrev_b64 v[60:61], 2, v[60:61]
	v_max_f32_e32 v62, v64, v64
	v_add_co_u32 v58, vcc_lo, s2, v58
	v_add_co_ci_u32_e64 v59, null, s3, v59, vcc_lo
	v_add_co_u32 v60, vcc_lo, s12, v60
	v_add_co_ci_u32_e64 v61, null, s13, v61, vcc_lo
	s_mov_b32 vcc_lo, s0
	s_cbranch_vccz .LBB22_45
; %bb.44:
	v_add_co_u32 v63, vcc_lo, v58, v66
	v_min_f32_e32 v65, 0, v62
	v_add_co_ci_u32_e64 v64, null, v59, v67, vcc_lo
	s_mov_b32 s5, 0
	flat_store_dword v[63:64], v65
.LBB22_45:
	v_mov_b32_e32 v63, 0
	s_andn2_b32 vcc_lo, exec_lo, s5
	s_cbranch_vccnz .LBB22_47
; %bb.46:
	v_add_co_u32 v63, vcc_lo, v60, v66
	v_add_co_ci_u32_e64 v64, null, v61, v67, vcc_lo
	flat_load_dword v63, v[63:64]
	s_waitcnt vmcnt(0) lgkmcnt(0)
	v_mul_f32_e32 v65, s1, v63
	v_add_co_u32 v63, vcc_lo, v58, v66
	v_add_co_ci_u32_e64 v64, null, v59, v67, vcc_lo
	v_add_co_u32 v93, vcc_lo, v60, v0
	v_min_f32_e32 v62, v65, v62
	v_add_co_ci_u32_e64 v94, null, v61, v1, vcc_lo
	flat_store_dword v[63:64], v62
	flat_load_dword v62, v[93:94]
	s_waitcnt vmcnt(0) lgkmcnt(0)
	v_mul_f32_e32 v63, s1, v62
.LBB22_47:
	v_add_f32_e32 v62, v31, v55
	v_add_f32_e32 v64, v30, v54
	v_add_f32_e32 v65, v33, v57
	v_add_f32_e32 v93, v32, v56
	v_add_f32_e32 v94, v27, v55
	v_add_f32_e32 v129, v26, v54
	v_min3_f32 v62, v64, v62, v128
	s_mov_b32 s5, -1
	v_min_f32_e32 v64, v93, v65
	v_add_f32_e32 v93, v29, v57
	v_min3_f32 v65, v129, v94, v130
	v_add_f32_e32 v94, v28, v56
	v_min3_f32 v64, v63, v64, v62
	v_add_co_u32 v62, vcc_lo, v58, v0
	v_add_co_ci_u32_e64 v63, null, v59, v1, vcc_lo
	v_min3_f32 v65, v94, v93, v65
	s_mov_b32 vcc_lo, s0
	flat_store_dword v[62:63], v64
	v_max_f32_e32 v62, v65, v65
	s_cbranch_vccz .LBB22_49
; %bb.48:
	v_add_co_u32 v63, vcc_lo, v58, v70
	v_min_f32_e32 v65, 0, v62
	v_add_co_ci_u32_e64 v64, null, v59, v71, vcc_lo
	s_mov_b32 s5, 0
	flat_store_dword v[63:64], v65
.LBB22_49:
	v_mov_b32_e32 v63, 0
	s_andn2_b32 vcc_lo, exec_lo, s5
	s_cbranch_vccnz .LBB22_51
; %bb.50:
	v_add_co_u32 v63, vcc_lo, v60, v70
	v_add_co_ci_u32_e64 v64, null, v61, v71, vcc_lo
	flat_load_dword v63, v[63:64]
	s_waitcnt vmcnt(0) lgkmcnt(0)
	v_mul_f32_e32 v65, s1, v63
	v_add_co_u32 v63, vcc_lo, v58, v70
	v_add_co_ci_u32_e64 v64, null, v59, v71, vcc_lo
	v_add_co_u32 v93, vcc_lo, v60, v68
	v_min_f32_e32 v62, v65, v62
	v_add_co_ci_u32_e64 v94, null, v61, v69, vcc_lo
	flat_store_dword v[63:64], v62
	flat_load_dword v62, v[93:94]
	s_waitcnt vmcnt(0) lgkmcnt(0)
	v_mul_f32_e32 v63, s1, v62
.LBB22_51:
	v_add_f32_e32 v62, v23, v55
	v_add_f32_e32 v64, v22, v54
	v_add_f32_e32 v65, v25, v57
	v_add_f32_e32 v93, v24, v56
	v_add_f32_e32 v94, v19, v55
	v_add_f32_e32 v128, v18, v54
	v_min3_f32 v62, v64, v62, v126
	s_mov_b32 s5, -1
	v_min_f32_e32 v64, v93, v65
	v_add_f32_e32 v93, v21, v57
	v_min3_f32 v65, v128, v94, v127
	v_add_f32_e32 v94, v20, v56
	v_min3_f32 v64, v63, v64, v62
	v_add_co_u32 v62, vcc_lo, v58, v68
	v_add_co_ci_u32_e64 v63, null, v59, v69, vcc_lo
	v_min3_f32 v65, v94, v93, v65
	s_mov_b32 vcc_lo, s0
	flat_store_dword v[62:63], v64
	v_max_f32_e32 v62, v65, v65
	s_cbranch_vccz .LBB22_53
; %bb.52:
	v_add_co_u32 v63, vcc_lo, v58, v74
	v_min_f32_e32 v65, 0, v62
	v_add_co_ci_u32_e64 v64, null, v59, v75, vcc_lo
	s_mov_b32 s5, 0
	flat_store_dword v[63:64], v65
.LBB22_53:
	v_mov_b32_e32 v63, 0
	s_andn2_b32 vcc_lo, exec_lo, s5
	s_cbranch_vccnz .LBB22_55
; %bb.54:
	v_add_co_u32 v63, vcc_lo, v60, v74
	v_add_co_ci_u32_e64 v64, null, v61, v75, vcc_lo
	flat_load_dword v63, v[63:64]
	s_waitcnt vmcnt(0) lgkmcnt(0)
	v_mul_f32_e32 v65, s1, v63
	v_add_co_u32 v63, vcc_lo, v58, v74
	v_add_co_ci_u32_e64 v64, null, v59, v75, vcc_lo
	v_add_co_u32 v93, vcc_lo, v60, v72
	v_min_f32_e32 v62, v65, v62
	v_add_co_ci_u32_e64 v94, null, v61, v73, vcc_lo
	flat_store_dword v[63:64], v62
	flat_load_dword v62, v[93:94]
	s_waitcnt vmcnt(0) lgkmcnt(0)
	v_mul_f32_e32 v63, s1, v62
.LBB22_55:
	v_add_f32_e32 v62, v15, v55
	v_add_f32_e32 v64, v14, v54
	v_add_f32_e32 v65, v17, v57
	v_add_f32_e32 v93, v16, v56
	v_add_f32_e32 v94, v11, v55
	v_add_f32_e32 v126, v10, v54
	v_min3_f32 v62, v64, v62, v122
	s_mov_b32 s5, -1
	v_min_f32_e32 v64, v93, v65
	v_add_f32_e32 v93, v13, v57
	v_min3_f32 v65, v126, v94, v124
	v_add_f32_e32 v94, v12, v56
	v_min3_f32 v64, v63, v64, v62
	v_add_co_u32 v62, vcc_lo, v58, v72
	v_add_co_ci_u32_e64 v63, null, v59, v73, vcc_lo
	v_min3_f32 v65, v94, v93, v65
	s_mov_b32 vcc_lo, s0
	flat_store_dword v[62:63], v64
	v_max_f32_e32 v62, v65, v65
	s_cbranch_vccz .LBB22_57
; %bb.56:
	v_add_co_u32 v63, vcc_lo, v58, v76
	v_min_f32_e32 v65, 0, v62
	v_add_co_ci_u32_e64 v64, null, v59, v77, vcc_lo
	s_mov_b32 s5, 0
	flat_store_dword v[63:64], v65
.LBB22_57:
	v_mov_b32_e32 v63, 0
	s_andn2_b32 vcc_lo, exec_lo, s5
	s_cbranch_vccnz .LBB22_59
; %bb.58:
	v_add_co_u32 v63, vcc_lo, v60, v76
	v_add_co_ci_u32_e64 v64, null, v61, v77, vcc_lo
	flat_load_dword v63, v[63:64]
	s_waitcnt vmcnt(0) lgkmcnt(0)
	v_mul_f32_e32 v65, s1, v63
	v_add_co_u32 v63, vcc_lo, v58, v76
	v_add_co_ci_u32_e64 v64, null, v59, v77, vcc_lo
	v_add_co_u32 v60, vcc_lo, v60, v78
	v_min_f32_e32 v62, v65, v62
	v_add_co_ci_u32_e64 v61, null, v61, v79, vcc_lo
	flat_store_dword v[63:64], v62
	flat_load_dword v60, v[60:61]
	s_waitcnt vmcnt(0) lgkmcnt(0)
	v_mul_f32_e32 v63, s1, v60
.LBB22_59:
	v_add_f32_e32 v55, v3, v55
	v_add_f32_e32 v54, v2, v54
	;; [unrolled: 1-line block ×6, first 2 shown]
	v_min3_f32 v54, v54, v55, v119
	v_add_f32_e32 v62, v36, v52
	v_min_f32_e32 v55, v56, v57
	v_add_nc_u32_e32 v56, 0x60, v92
	v_min3_f32 v60, v61, v60, v125
	v_add_f32_e32 v61, v37, v53
	v_add_co_u32 v58, vcc_lo, v58, v78
	v_min3_f32 v63, v63, v55, v54
	v_mad_i64_i32 v[54:55], null, v56, s4, 0
	v_mad_i64_i32 v[56:57], null, v56, s6, 0
	v_add_co_ci_u32_e64 v59, null, v59, v79, vcc_lo
	v_min3_f32 v60, v62, v61, v60
	s_mov_b32 s5, -1
	v_lshlrev_b64 v[54:55], 2, v[54:55]
	flat_store_dword v[58:59], v63
	v_lshlrev_b64 v[56:57], 2, v[56:57]
	v_max_f32_e32 v58, v60, v60
	v_add_co_u32 v54, vcc_lo, s2, v54
	v_add_co_ci_u32_e64 v55, null, s3, v55, vcc_lo
	v_add_co_u32 v56, vcc_lo, s12, v56
	v_add_co_ci_u32_e64 v57, null, s13, v57, vcc_lo
	s_mov_b32 vcc_lo, s0
	s_cbranch_vccz .LBB22_61
; %bb.60:
	v_add_co_u32 v59, vcc_lo, v54, v66
	v_min_f32_e32 v61, 0, v58
	v_add_co_ci_u32_e64 v60, null, v55, v67, vcc_lo
	s_mov_b32 s5, 0
	flat_store_dword v[59:60], v61
.LBB22_61:
	v_mov_b32_e32 v59, 0
	s_andn2_b32 vcc_lo, exec_lo, s5
	s_cbranch_vccnz .LBB22_63
; %bb.62:
	v_add_co_u32 v59, vcc_lo, v56, v66
	v_add_co_ci_u32_e64 v60, null, v57, v67, vcc_lo
	flat_load_dword v59, v[59:60]
	s_waitcnt vmcnt(0) lgkmcnt(0)
	v_mul_f32_e32 v61, s1, v59
	v_add_co_u32 v59, vcc_lo, v54, v66
	v_add_co_ci_u32_e64 v60, null, v55, v67, vcc_lo
	v_min_f32_e32 v58, v61, v58
	v_add_co_u32 v61, vcc_lo, v56, v0
	v_add_co_ci_u32_e64 v62, null, v57, v1, vcc_lo
	flat_store_dword v[59:60], v58
	flat_load_dword v58, v[61:62]
	s_waitcnt vmcnt(0) lgkmcnt(0)
	v_mul_f32_e32 v59, s1, v58
.LBB22_63:
	v_add_f32_e32 v58, v31, v51
	v_add_f32_e32 v60, v30, v50
	v_add_f32_e32 v61, v33, v53
	v_add_f32_e32 v62, v32, v52
	v_add_f32_e32 v63, v27, v51
	v_add_f32_e32 v64, v26, v50
	v_min3_f32 v58, v60, v58, v118
	s_mov_b32 s5, -1
	v_min_f32_e32 v60, v62, v61
	v_add_f32_e32 v62, v29, v53
	v_min3_f32 v61, v64, v63, v120
	v_add_f32_e32 v63, v28, v52
	v_min3_f32 v60, v59, v60, v58
	v_add_co_u32 v58, vcc_lo, v54, v0
	v_add_co_ci_u32_e64 v59, null, v55, v1, vcc_lo
	v_min3_f32 v61, v63, v62, v61
	s_mov_b32 vcc_lo, s0
	flat_store_dword v[58:59], v60
	v_max_f32_e32 v58, v61, v61
	s_cbranch_vccz .LBB22_65
; %bb.64:
	v_add_co_u32 v59, vcc_lo, v54, v70
	v_min_f32_e32 v61, 0, v58
	v_add_co_ci_u32_e64 v60, null, v55, v71, vcc_lo
	s_mov_b32 s5, 0
	flat_store_dword v[59:60], v61
.LBB22_65:
	v_mov_b32_e32 v59, 0
	s_andn2_b32 vcc_lo, exec_lo, s5
	s_cbranch_vccnz .LBB22_67
; %bb.66:
	v_add_co_u32 v59, vcc_lo, v56, v70
	v_add_co_ci_u32_e64 v60, null, v57, v71, vcc_lo
	flat_load_dword v59, v[59:60]
	s_waitcnt vmcnt(0) lgkmcnt(0)
	v_mul_f32_e32 v61, s1, v59
	v_add_co_u32 v59, vcc_lo, v54, v70
	v_add_co_ci_u32_e64 v60, null, v55, v71, vcc_lo
	v_min_f32_e32 v58, v61, v58
	v_add_co_u32 v61, vcc_lo, v56, v68
	v_add_co_ci_u32_e64 v62, null, v57, v69, vcc_lo
	flat_store_dword v[59:60], v58
	flat_load_dword v58, v[61:62]
	s_waitcnt vmcnt(0) lgkmcnt(0)
	v_mul_f32_e32 v59, s1, v58
.LBB22_67:
	v_add_f32_e32 v58, v23, v51
	v_add_f32_e32 v60, v22, v50
	v_add_f32_e32 v61, v25, v53
	v_add_f32_e32 v62, v24, v52
	v_add_f32_e32 v63, v19, v51
	v_add_f32_e32 v64, v18, v50
	v_min3_f32 v58, v60, v58, v114
	s_mov_b32 s5, -1
	v_min_f32_e32 v60, v62, v61
	v_add_f32_e32 v62, v21, v53
	v_min3_f32 v61, v64, v63, v116
	v_add_f32_e32 v63, v20, v52
	v_min3_f32 v60, v59, v60, v58
	v_add_co_u32 v58, vcc_lo, v54, v68
	v_add_co_ci_u32_e64 v59, null, v55, v69, vcc_lo
	v_min3_f32 v61, v63, v62, v61
	s_mov_b32 vcc_lo, s0
	flat_store_dword v[58:59], v60
	v_max_f32_e32 v58, v61, v61
	;; [unrolled: 46-line block ×3, first 2 shown]
	s_cbranch_vccz .LBB22_73
; %bb.72:
	v_add_co_u32 v59, vcc_lo, v54, v76
	v_min_f32_e32 v61, 0, v58
	v_add_co_ci_u32_e64 v60, null, v55, v77, vcc_lo
	s_mov_b32 s5, 0
	flat_store_dword v[59:60], v61
.LBB22_73:
	v_mov_b32_e32 v59, 0
	s_andn2_b32 vcc_lo, exec_lo, s5
	s_cbranch_vccnz .LBB22_75
; %bb.74:
	v_add_co_u32 v59, vcc_lo, v56, v76
	v_add_co_ci_u32_e64 v60, null, v57, v77, vcc_lo
	flat_load_dword v59, v[59:60]
	s_waitcnt vmcnt(0) lgkmcnt(0)
	v_mul_f32_e32 v61, s1, v59
	v_add_co_u32 v59, vcc_lo, v54, v76
	v_add_co_ci_u32_e64 v60, null, v55, v77, vcc_lo
	v_add_co_u32 v56, vcc_lo, v56, v78
	v_min_f32_e32 v58, v61, v58
	v_add_co_ci_u32_e64 v57, null, v57, v79, vcc_lo
	flat_store_dword v[59:60], v58
	flat_load_dword v56, v[56:57]
	s_waitcnt vmcnt(0) lgkmcnt(0)
	v_mul_f32_e32 v59, s1, v56
.LBB22_75:
	v_add_f32_e32 v51, v3, v51
	v_add_f32_e32 v50, v2, v50
	;; [unrolled: 1-line block ×6, first 2 shown]
	v_min3_f32 v50, v50, v51, v106
	v_add_f32_e32 v58, v36, v48
	v_min_f32_e32 v51, v52, v53
	v_add_nc_u32_e32 v52, 0x80, v92
	v_min3_f32 v56, v57, v56, v121
	v_add_f32_e32 v57, v37, v49
	v_add_co_u32 v54, vcc_lo, v54, v78
	v_min3_f32 v59, v59, v51, v50
	v_mad_i64_i32 v[50:51], null, v52, s4, 0
	v_mad_i64_i32 v[52:53], null, v52, s6, 0
	v_add_co_ci_u32_e64 v55, null, v55, v79, vcc_lo
	v_min3_f32 v56, v58, v57, v56
	s_mov_b32 s5, -1
	v_lshlrev_b64 v[50:51], 2, v[50:51]
	flat_store_dword v[54:55], v59
	v_lshlrev_b64 v[52:53], 2, v[52:53]
	v_max_f32_e32 v54, v56, v56
	v_add_co_u32 v50, vcc_lo, s2, v50
	v_add_co_ci_u32_e64 v51, null, s3, v51, vcc_lo
	v_add_co_u32 v52, vcc_lo, s12, v52
	v_add_co_ci_u32_e64 v53, null, s13, v53, vcc_lo
	s_mov_b32 vcc_lo, s0
	s_cbranch_vccz .LBB22_77
; %bb.76:
	v_add_co_u32 v55, vcc_lo, v50, v66
	v_min_f32_e32 v57, 0, v54
	v_add_co_ci_u32_e64 v56, null, v51, v67, vcc_lo
	s_mov_b32 s5, 0
	flat_store_dword v[55:56], v57
.LBB22_77:
	v_mov_b32_e32 v55, 0
	s_andn2_b32 vcc_lo, exec_lo, s5
	s_cbranch_vccnz .LBB22_79
; %bb.78:
	v_add_co_u32 v55, vcc_lo, v52, v66
	v_add_co_ci_u32_e64 v56, null, v53, v67, vcc_lo
	flat_load_dword v55, v[55:56]
	s_waitcnt vmcnt(0) lgkmcnt(0)
	v_mul_f32_e32 v57, s1, v55
	v_add_co_u32 v55, vcc_lo, v50, v66
	v_add_co_ci_u32_e64 v56, null, v51, v67, vcc_lo
	v_min_f32_e32 v54, v57, v54
	v_add_co_u32 v57, vcc_lo, v52, v0
	v_add_co_ci_u32_e64 v58, null, v53, v1, vcc_lo
	flat_store_dword v[55:56], v54
	flat_load_dword v54, v[57:58]
	s_waitcnt vmcnt(0) lgkmcnt(0)
	v_mul_f32_e32 v55, s1, v54
.LBB22_79:
	v_add_f32_e32 v54, v31, v47
	v_add_f32_e32 v56, v30, v46
	v_add_f32_e32 v57, v33, v49
	v_add_f32_e32 v58, v32, v48
	v_add_f32_e32 v59, v27, v47
	v_add_f32_e32 v60, v26, v46
	v_min3_f32 v54, v56, v54, v115
	s_mov_b32 s5, -1
	v_min_f32_e32 v56, v58, v57
	v_add_f32_e32 v58, v29, v49
	v_min3_f32 v57, v60, v59, v117
	v_add_f32_e32 v59, v28, v48
	v_min3_f32 v56, v55, v56, v54
	v_add_co_u32 v54, vcc_lo, v50, v0
	v_add_co_ci_u32_e64 v55, null, v51, v1, vcc_lo
	v_min3_f32 v57, v59, v58, v57
	s_mov_b32 vcc_lo, s0
	flat_store_dword v[54:55], v56
	v_max_f32_e32 v54, v57, v57
	s_cbranch_vccz .LBB22_81
; %bb.80:
	v_add_co_u32 v55, vcc_lo, v50, v70
	v_min_f32_e32 v57, 0, v54
	v_add_co_ci_u32_e64 v56, null, v51, v71, vcc_lo
	s_mov_b32 s5, 0
	flat_store_dword v[55:56], v57
.LBB22_81:
	v_mov_b32_e32 v55, 0
	s_andn2_b32 vcc_lo, exec_lo, s5
	s_cbranch_vccnz .LBB22_83
; %bb.82:
	v_add_co_u32 v55, vcc_lo, v52, v70
	v_add_co_ci_u32_e64 v56, null, v53, v71, vcc_lo
	flat_load_dword v55, v[55:56]
	s_waitcnt vmcnt(0) lgkmcnt(0)
	v_mul_f32_e32 v57, s1, v55
	v_add_co_u32 v55, vcc_lo, v50, v70
	v_add_co_ci_u32_e64 v56, null, v51, v71, vcc_lo
	v_min_f32_e32 v54, v57, v54
	v_add_co_u32 v57, vcc_lo, v52, v68
	v_add_co_ci_u32_e64 v58, null, v53, v69, vcc_lo
	flat_store_dword v[55:56], v54
	flat_load_dword v54, v[57:58]
	s_waitcnt vmcnt(0) lgkmcnt(0)
	v_mul_f32_e32 v55, s1, v54
.LBB22_83:
	v_add_f32_e32 v54, v23, v47
	v_add_f32_e32 v56, v22, v46
	v_add_f32_e32 v57, v25, v49
	v_add_f32_e32 v58, v24, v48
	v_add_f32_e32 v59, v19, v47
	v_add_f32_e32 v60, v18, v46
	v_min3_f32 v54, v56, v54, v111
	s_mov_b32 s5, -1
	v_min_f32_e32 v56, v58, v57
	v_add_f32_e32 v58, v21, v49
	v_min3_f32 v57, v60, v59, v113
	v_add_f32_e32 v59, v20, v48
	v_min3_f32 v56, v55, v56, v54
	v_add_co_u32 v54, vcc_lo, v50, v68
	v_add_co_ci_u32_e64 v55, null, v51, v69, vcc_lo
	v_min3_f32 v57, v59, v58, v57
	s_mov_b32 vcc_lo, s0
	flat_store_dword v[54:55], v56
	v_max_f32_e32 v54, v57, v57
	;; [unrolled: 46-line block ×3, first 2 shown]
	s_cbranch_vccz .LBB22_89
; %bb.88:
	v_add_co_u32 v55, vcc_lo, v50, v76
	v_min_f32_e32 v57, 0, v54
	v_add_co_ci_u32_e64 v56, null, v51, v77, vcc_lo
	s_mov_b32 s5, 0
	flat_store_dword v[55:56], v57
.LBB22_89:
	v_mov_b32_e32 v55, 0
	s_andn2_b32 vcc_lo, exec_lo, s5
	s_cbranch_vccnz .LBB22_91
; %bb.90:
	v_add_co_u32 v55, vcc_lo, v52, v76
	v_add_co_ci_u32_e64 v56, null, v53, v77, vcc_lo
	flat_load_dword v55, v[55:56]
	s_waitcnt vmcnt(0) lgkmcnt(0)
	v_mul_f32_e32 v57, s1, v55
	v_add_co_u32 v55, vcc_lo, v50, v76
	v_add_co_ci_u32_e64 v56, null, v51, v77, vcc_lo
	v_add_co_u32 v52, vcc_lo, v52, v78
	v_min_f32_e32 v54, v57, v54
	v_add_co_ci_u32_e64 v53, null, v53, v79, vcc_lo
	flat_store_dword v[55:56], v54
	flat_load_dword v52, v[52:53]
	s_waitcnt vmcnt(0) lgkmcnt(0)
	v_mul_f32_e32 v55, s1, v52
.LBB22_91:
	v_add_f32_e32 v47, v3, v47
	v_add_f32_e32 v46, v2, v46
	v_add_f32_e32 v49, v5, v49
	v_add_f32_e32 v48, v4, v48
	v_add_f32_e32 v52, v35, v43
	v_add_f32_e32 v53, v34, v42
	v_min3_f32 v46, v46, v47, v103
	v_add_f32_e32 v54, v36, v44
	v_min_f32_e32 v47, v48, v49
	v_add_nc_u32_e32 v48, 0xa0, v92
	v_min3_f32 v52, v53, v52, v109
	v_add_f32_e32 v53, v37, v45
	v_add_co_u32 v50, vcc_lo, v50, v78
	v_min3_f32 v55, v55, v47, v46
	v_mad_i64_i32 v[46:47], null, v48, s4, 0
	v_mad_i64_i32 v[48:49], null, v48, s6, 0
	v_add_co_ci_u32_e64 v51, null, v51, v79, vcc_lo
	v_min3_f32 v52, v54, v53, v52
	s_mov_b32 s5, -1
	v_lshlrev_b64 v[46:47], 2, v[46:47]
	flat_store_dword v[50:51], v55
	v_lshlrev_b64 v[48:49], 2, v[48:49]
	v_max_f32_e32 v50, v52, v52
	v_add_co_u32 v46, vcc_lo, s2, v46
	v_add_co_ci_u32_e64 v47, null, s3, v47, vcc_lo
	v_add_co_u32 v48, vcc_lo, s12, v48
	v_add_co_ci_u32_e64 v49, null, s13, v49, vcc_lo
	s_mov_b32 vcc_lo, s0
	s_cbranch_vccz .LBB22_93
; %bb.92:
	v_add_co_u32 v51, vcc_lo, v46, v66
	v_min_f32_e32 v53, 0, v50
	v_add_co_ci_u32_e64 v52, null, v47, v67, vcc_lo
	s_mov_b32 s5, 0
	flat_store_dword v[51:52], v53
.LBB22_93:
	v_mov_b32_e32 v51, 0
	s_andn2_b32 vcc_lo, exec_lo, s5
	s_cbranch_vccnz .LBB22_95
; %bb.94:
	v_add_co_u32 v51, vcc_lo, v48, v66
	v_add_co_ci_u32_e64 v52, null, v49, v67, vcc_lo
	flat_load_dword v51, v[51:52]
	s_waitcnt vmcnt(0) lgkmcnt(0)
	v_mul_f32_e32 v53, s1, v51
	v_add_co_u32 v51, vcc_lo, v46, v66
	v_add_co_ci_u32_e64 v52, null, v47, v67, vcc_lo
	v_min_f32_e32 v50, v53, v50
	v_add_co_u32 v53, vcc_lo, v48, v0
	v_add_co_ci_u32_e64 v54, null, v49, v1, vcc_lo
	flat_store_dword v[51:52], v50
	flat_load_dword v50, v[53:54]
	s_waitcnt vmcnt(0) lgkmcnt(0)
	v_mul_f32_e32 v51, s1, v50
.LBB22_95:
	v_add_f32_e32 v50, v31, v43
	v_add_f32_e32 v52, v30, v42
	v_add_f32_e32 v53, v33, v45
	v_add_f32_e32 v54, v32, v44
	v_add_f32_e32 v55, v27, v43
	v_add_f32_e32 v56, v26, v42
	v_min3_f32 v50, v52, v50, v104
	s_mov_b32 s5, -1
	v_min_f32_e32 v52, v54, v53
	v_add_f32_e32 v54, v29, v45
	v_min3_f32 v53, v56, v55, v105
	v_add_f32_e32 v55, v28, v44
	v_min3_f32 v52, v51, v52, v50
	v_add_co_u32 v50, vcc_lo, v46, v0
	v_add_co_ci_u32_e64 v51, null, v47, v1, vcc_lo
	v_min3_f32 v53, v55, v54, v53
	s_mov_b32 vcc_lo, s0
	flat_store_dword v[50:51], v52
	v_max_f32_e32 v50, v53, v53
	s_cbranch_vccz .LBB22_97
; %bb.96:
	v_add_co_u32 v51, vcc_lo, v46, v70
	v_min_f32_e32 v53, 0, v50
	v_add_co_ci_u32_e64 v52, null, v47, v71, vcc_lo
	s_mov_b32 s5, 0
	flat_store_dword v[51:52], v53
.LBB22_97:
	v_mov_b32_e32 v51, 0
	s_andn2_b32 vcc_lo, exec_lo, s5
	s_cbranch_vccnz .LBB22_99
; %bb.98:
	v_add_co_u32 v51, vcc_lo, v48, v70
	v_add_co_ci_u32_e64 v52, null, v49, v71, vcc_lo
	flat_load_dword v51, v[51:52]
	s_waitcnt vmcnt(0) lgkmcnt(0)
	v_mul_f32_e32 v53, s1, v51
	v_add_co_u32 v51, vcc_lo, v46, v70
	v_add_co_ci_u32_e64 v52, null, v47, v71, vcc_lo
	v_min_f32_e32 v50, v53, v50
	v_add_co_u32 v53, vcc_lo, v48, v68
	v_add_co_ci_u32_e64 v54, null, v49, v69, vcc_lo
	flat_store_dword v[51:52], v50
	flat_load_dword v50, v[53:54]
	s_waitcnt vmcnt(0) lgkmcnt(0)
	v_mul_f32_e32 v51, s1, v50
.LBB22_99:
	v_add_f32_e32 v50, v23, v43
	v_add_f32_e32 v52, v22, v42
	v_add_f32_e32 v53, v25, v45
	v_add_f32_e32 v54, v24, v44
	v_add_f32_e32 v55, v19, v43
	v_add_f32_e32 v56, v18, v42
	v_min3_f32 v50, v52, v50, v101
	s_mov_b32 s5, -1
	v_min_f32_e32 v52, v54, v53
	v_add_f32_e32 v54, v21, v45
	v_min3_f32 v53, v56, v55, v102
	v_add_f32_e32 v55, v20, v44
	v_min3_f32 v52, v51, v52, v50
	v_add_co_u32 v50, vcc_lo, v46, v68
	v_add_co_ci_u32_e64 v51, null, v47, v69, vcc_lo
	v_min3_f32 v53, v55, v54, v53
	s_mov_b32 vcc_lo, s0
	flat_store_dword v[50:51], v52
	v_max_f32_e32 v50, v53, v53
	;; [unrolled: 46-line block ×3, first 2 shown]
	s_cbranch_vccz .LBB22_105
; %bb.104:
	v_add_co_u32 v51, vcc_lo, v46, v76
	v_min_f32_e32 v53, 0, v50
	v_add_co_ci_u32_e64 v52, null, v47, v77, vcc_lo
	s_mov_b32 s5, 0
	flat_store_dword v[51:52], v53
.LBB22_105:
	v_mov_b32_e32 v51, 0
	s_andn2_b32 vcc_lo, exec_lo, s5
	s_cbranch_vccnz .LBB22_107
; %bb.106:
	v_add_co_u32 v51, vcc_lo, v48, v76
	v_add_co_ci_u32_e64 v52, null, v49, v77, vcc_lo
	flat_load_dword v51, v[51:52]
	s_waitcnt vmcnt(0) lgkmcnt(0)
	v_mul_f32_e32 v53, s1, v51
	v_add_co_u32 v51, vcc_lo, v46, v76
	v_add_co_ci_u32_e64 v52, null, v47, v77, vcc_lo
	v_add_co_u32 v48, vcc_lo, v48, v78
	v_min_f32_e32 v50, v53, v50
	v_add_co_ci_u32_e64 v49, null, v49, v79, vcc_lo
	flat_store_dword v[51:52], v50
	flat_load_dword v48, v[48:49]
	s_waitcnt vmcnt(0) lgkmcnt(0)
	v_mul_f32_e32 v51, s1, v48
.LBB22_107:
	v_add_f32_e32 v43, v3, v43
	v_add_f32_e32 v42, v2, v42
	;; [unrolled: 1-line block ×4, first 2 shown]
	s_waitcnt lgkmcnt(24)
	v_add_f32_e32 v48, v35, v39
	v_add_f32_e32 v49, v34, v38
	v_min3_f32 v42, v42, v43, v95
	v_add_f32_e32 v50, v36, v40
	v_min_f32_e32 v43, v44, v45
	v_add_nc_u32_e32 v44, 0xc0, v92
	v_min3_f32 v48, v49, v48, v100
	v_add_f32_e32 v49, v37, v41
	v_add_co_u32 v46, vcc_lo, v46, v78
	v_min3_f32 v51, v51, v43, v42
	v_mad_i64_i32 v[42:43], null, v44, s4, 0
	v_mad_i64_i32 v[44:45], null, v44, s6, 0
	v_add_co_ci_u32_e64 v47, null, v47, v79, vcc_lo
	v_min3_f32 v48, v50, v49, v48
	s_mov_b32 s5, -1
	v_lshlrev_b64 v[42:43], 2, v[42:43]
	flat_store_dword v[46:47], v51
	v_lshlrev_b64 v[44:45], 2, v[44:45]
	v_max_f32_e32 v46, v48, v48
	v_add_co_u32 v42, vcc_lo, s2, v42
	v_add_co_ci_u32_e64 v43, null, s3, v43, vcc_lo
	v_add_co_u32 v44, vcc_lo, s12, v44
	v_add_co_ci_u32_e64 v45, null, s13, v45, vcc_lo
	s_mov_b32 vcc_lo, s0
	s_cbranch_vccz .LBB22_109
; %bb.108:
	v_add_co_u32 v47, vcc_lo, v42, v66
	v_min_f32_e32 v49, 0, v46
	v_add_co_ci_u32_e64 v48, null, v43, v67, vcc_lo
	s_mov_b32 s5, 0
	flat_store_dword v[47:48], v49
.LBB22_109:
	v_mov_b32_e32 v47, 0
	s_andn2_b32 vcc_lo, exec_lo, s5
	s_cbranch_vccnz .LBB22_111
; %bb.110:
	v_add_co_u32 v47, vcc_lo, v44, v66
	v_add_co_ci_u32_e64 v48, null, v45, v67, vcc_lo
	flat_load_dword v47, v[47:48]
	s_waitcnt vmcnt(0) lgkmcnt(0)
	v_mul_f32_e32 v49, s1, v47
	v_add_co_u32 v47, vcc_lo, v42, v66
	v_add_co_ci_u32_e64 v48, null, v43, v67, vcc_lo
	v_min_f32_e32 v46, v49, v46
	v_add_co_u32 v49, vcc_lo, v44, v0
	v_add_co_ci_u32_e64 v50, null, v45, v1, vcc_lo
	flat_store_dword v[47:48], v46
	flat_load_dword v46, v[49:50]
	s_waitcnt vmcnt(0) lgkmcnt(0)
	v_mul_f32_e32 v47, s1, v46
.LBB22_111:
	v_add_f32_e32 v46, v31, v39
	v_add_f32_e32 v48, v30, v38
	v_add_f32_e32 v49, v33, v41
	v_add_f32_e32 v50, v32, v40
	v_add_f32_e32 v51, v27, v39
	v_add_f32_e32 v52, v26, v38
	v_min3_f32 v46, v48, v46, v96
	s_mov_b32 s5, -1
	v_min_f32_e32 v48, v50, v49
	v_add_f32_e32 v50, v29, v41
	v_min3_f32 v49, v52, v51, v97
	v_add_f32_e32 v51, v28, v40
	v_min3_f32 v48, v47, v48, v46
	v_add_co_u32 v46, vcc_lo, v42, v0
	v_add_co_ci_u32_e64 v47, null, v43, v1, vcc_lo
	v_min3_f32 v49, v51, v50, v49
	s_mov_b32 vcc_lo, s0
	flat_store_dword v[46:47], v48
	v_max_f32_e32 v46, v49, v49
	s_cbranch_vccz .LBB22_113
; %bb.112:
	v_add_co_u32 v47, vcc_lo, v42, v70
	v_min_f32_e32 v49, 0, v46
	v_add_co_ci_u32_e64 v48, null, v43, v71, vcc_lo
	s_mov_b32 s5, 0
	flat_store_dword v[47:48], v49
.LBB22_113:
	v_mov_b32_e32 v47, 0
	s_andn2_b32 vcc_lo, exec_lo, s5
	s_cbranch_vccnz .LBB22_115
; %bb.114:
	v_add_co_u32 v47, vcc_lo, v44, v70
	v_add_co_ci_u32_e64 v48, null, v45, v71, vcc_lo
	flat_load_dword v47, v[47:48]
	s_waitcnt vmcnt(0) lgkmcnt(0)
	v_mul_f32_e32 v49, s1, v47
	v_add_co_u32 v47, vcc_lo, v42, v70
	v_add_co_ci_u32_e64 v48, null, v43, v71, vcc_lo
	v_min_f32_e32 v46, v49, v46
	v_add_co_u32 v49, vcc_lo, v44, v68
	v_add_co_ci_u32_e64 v50, null, v45, v69, vcc_lo
	flat_store_dword v[47:48], v46
	flat_load_dword v46, v[49:50]
	s_waitcnt vmcnt(0) lgkmcnt(0)
	v_mul_f32_e32 v47, s1, v46
.LBB22_115:
	v_add_f32_e32 v46, v23, v39
	v_add_f32_e32 v48, v22, v38
	v_add_f32_e32 v49, v25, v41
	v_add_f32_e32 v50, v24, v40
	v_add_f32_e32 v51, v19, v39
	v_add_f32_e32 v52, v18, v38
	v_min3_f32 v46, v48, v46, v90
	s_mov_b32 s5, -1
	v_min_f32_e32 v48, v50, v49
	v_add_f32_e32 v50, v21, v41
	v_min3_f32 v49, v52, v51, v91
	v_add_f32_e32 v51, v20, v40
	v_min3_f32 v48, v47, v48, v46
	v_add_co_u32 v46, vcc_lo, v42, v68
	v_add_co_ci_u32_e64 v47, null, v43, v69, vcc_lo
	v_min3_f32 v49, v51, v50, v49
	s_mov_b32 vcc_lo, s0
	flat_store_dword v[46:47], v48
	v_max_f32_e32 v46, v49, v49
	;; [unrolled: 46-line block ×3, first 2 shown]
	s_cbranch_vccz .LBB22_121
; %bb.120:
	v_add_co_u32 v47, vcc_lo, v42, v76
	v_min_f32_e32 v49, 0, v46
	v_add_co_ci_u32_e64 v48, null, v43, v77, vcc_lo
	s_mov_b32 s5, 0
	flat_store_dword v[47:48], v49
.LBB22_121:
	v_mov_b32_e32 v47, 0
	s_andn2_b32 vcc_lo, exec_lo, s5
	s_cbranch_vccnz .LBB22_123
; %bb.122:
	v_add_co_u32 v47, vcc_lo, v44, v76
	v_add_co_ci_u32_e64 v48, null, v45, v77, vcc_lo
	flat_load_dword v47, v[47:48]
	s_waitcnt vmcnt(0) lgkmcnt(0)
	v_mul_f32_e32 v49, s1, v47
	v_add_co_u32 v47, vcc_lo, v42, v76
	v_add_co_ci_u32_e64 v48, null, v43, v77, vcc_lo
	v_add_co_u32 v44, vcc_lo, v44, v78
	v_min_f32_e32 v46, v49, v46
	v_add_co_ci_u32_e64 v45, null, v45, v79, vcc_lo
	flat_store_dword v[47:48], v46
	flat_load_dword v44, v[44:45]
	s_waitcnt vmcnt(0) lgkmcnt(0)
	v_mul_f32_e32 v47, s1, v44
.LBB22_123:
	v_add_f32_e32 v39, v3, v39
	v_add_f32_e32 v38, v2, v38
	;; [unrolled: 1-line block ×4, first 2 shown]
	s_waitcnt lgkmcnt(27)
	v_add_f32_e32 v35, v35, v7
	v_add_f32_e32 v34, v34, v6
	v_min3_f32 v38, v38, v39, v86
	v_add_f32_e32 v44, v37, v9
	v_min_f32_e32 v39, v40, v41
	v_add_nc_u32_e32 v41, 0xe0, v92
	v_min3_f32 v40, v34, v35, v87
	v_add_f32_e32 v45, v36, v8
	v_min3_f32 v46, v47, v39, v38
	v_mad_i64_i32 v[34:35], null, v41, s4, 0
	v_mad_i64_i32 v[36:37], null, v41, s6, 0
	v_add_co_u32 v38, vcc_lo, v42, v78
	v_add_co_ci_u32_e64 v39, null, v43, v79, vcc_lo
	v_lshlrev_b64 v[34:35], 2, v[34:35]
	v_min3_f32 v40, v45, v44, v40
	v_lshlrev_b64 v[36:37], 2, v[36:37]
	flat_store_dword v[38:39], v46
	v_add_co_u32 v34, vcc_lo, s2, v34
	v_add_co_ci_u32_e64 v35, null, s3, v35, vcc_lo
	v_add_co_u32 v36, vcc_lo, s12, v36
	v_add_co_ci_u32_e64 v37, null, s13, v37, vcc_lo
	v_max_f32_e32 v38, v40, v40
	s_mov_b32 s2, -1
	s_mov_b32 vcc_lo, s0
	s_cbranch_vccz .LBB22_125
; %bb.124:
	v_add_co_u32 v39, vcc_lo, v34, v66
	v_min_f32_e32 v41, 0, v38
	v_add_co_ci_u32_e64 v40, null, v35, v67, vcc_lo
	s_mov_b32 s2, 0
	flat_store_dword v[39:40], v41
.LBB22_125:
	v_mov_b32_e32 v39, 0
	s_andn2_b32 vcc_lo, exec_lo, s2
	s_cbranch_vccnz .LBB22_127
; %bb.126:
	v_add_co_u32 v39, vcc_lo, v36, v66
	v_add_co_ci_u32_e64 v40, null, v37, v67, vcc_lo
	flat_load_dword v39, v[39:40]
	s_waitcnt vmcnt(0) lgkmcnt(0)
	v_mul_f32_e32 v41, s1, v39
	v_add_co_u32 v39, vcc_lo, v34, v66
	v_add_co_ci_u32_e64 v40, null, v35, v67, vcc_lo
	v_min_f32_e32 v38, v41, v38
	v_add_co_u32 v41, vcc_lo, v36, v0
	v_add_co_ci_u32_e64 v42, null, v37, v1, vcc_lo
	flat_store_dword v[39:40], v38
	flat_load_dword v38, v[41:42]
	s_waitcnt vmcnt(0) lgkmcnt(0)
	v_mul_f32_e32 v39, s1, v38
.LBB22_127:
	v_add_f32_e32 v31, v31, v7
	v_add_f32_e32 v30, v30, v6
	;; [unrolled: 1-line block ×6, first 2 shown]
	v_min3_f32 v30, v30, v31, v84
	v_add_f32_e32 v28, v28, v8
	v_min_f32_e32 v31, v32, v33
	v_add_co_u32 v0, vcc_lo, v34, v0
	v_min3_f32 v26, v26, v27, v85
	v_add_f32_e32 v27, v29, v9
	v_min3_f32 v29, v39, v31, v30
	v_add_co_ci_u32_e64 v1, null, v35, v1, vcc_lo
	s_mov_b32 s2, -1
	v_min3_f32 v26, v28, v27, v26
	s_mov_b32 vcc_lo, s0
	flat_store_dword v[0:1], v29
	v_max_f32_e32 v0, v26, v26
	s_cbranch_vccz .LBB22_129
; %bb.128:
	v_add_co_u32 v26, vcc_lo, v34, v70
	v_min_f32_e32 v1, 0, v0
	v_add_co_ci_u32_e64 v27, null, v35, v71, vcc_lo
	s_mov_b32 s2, 0
	flat_store_dword v[26:27], v1
.LBB22_129:
	v_mov_b32_e32 v1, 0
	s_andn2_b32 vcc_lo, exec_lo, s2
	s_cbranch_vccnz .LBB22_131
; %bb.130:
	v_add_co_u32 v26, vcc_lo, v36, v70
	v_add_co_ci_u32_e64 v27, null, v37, v71, vcc_lo
	flat_load_dword v1, v[26:27]
	v_add_co_u32 v26, vcc_lo, v34, v70
	v_add_co_ci_u32_e64 v27, null, v35, v71, vcc_lo
	s_waitcnt vmcnt(0) lgkmcnt(0)
	v_mul_f32_e32 v1, s1, v1
	v_min_f32_e32 v28, v1, v0
	v_add_co_u32 v0, vcc_lo, v36, v68
	v_add_co_ci_u32_e64 v1, null, v37, v69, vcc_lo
	flat_store_dword v[26:27], v28
	flat_load_dword v0, v[0:1]
	s_waitcnt vmcnt(0) lgkmcnt(0)
	v_mul_f32_e32 v1, s1, v0
.LBB22_131:
	v_add_f32_e32 v0, v23, v7
	v_add_f32_e32 v22, v22, v6
	;; [unrolled: 1-line block ×6, first 2 shown]
	v_min3_f32 v0, v22, v0, v82
	v_add_f32_e32 v20, v20, v8
	v_min_f32_e32 v22, v24, v23
	s_mov_b32 s2, -1
	v_min3_f32 v18, v18, v19, v83
	v_add_f32_e32 v19, v21, v9
	v_min3_f32 v21, v1, v22, v0
	v_add_co_u32 v0, vcc_lo, v34, v68
	v_add_co_ci_u32_e64 v1, null, v35, v69, vcc_lo
	v_min3_f32 v18, v20, v19, v18
	s_mov_b32 vcc_lo, s0
	flat_store_dword v[0:1], v21
	v_max_f32_e32 v0, v18, v18
	s_cbranch_vccz .LBB22_133
; %bb.132:
	v_add_co_u32 v18, vcc_lo, v34, v74
	v_min_f32_e32 v1, 0, v0
	v_add_co_ci_u32_e64 v19, null, v35, v75, vcc_lo
	s_mov_b32 s2, 0
	flat_store_dword v[18:19], v1
.LBB22_133:
	v_mov_b32_e32 v1, 0
	s_andn2_b32 vcc_lo, exec_lo, s2
	s_cbranch_vccnz .LBB22_135
; %bb.134:
	v_add_co_u32 v18, vcc_lo, v36, v74
	v_add_co_ci_u32_e64 v19, null, v37, v75, vcc_lo
	flat_load_dword v1, v[18:19]
	v_add_co_u32 v18, vcc_lo, v34, v74
	v_add_co_ci_u32_e64 v19, null, v35, v75, vcc_lo
	s_waitcnt vmcnt(0) lgkmcnt(0)
	v_mul_f32_e32 v1, s1, v1
	v_min_f32_e32 v20, v1, v0
	v_add_co_u32 v0, vcc_lo, v36, v72
	v_add_co_ci_u32_e64 v1, null, v37, v73, vcc_lo
	flat_store_dword v[18:19], v20
	flat_load_dword v0, v[0:1]
	s_waitcnt vmcnt(0) lgkmcnt(0)
	v_mul_f32_e32 v1, s1, v0
.LBB22_135:
	v_add_f32_e32 v0, v15, v7
	v_add_f32_e32 v14, v14, v6
	;; [unrolled: 1-line block ×6, first 2 shown]
	v_min3_f32 v0, v14, v0, v80
	v_add_f32_e32 v12, v12, v8
	v_min_f32_e32 v14, v16, v15
	s_mov_b32 s2, -1
	v_min3_f32 v10, v10, v11, v81
	v_add_f32_e32 v11, v13, v9
	v_min3_f32 v13, v1, v14, v0
	v_add_co_u32 v0, vcc_lo, v34, v72
	v_add_co_ci_u32_e64 v1, null, v35, v73, vcc_lo
	v_min3_f32 v10, v12, v11, v10
	s_mov_b32 vcc_lo, s0
	flat_store_dword v[0:1], v13
	v_max_f32_e32 v0, v10, v10
	s_cbranch_vccz .LBB22_137
; %bb.136:
	v_add_co_u32 v10, vcc_lo, v34, v76
	v_min_f32_e32 v1, 0, v0
	v_add_co_ci_u32_e64 v11, null, v35, v77, vcc_lo
	s_mov_b32 s2, 0
	flat_store_dword v[10:11], v1
.LBB22_137:
	v_mov_b32_e32 v1, 0
	s_andn2_b32 vcc_lo, exec_lo, s2
	s_cbranch_vccnz .LBB22_139
; %bb.138:
	v_add_co_u32 v10, vcc_lo, v36, v76
	v_add_co_ci_u32_e64 v11, null, v37, v77, vcc_lo
	flat_load_dword v1, v[10:11]
	v_add_co_u32 v10, vcc_lo, v34, v76
	v_add_co_ci_u32_e64 v11, null, v35, v77, vcc_lo
	s_waitcnt vmcnt(0) lgkmcnt(0)
	v_mul_f32_e32 v1, s1, v1
	v_min_f32_e32 v12, v1, v0
	v_add_co_u32 v0, vcc_lo, v36, v78
	v_add_co_ci_u32_e64 v1, null, v37, v79, vcc_lo
	flat_store_dword v[10:11], v12
	flat_load_dword v0, v[0:1]
	s_waitcnt vmcnt(0) lgkmcnt(0)
	v_mul_f32_e32 v1, s1, v0
.LBB22_139:
	v_add_f32_e32 v0, v5, v9
	v_add_f32_e32 v4, v4, v8
	;; [unrolled: 1-line block ×4, first 2 shown]
	v_min_f32_e32 v0, v4, v0
	v_min3_f32 v2, v2, v3, v123
	v_min3_f32 v2, v1, v0, v2
	v_add_co_u32 v0, vcc_lo, v34, v78
	v_add_co_ci_u32_e64 v1, null, v35, v79, vcc_lo
	flat_store_dword v[0:1], v2
	s_endpgm
	.section	.rodata,"a",@progbits
	.p2align	6, 0x0
	.amdhsa_kernel _ZN12_GLOBAL__N_120geam_min_plus_kernelIf15HIP_vector_typeIfLj2EEfLi8ELi32ELi64ELi256ELi4ELi4ELi64ELi64ELi4ELc84ELc84ELb1ELb0ELb1EfKPKfKPfEEviiiT16_PT17_ilSA_ilS8_SA_ilPT18_ili26rocblas_geam_ex_operation_
		.amdhsa_group_segment_fixed_size 10240
		.amdhsa_private_segment_fixed_size 0
		.amdhsa_kernarg_size 128
		.amdhsa_user_sgpr_count 6
		.amdhsa_user_sgpr_private_segment_buffer 1
		.amdhsa_user_sgpr_dispatch_ptr 0
		.amdhsa_user_sgpr_queue_ptr 0
		.amdhsa_user_sgpr_kernarg_segment_ptr 1
		.amdhsa_user_sgpr_dispatch_id 0
		.amdhsa_user_sgpr_flat_scratch_init 0
		.amdhsa_user_sgpr_private_segment_size 0
		.amdhsa_wavefront_size32 1
		.amdhsa_uses_dynamic_stack 0
		.amdhsa_system_sgpr_private_segment_wavefront_offset 0
		.amdhsa_system_sgpr_workgroup_id_x 1
		.amdhsa_system_sgpr_workgroup_id_y 0
		.amdhsa_system_sgpr_workgroup_id_z 1
		.amdhsa_system_sgpr_workgroup_info 0
		.amdhsa_system_vgpr_workitem_id 1
		.amdhsa_next_free_vgpr 174
		.amdhsa_next_free_sgpr 22
		.amdhsa_reserve_vcc 1
		.amdhsa_reserve_flat_scratch 1
		.amdhsa_float_round_mode_32 0
		.amdhsa_float_round_mode_16_64 0
		.amdhsa_float_denorm_mode_32 3
		.amdhsa_float_denorm_mode_16_64 3
		.amdhsa_dx10_clamp 1
		.amdhsa_ieee_mode 1
		.amdhsa_fp16_overflow 0
		.amdhsa_workgroup_processor_mode 1
		.amdhsa_memory_ordered 1
		.amdhsa_forward_progress 1
		.amdhsa_shared_vgpr_count 0
		.amdhsa_exception_fp_ieee_invalid_op 0
		.amdhsa_exception_fp_denorm_src 0
		.amdhsa_exception_fp_ieee_div_zero 0
		.amdhsa_exception_fp_ieee_overflow 0
		.amdhsa_exception_fp_ieee_underflow 0
		.amdhsa_exception_fp_ieee_inexact 0
		.amdhsa_exception_int_div_zero 0
	.end_amdhsa_kernel
	.section	.text._ZN12_GLOBAL__N_120geam_min_plus_kernelIf15HIP_vector_typeIfLj2EEfLi8ELi32ELi64ELi256ELi4ELi4ELi64ELi64ELi4ELc84ELc84ELb1ELb0ELb1EfKPKfKPfEEviiiT16_PT17_ilSA_ilS8_SA_ilPT18_ili26rocblas_geam_ex_operation_,"axG",@progbits,_ZN12_GLOBAL__N_120geam_min_plus_kernelIf15HIP_vector_typeIfLj2EEfLi8ELi32ELi64ELi256ELi4ELi4ELi64ELi64ELi4ELc84ELc84ELb1ELb0ELb1EfKPKfKPfEEviiiT16_PT17_ilSA_ilS8_SA_ilPT18_ili26rocblas_geam_ex_operation_,comdat
.Lfunc_end22:
	.size	_ZN12_GLOBAL__N_120geam_min_plus_kernelIf15HIP_vector_typeIfLj2EEfLi8ELi32ELi64ELi256ELi4ELi4ELi64ELi64ELi4ELc84ELc84ELb1ELb0ELb1EfKPKfKPfEEviiiT16_PT17_ilSA_ilS8_SA_ilPT18_ili26rocblas_geam_ex_operation_, .Lfunc_end22-_ZN12_GLOBAL__N_120geam_min_plus_kernelIf15HIP_vector_typeIfLj2EEfLi8ELi32ELi64ELi256ELi4ELi4ELi64ELi64ELi4ELc84ELc84ELb1ELb0ELb1EfKPKfKPfEEviiiT16_PT17_ilSA_ilS8_SA_ilPT18_ili26rocblas_geam_ex_operation_
                                        ; -- End function
	.set _ZN12_GLOBAL__N_120geam_min_plus_kernelIf15HIP_vector_typeIfLj2EEfLi8ELi32ELi64ELi256ELi4ELi4ELi64ELi64ELi4ELc84ELc84ELb1ELb0ELb1EfKPKfKPfEEviiiT16_PT17_ilSA_ilS8_SA_ilPT18_ili26rocblas_geam_ex_operation_.num_vgpr, 174
	.set _ZN12_GLOBAL__N_120geam_min_plus_kernelIf15HIP_vector_typeIfLj2EEfLi8ELi32ELi64ELi256ELi4ELi4ELi64ELi64ELi4ELc84ELc84ELb1ELb0ELb1EfKPKfKPfEEviiiT16_PT17_ilSA_ilS8_SA_ilPT18_ili26rocblas_geam_ex_operation_.num_agpr, 0
	.set _ZN12_GLOBAL__N_120geam_min_plus_kernelIf15HIP_vector_typeIfLj2EEfLi8ELi32ELi64ELi256ELi4ELi4ELi64ELi64ELi4ELc84ELc84ELb1ELb0ELb1EfKPKfKPfEEviiiT16_PT17_ilSA_ilS8_SA_ilPT18_ili26rocblas_geam_ex_operation_.numbered_sgpr, 22
	.set _ZN12_GLOBAL__N_120geam_min_plus_kernelIf15HIP_vector_typeIfLj2EEfLi8ELi32ELi64ELi256ELi4ELi4ELi64ELi64ELi4ELc84ELc84ELb1ELb0ELb1EfKPKfKPfEEviiiT16_PT17_ilSA_ilS8_SA_ilPT18_ili26rocblas_geam_ex_operation_.num_named_barrier, 0
	.set _ZN12_GLOBAL__N_120geam_min_plus_kernelIf15HIP_vector_typeIfLj2EEfLi8ELi32ELi64ELi256ELi4ELi4ELi64ELi64ELi4ELc84ELc84ELb1ELb0ELb1EfKPKfKPfEEviiiT16_PT17_ilSA_ilS8_SA_ilPT18_ili26rocblas_geam_ex_operation_.private_seg_size, 0
	.set _ZN12_GLOBAL__N_120geam_min_plus_kernelIf15HIP_vector_typeIfLj2EEfLi8ELi32ELi64ELi256ELi4ELi4ELi64ELi64ELi4ELc84ELc84ELb1ELb0ELb1EfKPKfKPfEEviiiT16_PT17_ilSA_ilS8_SA_ilPT18_ili26rocblas_geam_ex_operation_.uses_vcc, 1
	.set _ZN12_GLOBAL__N_120geam_min_plus_kernelIf15HIP_vector_typeIfLj2EEfLi8ELi32ELi64ELi256ELi4ELi4ELi64ELi64ELi4ELc84ELc84ELb1ELb0ELb1EfKPKfKPfEEviiiT16_PT17_ilSA_ilS8_SA_ilPT18_ili26rocblas_geam_ex_operation_.uses_flat_scratch, 1
	.set _ZN12_GLOBAL__N_120geam_min_plus_kernelIf15HIP_vector_typeIfLj2EEfLi8ELi32ELi64ELi256ELi4ELi4ELi64ELi64ELi4ELc84ELc84ELb1ELb0ELb1EfKPKfKPfEEviiiT16_PT17_ilSA_ilS8_SA_ilPT18_ili26rocblas_geam_ex_operation_.has_dyn_sized_stack, 0
	.set _ZN12_GLOBAL__N_120geam_min_plus_kernelIf15HIP_vector_typeIfLj2EEfLi8ELi32ELi64ELi256ELi4ELi4ELi64ELi64ELi4ELc84ELc84ELb1ELb0ELb1EfKPKfKPfEEviiiT16_PT17_ilSA_ilS8_SA_ilPT18_ili26rocblas_geam_ex_operation_.has_recursion, 0
	.set _ZN12_GLOBAL__N_120geam_min_plus_kernelIf15HIP_vector_typeIfLj2EEfLi8ELi32ELi64ELi256ELi4ELi4ELi64ELi64ELi4ELc84ELc84ELb1ELb0ELb1EfKPKfKPfEEviiiT16_PT17_ilSA_ilS8_SA_ilPT18_ili26rocblas_geam_ex_operation_.has_indirect_call, 0
	.section	.AMDGPU.csdata,"",@progbits
; Kernel info:
; codeLenInByte = 16812
; TotalNumSgprs: 24
; NumVgprs: 174
; ScratchSize: 0
; MemoryBound: 0
; FloatMode: 240
; IeeeMode: 1
; LDSByteSize: 10240 bytes/workgroup (compile time only)
; SGPRBlocks: 0
; VGPRBlocks: 21
; NumSGPRsForWavesPerEU: 24
; NumVGPRsForWavesPerEU: 174
; Occupancy: 5
; WaveLimiterHint : 1
; COMPUTE_PGM_RSRC2:SCRATCH_EN: 0
; COMPUTE_PGM_RSRC2:USER_SGPR: 6
; COMPUTE_PGM_RSRC2:TRAP_HANDLER: 0
; COMPUTE_PGM_RSRC2:TGID_X_EN: 1
; COMPUTE_PGM_RSRC2:TGID_Y_EN: 0
; COMPUTE_PGM_RSRC2:TGID_Z_EN: 1
; COMPUTE_PGM_RSRC2:TIDIG_COMP_CNT: 1
	.section	.text._ZN12_GLOBAL__N_120geam_min_plus_kernelIf15HIP_vector_typeIfLj2EEfLi8ELi32ELi64ELi256ELi4ELi4ELi64ELi64ELi4ELc84ELc84ELb0ELb0ELb1EfKPKfKPfEEviiiT16_PT17_ilSA_ilS8_SA_ilPT18_ili26rocblas_geam_ex_operation_,"axG",@progbits,_ZN12_GLOBAL__N_120geam_min_plus_kernelIf15HIP_vector_typeIfLj2EEfLi8ELi32ELi64ELi256ELi4ELi4ELi64ELi64ELi4ELc84ELc84ELb0ELb0ELb1EfKPKfKPfEEviiiT16_PT17_ilSA_ilS8_SA_ilPT18_ili26rocblas_geam_ex_operation_,comdat
	.globl	_ZN12_GLOBAL__N_120geam_min_plus_kernelIf15HIP_vector_typeIfLj2EEfLi8ELi32ELi64ELi256ELi4ELi4ELi64ELi64ELi4ELc84ELc84ELb0ELb0ELb1EfKPKfKPfEEviiiT16_PT17_ilSA_ilS8_SA_ilPT18_ili26rocblas_geam_ex_operation_ ; -- Begin function _ZN12_GLOBAL__N_120geam_min_plus_kernelIf15HIP_vector_typeIfLj2EEfLi8ELi32ELi64ELi256ELi4ELi4ELi64ELi64ELi4ELc84ELc84ELb0ELb0ELb1EfKPKfKPfEEviiiT16_PT17_ilSA_ilS8_SA_ilPT18_ili26rocblas_geam_ex_operation_
	.p2align	8
	.type	_ZN12_GLOBAL__N_120geam_min_plus_kernelIf15HIP_vector_typeIfLj2EEfLi8ELi32ELi64ELi256ELi4ELi4ELi64ELi64ELi4ELc84ELc84ELb0ELb0ELb1EfKPKfKPfEEviiiT16_PT17_ilSA_ilS8_SA_ilPT18_ili26rocblas_geam_ex_operation_,@function
_ZN12_GLOBAL__N_120geam_min_plus_kernelIf15HIP_vector_typeIfLj2EEfLi8ELi32ELi64ELi256ELi4ELi4ELi64ELi64ELi4ELc84ELc84ELb0ELb0ELb1EfKPKfKPfEEviiiT16_PT17_ilSA_ilS8_SA_ilPT18_ili26rocblas_geam_ex_operation_: ; @_ZN12_GLOBAL__N_120geam_min_plus_kernelIf15HIP_vector_typeIfLj2EEfLi8ELi32ELi64ELi256ELi4ELi4ELi64ELi64ELi4ELc84ELc84ELb0ELb0ELb1EfKPKfKPfEEviiiT16_PT17_ilSA_ilS8_SA_ilPT18_ili26rocblas_geam_ex_operation_
; %bb.0:
	s_clause 0x1
	s_load_dwordx2 s[14:15], s[4:5], 0x8
	s_load_dwordx4 s[8:11], s[4:5], 0x20
	s_mov_b32 s2, s7
	s_mov_b32 s3, 0
	s_waitcnt lgkmcnt(0)
	v_cmp_eq_f32_e64 s0, s15, 0
	s_and_b32 s1, exec_lo, s0
	s_mov_b32 vcc_lo, s1
	s_cbranch_vccnz .LBB23_3
; %bb.1:
	s_load_dwordx2 s[12:13], s[4:5], 0x10
	s_lshl_b64 s[16:17], s[2:3], 3
	s_waitcnt lgkmcnt(0)
	s_add_u32 s12, s12, s16
	s_addc_u32 s13, s13, s17
	s_lshl_b64 s[8:9], s[8:9], 2
	s_load_dwordx2 s[12:13], s[12:13], 0x0
	s_waitcnt lgkmcnt(0)
	s_add_u32 s16, s12, s8
	s_addc_u32 s17, s13, s9
	s_andn2_b32 vcc_lo, exec_lo, s0
	s_cbranch_vccnz .LBB23_4
.LBB23_2:
	s_mov_b32 s21, 0
	s_mov_b32 s20, s2
	;; [unrolled: 1-line block ×3, first 2 shown]
	s_mov_b64 s[12:13], 0
	s_andn2_b32 vcc_lo, exec_lo, s0
	s_mov_b64 s[18:19], 0
	s_cbranch_vccz .LBB23_5
	s_branch .LBB23_6
.LBB23_3:
	s_mov_b64 s[16:17], 0
	s_andn2_b32 vcc_lo, exec_lo, s0
	s_cbranch_vccz .LBB23_2
.LBB23_4:
	s_mov_b64 s[20:21], s[2:3]
	s_mov_b64 s[12:13], 0
	;; [unrolled: 1-line block ×3, first 2 shown]
.LBB23_5:
	s_lshl_b64 s[2:3], s[2:3], 3
	s_load_dwordx2 s[8:9], s[4:5], 0x38
	s_add_u32 s2, s10, s2
	s_addc_u32 s3, s11, s3
	s_load_dwordx2 s[2:3], s[2:3], 0x0
	s_waitcnt lgkmcnt(0)
	s_lshl_b64 s[8:9], s[8:9], 2
	s_add_u32 s18, s2, s8
	s_addc_u32 s19, s3, s9
.LBB23_6:
	s_clause 0x1
	s_load_dword s3, s[4:5], 0x40
	s_load_dwordx4 s[8:11], s[4:5], 0x58
	v_cmp_neq_f32_e64 s23, s15, 0
	s_waitcnt lgkmcnt(0)
	v_cmp_eq_f32_e64 s0, s3, 0
	s_and_b32 s0, exec_lo, s0
	s_mov_b32 vcc_lo, s0
	s_cbranch_vccnz .LBB23_8
; %bb.7:
	s_load_dwordx2 s[12:13], s[4:5], 0x48
	s_lshl_b64 s[24:25], s[20:21], 3
	s_waitcnt lgkmcnt(0)
	s_add_u32 s12, s12, s24
	s_addc_u32 s13, s13, s25
	s_lshl_b64 s[8:9], s[8:9], 2
	s_load_dwordx2 s[12:13], s[12:13], 0x0
	s_waitcnt lgkmcnt(0)
	s_add_u32 s12, s12, s8
	s_addc_u32 s13, s13, s9
.LBB23_8:
	s_clause 0x1
	s_load_dword s2, s[4:5], 0x0
	s_load_dword s7, s[4:5], 0x18
	s_lshl_b64 s[8:9], s[20:21], 3
	v_and_b32_e32 v3, 3, v0
	s_add_u32 s8, s10, s8
	s_addc_u32 s9, s11, s9
	v_cndmask_b32_e64 v5, 0, 1, s23
	v_mov_b32_e32 v4, 0
	v_lshlrev_b32_e32 v66, 2, v3
	s_waitcnt lgkmcnt(0)
	s_add_i32 s2, s2, -1
	s_ashr_i32 s10, s2, 31
	s_lshr_b32 s10, s10, 26
	s_add_i32 s2, s2, s10
	s_ashr_i32 s2, s2, 6
	s_add_i32 s10, s2, 1
	s_not_b32 s2, s2
	v_cvt_f32_u32_e32 v2, s10
	v_rcp_iflag_f32_e32 v2, v2
	v_mul_f32_e32 v2, 0x4f7ffffe, v2
	v_cvt_u32_f32_e32 v2, v2
	v_readfirstlane_b32 s11, v2
	v_lshl_add_u32 v2, v1, 3, v0
	s_mul_i32 s2, s2, s11
	v_lshrrev_b32_e32 v68, 2, v2
	s_mul_hi_u32 s2, s11, s2
	s_add_i32 s11, s11, s2
	s_mul_hi_u32 s2, s6, s11
	s_mul_i32 s11, s2, s10
	s_add_i32 s20, s2, 1
	s_sub_i32 s11, s6, s11
	s_sub_i32 s21, s11, s10
	s_cmp_ge_u32 s11, s10
	s_cselect_b32 s2, s20, s2
	s_cselect_b32 s11, s21, s11
	s_add_i32 s20, s2, 1
	s_cmp_ge_u32 s11, s10
	s_cselect_b32 s11, s20, s2
	v_cmp_ne_u32_e64 s2, 1, v5
	s_mul_i32 s22, s11, s10
	v_mov_b32_e32 v5, 0
	s_sub_i32 s10, s6, s22
	s_andn2_b32 vcc_lo, exec_lo, s23
	s_lshl_b32 s20, s10, 6
	v_add_nc_u32_e32 v9, s20, v68
	s_cbranch_vccnz .LBB23_10
; %bb.9:
	v_mad_i64_i32 v[5:6], null, v9, s7, 0
	v_lshlrev_b64 v[5:6], 2, v[5:6]
	v_add_co_u32 v3, vcc_lo, s16, v5
	v_add_co_ci_u32_e64 v6, null, s17, v6, vcc_lo
	v_add_co_u32 v5, vcc_lo, v3, v66
	v_add_co_ci_u32_e64 v6, null, 0, v6, vcc_lo
	flat_load_dword v3, v[5:6]
	s_waitcnt vmcnt(0) lgkmcnt(0)
	v_mul_f32_e32 v5, s15, v3
.LBB23_10:
	s_load_dword s10, s[4:5], 0x30
	v_lshrrev_b32_e32 v67, 6, v2
	v_and_b32_e32 v69, 63, v2
	s_lshl_b32 s21, s11, 8
	v_or_b32_e32 v2, s21, v69
	v_ashrrev_i32_e32 v3, 31, v2
	s_waitcnt lgkmcnt(0)
	v_mad_i64_i32 v[6:7], null, s10, v67, 0
	v_lshlrev_b64 v[6:7], 2, v[6:7]
	v_add_co_u32 v10, vcc_lo, s18, v6
	v_add_co_ci_u32_e64 v11, null, s19, v7, vcc_lo
	v_mov_b32_e32 v6, 0
	s_and_b32 vcc_lo, exec_lo, s2
	s_cbranch_vccnz .LBB23_12
; %bb.11:
	v_lshlrev_b64 v[6:7], 2, v[2:3]
	v_add_co_u32 v6, vcc_lo, v10, v6
	v_add_co_ci_u32_e64 v7, null, v11, v7, vcc_lo
	s_clause 0x1
	flat_load_dword v4, v[6:7]
	flat_load_dword v7, v[6:7] offset:256
	s_waitcnt vmcnt(1) lgkmcnt(1)
	v_mul_f32_e32 v6, s15, v4
	s_waitcnt vmcnt(0) lgkmcnt(0)
	v_mul_f32_e32 v4, s15, v7
.LBB23_12:
	v_mov_b32_e32 v7, 0
	s_ashr_i32 s11, s10, 31
	s_mov_b32 vcc_lo, s1
	s_cbranch_vccz .LBB23_14
; %bb.13:
	s_mov_b32 s23, 0
	v_mov_b32_e32 v8, s23
	s_cbranch_execz .LBB23_15
	s_branch .LBB23_16
.LBB23_14:
                                        ; implicit-def: $vgpr8
.LBB23_15:
	v_lshlrev_b64 v[7:8], 2, v[2:3]
	v_add_co_u32 v7, vcc_lo, v10, v7
	v_add_co_ci_u32_e64 v8, null, v11, v8, vcc_lo
	s_clause 0x1
	flat_load_dword v10, v[7:8] offset:512
	flat_load_dword v7, v[7:8] offset:768
	s_waitcnt vmcnt(1) lgkmcnt(1)
	v_mul_f32_e32 v8, s15, v10
	s_waitcnt vmcnt(0) lgkmcnt(0)
	v_mul_f32_e32 v7, s15, v7
.LBB23_16:
	v_mov_b32_e32 v70, 0
	v_mov_b32_e32 v71, 0
	s_and_b32 vcc_lo, exec_lo, s2
	s_cbranch_vccnz .LBB23_18
; %bb.17:
	v_mad_i64_i32 v[9:10], null, v9, s7, 0
	v_lshlrev_b64 v[9:10], 2, v[9:10]
	v_add_co_u32 v9, vcc_lo, s16, v9
	v_add_co_ci_u32_e64 v10, null, s17, v10, vcc_lo
	v_add_co_u32 v9, vcc_lo, v9, v66
	v_add_co_ci_u32_e64 v10, null, 0, v10, vcc_lo
	flat_load_dword v9, v[9:10] offset:16
	s_waitcnt vmcnt(0) lgkmcnt(0)
	v_mul_f32_e32 v71, s15, v9
.LBB23_18:
	v_add_nc_u32_e32 v9, 4, v67
	v_mov_b32_e32 v72, 0
	v_mad_i64_i32 v[9:10], null, s10, v9, 0
	v_lshlrev_b64 v[9:10], 2, v[9:10]
	v_add_co_u32 v9, vcc_lo, s18, v9
	v_add_co_ci_u32_e64 v10, null, s19, v10, vcc_lo
	s_and_b32 vcc_lo, exec_lo, s2
	s_cbranch_vccnz .LBB23_20
; %bb.19:
	v_lshlrev_b64 v[11:12], 2, v[2:3]
	v_add_co_u32 v11, vcc_lo, v9, v11
	v_add_co_ci_u32_e64 v12, null, v10, v12, vcc_lo
	s_clause 0x1
	flat_load_dword v13, v[11:12]
	flat_load_dword v11, v[11:12] offset:256
	s_waitcnt vmcnt(1) lgkmcnt(1)
	v_mul_f32_e32 v72, s15, v13
	s_waitcnt vmcnt(0) lgkmcnt(0)
	v_mul_f32_e32 v70, s15, v11
.LBB23_20:
	v_mov_b32_e32 v73, 0
	s_mov_b32 vcc_lo, s1
	s_cbranch_vccz .LBB23_22
; %bb.21:
	s_mov_b32 s23, 0
	v_mov_b32_e32 v75, s23
	s_cbranch_execz .LBB23_23
	s_branch .LBB23_24
.LBB23_22:
                                        ; implicit-def: $vgpr75
.LBB23_23:
	v_lshlrev_b64 v[2:3], 2, v[2:3]
	v_add_co_u32 v2, vcc_lo, v9, v2
	v_add_co_ci_u32_e64 v3, null, v10, v3, vcc_lo
	s_clause 0x1
	flat_load_dword v9, v[2:3] offset:512
	flat_load_dword v2, v[2:3] offset:768
	s_waitcnt vmcnt(1) lgkmcnt(1)
	v_mul_f32_e32 v75, s15, v9
	s_waitcnt vmcnt(0) lgkmcnt(0)
	v_mul_f32_e32 v73, s15, v2
.LBB23_24:
	v_lshlrev_b32_e32 v2, 4, v69
	v_lshl_or_b32 v74, v68, 4, v66
	v_lshlrev_b32_e32 v76, 4, v0
	s_load_dwordx2 s[8:9], s[8:9], 0x0
	v_lshlrev_b32_e32 v77, 4, v1
	v_lshl_add_u32 v78, v67, 2, v2
	ds_write_b32 v74, v5 offset:8192
	s_cmp_lt_i32 s14, 9
	ds_write2st64_b32 v78, v6, v4 offset1:4
	ds_write2st64_b32 v78, v8, v7 offset0:8 offset1:12
	s_waitcnt lgkmcnt(0)
	s_barrier
	buffer_gl0_inv
	ds_read_b128 v[34:37], v76 offset:8192
	ds_read_b128 v[30:33], v76 offset:8320
	;; [unrolled: 1-line block ×8, first 2 shown]
	ds_read_b128 v[62:65], v77
	ds_read_b128 v[58:61], v77 offset:512
	ds_read_b128 v[54:57], v77 offset:1024
	;; [unrolled: 1-line block ×7, first 2 shown]
	ds_write_b32 v74, v71 offset:9216
	ds_write2st64_b32 v78, v72, v70 offset0:16 offset1:20
	ds_write2st64_b32 v78, v75, v73 offset0:24 offset1:28
	s_waitcnt lgkmcnt(0)
	s_barrier
	buffer_gl0_inv
	v_add_f32_e32 v79, v35, v63
	v_add_f32_e32 v80, v34, v62
	;; [unrolled: 1-line block ×3, first 2 shown]
	v_min3_f32 v79, v80, v79, 0x7f7fffff
	v_add_f32_e32 v80, v31, v63
	v_add_f32_e32 v122, v6, v38
	v_min3_f32 v115, v81, v80, 0x7f7fffff
	v_add_f32_e32 v80, v27, v63
	v_add_f32_e32 v81, v26, v62
	v_min3_f32 v116, v81, v80, 0x7f7fffff
	v_add_f32_e32 v80, v19, v63
	v_add_f32_e32 v81, v18, v62
	v_min3_f32 v117, v81, v80, 0x7f7fffff
	v_add_f32_e32 v80, v15, v63
	v_add_f32_e32 v81, v14, v62
	v_min3_f32 v118, v81, v80, 0x7f7fffff
	v_add_f32_e32 v80, v11, v63
	v_add_f32_e32 v81, v10, v62
	v_min3_f32 v119, v81, v80, 0x7f7fffff
	v_add_f32_e32 v80, v7, v63
	v_add_f32_e32 v81, v6, v62
	v_add_f32_e32 v63, v3, v63
	v_add_f32_e32 v62, v2, v62
	v_min3_f32 v120, v81, v80, 0x7f7fffff
	v_min3_f32 v121, v62, v63, 0x7f7fffff
	v_add_f32_e32 v62, v35, v59
	v_add_f32_e32 v63, v34, v58
	v_min3_f32 v114, v63, v62, 0x7f7fffff
	v_add_f32_e32 v62, v31, v59
	v_add_f32_e32 v63, v30, v58
	v_min3_f32 v113, v63, v62, 0x7f7fffff
	v_add_f32_e32 v62, v27, v59
	v_add_f32_e32 v63, v26, v58
	v_min3_f32 v112, v63, v62, 0x7f7fffff
	v_add_f32_e32 v62, v19, v59
	v_add_f32_e32 v63, v18, v58
	v_min3_f32 v111, v63, v62, 0x7f7fffff
	v_add_f32_e32 v62, v15, v59
	v_add_f32_e32 v63, v14, v58
	v_min3_f32 v110, v63, v62, 0x7f7fffff
	v_add_f32_e32 v62, v11, v59
	v_add_f32_e32 v63, v10, v58
	v_min3_f32 v109, v63, v62, 0x7f7fffff
	v_add_f32_e32 v62, v7, v59
	v_add_f32_e32 v63, v6, v58
	v_add_f32_e32 v59, v3, v59
	v_add_f32_e32 v58, v2, v58
	v_min3_f32 v108, v63, v62, 0x7f7fffff
	v_min3_f32 v107, v58, v59, 0x7f7fffff
	v_add_f32_e32 v58, v35, v55
	v_add_f32_e32 v59, v34, v54
	;; [unrolled: 24-line block ×5, first 2 shown]
	v_min3_f32 v82, v47, v46, 0x7f7fffff
	v_add_f32_e32 v46, v31, v43
	v_add_f32_e32 v47, v30, v42
	v_min3_f32 v81, v47, v46, 0x7f7fffff
	v_add_f32_e32 v46, v27, v43
	v_add_f32_e32 v47, v26, v42
	;; [unrolled: 3-line block ×6, first 2 shown]
	v_add_f32_e32 v43, v3, v43
	v_add_f32_e32 v42, v2, v42
	;; [unrolled: 1-line block ×3, first 2 shown]
	v_min3_f32 v58, v47, v46, 0x7f7fffff
	v_min3_f32 v55, v42, v43, 0x7f7fffff
	v_add_f32_e32 v42, v35, v39
	v_add_f32_e32 v43, v34, v38
	;; [unrolled: 1-line block ×4, first 2 shown]
	v_min3_f32 v54, v43, v42, 0x7f7fffff
	v_add_f32_e32 v42, v31, v39
	v_add_f32_e32 v43, v30, v38
	v_min3_f32 v34, v34, v35, 0x7f7fffff
	v_add_f32_e32 v31, v31, v23
	v_add_f32_e32 v30, v30, v22
	;; [unrolled: 3-line block ×9, first 2 shown]
	v_add_f32_e32 v38, v2, v38
	v_add_f32_e32 v2, v2, v22
	v_min3_f32 v14, v14, v15, 0x7f7fffff
	v_add_f32_e32 v11, v11, v23
	v_min3_f32 v43, v43, v42, 0x7f7fffff
	v_add_f32_e32 v42, v7, v39
	v_add_f32_e32 v39, v3, v39
	;; [unrolled: 1-line block ×5, first 2 shown]
	v_min3_f32 v42, v122, v42, 0x7f7fffff
	v_min3_f32 v38, v38, v39, 0x7f7fffff
	;; [unrolled: 1-line block ×4, first 2 shown]
	v_add_f32_e32 v3, v37, v65
	v_add_f32_e32 v7, v36, v64
	v_min3_f32 v10, v10, v11, 0x7f7fffff
	v_min3_f32 v143, v7, v3, v79
	v_add_f32_e32 v3, v33, v65
	v_add_f32_e32 v7, v32, v64
	v_min3_f32 v140, v7, v3, v115
	v_add_f32_e32 v3, v29, v65
	v_add_f32_e32 v7, v28, v64
	;; [unrolled: 3-line block ×55, first 2 shown]
	v_add_f32_e32 v4, v4, v24
	v_min3_f32 v87, v7, v3, v38
	v_add_f32_e32 v3, v37, v25
	v_add_f32_e32 v7, v36, v24
	v_min3_f32 v88, v7, v3, v34
	v_add_f32_e32 v3, v33, v25
	;; [unrolled: 3-line block ×8, first 2 shown]
	v_min3_f32 v84, v4, v3, v2
	s_cbranch_scc1 .LBB23_47
; %bb.25:
	v_lshl_add_u32 v2, s6, 6, v68
	s_lshl_b32 s6, s22, 6
	v_add_nc_u32_e32 v5, 8, v67
	v_add_nc_u32_e32 v4, s21, v69
	;; [unrolled: 1-line block ×3, first 2 shown]
	v_subrev_nc_u32_e32 v2, s6, v2
	v_add_nc_u32_e32 v139, 0x2000, v74
	v_mad_i64_i32 v[6:7], null, v5, s10, 0
	v_ashrrev_i32_e32 v5, 31, v4
	v_mad_i64_i32 v[2:3], null, s7, v2, 0
	v_mad_i64_i32 v[8:9], null, v8, s10, 0
	v_add_nc_u32_e32 v145, 0x2400, v74
	v_lshlrev_b64 v[70:71], 2, v[6:7]
	v_or_b32_e32 v144, 0x2000, v76
	v_or_b32_e32 v146, 0x1000, v78
	v_lshlrev_b64 v[2:3], 2, v[2:3]
	v_lshl_add_u32 v147, v0, 4, 0x2400
	v_lshlrev_b64 v[74:75], 2, v[8:9]
	v_lshl_or_b32 v148, v1, 4, 0x1000
	s_add_i32 s14, s14, -8
	s_lshl_b64 s[6:7], s[10:11], 5
	v_add_co_u32 v10, vcc_lo, v2, v66
	v_add_co_ci_u32_e64 v11, null, 0, v3, vcc_lo
	v_lshlrev_b64 v[2:3], 2, v[4:5]
	v_add_co_u32 v4, vcc_lo, s16, v10
	v_add_co_ci_u32_e64 v5, null, s17, v11, vcc_lo
	s_mov_b32 s10, 0
	v_add_co_u32 v72, vcc_lo, v4, 32
	v_add_co_ci_u32_e64 v73, null, 0, v5, vcc_lo
	v_add_co_u32 v149, vcc_lo, s18, v2
	v_add_co_ci_u32_e64 v150, null, s19, v3, vcc_lo
	s_mov_b32 s11, 0
	s_branch .LBB23_27
.LBB23_26:                              ;   in Loop: Header=BB23_27 Depth=1
	v_add_f32_e32 v3, v39, v67
	v_add_f32_e32 v4, v38, v66
	;; [unrolled: 1-line block ×6, first 2 shown]
	v_min3_f32 v143, v4, v3, v143
	v_add_f32_e32 v3, v27, v67
	v_min3_f32 v155, v155, v5, v140
	v_add_f32_e32 v4, v26, v66
	;; [unrolled: 2-line block ×3, first 2 shown]
	v_add_f32_e32 v140, v22, v66
	v_add_f32_e32 v157, v19, v67
	;; [unrolled: 1-line block ×7, first 2 shown]
	v_min3_f32 v161, v4, v3, v79
	v_min3_f32 v141, v140, v5, v142
	v_add_f32_e32 v3, v39, v63
	v_add_f32_e32 v4, v38, v62
	v_min3_f32 v140, v66, v67, v135
	v_add_f32_e32 v5, v35, v63
	v_add_f32_e32 v66, v34, v62
	v_min3_f32 v137, v158, v157, v137
	v_min3_f32 v138, v160, v159, v138
	v_add_f32_e32 v67, v31, v63
	v_add_f32_e32 v79, v30, v62
	v_add_f32_e32 v142, v27, v63
	v_add_f32_e32 v157, v26, v62
	v_add_f32_e32 v158, v23, v63
	v_add_f32_e32 v159, v22, v62
	v_min3_f32 v136, v4, v3, v136
	v_min3_f32 v135, v66, v5, v133
	v_add_f32_e32 v3, v19, v63
	v_add_f32_e32 v4, v18, v62
	v_add_f32_e32 v5, v15, v63
	v_add_f32_e32 v66, v14, v62
	;; [unrolled: 8-line block ×3, first 2 shown]
	v_min3_f32 v134, v4, v3, v128
	v_min3_f32 v128, v66, v5, v130
	;; [unrolled: 1-line block ×3, first 2 shown]
	v_add_f32_e32 v3, v31, v59
	v_add_f32_e32 v4, v30, v58
	v_add_f32_e32 v5, v27, v59
	v_add_f32_e32 v62, v26, v58
	v_min3_f32 v129, v79, v67, v129
	v_min3_f32 v126, v157, v142, v126
	v_add_f32_e32 v63, v23, v59
	v_add_f32_e32 v66, v22, v58
	v_add_f32_e32 v67, v19, v59
	v_add_f32_e32 v79, v18, v58
	v_add_f32_e32 v142, v15, v59
	v_add_f32_e32 v157, v14, v58
	v_min3_f32 v130, v4, v3, v125
	v_min3_f32 v123, v62, v5, v123
	v_add_f32_e32 v3, v7, v59
	v_add_f32_e32 v4, v6, v58
	;; [unrolled: 8-line block ×3, first 2 shown]
	v_add_f32_e32 v67, v27, v55
	v_add_f32_e32 v79, v26, v54
	v_min3_f32 v125, v4, v3, v119
	v_min3_f32 v119, v58, v5, v120
	;; [unrolled: 1-line block ×3, first 2 shown]
	v_add_f32_e32 v3, v23, v55
	v_add_f32_e32 v4, v22, v54
	;; [unrolled: 1-line block ×8, first 2 shown]
	v_min3_f32 v118, v66, v63, v118
	v_add_f32_e32 v63, v39, v51
	v_add_f32_e32 v66, v38, v50
	v_min3_f32 v115, v4, v3, v115
	v_min3_f32 v113, v58, v5, v113
	;; [unrolled: 1-line block ×4, first 2 shown]
	v_add_f32_e32 v3, v35, v51
	v_add_f32_e32 v4, v34, v50
	;; [unrolled: 1-line block ×8, first 2 shown]
	v_min3_f32 v116, v79, v67, v116
	v_min3_f32 v112, v66, v63, v112
	v_add_f32_e32 v63, v19, v51
	v_add_f32_e32 v66, v18, v50
	v_min3_f32 v109, v4, v3, v109
	v_min3_f32 v79, v54, v5, v110
	;; [unrolled: 1-line block ×4, first 2 shown]
	v_add_f32_e32 v3, v15, v51
	v_add_f32_e32 v4, v14, v50
	;; [unrolled: 1-line block ×10, first 2 shown]
	v_min3_f32 v106, v66, v63, v106
	v_min3_f32 v105, v4, v3, v105
	;; [unrolled: 1-line block ×6, first 2 shown]
	v_add_f32_e32 v3, v27, v47
	v_add_f32_e32 v4, v26, v46
	;; [unrolled: 1-line block ×10, first 2 shown]
	v_min3_f32 v99, v4, v3, v99
	v_min3_f32 v54, v50, v5, v100
	;; [unrolled: 1-line block ×5, first 2 shown]
	v_add_f32_e32 v3, v39, v43
	v_add_f32_e32 v4, v38, v42
	;; [unrolled: 1-line block ×10, first 2 shown]
	v_min3_f32 v95, v4, v3, v96
	v_min3_f32 v46, v46, v5, v93
	;; [unrolled: 1-line block ×4, first 2 shown]
	v_add_f32_e32 v3, v19, v43
	v_add_f32_e32 v4, v18, v42
	;; [unrolled: 1-line block ×6, first 2 shown]
	v_min3_f32 v51, v100, v98, v92
	v_add_f32_e32 v92, v35, v11
	v_min3_f32 v35, v4, v3, v89
	v_min3_f32 v3, v91, v5, v90
	;; [unrolled: 1-line block ×3, first 2 shown]
	v_add_f32_e32 v31, v31, v11
	v_add_f32_e32 v30, v30, v10
	;; [unrolled: 1-line block ×13, first 2 shown]
	v_min3_f32 v14, v30, v31, v85
	v_min3_f32 v22, v26, v27, v82
	;; [unrolled: 1-line block ×5, first 2 shown]
	v_add_f32_e32 v7, v7, v11
	v_add_f32_e32 v6, v6, v10
	;; [unrolled: 1-line block ×10, first 2 shown]
	v_min3_f32 v4, v42, v43, v87
	v_min3_f32 v7, v6, v7, v84
	;; [unrolled: 1-line block ×6, first 2 shown]
	v_add_f32_e32 v6, v25, v69
	v_add_f32_e32 v10, v24, v68
	;; [unrolled: 1-line block ×10, first 2 shown]
	v_min3_f32 v132, v159, v158, v132
	v_min3_f32 v34, v34, v92, v86
	;; [unrolled: 1-line block ×7, first 2 shown]
	v_add_f32_e32 v6, v37, v65
	v_add_f32_e32 v10, v36, v64
	;; [unrolled: 1-line block ×10, first 2 shown]
	v_min3_f32 v87, v10, v6, v135
	v_min3_f32 v88, v18, v15, v133
	;; [unrolled: 1-line block ×5, first 2 shown]
	v_add_f32_e32 v6, v17, v65
	v_add_f32_e32 v10, v16, v64
	;; [unrolled: 1-line block ×10, first 2 shown]
	v_min3_f32 v122, v157, v142, v122
	v_min3_f32 v92, v10, v6, v128
	;; [unrolled: 1-line block ×6, first 2 shown]
	v_add_f32_e32 v6, v29, v61
	v_add_f32_e32 v10, v28, v60
	v_add_f32_e32 v15, v25, v61
	v_add_f32_e32 v18, v24, v60
	v_add_f32_e32 v19, v21, v61
	v_add_f32_e32 v30, v20, v60
	v_add_f32_e32 v31, v17, v61
	v_add_f32_e32 v38, v16, v60
	v_add_f32_e32 v39, v9, v61
	v_add_f32_e32 v42, v8, v60
	v_min3_f32 v98, v10, v6, v123
	v_min3_f32 v100, v18, v15, v124
	v_min3_f32 v101, v30, v19, v121
	v_min3_f32 v102, v38, v31, v122
	v_min3_f32 v103, v42, v39, v125
	v_add_f32_e32 v6, v41, v57
	v_add_f32_e32 v10, v40, v56
	v_add_f32_e32 v15, v37, v57
	v_add_f32_e32 v18, v36, v56
	v_add_f32_e32 v19, v33, v57
	v_add_f32_e32 v30, v32, v56
	v_add_f32_e32 v31, v29, v57
	v_add_f32_e32 v38, v28, v56
	v_add_f32_e32 v39, v25, v57
	v_add_f32_e32 v42, v24, v56
	v_min3_f32 v104, v10, v6, v119
	v_min3_f32 v110, v18, v15, v117
	v_min3_f32 v117, v30, v19, v118
	v_min3_f32 v116, v38, v31, v116
	v_min3_f32 v115, v42, v39, v115
	v_add_f32_e32 v6, v21, v57
	v_add_f32_e32 v10, v20, v56
	v_add_f32_e32 v15, v17, v57
	v_add_f32_e32 v18, v16, v56
	v_add_f32_e32 v19, v9, v57
	v_add_f32_e32 v30, v8, v56
	v_add_f32_e32 v31, v41, v53
	v_add_f32_e32 v38, v40, v52
	v_add_f32_e32 v39, v37, v53
	v_add_f32_e32 v42, v36, v52
	v_min3_f32 v113, v10, v6, v113
	v_min3_f32 v114, v18, v15, v114
	v_min3_f32 v111, v30, v19, v111
	v_min3_f32 v112, v38, v31, v112
	v_min3_f32 v109, v42, v39, v109
	v_add_f32_e32 v6, v33, v53
	v_add_f32_e32 v10, v32, v52
	v_add_f32_e32 v15, v29, v53
	v_add_f32_e32 v18, v28, v52
	v_add_f32_e32 v19, v25, v53
	v_add_f32_e32 v30, v24, v52
	v_add_f32_e32 v31, v21, v53
	v_add_f32_e32 v38, v20, v52
	v_add_f32_e32 v39, v17, v53
	v_add_f32_e32 v42, v16, v52
	v_min3_f32 v79, v10, v6, v79
	v_min3_f32 v107, v18, v15, v107
	v_min3_f32 v108, v30, v19, v108
	v_min3_f32 v106, v38, v31, v106
	v_min3_f32 v105, v42, v39, v105
	v_add_f32_e32 v6, v9, v53
	v_add_f32_e32 v10, v8, v52
	v_add_f32_e32 v15, v41, v49
	v_add_f32_e32 v18, v40, v48
	v_add_f32_e32 v19, v37, v49
	v_add_f32_e32 v30, v36, v48
	v_add_f32_e32 v31, v33, v49
	v_add_f32_e32 v38, v32, v48
	v_add_f32_e32 v39, v29, v49
	v_add_f32_e32 v42, v28, v48
	v_min3_f32 v118, v10, v6, v62
	v_min3_f32 v119, v18, v15, v63
	v_min3_f32 v120, v30, v19, v66
	v_min3_f32 v121, v38, v31, v67
	v_min3_f32 v99, v42, v39, v99
	v_add_f32_e32 v6, v25, v49
	v_add_f32_e32 v10, v24, v48
	v_add_f32_e32 v15, v21, v49
	v_add_f32_e32 v18, v20, v48
	v_add_f32_e32 v19, v17, v49
	v_add_f32_e32 v30, v16, v48
	v_add_f32_e32 v31, v9, v49
	v_add_f32_e32 v38, v8, v48
	v_add_f32_e32 v39, v41, v45
	v_add_f32_e32 v42, v40, v44
	v_min3_f32 v122, v10, v6, v54
	v_min3_f32 v123, v18, v15, v55
	v_min3_f32 v124, v30, v19, v58
	v_min3_f32 v125, v38, v31, v59
	v_min3_f32 v95, v42, v39, v95
	v_add_f32_e32 v6, v37, v45
	v_add_f32_e32 v10, v36, v44
	v_add_f32_e32 v15, v33, v45
	v_add_f32_e32 v18, v32, v44
	v_add_f32_e32 v19, v29, v45
	v_add_f32_e32 v30, v28, v44
	v_add_f32_e32 v31, v25, v45
	v_add_f32_e32 v38, v24, v44
	v_add_f32_e32 v39, v21, v45
	v_add_f32_e32 v42, v20, v44
	v_min3_f32 v126, v10, v6, v46
	v_min3_f32 v127, v18, v15, v47
	v_min3_f32 v128, v30, v19, v50
	v_min3_f32 v129, v38, v31, v51
	v_min3_f32 v130, v42, v39, v35
	v_add_f32_e32 v6, v17, v45
	v_add_f32_e32 v10, v16, v44
	v_add_f32_e32 v15, v9, v45
	v_add_f32_e32 v18, v8, v44
	v_add_f32_e32 v19, v41, v13
	v_add_f32_e32 v30, v40, v12
	v_add_f32_e32 v31, v37, v13
	v_add_f32_e32 v35, v36, v12
	v_add_f32_e32 v33, v33, v13
	v_add_f32_e32 v32, v32, v12
	v_min3_f32 v131, v10, v6, v3
	v_min3_f32 v132, v18, v15, v4
	v_min3_f32 v133, v30, v19, v5
	v_min3_f32 v134, v35, v31, v34
	v_min3_f32 v135, v32, v33, v14
	v_add_f32_e32 v10, v29, v13
	v_add_f32_e32 v25, v25, v13
	;; [unrolled: 1-line block ×6, first 2 shown]
	ds_read_b128 v[3:6], v144
	ds_read_b128 v[61:64], v77
	v_add_f32_e32 v9, v9, v13
	ds_read_b128 v[13:16], v144 offset:128
	ds_read_b128 v[17:20], v144 offset:256
	v_add_f32_e32 v28, v28, v12
	v_add_f32_e32 v24, v24, v12
	;; [unrolled: 1-line block ×3, first 2 shown]
	v_min3_f32 v137, v29, v21, v26
	v_min3_f32 v138, v31, v30, v27
	v_min3_f32 v12, v28, v10, v22
	v_min3_f32 v136, v24, v25, v23
	v_min3_f32 v140, v8, v9, v7
	ds_read_b128 v[33:36], v144 offset:384
	ds_read_b128 v[29:32], v144 offset:512
	ds_read_b128 v[25:28], v144 offset:640
	ds_read_b128 v[21:24], v144 offset:768
	ds_read_b128 v[7:10], v144 offset:896
	ds_read_b128 v[65:68], v77 offset:512
	ds_read_b128 v[57:60], v77 offset:1024
	ds_read_b128 v[53:56], v77 offset:1536
	ds_read_b128 v[49:52], v77 offset:2048
	ds_read_b128 v[45:48], v77 offset:2560
	ds_read_b128 v[41:44], v77 offset:3072
	ds_read_b128 v[37:40], v77 offset:3584
	v_add_co_u32 v72, vcc_lo, v72, 32
	v_add_co_ci_u32_e64 v73, null, 0, v73, vcc_lo
	v_add_co_u32 v149, vcc_lo, v149, s6
	s_waitcnt lgkmcnt(14)
	v_add_f32_e32 v141, v4, v62
	v_add_f32_e32 v142, v3, v61
	s_waitcnt lgkmcnt(13)
	v_add_f32_e32 v143, v14, v62
	v_add_f32_e32 v155, v13, v61
	;; [unrolled: 3-line block ×3, first 2 shown]
	v_min3_f32 v11, v142, v141, v11
	s_waitcnt lgkmcnt(11)
	v_add_f32_e32 v141, v34, v62
	v_min3_f32 v80, v155, v143, v80
	v_add_f32_e32 v142, v33, v61
	v_min3_f32 v81, v157, v156, v81
	s_waitcnt lgkmcnt(10)
	v_add_f32_e32 v143, v30, v62
	v_add_f32_e32 v155, v29, v61
	s_waitcnt lgkmcnt(9)
	v_add_f32_e32 v156, v26, v62
	v_add_f32_e32 v157, v25, v61
	;; [unrolled: 3-line block ×4, first 2 shown]
	v_min3_f32 v82, v142, v141, v82
	v_min3_f32 v69, v155, v143, v69
	;; [unrolled: 1-line block ×5, first 2 shown]
	s_waitcnt lgkmcnt(6)
	v_add_f32_e32 v62, v4, v66
	v_add_f32_e32 v85, v3, v65
	;; [unrolled: 1-line block ×10, first 2 shown]
	v_min3_f32 v62, v85, v62, v86
	v_min3_f32 v85, v142, v141, v87
	;; [unrolled: 1-line block ×5, first 2 shown]
	v_add_f32_e32 v89, v26, v66
	v_add_f32_e32 v90, v25, v65
	;; [unrolled: 1-line block ×6, first 2 shown]
	s_waitcnt lgkmcnt(5)
	v_add_f32_e32 v143, v4, v58
	v_add_f32_e32 v155, v3, v57
	;; [unrolled: 1-line block ×4, first 2 shown]
	v_min3_f32 v89, v90, v89, v91
	v_min3_f32 v90, v142, v141, v92
	;; [unrolled: 1-line block ×5, first 2 shown]
	v_add_f32_e32 v92, v18, v58
	v_add_f32_e32 v93, v17, v57
	;; [unrolled: 1-line block ×10, first 2 shown]
	v_min3_f32 v92, v93, v92, v97
	v_min3_f32 v93, v96, v94, v98
	;; [unrolled: 1-line block ×5, first 2 shown]
	v_add_f32_e32 v58, v8, v58
	v_add_f32_e32 v57, v7, v57
	s_waitcnt lgkmcnt(4)
	v_add_f32_e32 v98, v4, v54
	v_add_f32_e32 v100, v3, v53
	;; [unrolled: 1-line block ×8, first 2 shown]
	v_min3_f32 v57, v57, v58, v103
	v_min3_f32 v58, v100, v98, v104
	;; [unrolled: 1-line block ×5, first 2 shown]
	v_add_f32_e32 v102, v30, v54
	v_add_f32_e32 v103, v29, v53
	;; [unrolled: 1-line block ×8, first 2 shown]
	s_waitcnt lgkmcnt(3)
	v_add_f32_e32 v141, v4, v50
	v_add_f32_e32 v142, v3, v49
	v_min3_f32 v102, v103, v102, v115
	v_min3_f32 v103, v110, v104, v113
	v_min3_f32 v104, v117, v116, v114
	v_min3_f32 v53, v53, v54, v111
	v_min3_f32 v54, v142, v141, v112
	v_add_f32_e32 v110, v14, v50
	v_add_f32_e32 v111, v13, v49
	;; [unrolled: 1-line block ×10, first 2 shown]
	v_min3_f32 v109, v111, v110, v109
	v_min3_f32 v110, v113, v112, v79
	;; [unrolled: 1-line block ×4, first 2 shown]
	v_add_f32_e32 v79, v22, v50
	v_add_f32_e32 v111, v21, v49
	;; [unrolled: 1-line block ×4, first 2 shown]
	s_waitcnt lgkmcnt(2)
	v_add_f32_e32 v112, v4, v46
	v_add_f32_e32 v113, v3, v45
	;; [unrolled: 1-line block ×6, first 2 shown]
	v_min3_f32 v105, v111, v79, v105
	v_min3_f32 v49, v49, v50, v118
	;; [unrolled: 1-line block ×5, first 2 shown]
	v_add_f32_e32 v79, v34, v46
	v_add_f32_e32 v111, v33, v45
	;; [unrolled: 1-line block ×10, first 2 shown]
	v_min3_f32 v99, v111, v79, v99
	v_min3_f32 v157, v113, v112, v122
	s_waitcnt lgkmcnt(1)
	v_add_f32_e32 v79, v3, v41
	v_add_f32_e32 v111, v14, v42
	v_min3_f32 v45, v45, v46, v125
	v_add_f32_e32 v46, v4, v42
	v_add_f32_e32 v112, v13, v41
	s_waitcnt lgkmcnt(0)
	v_add_f32_e32 v4, v4, v38
	v_add_f32_e32 v3, v3, v37
	;; [unrolled: 1-line block ×4, first 2 shown]
	v_min3_f32 v158, v115, v114, v123
	v_add_f32_e32 v113, v18, v42
	v_add_f32_e32 v114, v17, v41
	v_min3_f32 v160, v112, v111, v126
	v_add_f32_e32 v111, v22, v42
	v_add_f32_e32 v112, v21, v41
	v_min3_f32 v3, v3, v4, v133
	v_min3_f32 v4, v13, v14, v134
	v_add_f32_e32 v13, v18, v38
	v_add_f32_e32 v14, v17, v37
	;; [unrolled: 1-line block ×6, first 2 shown]
	v_min3_f32 v159, v117, v116, v124
	v_add_f32_e32 v115, v34, v42
	v_add_f32_e32 v116, v33, v41
	;; [unrolled: 1-line block ×4, first 2 shown]
	v_min3_f32 v46, v79, v46, v95
	v_add_f32_e32 v79, v26, v42
	v_add_f32_e32 v95, v25, v41
	;; [unrolled: 1-line block ×4, first 2 shown]
	v_min3_f32 v12, v18, v17, v12
	v_min3_f32 v18, v21, v22, v138
	v_add_f32_e32 v8, v8, v38
	v_add_f32_e32 v7, v7, v37
	;; [unrolled: 1-line block ×8, first 2 shown]
	v_min3_f32 v7, v7, v8, v140
	v_min3_f32 v143, v22, v21, v11
	v_add_f32_e32 v8, v32, v64
	v_add_f32_e32 v11, v31, v63
	v_min3_f32 v106, v142, v141, v106
	v_min3_f32 v13, v14, v13, v135
	;; [unrolled: 1-line block ×4, first 2 shown]
	v_add_f32_e32 v25, v16, v64
	v_add_f32_e32 v26, v15, v63
	;; [unrolled: 1-line block ×8, first 2 shown]
	v_min3_f32 v142, v11, v8, v69
	v_add_f32_e32 v8, v16, v68
	v_add_f32_e32 v11, v15, v67
	v_min3_f32 v164, v95, v79, v130
	v_min3_f32 v140, v26, v25, v80
	;; [unrolled: 1-line block ×4, first 2 shown]
	v_add_f32_e32 v25, v24, v64
	v_add_f32_e32 v26, v23, v63
	;; [unrolled: 1-line block ×6, first 2 shown]
	v_min3_f32 v137, v22, v21, v83
	v_add_f32_e32 v21, v20, v68
	v_add_f32_e32 v22, v19, v67
	v_min3_f32 v133, v11, v8, v85
	v_add_f32_e32 v8, v24, v68
	v_add_f32_e32 v11, v23, v67
	v_min3_f32 v138, v26, v25, v84
	v_min3_f32 v135, v30, v29, v61
	;; [unrolled: 1-line block ×3, first 2 shown]
	v_add_f32_e32 v25, v36, v68
	v_add_f32_e32 v26, v35, v67
	;; [unrolled: 1-line block ×6, first 2 shown]
	v_min3_f32 v134, v22, v21, v86
	v_add_f32_e32 v21, v10, v68
	v_add_f32_e32 v22, v9, v67
	v_min3_f32 v130, v11, v8, v90
	v_add_f32_e32 v8, v36, v60
	v_add_f32_e32 v11, v35, v59
	v_min3_f32 v161, v114, v113, v127
	v_min3_f32 v162, v116, v115, v128
	;; [unrolled: 1-line block ×7, first 2 shown]
	v_add_f32_e32 v25, v6, v60
	v_add_f32_e32 v26, v5, v59
	;; [unrolled: 1-line block ×6, first 2 shown]
	v_min3_f32 v127, v22, v21, v65
	v_add_f32_e32 v21, v32, v60
	v_add_f32_e32 v22, v31, v59
	v_min3_f32 v123, v11, v8, v93
	v_add_f32_e32 v8, v6, v56
	v_add_f32_e32 v11, v5, v55
	v_min3_f32 v163, v118, v117, v129
	v_min3_f32 v129, v26, v25, v66
	;; [unrolled: 1-line block ×4, first 2 shown]
	v_add_f32_e32 v25, v28, v60
	v_add_f32_e32 v26, v27, v59
	v_add_f32_e32 v29, v24, v60
	v_add_f32_e32 v30, v23, v59
	v_add_f32_e32 v33, v10, v60
	v_add_f32_e32 v34, v9, v59
	v_min3_f32 v124, v22, v21, v94
	v_add_f32_e32 v21, v16, v56
	v_add_f32_e32 v22, v15, v55
	v_min3_f32 v120, v11, v8, v58
	v_add_f32_e32 v8, v28, v56
	v_add_f32_e32 v11, v27, v55
	v_min3_f32 v121, v26, v25, v96
	v_min3_f32 v122, v30, v29, v97
	v_min3_f32 v119, v34, v33, v57
	v_add_f32_e32 v25, v20, v56
	v_add_f32_e32 v26, v19, v55
	v_add_f32_e32 v29, v36, v56
	v_add_f32_e32 v30, v35, v55
	v_add_f32_e32 v33, v32, v56
	v_add_f32_e32 v34, v31, v55
	v_min3_f32 v117, v22, v21, v98
	v_add_f32_e32 v21, v24, v56
	v_add_f32_e32 v22, v23, v55
	v_min3_f32 v113, v11, v8, v103
	v_add_f32_e32 v8, v20, v52
	v_add_f32_e32 v11, v19, v51
	v_min3_f32 v118, v26, v25, v100
	v_min3_f32 v116, v30, v29, v101
	v_min3_f32 v115, v34, v33, v102
	;; [unrolled: 15-line block ×5, first 2 shown]
	v_add_f32_e32 v25, v24, v48
	v_add_f32_e32 v26, v23, v47
	;; [unrolled: 1-line block ×6, first 2 shown]
	v_min3_f32 v97, v22, v21, v158
	v_add_f32_e32 v21, v20, v44
	v_add_f32_e32 v22, v19, v43
	v_min3_f32 v93, v11, v8, v160
	v_add_f32_e32 v8, v24, v44
	v_add_f32_e32 v11, v23, v43
	v_add_f32_e32 v6, v6, v40
	v_add_f32_e32 v5, v5, v39
	v_add_f32_e32 v16, v16, v40
	v_add_f32_e32 v15, v15, v39
	v_add_f32_e32 v20, v20, v40
	v_add_f32_e32 v19, v19, v39
	v_min3_f32 v98, v26, v25, v159
	v_min3_f32 v95, v30, v29, v45
	v_min3_f32 v96, v34, v33, v46
	v_add_f32_e32 v25, v36, v44
	v_add_f32_e32 v26, v35, v43
	v_add_f32_e32 v29, v32, v44
	v_add_f32_e32 v30, v31, v43
	v_add_f32_e32 v33, v28, v44
	v_add_f32_e32 v34, v27, v43
	v_min3_f32 v94, v22, v21, v161
	v_add_f32_e32 v21, v10, v44
	v_add_f32_e32 v22, v9, v43
	v_min3_f32 v90, v11, v8, v165
	v_min3_f32 v88, v5, v6, v3
	;; [unrolled: 1-line block ×4, first 2 shown]
	v_add_f32_e32 v3, v36, v40
	v_add_f32_e32 v4, v35, v39
	;; [unrolled: 1-line block ×10, first 2 shown]
	v_min3_f32 v91, v26, v25, v162
	v_min3_f32 v92, v30, v29, v163
	;; [unrolled: 1-line block ×9, first 2 shown]
	v_add_co_ci_u32_e64 v150, null, s7, v150, vcc_lo
	s_add_i32 s11, s11, 8
	ds_write_b32 v145, v151
	ds_write2st64_b32 v146, v2, v152 offset1:4
	ds_write2st64_b32 v146, v153, v154 offset0:8 offset1:12
	s_cmp_ge_i32 s11, s14
	s_waitcnt lgkmcnt(0)
	s_barrier
	buffer_gl0_inv
	s_cbranch_scc1 .LBB23_47
.LBB23_27:                              ; =>This Inner Loop Header: Depth=1
	v_mov_b32_e32 v152, 0
	s_and_b32 vcc_lo, exec_lo, s2
	s_cbranch_vccnz .LBB23_29
; %bb.28:                               ;   in Loop: Header=BB23_27 Depth=1
	flat_load_dword v2, v[72:73]
	s_waitcnt vmcnt(0) lgkmcnt(0)
	v_mul_f32_e32 v152, s15, v2
.LBB23_29:                              ;   in Loop: Header=BB23_27 Depth=1
	s_mov_b32 s16, -1
	s_mov_b32 vcc_lo, s1
                                        ; implicit-def: $vgpr2_vgpr3_vgpr4_vgpr5
	s_cbranch_vccnz .LBB23_40
; %bb.30:                               ;   in Loop: Header=BB23_27 Depth=1
	v_mov_b32_e32 v3, 0
	s_andn2_b32 vcc_lo, exec_lo, s16
	s_cbranch_vccz .LBB23_41
.LBB23_31:                              ;   in Loop: Header=BB23_27 Depth=1
	s_mov_b32 s16, -1
	s_mov_b32 vcc_lo, s1
                                        ; implicit-def: $vgpr4
	s_cbranch_vccnz .LBB23_42
.LBB23_32:                              ;   in Loop: Header=BB23_27 Depth=1
	v_mov_b32_e32 v151, 0
	v_mov_b32_e32 v5, 0
	s_andn2_b32 vcc_lo, exec_lo, s16
	s_cbranch_vccnz .LBB23_34
.LBB23_33:                              ;   in Loop: Header=BB23_27 Depth=1
	v_add_co_u32 v4, vcc_lo, v149, v70
	v_add_co_ci_u32_e64 v5, null, v150, v71, vcc_lo
	s_clause 0x1
	flat_load_dword v6, v[4:5] offset:512
	flat_load_dword v5, v[4:5] offset:768
	s_waitcnt vmcnt(1) lgkmcnt(1)
	v_mul_f32_e32 v4, s15, v6
	s_waitcnt vmcnt(0) lgkmcnt(0)
	v_mul_f32_e32 v5, s15, v5
.LBB23_34:                              ;   in Loop: Header=BB23_27 Depth=1
	ds_read_b128 v[38:41], v147
	ds_read_b128 v[34:37], v147 offset:128
	ds_read_b128 v[30:33], v147 offset:256
	;; [unrolled: 1-line block ×7, first 2 shown]
	ds_read_b128 v[66:69], v148
	ds_read_b128 v[62:65], v148 offset:512
	ds_read_b128 v[58:61], v148 offset:1024
	;; [unrolled: 1-line block ×7, first 2 shown]
	s_and_b32 vcc_lo, exec_lo, s2
	ds_write_b32 v139, v152
	ds_write2st64_b32 v78, v2, v3 offset1:4
	ds_write2st64_b32 v78, v4, v5 offset0:8 offset1:12
	s_waitcnt lgkmcnt(0)
	s_barrier
	buffer_gl0_inv
	s_cbranch_vccnz .LBB23_36
; %bb.35:                               ;   in Loop: Header=BB23_27 Depth=1
	flat_load_dword v2, v[72:73] offset:16
	s_waitcnt vmcnt(0) lgkmcnt(0)
	v_mul_f32_e32 v151, s15, v2
.LBB23_36:                              ;   in Loop: Header=BB23_27 Depth=1
	s_mov_b32 s16, -1
	s_mov_b32 vcc_lo, s1
                                        ; implicit-def: $vgpr2_vgpr3_vgpr4_vgpr5
	s_cbranch_vccnz .LBB23_43
; %bb.37:                               ;   in Loop: Header=BB23_27 Depth=1
	v_mov_b32_e32 v152, 0
	s_andn2_b32 vcc_lo, exec_lo, s16
	s_cbranch_vccz .LBB23_44
.LBB23_38:                              ;   in Loop: Header=BB23_27 Depth=1
	s_mov_b32 s16, -1
	s_mov_b32 vcc_lo, s1
                                        ; implicit-def: $vgpr153
	s_cbranch_vccnz .LBB23_45
.LBB23_39:                              ;   in Loop: Header=BB23_27 Depth=1
	v_mov_b32_e32 v154, 0
	s_andn2_b32 vcc_lo, exec_lo, s16
	s_cbranch_vccnz .LBB23_26
	s_branch .LBB23_46
.LBB23_40:                              ;   in Loop: Header=BB23_27 Depth=1
	v_mov_b32_e32 v2, s10
	v_mov_b32_e32 v3, 0
	s_cbranch_execnz .LBB23_31
.LBB23_41:                              ;   in Loop: Header=BB23_27 Depth=1
	v_add_co_u32 v2, vcc_lo, v149, v70
	v_add_co_ci_u32_e64 v3, null, v150, v71, vcc_lo
	s_clause 0x1
	flat_load_dword v4, v[2:3]
	flat_load_dword v3, v[2:3] offset:256
	s_waitcnt vmcnt(1) lgkmcnt(1)
	v_mul_f32_e32 v2, s15, v4
	s_waitcnt vmcnt(0) lgkmcnt(0)
	v_mul_f32_e32 v3, s15, v3
	s_mov_b32 s16, -1
	s_mov_b32 vcc_lo, s1
                                        ; implicit-def: $vgpr4
	s_cbranch_vccz .LBB23_32
.LBB23_42:                              ;   in Loop: Header=BB23_27 Depth=1
	v_mov_b32_e32 v4, s10
	v_mov_b32_e32 v151, 0
	;; [unrolled: 1-line block ×3, first 2 shown]
	s_cbranch_execz .LBB23_33
	s_branch .LBB23_34
.LBB23_43:                              ;   in Loop: Header=BB23_27 Depth=1
	v_mov_b32_e32 v2, s10
	v_mov_b32_e32 v152, 0
	s_cbranch_execnz .LBB23_38
.LBB23_44:                              ;   in Loop: Header=BB23_27 Depth=1
	v_add_co_u32 v2, vcc_lo, v149, v74
	v_add_co_ci_u32_e64 v3, null, v150, v75, vcc_lo
	s_clause 0x1
	flat_load_dword v4, v[2:3]
	flat_load_dword v3, v[2:3] offset:256
	s_waitcnt vmcnt(1) lgkmcnt(1)
	v_mul_f32_e32 v2, s15, v4
	s_waitcnt vmcnt(0) lgkmcnt(0)
	v_mul_f32_e32 v152, s15, v3
	s_mov_b32 s16, -1
	s_mov_b32 vcc_lo, s1
                                        ; implicit-def: $vgpr153
	s_cbranch_vccz .LBB23_39
.LBB23_45:                              ;   in Loop: Header=BB23_27 Depth=1
	v_mov_b32_e32 v153, s10
	v_mov_b32_e32 v154, 0
	s_cbranch_execnz .LBB23_26
.LBB23_46:                              ;   in Loop: Header=BB23_27 Depth=1
	v_add_co_u32 v3, vcc_lo, v149, v74
	v_add_co_ci_u32_e64 v4, null, v150, v75, vcc_lo
	s_clause 0x1
	flat_load_dword v5, v[3:4] offset:512
	flat_load_dword v3, v[3:4] offset:768
	s_waitcnt vmcnt(1) lgkmcnt(1)
	v_mul_f32_e32 v153, s15, v5
	s_waitcnt vmcnt(0) lgkmcnt(0)
	v_mul_f32_e32 v154, s15, v3
	s_branch .LBB23_26
.LBB23_47:
	ds_read_b128 v[34:37], v76 offset:9216
	ds_read_b128 v[62:65], v77 offset:4096
	s_clause 0x2
	s_load_dwordx2 s[6:7], s[4:5], 0x70
	s_load_dword s1, s[4:5], 0x50
	s_load_dword s2, s[4:5], 0x68
	ds_read_b128 v[30:33], v76 offset:9344
	ds_read_b128 v[26:29], v76 offset:9472
	;; [unrolled: 1-line block ×12, first 2 shown]
	v_add_nc_u32_e32 v139, s21, v1
	v_add_nc_u32_e32 v76, s20, v0
	s_waitcnt lgkmcnt(0)
	s_lshl_b64 s[4:5], s[6:7], 2
	v_add_f32_e32 v0, v35, v63
	v_add_f32_e32 v6, v34, v62
	v_mad_i64_i32 v[66:67], null, v139, s2, 0
	v_mad_i64_i32 v[68:69], null, v139, s1, 0
	v_min3_f32 v1, v6, v0, v143
	ds_read_b128 v[38:41], v77 offset:7168
	ds_read_b128 v[6:9], v77 offset:7680
	v_add_f32_e32 v70, v37, v65
	v_add_f32_e32 v71, v36, v64
	v_lshlrev_b64 v[66:67], 2, v[66:67]
	s_add_u32 s4, s8, s4
	v_lshlrev_b64 v[68:69], 2, v[68:69]
	v_ashrrev_i32_e32 v77, 31, v76
	v_add_nc_u32_e32 v0, 8, v76
	v_min3_f32 v70, v71, v70, v1
	s_addc_u32 s5, s9, s5
	v_add_co_u32 v143, vcc_lo, s4, v66
	v_add_co_ci_u32_e64 v144, null, s5, v67, vcc_lo
	v_add_co_u32 v145, vcc_lo, s12, v68
	v_lshlrev_b64 v[66:67], 2, v[76:77]
	v_ashrrev_i32_e32 v1, 31, v0
	v_add_co_ci_u32_e64 v146, null, s13, v69, vcc_lo
	v_max_f32_e32 v68, v70, v70
	s_mov_b32 s6, -1
	s_mov_b32 vcc_lo, s0
	s_cbranch_vccz .LBB23_49
; %bb.48:
	v_add_co_u32 v69, vcc_lo, v143, v66
	v_min_f32_e32 v71, 0, v68
	v_add_co_ci_u32_e64 v70, null, v144, v67, vcc_lo
	s_mov_b32 s6, 0
	flat_store_dword v[69:70], v71
.LBB23_49:
	v_lshlrev_b64 v[0:1], 2, v[0:1]
	v_mov_b32_e32 v69, 0
	s_andn2_b32 vcc_lo, exec_lo, s6
	s_cbranch_vccnz .LBB23_51
; %bb.50:
	v_add_co_u32 v69, vcc_lo, v145, v66
	v_add_co_ci_u32_e64 v70, null, v146, v67, vcc_lo
	flat_load_dword v69, v[69:70]
	s_waitcnt vmcnt(0) lgkmcnt(0)
	v_mul_f32_e32 v71, s3, v69
	v_add_co_u32 v69, vcc_lo, v143, v66
	v_add_co_ci_u32_e64 v70, null, v144, v67, vcc_lo
	v_min_f32_e32 v68, v71, v68
	v_add_co_u32 v71, vcc_lo, v145, v0
	v_add_co_ci_u32_e64 v72, null, v146, v1, vcc_lo
	flat_store_dword v[69:70], v68
	flat_load_dword v68, v[71:72]
	s_waitcnt vmcnt(0) lgkmcnt(0)
	v_mul_f32_e32 v69, s3, v68
.LBB23_51:
	v_add_f32_e32 v68, v31, v63
	v_add_f32_e32 v70, v30, v62
	;; [unrolled: 1-line block ×6, first 2 shown]
	v_min3_f32 v75, v70, v68, v140
	v_add_nc_u32_e32 v70, 16, v76
	v_min3_f32 v77, v72, v71, v141
	v_add_f32_e32 v78, v28, v64
	v_min_f32_e32 v71, v74, v73
	v_add_f32_e32 v74, v29, v65
	v_add_co_u32 v72, vcc_lo, v143, v0
	v_add_nc_u32_e32 v68, 24, v76
	v_min3_f32 v75, v69, v71, v75
	v_ashrrev_i32_e32 v71, 31, v70
	v_add_co_ci_u32_e64 v73, null, v144, v1, vcc_lo
	v_min3_f32 v74, v78, v74, v77
	v_ashrrev_i32_e32 v69, 31, v68
	v_lshlrev_b64 v[70:71], 2, v[70:71]
	flat_store_dword v[72:73], v75
	s_mov_b32 s6, -1
	v_max_f32_e32 v72, v74, v74
	s_mov_b32 vcc_lo, s0
	s_cbranch_vccz .LBB23_53
; %bb.52:
	v_add_co_u32 v73, vcc_lo, v143, v70
	v_min_f32_e32 v75, 0, v72
	v_add_co_ci_u32_e64 v74, null, v144, v71, vcc_lo
	s_mov_b32 s6, 0
	flat_store_dword v[73:74], v75
.LBB23_53:
	v_lshlrev_b64 v[68:69], 2, v[68:69]
	v_mov_b32_e32 v73, 0
	s_andn2_b32 vcc_lo, exec_lo, s6
	s_cbranch_vccnz .LBB23_55
; %bb.54:
	v_add_co_u32 v73, vcc_lo, v145, v70
	v_add_co_ci_u32_e64 v74, null, v146, v71, vcc_lo
	flat_load_dword v73, v[73:74]
	s_waitcnt vmcnt(0) lgkmcnt(0)
	v_mul_f32_e32 v75, s3, v73
	v_add_co_u32 v73, vcc_lo, v143, v70
	v_add_co_ci_u32_e64 v74, null, v144, v71, vcc_lo
	v_add_co_u32 v77, vcc_lo, v145, v68
	v_min_f32_e32 v72, v75, v72
	v_add_co_ci_u32_e64 v78, null, v146, v69, vcc_lo
	flat_store_dword v[73:74], v72
	flat_load_dword v72, v[77:78]
	s_waitcnt vmcnt(0) lgkmcnt(0)
	v_mul_f32_e32 v73, s3, v72
.LBB23_55:
	v_add_f32_e32 v72, v23, v63
	v_add_f32_e32 v74, v22, v62
	;; [unrolled: 1-line block ×6, first 2 shown]
	v_min3_f32 v79, v74, v72, v79
	v_add_nc_u32_e32 v74, 32, v76
	v_min3_f32 v141, v77, v75, v142
	v_add_f32_e32 v142, v20, v64
	v_min_f32_e32 v75, v140, v78
	v_add_f32_e32 v140, v21, v65
	v_add_co_u32 v77, vcc_lo, v143, v68
	v_add_nc_u32_e32 v72, 40, v76
	v_min3_f32 v79, v73, v75, v79
	v_ashrrev_i32_e32 v75, 31, v74
	v_add_co_ci_u32_e64 v78, null, v144, v69, vcc_lo
	v_min3_f32 v140, v142, v140, v141
	v_ashrrev_i32_e32 v73, 31, v72
	v_lshlrev_b64 v[74:75], 2, v[74:75]
	flat_store_dword v[77:78], v79
	s_mov_b32 s6, -1
	v_max_f32_e32 v77, v140, v140
	s_mov_b32 vcc_lo, s0
	s_cbranch_vccz .LBB23_57
; %bb.56:
	v_add_co_u32 v78, vcc_lo, v143, v74
	v_min_f32_e32 v140, 0, v77
	v_add_co_ci_u32_e64 v79, null, v144, v75, vcc_lo
	s_mov_b32 s6, 0
	flat_store_dword v[78:79], v140
.LBB23_57:
	v_lshlrev_b64 v[72:73], 2, v[72:73]
	v_mov_b32_e32 v79, 0
	s_andn2_b32 vcc_lo, exec_lo, s6
	s_cbranch_vccnz .LBB23_59
; %bb.58:
	v_add_co_u32 v78, vcc_lo, v145, v74
	v_add_co_ci_u32_e64 v79, null, v146, v75, vcc_lo
	flat_load_dword v78, v[78:79]
	s_waitcnt vmcnt(0) lgkmcnt(0)
	v_mul_f32_e32 v140, s3, v78
	v_add_co_u32 v78, vcc_lo, v143, v74
	v_add_co_ci_u32_e64 v79, null, v144, v75, vcc_lo
	v_min_f32_e32 v77, v140, v77
	v_add_co_u32 v140, vcc_lo, v145, v72
	v_add_co_ci_u32_e64 v141, null, v146, v73, vcc_lo
	flat_store_dword v[78:79], v77
	flat_load_dword v77, v[140:141]
	s_waitcnt vmcnt(0) lgkmcnt(0)
	v_mul_f32_e32 v79, s3, v77
.LBB23_59:
	v_add_f32_e32 v77, v15, v63
	v_add_f32_e32 v78, v14, v62
	;; [unrolled: 1-line block ×6, first 2 shown]
	v_min3_f32 v77, v78, v77, v137
	v_add_nc_u32_e32 v137, 48, v76
	v_min3_f32 v140, v141, v140, v138
	v_add_f32_e32 v141, v13, v65
	v_min_f32_e32 v138, v147, v142
	v_add_f32_e32 v142, v12, v64
	v_add_nc_u32_e32 v78, 56, v76
	v_add_co_u32 v76, vcc_lo, v143, v72
	v_min3_f32 v147, v79, v138, v77
	v_add_co_ci_u32_e64 v77, null, v144, v73, vcc_lo
	v_ashrrev_i32_e32 v138, 31, v137
	v_min3_f32 v140, v142, v141, v140
	v_ashrrev_i32_e32 v79, 31, v78
	flat_store_dword v[76:77], v147
	s_mov_b32 s6, -1
	v_lshlrev_b64 v[76:77], 2, v[137:138]
	v_max_f32_e32 v137, v140, v140
	s_mov_b32 vcc_lo, s0
	s_cbranch_vccz .LBB23_61
; %bb.60:
	v_add_co_u32 v140, vcc_lo, v143, v76
	v_min_f32_e32 v138, 0, v137
	v_add_co_ci_u32_e64 v141, null, v144, v77, vcc_lo
	s_mov_b32 s6, 0
	flat_store_dword v[140:141], v138
.LBB23_61:
	v_lshlrev_b64 v[78:79], 2, v[78:79]
	v_mov_b32_e32 v138, 0
	s_andn2_b32 vcc_lo, exec_lo, s6
	s_cbranch_vccnz .LBB23_63
; %bb.62:
	v_add_co_u32 v140, vcc_lo, v145, v76
	v_add_co_ci_u32_e64 v141, null, v146, v77, vcc_lo
	flat_load_dword v138, v[140:141]
	v_add_co_u32 v140, vcc_lo, v143, v76
	v_add_co_ci_u32_e64 v141, null, v144, v77, vcc_lo
	s_waitcnt vmcnt(0) lgkmcnt(0)
	v_mul_f32_e32 v138, s3, v138
	v_min_f32_e32 v142, v138, v137
	v_add_co_u32 v137, vcc_lo, v145, v78
	v_add_co_ci_u32_e64 v138, null, v146, v79, vcc_lo
	flat_store_dword v[140:141], v142
	flat_load_dword v137, v[137:138]
	s_waitcnt vmcnt(0) lgkmcnt(0)
	v_mul_f32_e32 v138, s3, v137
.LBB23_63:
	v_add_f32_e32 v63, v3, v63
	v_add_f32_e32 v62, v2, v62
	;; [unrolled: 1-line block ×6, first 2 shown]
	v_min3_f32 v62, v62, v63, v135
	v_add_f32_e32 v141, v36, v60
	v_min_f32_e32 v63, v64, v65
	v_add_nc_u32_e32 v64, 32, v139
	v_min3_f32 v137, v140, v137, v136
	v_add_f32_e32 v140, v37, v61
	v_add_co_u32 v135, vcc_lo, v143, v78
	v_min3_f32 v138, v138, v63, v62
	v_mad_i64_i32 v[62:63], null, v64, s2, 0
	v_mad_i64_i32 v[64:65], null, v64, s1, 0
	v_add_co_ci_u32_e64 v136, null, v144, v79, vcc_lo
	v_min3_f32 v137, v141, v140, v137
	s_mov_b32 s6, -1
	v_lshlrev_b64 v[62:63], 2, v[62:63]
	flat_store_dword v[135:136], v138
	v_lshlrev_b64 v[64:65], 2, v[64:65]
	v_max_f32_e32 v135, v137, v137
	v_add_co_u32 v62, vcc_lo, s4, v62
	v_add_co_ci_u32_e64 v63, null, s5, v63, vcc_lo
	v_add_co_u32 v64, vcc_lo, s12, v64
	v_add_co_ci_u32_e64 v65, null, s13, v65, vcc_lo
	s_mov_b32 vcc_lo, s0
	s_cbranch_vccz .LBB23_65
; %bb.64:
	v_add_co_u32 v136, vcc_lo, v62, v66
	v_min_f32_e32 v138, 0, v135
	v_add_co_ci_u32_e64 v137, null, v63, v67, vcc_lo
	s_mov_b32 s6, 0
	flat_store_dword v[136:137], v138
.LBB23_65:
	v_mov_b32_e32 v136, 0
	s_andn2_b32 vcc_lo, exec_lo, s6
	s_cbranch_vccnz .LBB23_67
; %bb.66:
	v_add_co_u32 v136, vcc_lo, v64, v66
	v_add_co_ci_u32_e64 v137, null, v65, v67, vcc_lo
	flat_load_dword v136, v[136:137]
	s_waitcnt vmcnt(0) lgkmcnt(0)
	v_mul_f32_e32 v138, s3, v136
	v_add_co_u32 v136, vcc_lo, v62, v66
	v_add_co_ci_u32_e64 v137, null, v63, v67, vcc_lo
	v_add_co_u32 v140, vcc_lo, v64, v0
	v_min_f32_e32 v135, v138, v135
	v_add_co_ci_u32_e64 v141, null, v65, v1, vcc_lo
	flat_store_dword v[136:137], v135
	flat_load_dword v135, v[140:141]
	s_waitcnt vmcnt(0) lgkmcnt(0)
	v_mul_f32_e32 v136, s3, v135
.LBB23_67:
	v_add_f32_e32 v135, v31, v59
	v_add_f32_e32 v137, v30, v58
	;; [unrolled: 1-line block ×6, first 2 shown]
	v_min3_f32 v133, v137, v135, v133
	s_mov_b32 s6, -1
	v_min_f32_e32 v135, v140, v138
	v_add_f32_e32 v138, v29, v61
	v_min3_f32 v137, v142, v141, v134
	v_add_f32_e32 v140, v28, v60
	v_min3_f32 v135, v136, v135, v133
	v_add_co_u32 v133, vcc_lo, v62, v0
	v_add_co_ci_u32_e64 v134, null, v63, v1, vcc_lo
	v_min3_f32 v136, v140, v138, v137
	s_mov_b32 vcc_lo, s0
	flat_store_dword v[133:134], v135
	v_max_f32_e32 v133, v136, v136
	s_cbranch_vccz .LBB23_69
; %bb.68:
	v_add_co_u32 v134, vcc_lo, v62, v70
	v_min_f32_e32 v136, 0, v133
	v_add_co_ci_u32_e64 v135, null, v63, v71, vcc_lo
	s_mov_b32 s6, 0
	flat_store_dword v[134:135], v136
.LBB23_69:
	v_mov_b32_e32 v134, 0
	s_andn2_b32 vcc_lo, exec_lo, s6
	s_cbranch_vccnz .LBB23_71
; %bb.70:
	v_add_co_u32 v134, vcc_lo, v64, v70
	v_add_co_ci_u32_e64 v135, null, v65, v71, vcc_lo
	flat_load_dword v134, v[134:135]
	s_waitcnt vmcnt(0) lgkmcnt(0)
	v_mul_f32_e32 v136, s3, v134
	v_add_co_u32 v134, vcc_lo, v62, v70
	v_add_co_ci_u32_e64 v135, null, v63, v71, vcc_lo
	v_min_f32_e32 v133, v136, v133
	v_add_co_u32 v136, vcc_lo, v64, v68
	v_add_co_ci_u32_e64 v137, null, v65, v69, vcc_lo
	flat_store_dword v[134:135], v133
	flat_load_dword v133, v[136:137]
	s_waitcnt vmcnt(0) lgkmcnt(0)
	v_mul_f32_e32 v134, s3, v133
.LBB23_71:
	v_add_f32_e32 v133, v23, v59
	v_add_f32_e32 v135, v22, v58
	;; [unrolled: 1-line block ×6, first 2 shown]
	v_min3_f32 v131, v135, v133, v131
	s_mov_b32 s6, -1
	v_min_f32_e32 v133, v137, v136
	v_add_f32_e32 v136, v21, v61
	v_min3_f32 v135, v140, v138, v132
	v_add_f32_e32 v137, v20, v60
	v_min3_f32 v133, v134, v133, v131
	v_add_co_u32 v131, vcc_lo, v62, v68
	v_add_co_ci_u32_e64 v132, null, v63, v69, vcc_lo
	v_min3_f32 v134, v137, v136, v135
	s_mov_b32 vcc_lo, s0
	flat_store_dword v[131:132], v133
	v_max_f32_e32 v131, v134, v134
	s_cbranch_vccz .LBB23_73
; %bb.72:
	v_add_co_u32 v132, vcc_lo, v62, v74
	v_min_f32_e32 v134, 0, v131
	v_add_co_ci_u32_e64 v133, null, v63, v75, vcc_lo
	s_mov_b32 s6, 0
	flat_store_dword v[132:133], v134
.LBB23_73:
	v_mov_b32_e32 v132, 0
	s_andn2_b32 vcc_lo, exec_lo, s6
	s_cbranch_vccnz .LBB23_75
; %bb.74:
	v_add_co_u32 v132, vcc_lo, v64, v74
	v_add_co_ci_u32_e64 v133, null, v65, v75, vcc_lo
	flat_load_dword v132, v[132:133]
	s_waitcnt vmcnt(0) lgkmcnt(0)
	v_mul_f32_e32 v134, s3, v132
	v_add_co_u32 v132, vcc_lo, v62, v74
	v_add_co_ci_u32_e64 v133, null, v63, v75, vcc_lo
	v_min_f32_e32 v131, v134, v131
	v_add_co_u32 v134, vcc_lo, v64, v72
	v_add_co_ci_u32_e64 v135, null, v65, v73, vcc_lo
	flat_store_dword v[132:133], v131
	flat_load_dword v131, v[134:135]
	s_waitcnt vmcnt(0) lgkmcnt(0)
	v_mul_f32_e32 v132, s3, v131
.LBB23_75:
	v_add_f32_e32 v131, v15, v59
	v_add_f32_e32 v133, v14, v58
	;; [unrolled: 1-line block ×6, first 2 shown]
	v_min3_f32 v128, v133, v131, v128
	s_mov_b32 s6, -1
	v_min_f32_e32 v131, v135, v134
	v_add_f32_e32 v134, v13, v61
	v_min3_f32 v133, v137, v136, v130
	v_add_f32_e32 v135, v12, v60
	v_add_co_u32 v130, vcc_lo, v62, v72
	v_min3_f32 v128, v132, v131, v128
	v_add_co_ci_u32_e64 v131, null, v63, v73, vcc_lo
	v_min3_f32 v132, v135, v134, v133
	s_mov_b32 vcc_lo, s0
	flat_store_dword v[130:131], v128
	v_max_f32_e32 v128, v132, v132
	s_cbranch_vccz .LBB23_77
; %bb.76:
	v_add_co_u32 v130, vcc_lo, v62, v76
	v_min_f32_e32 v132, 0, v128
	v_add_co_ci_u32_e64 v131, null, v63, v77, vcc_lo
	s_mov_b32 s6, 0
	flat_store_dword v[130:131], v132
.LBB23_77:
	v_mov_b32_e32 v130, 0
	s_andn2_b32 vcc_lo, exec_lo, s6
	s_cbranch_vccnz .LBB23_79
; %bb.78:
	v_add_co_u32 v130, vcc_lo, v64, v76
	v_add_co_ci_u32_e64 v131, null, v65, v77, vcc_lo
	flat_load_dword v130, v[130:131]
	s_waitcnt vmcnt(0) lgkmcnt(0)
	v_mul_f32_e32 v132, s3, v130
	v_add_co_u32 v130, vcc_lo, v62, v76
	v_add_co_ci_u32_e64 v131, null, v63, v77, vcc_lo
	v_add_co_u32 v64, vcc_lo, v64, v78
	v_min_f32_e32 v128, v132, v128
	v_add_co_ci_u32_e64 v65, null, v65, v79, vcc_lo
	flat_store_dword v[130:131], v128
	flat_load_dword v64, v[64:65]
	s_waitcnt vmcnt(0) lgkmcnt(0)
	v_mul_f32_e32 v130, s3, v64
.LBB23_79:
	v_add_f32_e32 v59, v3, v59
	v_add_f32_e32 v58, v2, v58
	;; [unrolled: 1-line block ×6, first 2 shown]
	v_min3_f32 v58, v58, v59, v127
	v_add_f32_e32 v127, v36, v56
	v_min_f32_e32 v59, v60, v61
	v_add_nc_u32_e32 v60, 64, v139
	v_min3_f32 v64, v65, v64, v129
	v_add_f32_e32 v65, v37, v57
	v_add_co_u32 v62, vcc_lo, v62, v78
	v_min3_f32 v128, v130, v59, v58
	v_mad_i64_i32 v[58:59], null, v60, s2, 0
	v_mad_i64_i32 v[60:61], null, v60, s1, 0
	v_add_co_ci_u32_e64 v63, null, v63, v79, vcc_lo
	v_min3_f32 v64, v127, v65, v64
	s_mov_b32 s6, -1
	v_lshlrev_b64 v[58:59], 2, v[58:59]
	flat_store_dword v[62:63], v128
	v_lshlrev_b64 v[60:61], 2, v[60:61]
	v_max_f32_e32 v62, v64, v64
	v_add_co_u32 v58, vcc_lo, s4, v58
	v_add_co_ci_u32_e64 v59, null, s5, v59, vcc_lo
	v_add_co_u32 v60, vcc_lo, s12, v60
	v_add_co_ci_u32_e64 v61, null, s13, v61, vcc_lo
	s_mov_b32 vcc_lo, s0
	s_cbranch_vccz .LBB23_81
; %bb.80:
	v_add_co_u32 v63, vcc_lo, v58, v66
	v_min_f32_e32 v65, 0, v62
	v_add_co_ci_u32_e64 v64, null, v59, v67, vcc_lo
	s_mov_b32 s6, 0
	flat_store_dword v[63:64], v65
.LBB23_81:
	v_mov_b32_e32 v63, 0
	s_andn2_b32 vcc_lo, exec_lo, s6
	s_cbranch_vccnz .LBB23_83
; %bb.82:
	v_add_co_u32 v63, vcc_lo, v60, v66
	v_add_co_ci_u32_e64 v64, null, v61, v67, vcc_lo
	flat_load_dword v63, v[63:64]
	s_waitcnt vmcnt(0) lgkmcnt(0)
	v_mul_f32_e32 v65, s3, v63
	v_add_co_u32 v63, vcc_lo, v58, v66
	v_add_co_ci_u32_e64 v64, null, v59, v67, vcc_lo
	v_add_co_u32 v127, vcc_lo, v60, v0
	v_min_f32_e32 v62, v65, v62
	v_add_co_ci_u32_e64 v128, null, v61, v1, vcc_lo
	flat_store_dword v[63:64], v62
	flat_load_dword v62, v[127:128]
	s_waitcnt vmcnt(0) lgkmcnt(0)
	v_mul_f32_e32 v63, s3, v62
.LBB23_83:
	v_add_f32_e32 v62, v31, v55
	v_add_f32_e32 v64, v30, v54
	v_add_f32_e32 v65, v33, v57
	v_add_f32_e32 v127, v32, v56
	v_add_f32_e32 v128, v27, v55
	v_add_f32_e32 v129, v26, v54
	v_min3_f32 v62, v64, v62, v126
	v_add_f32_e32 v126, v28, v56
	v_min_f32_e32 v64, v127, v65
	s_mov_b32 s6, -1
	v_min3_f32 v65, v129, v128, v125
	v_add_f32_e32 v125, v29, v57
	v_min3_f32 v64, v63, v64, v62
	v_add_co_u32 v62, vcc_lo, v58, v0
	v_add_co_ci_u32_e64 v63, null, v59, v1, vcc_lo
	v_min3_f32 v65, v126, v125, v65
	s_mov_b32 vcc_lo, s0
	flat_store_dword v[62:63], v64
	v_max_f32_e32 v62, v65, v65
	s_cbranch_vccz .LBB23_85
; %bb.84:
	v_add_co_u32 v63, vcc_lo, v58, v70
	v_min_f32_e32 v65, 0, v62
	v_add_co_ci_u32_e64 v64, null, v59, v71, vcc_lo
	s_mov_b32 s6, 0
	flat_store_dword v[63:64], v65
.LBB23_85:
	v_mov_b32_e32 v63, 0
	s_andn2_b32 vcc_lo, exec_lo, s6
	s_cbranch_vccnz .LBB23_87
; %bb.86:
	v_add_co_u32 v63, vcc_lo, v60, v70
	v_add_co_ci_u32_e64 v64, null, v61, v71, vcc_lo
	flat_load_dword v63, v[63:64]
	s_waitcnt vmcnt(0) lgkmcnt(0)
	v_mul_f32_e32 v65, s3, v63
	v_add_co_u32 v63, vcc_lo, v58, v70
	v_add_co_ci_u32_e64 v64, null, v59, v71, vcc_lo
	v_add_co_u32 v125, vcc_lo, v60, v68
	v_min_f32_e32 v62, v65, v62
	v_add_co_ci_u32_e64 v126, null, v61, v69, vcc_lo
	flat_store_dword v[63:64], v62
	flat_load_dword v62, v[125:126]
	s_waitcnt vmcnt(0) lgkmcnt(0)
	v_mul_f32_e32 v63, s3, v62
.LBB23_87:
	v_add_f32_e32 v62, v23, v55
	v_add_f32_e32 v64, v22, v54
	v_add_f32_e32 v65, v25, v57
	v_add_f32_e32 v125, v24, v56
	v_add_f32_e32 v126, v19, v55
	v_add_f32_e32 v127, v18, v54
	v_min3_f32 v62, v64, v62, v123
	v_add_f32_e32 v123, v21, v57
	v_min_f32_e32 v64, v125, v65
	s_mov_b32 s6, -1
	v_min3_f32 v65, v127, v126, v124
	v_add_f32_e32 v124, v20, v56
	v_min3_f32 v64, v63, v64, v62
	v_add_co_u32 v62, vcc_lo, v58, v68
	v_add_co_ci_u32_e64 v63, null, v59, v69, vcc_lo
	v_min3_f32 v65, v124, v123, v65
	s_mov_b32 vcc_lo, s0
	flat_store_dword v[62:63], v64
	v_max_f32_e32 v62, v65, v65
	;; [unrolled: 46-line block ×3, first 2 shown]
	s_cbranch_vccz .LBB23_93
; %bb.92:
	v_add_co_u32 v63, vcc_lo, v58, v76
	v_min_f32_e32 v65, 0, v62
	v_add_co_ci_u32_e64 v64, null, v59, v77, vcc_lo
	s_mov_b32 s6, 0
	flat_store_dword v[63:64], v65
.LBB23_93:
	v_mov_b32_e32 v63, 0
	s_andn2_b32 vcc_lo, exec_lo, s6
	s_cbranch_vccnz .LBB23_95
; %bb.94:
	v_add_co_u32 v63, vcc_lo, v60, v76
	v_add_co_ci_u32_e64 v64, null, v61, v77, vcc_lo
	flat_load_dword v63, v[63:64]
	s_waitcnt vmcnt(0) lgkmcnt(0)
	v_mul_f32_e32 v65, s3, v63
	v_add_co_u32 v63, vcc_lo, v58, v76
	v_add_co_ci_u32_e64 v64, null, v59, v77, vcc_lo
	v_add_co_u32 v60, vcc_lo, v60, v78
	v_min_f32_e32 v62, v65, v62
	v_add_co_ci_u32_e64 v61, null, v61, v79, vcc_lo
	flat_store_dword v[63:64], v62
	flat_load_dword v60, v[60:61]
	s_waitcnt vmcnt(0) lgkmcnt(0)
	v_mul_f32_e32 v63, s3, v60
.LBB23_95:
	v_add_f32_e32 v55, v3, v55
	v_add_f32_e32 v54, v2, v54
	;; [unrolled: 1-line block ×6, first 2 shown]
	v_min3_f32 v54, v54, v55, v119
	v_add_f32_e32 v62, v36, v52
	v_min_f32_e32 v55, v56, v57
	v_add_nc_u32_e32 v56, 0x60, v139
	v_min3_f32 v60, v61, v60, v120
	v_add_f32_e32 v61, v37, v53
	v_add_co_u32 v58, vcc_lo, v58, v78
	v_min3_f32 v63, v63, v55, v54
	v_mad_i64_i32 v[54:55], null, v56, s2, 0
	v_mad_i64_i32 v[56:57], null, v56, s1, 0
	v_add_co_ci_u32_e64 v59, null, v59, v79, vcc_lo
	v_min3_f32 v60, v62, v61, v60
	s_mov_b32 s6, -1
	v_lshlrev_b64 v[54:55], 2, v[54:55]
	flat_store_dword v[58:59], v63
	v_lshlrev_b64 v[56:57], 2, v[56:57]
	v_max_f32_e32 v58, v60, v60
	v_add_co_u32 v54, vcc_lo, s4, v54
	v_add_co_ci_u32_e64 v55, null, s5, v55, vcc_lo
	v_add_co_u32 v56, vcc_lo, s12, v56
	v_add_co_ci_u32_e64 v57, null, s13, v57, vcc_lo
	s_mov_b32 vcc_lo, s0
	s_cbranch_vccz .LBB23_97
; %bb.96:
	v_add_co_u32 v59, vcc_lo, v54, v66
	v_min_f32_e32 v61, 0, v58
	v_add_co_ci_u32_e64 v60, null, v55, v67, vcc_lo
	s_mov_b32 s6, 0
	flat_store_dword v[59:60], v61
.LBB23_97:
	v_mov_b32_e32 v59, 0
	s_andn2_b32 vcc_lo, exec_lo, s6
	s_cbranch_vccnz .LBB23_99
; %bb.98:
	v_add_co_u32 v59, vcc_lo, v56, v66
	v_add_co_ci_u32_e64 v60, null, v57, v67, vcc_lo
	flat_load_dword v59, v[59:60]
	s_waitcnt vmcnt(0) lgkmcnt(0)
	v_mul_f32_e32 v61, s3, v59
	v_add_co_u32 v59, vcc_lo, v54, v66
	v_add_co_ci_u32_e64 v60, null, v55, v67, vcc_lo
	v_min_f32_e32 v58, v61, v58
	v_add_co_u32 v61, vcc_lo, v56, v0
	v_add_co_ci_u32_e64 v62, null, v57, v1, vcc_lo
	flat_store_dword v[59:60], v58
	flat_load_dword v58, v[61:62]
	s_waitcnt vmcnt(0) lgkmcnt(0)
	v_mul_f32_e32 v59, s3, v58
.LBB23_99:
	v_add_f32_e32 v58, v31, v51
	v_add_f32_e32 v60, v30, v50
	v_add_f32_e32 v61, v33, v53
	v_add_f32_e32 v62, v32, v52
	v_add_f32_e32 v63, v27, v51
	v_add_f32_e32 v64, v26, v50
	v_min3_f32 v58, v60, v58, v117
	s_mov_b32 s6, -1
	v_min_f32_e32 v60, v62, v61
	v_add_f32_e32 v62, v29, v53
	v_min3_f32 v61, v64, v63, v118
	v_add_f32_e32 v63, v28, v52
	v_min3_f32 v60, v59, v60, v58
	v_add_co_u32 v58, vcc_lo, v54, v0
	v_add_co_ci_u32_e64 v59, null, v55, v1, vcc_lo
	v_min3_f32 v61, v63, v62, v61
	s_mov_b32 vcc_lo, s0
	flat_store_dword v[58:59], v60
	v_max_f32_e32 v58, v61, v61
	s_cbranch_vccz .LBB23_101
; %bb.100:
	v_add_co_u32 v59, vcc_lo, v54, v70
	v_min_f32_e32 v61, 0, v58
	v_add_co_ci_u32_e64 v60, null, v55, v71, vcc_lo
	s_mov_b32 s6, 0
	flat_store_dword v[59:60], v61
.LBB23_101:
	v_mov_b32_e32 v59, 0
	s_andn2_b32 vcc_lo, exec_lo, s6
	s_cbranch_vccnz .LBB23_103
; %bb.102:
	v_add_co_u32 v59, vcc_lo, v56, v70
	v_add_co_ci_u32_e64 v60, null, v57, v71, vcc_lo
	flat_load_dword v59, v[59:60]
	s_waitcnt vmcnt(0) lgkmcnt(0)
	v_mul_f32_e32 v61, s3, v59
	v_add_co_u32 v59, vcc_lo, v54, v70
	v_add_co_ci_u32_e64 v60, null, v55, v71, vcc_lo
	v_min_f32_e32 v58, v61, v58
	v_add_co_u32 v61, vcc_lo, v56, v68
	v_add_co_ci_u32_e64 v62, null, v57, v69, vcc_lo
	flat_store_dword v[59:60], v58
	flat_load_dword v58, v[61:62]
	s_waitcnt vmcnt(0) lgkmcnt(0)
	v_mul_f32_e32 v59, s3, v58
.LBB23_103:
	v_add_f32_e32 v58, v23, v51
	v_add_f32_e32 v60, v22, v50
	v_add_f32_e32 v61, v25, v53
	v_add_f32_e32 v62, v24, v52
	v_add_f32_e32 v63, v19, v51
	v_add_f32_e32 v64, v18, v50
	v_min3_f32 v58, v60, v58, v116
	s_mov_b32 s6, -1
	v_min_f32_e32 v60, v62, v61
	v_add_f32_e32 v62, v21, v53
	v_min3_f32 v61, v64, v63, v115
	v_add_f32_e32 v63, v20, v52
	v_min3_f32 v60, v59, v60, v58
	v_add_co_u32 v58, vcc_lo, v54, v68
	v_add_co_ci_u32_e64 v59, null, v55, v69, vcc_lo
	v_min3_f32 v61, v63, v62, v61
	s_mov_b32 vcc_lo, s0
	flat_store_dword v[58:59], v60
	v_max_f32_e32 v58, v61, v61
	s_cbranch_vccz .LBB23_105
; %bb.104:
	v_add_co_u32 v59, vcc_lo, v54, v74
	v_min_f32_e32 v61, 0, v58
	v_add_co_ci_u32_e64 v60, null, v55, v75, vcc_lo
	s_mov_b32 s6, 0
	flat_store_dword v[59:60], v61
.LBB23_105:
	v_mov_b32_e32 v59, 0
	s_andn2_b32 vcc_lo, exec_lo, s6
	s_cbranch_vccnz .LBB23_107
; %bb.106:
	v_add_co_u32 v59, vcc_lo, v56, v74
	v_add_co_ci_u32_e64 v60, null, v57, v75, vcc_lo
	flat_load_dword v59, v[59:60]
	s_waitcnt vmcnt(0) lgkmcnt(0)
	v_mul_f32_e32 v61, s3, v59
	v_add_co_u32 v59, vcc_lo, v54, v74
	v_add_co_ci_u32_e64 v60, null, v55, v75, vcc_lo
	v_min_f32_e32 v58, v61, v58
	v_add_co_u32 v61, vcc_lo, v56, v72
	v_add_co_ci_u32_e64 v62, null, v57, v73, vcc_lo
	flat_store_dword v[59:60], v58
	flat_load_dword v58, v[61:62]
	s_waitcnt vmcnt(0) lgkmcnt(0)
	v_mul_f32_e32 v59, s3, v58
.LBB23_107:
	v_add_f32_e32 v58, v15, v51
	v_add_f32_e32 v60, v14, v50
	v_add_f32_e32 v61, v17, v53
	v_add_f32_e32 v62, v16, v52
	v_add_f32_e32 v63, v11, v51
	v_add_f32_e32 v64, v10, v50
	v_min3_f32 v58, v60, v58, v113
	s_mov_b32 s6, -1
	v_min_f32_e32 v60, v62, v61
	v_add_f32_e32 v62, v13, v53
	v_min3_f32 v61, v64, v63, v114
	v_add_f32_e32 v63, v12, v52
	v_min3_f32 v60, v59, v60, v58
	v_add_co_u32 v58, vcc_lo, v54, v72
	v_add_co_ci_u32_e64 v59, null, v55, v73, vcc_lo
	v_min3_f32 v61, v63, v62, v61
	s_mov_b32 vcc_lo, s0
	flat_store_dword v[58:59], v60
	v_max_f32_e32 v58, v61, v61
	s_cbranch_vccz .LBB23_109
; %bb.108:
	v_add_co_u32 v59, vcc_lo, v54, v76
	v_min_f32_e32 v61, 0, v58
	v_add_co_ci_u32_e64 v60, null, v55, v77, vcc_lo
	s_mov_b32 s6, 0
	flat_store_dword v[59:60], v61
.LBB23_109:
	v_mov_b32_e32 v59, 0
	s_andn2_b32 vcc_lo, exec_lo, s6
	s_cbranch_vccnz .LBB23_111
; %bb.110:
	v_add_co_u32 v59, vcc_lo, v56, v76
	v_add_co_ci_u32_e64 v60, null, v57, v77, vcc_lo
	flat_load_dword v59, v[59:60]
	s_waitcnt vmcnt(0) lgkmcnt(0)
	v_mul_f32_e32 v61, s3, v59
	v_add_co_u32 v59, vcc_lo, v54, v76
	v_add_co_ci_u32_e64 v60, null, v55, v77, vcc_lo
	v_add_co_u32 v56, vcc_lo, v56, v78
	v_min_f32_e32 v58, v61, v58
	v_add_co_ci_u32_e64 v57, null, v57, v79, vcc_lo
	flat_store_dword v[59:60], v58
	flat_load_dword v56, v[56:57]
	s_waitcnt vmcnt(0) lgkmcnt(0)
	v_mul_f32_e32 v59, s3, v56
.LBB23_111:
	v_add_f32_e32 v51, v3, v51
	v_add_f32_e32 v50, v2, v50
	;; [unrolled: 1-line block ×6, first 2 shown]
	v_min3_f32 v50, v50, v51, v111
	v_add_f32_e32 v58, v36, v48
	v_min_f32_e32 v51, v52, v53
	v_add_nc_u32_e32 v52, 0x80, v139
	v_min3_f32 v56, v57, v56, v112
	v_add_f32_e32 v57, v37, v49
	v_add_co_u32 v54, vcc_lo, v54, v78
	v_min3_f32 v59, v59, v51, v50
	v_mad_i64_i32 v[50:51], null, v52, s2, 0
	v_mad_i64_i32 v[52:53], null, v52, s1, 0
	v_add_co_ci_u32_e64 v55, null, v55, v79, vcc_lo
	v_min3_f32 v56, v58, v57, v56
	s_mov_b32 s6, -1
	v_lshlrev_b64 v[50:51], 2, v[50:51]
	flat_store_dword v[54:55], v59
	v_lshlrev_b64 v[52:53], 2, v[52:53]
	v_max_f32_e32 v54, v56, v56
	v_add_co_u32 v50, vcc_lo, s4, v50
	v_add_co_ci_u32_e64 v51, null, s5, v51, vcc_lo
	v_add_co_u32 v52, vcc_lo, s12, v52
	v_add_co_ci_u32_e64 v53, null, s13, v53, vcc_lo
	s_mov_b32 vcc_lo, s0
	s_cbranch_vccz .LBB23_113
; %bb.112:
	v_add_co_u32 v55, vcc_lo, v50, v66
	v_min_f32_e32 v57, 0, v54
	v_add_co_ci_u32_e64 v56, null, v51, v67, vcc_lo
	s_mov_b32 s6, 0
	flat_store_dword v[55:56], v57
.LBB23_113:
	v_mov_b32_e32 v55, 0
	s_andn2_b32 vcc_lo, exec_lo, s6
	s_cbranch_vccnz .LBB23_115
; %bb.114:
	v_add_co_u32 v55, vcc_lo, v52, v66
	v_add_co_ci_u32_e64 v56, null, v53, v67, vcc_lo
	flat_load_dword v55, v[55:56]
	s_waitcnt vmcnt(0) lgkmcnt(0)
	v_mul_f32_e32 v57, s3, v55
	v_add_co_u32 v55, vcc_lo, v50, v66
	v_add_co_ci_u32_e64 v56, null, v51, v67, vcc_lo
	v_min_f32_e32 v54, v57, v54
	v_add_co_u32 v57, vcc_lo, v52, v0
	v_add_co_ci_u32_e64 v58, null, v53, v1, vcc_lo
	flat_store_dword v[55:56], v54
	flat_load_dword v54, v[57:58]
	s_waitcnt vmcnt(0) lgkmcnt(0)
	v_mul_f32_e32 v55, s3, v54
.LBB23_115:
	v_add_f32_e32 v54, v31, v47
	v_add_f32_e32 v56, v30, v46
	v_add_f32_e32 v57, v33, v49
	v_add_f32_e32 v58, v32, v48
	v_add_f32_e32 v59, v27, v47
	v_add_f32_e32 v60, v26, v46
	v_min3_f32 v54, v56, v54, v109
	s_mov_b32 s6, -1
	v_min_f32_e32 v56, v58, v57
	v_add_f32_e32 v58, v29, v49
	v_min3_f32 v57, v60, v59, v110
	v_add_f32_e32 v59, v28, v48
	v_min3_f32 v56, v55, v56, v54
	v_add_co_u32 v54, vcc_lo, v50, v0
	v_add_co_ci_u32_e64 v55, null, v51, v1, vcc_lo
	v_min3_f32 v57, v59, v58, v57
	s_mov_b32 vcc_lo, s0
	flat_store_dword v[54:55], v56
	v_max_f32_e32 v54, v57, v57
	s_cbranch_vccz .LBB23_117
; %bb.116:
	v_add_co_u32 v55, vcc_lo, v50, v70
	v_min_f32_e32 v57, 0, v54
	v_add_co_ci_u32_e64 v56, null, v51, v71, vcc_lo
	s_mov_b32 s6, 0
	flat_store_dword v[55:56], v57
.LBB23_117:
	v_mov_b32_e32 v55, 0
	s_andn2_b32 vcc_lo, exec_lo, s6
	s_cbranch_vccnz .LBB23_119
; %bb.118:
	v_add_co_u32 v55, vcc_lo, v52, v70
	v_add_co_ci_u32_e64 v56, null, v53, v71, vcc_lo
	flat_load_dword v55, v[55:56]
	s_waitcnt vmcnt(0) lgkmcnt(0)
	v_mul_f32_e32 v57, s3, v55
	v_add_co_u32 v55, vcc_lo, v50, v70
	v_add_co_ci_u32_e64 v56, null, v51, v71, vcc_lo
	v_min_f32_e32 v54, v57, v54
	v_add_co_u32 v57, vcc_lo, v52, v68
	v_add_co_ci_u32_e64 v58, null, v53, v69, vcc_lo
	flat_store_dword v[55:56], v54
	flat_load_dword v54, v[57:58]
	s_waitcnt vmcnt(0) lgkmcnt(0)
	v_mul_f32_e32 v55, s3, v54
.LBB23_119:
	v_add_f32_e32 v54, v23, v47
	v_add_f32_e32 v56, v22, v46
	v_add_f32_e32 v57, v25, v49
	v_add_f32_e32 v58, v24, v48
	v_add_f32_e32 v59, v19, v47
	v_add_f32_e32 v60, v18, v46
	v_min3_f32 v54, v56, v54, v107
	s_mov_b32 s6, -1
	v_min_f32_e32 v56, v58, v57
	v_add_f32_e32 v58, v21, v49
	v_min3_f32 v57, v60, v59, v108
	v_add_f32_e32 v59, v20, v48
	v_min3_f32 v56, v55, v56, v54
	v_add_co_u32 v54, vcc_lo, v50, v68
	v_add_co_ci_u32_e64 v55, null, v51, v69, vcc_lo
	v_min3_f32 v57, v59, v58, v57
	s_mov_b32 vcc_lo, s0
	flat_store_dword v[54:55], v56
	v_max_f32_e32 v54, v57, v57
	;; [unrolled: 46-line block ×3, first 2 shown]
	s_cbranch_vccz .LBB23_125
; %bb.124:
	v_add_co_u32 v55, vcc_lo, v50, v76
	v_min_f32_e32 v57, 0, v54
	v_add_co_ci_u32_e64 v56, null, v51, v77, vcc_lo
	s_mov_b32 s6, 0
	flat_store_dword v[55:56], v57
.LBB23_125:
	v_mov_b32_e32 v55, 0
	s_andn2_b32 vcc_lo, exec_lo, s6
	s_cbranch_vccnz .LBB23_127
; %bb.126:
	v_add_co_u32 v55, vcc_lo, v52, v76
	v_add_co_ci_u32_e64 v56, null, v53, v77, vcc_lo
	flat_load_dword v55, v[55:56]
	s_waitcnt vmcnt(0) lgkmcnt(0)
	v_mul_f32_e32 v57, s3, v55
	v_add_co_u32 v55, vcc_lo, v50, v76
	v_add_co_ci_u32_e64 v56, null, v51, v77, vcc_lo
	v_add_co_u32 v52, vcc_lo, v52, v78
	v_min_f32_e32 v54, v57, v54
	v_add_co_ci_u32_e64 v53, null, v53, v79, vcc_lo
	flat_store_dword v[55:56], v54
	flat_load_dword v52, v[52:53]
	s_waitcnt vmcnt(0) lgkmcnt(0)
	v_mul_f32_e32 v55, s3, v52
.LBB23_127:
	v_add_f32_e32 v47, v3, v47
	v_add_f32_e32 v46, v2, v46
	;; [unrolled: 1-line block ×6, first 2 shown]
	v_min3_f32 v46, v46, v47, v103
	v_add_f32_e32 v54, v36, v44
	v_min_f32_e32 v47, v48, v49
	v_add_nc_u32_e32 v48, 0xa0, v139
	v_min3_f32 v52, v53, v52, v104
	v_add_f32_e32 v53, v37, v45
	v_add_co_u32 v50, vcc_lo, v50, v78
	v_min3_f32 v55, v55, v47, v46
	v_mad_i64_i32 v[46:47], null, v48, s2, 0
	v_mad_i64_i32 v[48:49], null, v48, s1, 0
	v_add_co_ci_u32_e64 v51, null, v51, v79, vcc_lo
	v_min3_f32 v52, v54, v53, v52
	s_mov_b32 s6, -1
	v_lshlrev_b64 v[46:47], 2, v[46:47]
	flat_store_dword v[50:51], v55
	v_lshlrev_b64 v[48:49], 2, v[48:49]
	v_max_f32_e32 v50, v52, v52
	v_add_co_u32 v46, vcc_lo, s4, v46
	v_add_co_ci_u32_e64 v47, null, s5, v47, vcc_lo
	v_add_co_u32 v48, vcc_lo, s12, v48
	v_add_co_ci_u32_e64 v49, null, s13, v49, vcc_lo
	s_mov_b32 vcc_lo, s0
	s_cbranch_vccz .LBB23_129
; %bb.128:
	v_add_co_u32 v51, vcc_lo, v46, v66
	v_min_f32_e32 v53, 0, v50
	v_add_co_ci_u32_e64 v52, null, v47, v67, vcc_lo
	s_mov_b32 s6, 0
	flat_store_dword v[51:52], v53
.LBB23_129:
	v_mov_b32_e32 v51, 0
	s_andn2_b32 vcc_lo, exec_lo, s6
	s_cbranch_vccnz .LBB23_131
; %bb.130:
	v_add_co_u32 v51, vcc_lo, v48, v66
	v_add_co_ci_u32_e64 v52, null, v49, v67, vcc_lo
	flat_load_dword v51, v[51:52]
	s_waitcnt vmcnt(0) lgkmcnt(0)
	v_mul_f32_e32 v53, s3, v51
	v_add_co_u32 v51, vcc_lo, v46, v66
	v_add_co_ci_u32_e64 v52, null, v47, v67, vcc_lo
	v_min_f32_e32 v50, v53, v50
	v_add_co_u32 v53, vcc_lo, v48, v0
	v_add_co_ci_u32_e64 v54, null, v49, v1, vcc_lo
	flat_store_dword v[51:52], v50
	flat_load_dword v50, v[53:54]
	s_waitcnt vmcnt(0) lgkmcnt(0)
	v_mul_f32_e32 v51, s3, v50
.LBB23_131:
	v_add_f32_e32 v50, v31, v43
	v_add_f32_e32 v52, v30, v42
	v_add_f32_e32 v53, v33, v45
	v_add_f32_e32 v54, v32, v44
	v_add_f32_e32 v55, v27, v43
	v_add_f32_e32 v56, v26, v42
	v_min3_f32 v50, v52, v50, v101
	s_mov_b32 s6, -1
	v_min_f32_e32 v52, v54, v53
	v_add_f32_e32 v54, v29, v45
	v_min3_f32 v53, v56, v55, v102
	v_add_f32_e32 v55, v28, v44
	v_min3_f32 v52, v51, v52, v50
	v_add_co_u32 v50, vcc_lo, v46, v0
	v_add_co_ci_u32_e64 v51, null, v47, v1, vcc_lo
	v_min3_f32 v53, v55, v54, v53
	s_mov_b32 vcc_lo, s0
	flat_store_dword v[50:51], v52
	v_max_f32_e32 v50, v53, v53
	s_cbranch_vccz .LBB23_133
; %bb.132:
	v_add_co_u32 v51, vcc_lo, v46, v70
	v_min_f32_e32 v53, 0, v50
	v_add_co_ci_u32_e64 v52, null, v47, v71, vcc_lo
	s_mov_b32 s6, 0
	flat_store_dword v[51:52], v53
.LBB23_133:
	v_mov_b32_e32 v51, 0
	s_andn2_b32 vcc_lo, exec_lo, s6
	s_cbranch_vccnz .LBB23_135
; %bb.134:
	v_add_co_u32 v51, vcc_lo, v48, v70
	v_add_co_ci_u32_e64 v52, null, v49, v71, vcc_lo
	flat_load_dword v51, v[51:52]
	s_waitcnt vmcnt(0) lgkmcnt(0)
	v_mul_f32_e32 v53, s3, v51
	v_add_co_u32 v51, vcc_lo, v46, v70
	v_add_co_ci_u32_e64 v52, null, v47, v71, vcc_lo
	v_min_f32_e32 v50, v53, v50
	v_add_co_u32 v53, vcc_lo, v48, v68
	v_add_co_ci_u32_e64 v54, null, v49, v69, vcc_lo
	flat_store_dword v[51:52], v50
	flat_load_dword v50, v[53:54]
	s_waitcnt vmcnt(0) lgkmcnt(0)
	v_mul_f32_e32 v51, s3, v50
.LBB23_135:
	v_add_f32_e32 v50, v23, v43
	v_add_f32_e32 v52, v22, v42
	v_add_f32_e32 v53, v25, v45
	v_add_f32_e32 v54, v24, v44
	v_add_f32_e32 v55, v19, v43
	v_add_f32_e32 v56, v18, v42
	v_min3_f32 v50, v52, v50, v99
	s_mov_b32 s6, -1
	v_min_f32_e32 v52, v54, v53
	v_add_f32_e32 v54, v21, v45
	v_min3_f32 v53, v56, v55, v100
	v_add_f32_e32 v55, v20, v44
	v_min3_f32 v52, v51, v52, v50
	v_add_co_u32 v50, vcc_lo, v46, v68
	v_add_co_ci_u32_e64 v51, null, v47, v69, vcc_lo
	v_min3_f32 v53, v55, v54, v53
	s_mov_b32 vcc_lo, s0
	flat_store_dword v[50:51], v52
	v_max_f32_e32 v50, v53, v53
	;; [unrolled: 46-line block ×3, first 2 shown]
	s_cbranch_vccz .LBB23_141
; %bb.140:
	v_add_co_u32 v51, vcc_lo, v46, v76
	v_min_f32_e32 v53, 0, v50
	v_add_co_ci_u32_e64 v52, null, v47, v77, vcc_lo
	s_mov_b32 s6, 0
	flat_store_dword v[51:52], v53
.LBB23_141:
	v_mov_b32_e32 v51, 0
	s_andn2_b32 vcc_lo, exec_lo, s6
	s_cbranch_vccnz .LBB23_143
; %bb.142:
	v_add_co_u32 v51, vcc_lo, v48, v76
	v_add_co_ci_u32_e64 v52, null, v49, v77, vcc_lo
	flat_load_dword v51, v[51:52]
	s_waitcnt vmcnt(0) lgkmcnt(0)
	v_mul_f32_e32 v53, s3, v51
	v_add_co_u32 v51, vcc_lo, v46, v76
	v_add_co_ci_u32_e64 v52, null, v47, v77, vcc_lo
	v_add_co_u32 v48, vcc_lo, v48, v78
	v_min_f32_e32 v50, v53, v50
	v_add_co_ci_u32_e64 v49, null, v49, v79, vcc_lo
	flat_store_dword v[51:52], v50
	flat_load_dword v48, v[48:49]
	s_waitcnt vmcnt(0) lgkmcnt(0)
	v_mul_f32_e32 v51, s3, v48
.LBB23_143:
	v_add_f32_e32 v43, v3, v43
	v_add_f32_e32 v42, v2, v42
	v_add_f32_e32 v45, v5, v45
	v_add_f32_e32 v44, v4, v44
	s_waitcnt lgkmcnt(24)
	v_add_f32_e32 v48, v35, v39
	v_add_f32_e32 v49, v34, v38
	v_min3_f32 v42, v42, v43, v95
	v_add_f32_e32 v50, v36, v40
	v_min_f32_e32 v43, v44, v45
	v_add_nc_u32_e32 v44, 0xc0, v139
	v_min3_f32 v48, v49, v48, v96
	v_add_f32_e32 v49, v37, v41
	v_add_co_u32 v46, vcc_lo, v46, v78
	v_min3_f32 v51, v51, v43, v42
	v_mad_i64_i32 v[42:43], null, v44, s2, 0
	v_mad_i64_i32 v[44:45], null, v44, s1, 0
	v_add_co_ci_u32_e64 v47, null, v47, v79, vcc_lo
	v_min3_f32 v48, v50, v49, v48
	s_mov_b32 s6, -1
	v_lshlrev_b64 v[42:43], 2, v[42:43]
	flat_store_dword v[46:47], v51
	v_lshlrev_b64 v[44:45], 2, v[44:45]
	v_max_f32_e32 v46, v48, v48
	v_add_co_u32 v42, vcc_lo, s4, v42
	v_add_co_ci_u32_e64 v43, null, s5, v43, vcc_lo
	v_add_co_u32 v44, vcc_lo, s12, v44
	v_add_co_ci_u32_e64 v45, null, s13, v45, vcc_lo
	s_mov_b32 vcc_lo, s0
	s_cbranch_vccz .LBB23_145
; %bb.144:
	v_add_co_u32 v47, vcc_lo, v42, v66
	v_min_f32_e32 v49, 0, v46
	v_add_co_ci_u32_e64 v48, null, v43, v67, vcc_lo
	s_mov_b32 s6, 0
	flat_store_dword v[47:48], v49
.LBB23_145:
	v_mov_b32_e32 v47, 0
	s_andn2_b32 vcc_lo, exec_lo, s6
	s_cbranch_vccnz .LBB23_147
; %bb.146:
	v_add_co_u32 v47, vcc_lo, v44, v66
	v_add_co_ci_u32_e64 v48, null, v45, v67, vcc_lo
	flat_load_dword v47, v[47:48]
	s_waitcnt vmcnt(0) lgkmcnt(0)
	v_mul_f32_e32 v49, s3, v47
	v_add_co_u32 v47, vcc_lo, v42, v66
	v_add_co_ci_u32_e64 v48, null, v43, v67, vcc_lo
	v_min_f32_e32 v46, v49, v46
	v_add_co_u32 v49, vcc_lo, v44, v0
	v_add_co_ci_u32_e64 v50, null, v45, v1, vcc_lo
	flat_store_dword v[47:48], v46
	flat_load_dword v46, v[49:50]
	s_waitcnt vmcnt(0) lgkmcnt(0)
	v_mul_f32_e32 v47, s3, v46
.LBB23_147:
	v_add_f32_e32 v46, v31, v39
	v_add_f32_e32 v48, v30, v38
	v_add_f32_e32 v49, v33, v41
	v_add_f32_e32 v50, v32, v40
	v_add_f32_e32 v51, v27, v39
	v_add_f32_e32 v52, v26, v38
	v_min3_f32 v46, v48, v46, v93
	s_mov_b32 s6, -1
	v_min_f32_e32 v48, v50, v49
	v_add_f32_e32 v50, v29, v41
	v_min3_f32 v49, v52, v51, v94
	v_add_f32_e32 v51, v28, v40
	v_min3_f32 v48, v47, v48, v46
	v_add_co_u32 v46, vcc_lo, v42, v0
	v_add_co_ci_u32_e64 v47, null, v43, v1, vcc_lo
	v_min3_f32 v49, v51, v50, v49
	s_mov_b32 vcc_lo, s0
	flat_store_dword v[46:47], v48
	v_max_f32_e32 v46, v49, v49
	s_cbranch_vccz .LBB23_149
; %bb.148:
	v_add_co_u32 v47, vcc_lo, v42, v70
	v_min_f32_e32 v49, 0, v46
	v_add_co_ci_u32_e64 v48, null, v43, v71, vcc_lo
	s_mov_b32 s6, 0
	flat_store_dword v[47:48], v49
.LBB23_149:
	v_mov_b32_e32 v47, 0
	s_andn2_b32 vcc_lo, exec_lo, s6
	s_cbranch_vccnz .LBB23_151
; %bb.150:
	v_add_co_u32 v47, vcc_lo, v44, v70
	v_add_co_ci_u32_e64 v48, null, v45, v71, vcc_lo
	flat_load_dword v47, v[47:48]
	s_waitcnt vmcnt(0) lgkmcnt(0)
	v_mul_f32_e32 v49, s3, v47
	v_add_co_u32 v47, vcc_lo, v42, v70
	v_add_co_ci_u32_e64 v48, null, v43, v71, vcc_lo
	v_min_f32_e32 v46, v49, v46
	v_add_co_u32 v49, vcc_lo, v44, v68
	v_add_co_ci_u32_e64 v50, null, v45, v69, vcc_lo
	flat_store_dword v[47:48], v46
	flat_load_dword v46, v[49:50]
	s_waitcnt vmcnt(0) lgkmcnt(0)
	v_mul_f32_e32 v47, s3, v46
.LBB23_151:
	v_add_f32_e32 v46, v23, v39
	v_add_f32_e32 v48, v22, v38
	v_add_f32_e32 v49, v25, v41
	v_add_f32_e32 v50, v24, v40
	v_add_f32_e32 v51, v19, v39
	v_add_f32_e32 v52, v18, v38
	v_min3_f32 v46, v48, v46, v91
	s_mov_b32 s6, -1
	v_min_f32_e32 v48, v50, v49
	v_add_f32_e32 v50, v21, v41
	v_min3_f32 v49, v52, v51, v92
	v_add_f32_e32 v51, v20, v40
	v_min3_f32 v48, v47, v48, v46
	v_add_co_u32 v46, vcc_lo, v42, v68
	v_add_co_ci_u32_e64 v47, null, v43, v69, vcc_lo
	v_min3_f32 v49, v51, v50, v49
	s_mov_b32 vcc_lo, s0
	flat_store_dword v[46:47], v48
	v_max_f32_e32 v46, v49, v49
	;; [unrolled: 46-line block ×3, first 2 shown]
	s_cbranch_vccz .LBB23_157
; %bb.156:
	v_add_co_u32 v47, vcc_lo, v42, v76
	v_min_f32_e32 v49, 0, v46
	v_add_co_ci_u32_e64 v48, null, v43, v77, vcc_lo
	s_mov_b32 s6, 0
	flat_store_dword v[47:48], v49
.LBB23_157:
	v_mov_b32_e32 v47, 0
	s_andn2_b32 vcc_lo, exec_lo, s6
	s_cbranch_vccnz .LBB23_159
; %bb.158:
	v_add_co_u32 v47, vcc_lo, v44, v76
	v_add_co_ci_u32_e64 v48, null, v45, v77, vcc_lo
	flat_load_dword v47, v[47:48]
	s_waitcnt vmcnt(0) lgkmcnt(0)
	v_mul_f32_e32 v49, s3, v47
	v_add_co_u32 v47, vcc_lo, v42, v76
	v_add_co_ci_u32_e64 v48, null, v43, v77, vcc_lo
	v_add_co_u32 v44, vcc_lo, v44, v78
	v_min_f32_e32 v46, v49, v46
	v_add_co_ci_u32_e64 v45, null, v45, v79, vcc_lo
	flat_store_dword v[47:48], v46
	flat_load_dword v44, v[44:45]
	s_waitcnt vmcnt(0) lgkmcnt(0)
	v_mul_f32_e32 v47, s3, v44
.LBB23_159:
	v_add_f32_e32 v39, v3, v39
	v_add_f32_e32 v38, v2, v38
	;; [unrolled: 1-line block ×4, first 2 shown]
	s_waitcnt lgkmcnt(27)
	v_add_f32_e32 v35, v35, v7
	v_add_f32_e32 v34, v34, v6
	v_min3_f32 v38, v38, v39, v87
	v_add_f32_e32 v44, v37, v9
	v_min_f32_e32 v39, v40, v41
	v_add_nc_u32_e32 v41, 0xe0, v139
	v_min3_f32 v40, v34, v35, v88
	v_add_f32_e32 v45, v36, v8
	v_min3_f32 v46, v47, v39, v38
	v_mad_i64_i32 v[34:35], null, v41, s2, 0
	v_mad_i64_i32 v[36:37], null, v41, s1, 0
	v_add_co_u32 v38, vcc_lo, v42, v78
	v_add_co_ci_u32_e64 v39, null, v43, v79, vcc_lo
	v_lshlrev_b64 v[34:35], 2, v[34:35]
	v_min3_f32 v40, v45, v44, v40
	v_lshlrev_b64 v[36:37], 2, v[36:37]
	flat_store_dword v[38:39], v46
	s_mov_b32 s1, -1
	v_add_co_u32 v34, vcc_lo, s4, v34
	v_add_co_ci_u32_e64 v35, null, s5, v35, vcc_lo
	v_add_co_u32 v36, vcc_lo, s12, v36
	v_add_co_ci_u32_e64 v37, null, s13, v37, vcc_lo
	v_max_f32_e32 v38, v40, v40
	s_mov_b32 vcc_lo, s0
	s_cbranch_vccz .LBB23_161
; %bb.160:
	v_add_co_u32 v39, vcc_lo, v34, v66
	v_min_f32_e32 v41, 0, v38
	v_add_co_ci_u32_e64 v40, null, v35, v67, vcc_lo
	s_mov_b32 s1, 0
	flat_store_dword v[39:40], v41
.LBB23_161:
	v_mov_b32_e32 v39, 0
	s_andn2_b32 vcc_lo, exec_lo, s1
	s_cbranch_vccnz .LBB23_163
; %bb.162:
	v_add_co_u32 v39, vcc_lo, v36, v66
	v_add_co_ci_u32_e64 v40, null, v37, v67, vcc_lo
	flat_load_dword v39, v[39:40]
	s_waitcnt vmcnt(0) lgkmcnt(0)
	v_mul_f32_e32 v41, s3, v39
	v_add_co_u32 v39, vcc_lo, v34, v66
	v_add_co_ci_u32_e64 v40, null, v35, v67, vcc_lo
	v_min_f32_e32 v38, v41, v38
	v_add_co_u32 v41, vcc_lo, v36, v0
	v_add_co_ci_u32_e64 v42, null, v37, v1, vcc_lo
	flat_store_dword v[39:40], v38
	flat_load_dword v38, v[41:42]
	s_waitcnt vmcnt(0) lgkmcnt(0)
	v_mul_f32_e32 v39, s3, v38
.LBB23_163:
	v_add_f32_e32 v31, v31, v7
	v_add_f32_e32 v30, v30, v6
	;; [unrolled: 1-line block ×6, first 2 shown]
	v_min3_f32 v30, v30, v31, v86
	v_add_f32_e32 v28, v28, v8
	v_min_f32_e32 v31, v32, v33
	v_add_co_u32 v0, vcc_lo, v34, v0
	v_min3_f32 v26, v26, v27, v85
	v_add_f32_e32 v27, v29, v9
	v_min3_f32 v29, v39, v31, v30
	v_add_co_ci_u32_e64 v1, null, v35, v1, vcc_lo
	s_mov_b32 s1, -1
	v_min3_f32 v26, v28, v27, v26
	s_mov_b32 vcc_lo, s0
	flat_store_dword v[0:1], v29
	v_max_f32_e32 v0, v26, v26
	s_cbranch_vccz .LBB23_165
; %bb.164:
	v_add_co_u32 v26, vcc_lo, v34, v70
	v_min_f32_e32 v1, 0, v0
	v_add_co_ci_u32_e64 v27, null, v35, v71, vcc_lo
	s_mov_b32 s1, 0
	flat_store_dword v[26:27], v1
.LBB23_165:
	v_mov_b32_e32 v1, 0
	s_andn2_b32 vcc_lo, exec_lo, s1
	s_cbranch_vccnz .LBB23_167
; %bb.166:
	v_add_co_u32 v26, vcc_lo, v36, v70
	v_add_co_ci_u32_e64 v27, null, v37, v71, vcc_lo
	flat_load_dword v1, v[26:27]
	v_add_co_u32 v26, vcc_lo, v34, v70
	v_add_co_ci_u32_e64 v27, null, v35, v71, vcc_lo
	s_waitcnt vmcnt(0) lgkmcnt(0)
	v_mul_f32_e32 v1, s3, v1
	v_min_f32_e32 v28, v1, v0
	v_add_co_u32 v0, vcc_lo, v36, v68
	v_add_co_ci_u32_e64 v1, null, v37, v69, vcc_lo
	flat_store_dword v[26:27], v28
	flat_load_dword v0, v[0:1]
	s_waitcnt vmcnt(0) lgkmcnt(0)
	v_mul_f32_e32 v1, s3, v0
.LBB23_167:
	v_add_f32_e32 v0, v23, v7
	v_add_f32_e32 v22, v22, v6
	;; [unrolled: 1-line block ×6, first 2 shown]
	v_min3_f32 v0, v22, v0, v82
	v_add_f32_e32 v20, v20, v8
	v_min_f32_e32 v22, v24, v23
	s_mov_b32 s1, -1
	v_min3_f32 v18, v18, v19, v83
	v_add_f32_e32 v19, v21, v9
	v_min3_f32 v21, v1, v22, v0
	v_add_co_u32 v0, vcc_lo, v34, v68
	v_add_co_ci_u32_e64 v1, null, v35, v69, vcc_lo
	v_min3_f32 v18, v20, v19, v18
	s_mov_b32 vcc_lo, s0
	flat_store_dword v[0:1], v21
	v_max_f32_e32 v0, v18, v18
	s_cbranch_vccz .LBB23_169
; %bb.168:
	v_add_co_u32 v18, vcc_lo, v34, v74
	v_min_f32_e32 v1, 0, v0
	v_add_co_ci_u32_e64 v19, null, v35, v75, vcc_lo
	s_mov_b32 s1, 0
	flat_store_dword v[18:19], v1
.LBB23_169:
	v_mov_b32_e32 v1, 0
	s_andn2_b32 vcc_lo, exec_lo, s1
	s_cbranch_vccnz .LBB23_171
; %bb.170:
	v_add_co_u32 v18, vcc_lo, v36, v74
	v_add_co_ci_u32_e64 v19, null, v37, v75, vcc_lo
	flat_load_dword v1, v[18:19]
	v_add_co_u32 v18, vcc_lo, v34, v74
	v_add_co_ci_u32_e64 v19, null, v35, v75, vcc_lo
	s_waitcnt vmcnt(0) lgkmcnt(0)
	v_mul_f32_e32 v1, s3, v1
	v_min_f32_e32 v20, v1, v0
	v_add_co_u32 v0, vcc_lo, v36, v72
	v_add_co_ci_u32_e64 v1, null, v37, v73, vcc_lo
	flat_store_dword v[18:19], v20
	flat_load_dword v0, v[0:1]
	s_waitcnt vmcnt(0) lgkmcnt(0)
	v_mul_f32_e32 v1, s3, v0
.LBB23_171:
	v_add_f32_e32 v0, v15, v7
	v_add_f32_e32 v14, v14, v6
	;; [unrolled: 1-line block ×6, first 2 shown]
	v_min3_f32 v0, v14, v0, v80
	v_add_f32_e32 v12, v12, v8
	v_min_f32_e32 v14, v16, v15
	s_mov_b32 s1, -1
	v_min3_f32 v10, v10, v11, v81
	v_add_f32_e32 v11, v13, v9
	v_min3_f32 v13, v1, v14, v0
	v_add_co_u32 v0, vcc_lo, v34, v72
	v_add_co_ci_u32_e64 v1, null, v35, v73, vcc_lo
	v_min3_f32 v10, v12, v11, v10
	s_mov_b32 vcc_lo, s0
	flat_store_dword v[0:1], v13
	v_max_f32_e32 v0, v10, v10
	s_cbranch_vccz .LBB23_173
; %bb.172:
	v_add_co_u32 v10, vcc_lo, v34, v76
	v_min_f32_e32 v1, 0, v0
	v_add_co_ci_u32_e64 v11, null, v35, v77, vcc_lo
	s_mov_b32 s1, 0
	flat_store_dword v[10:11], v1
.LBB23_173:
	v_mov_b32_e32 v1, 0
	s_andn2_b32 vcc_lo, exec_lo, s1
	s_cbranch_vccnz .LBB23_175
; %bb.174:
	v_add_co_u32 v10, vcc_lo, v36, v76
	v_add_co_ci_u32_e64 v11, null, v37, v77, vcc_lo
	flat_load_dword v1, v[10:11]
	v_add_co_u32 v10, vcc_lo, v34, v76
	v_add_co_ci_u32_e64 v11, null, v35, v77, vcc_lo
	s_waitcnt vmcnt(0) lgkmcnt(0)
	v_mul_f32_e32 v1, s3, v1
	v_min_f32_e32 v12, v1, v0
	v_add_co_u32 v0, vcc_lo, v36, v78
	v_add_co_ci_u32_e64 v1, null, v37, v79, vcc_lo
	flat_store_dword v[10:11], v12
	flat_load_dword v0, v[0:1]
	s_waitcnt vmcnt(0) lgkmcnt(0)
	v_mul_f32_e32 v1, s3, v0
.LBB23_175:
	v_add_f32_e32 v0, v5, v9
	v_add_f32_e32 v4, v4, v8
	;; [unrolled: 1-line block ×4, first 2 shown]
	v_min_f32_e32 v0, v4, v0
	v_min3_f32 v2, v2, v3, v84
	v_min3_f32 v2, v1, v0, v2
	v_add_co_u32 v0, vcc_lo, v34, v78
	v_add_co_ci_u32_e64 v1, null, v35, v79, vcc_lo
	flat_store_dword v[0:1], v2
	s_endpgm
	.section	.rodata,"a",@progbits
	.p2align	6, 0x0
	.amdhsa_kernel _ZN12_GLOBAL__N_120geam_min_plus_kernelIf15HIP_vector_typeIfLj2EEfLi8ELi32ELi64ELi256ELi4ELi4ELi64ELi64ELi4ELc84ELc84ELb0ELb0ELb1EfKPKfKPfEEviiiT16_PT17_ilSA_ilS8_SA_ilPT18_ili26rocblas_geam_ex_operation_
		.amdhsa_group_segment_fixed_size 10240
		.amdhsa_private_segment_fixed_size 0
		.amdhsa_kernarg_size 128
		.amdhsa_user_sgpr_count 6
		.amdhsa_user_sgpr_private_segment_buffer 1
		.amdhsa_user_sgpr_dispatch_ptr 0
		.amdhsa_user_sgpr_queue_ptr 0
		.amdhsa_user_sgpr_kernarg_segment_ptr 1
		.amdhsa_user_sgpr_dispatch_id 0
		.amdhsa_user_sgpr_flat_scratch_init 0
		.amdhsa_user_sgpr_private_segment_size 0
		.amdhsa_wavefront_size32 1
		.amdhsa_uses_dynamic_stack 0
		.amdhsa_system_sgpr_private_segment_wavefront_offset 0
		.amdhsa_system_sgpr_workgroup_id_x 1
		.amdhsa_system_sgpr_workgroup_id_y 0
		.amdhsa_system_sgpr_workgroup_id_z 1
		.amdhsa_system_sgpr_workgroup_info 0
		.amdhsa_system_vgpr_workitem_id 1
		.amdhsa_next_free_vgpr 166
		.amdhsa_next_free_sgpr 26
		.amdhsa_reserve_vcc 1
		.amdhsa_reserve_flat_scratch 1
		.amdhsa_float_round_mode_32 0
		.amdhsa_float_round_mode_16_64 0
		.amdhsa_float_denorm_mode_32 3
		.amdhsa_float_denorm_mode_16_64 3
		.amdhsa_dx10_clamp 1
		.amdhsa_ieee_mode 1
		.amdhsa_fp16_overflow 0
		.amdhsa_workgroup_processor_mode 1
		.amdhsa_memory_ordered 1
		.amdhsa_forward_progress 1
		.amdhsa_shared_vgpr_count 0
		.amdhsa_exception_fp_ieee_invalid_op 0
		.amdhsa_exception_fp_denorm_src 0
		.amdhsa_exception_fp_ieee_div_zero 0
		.amdhsa_exception_fp_ieee_overflow 0
		.amdhsa_exception_fp_ieee_underflow 0
		.amdhsa_exception_fp_ieee_inexact 0
		.amdhsa_exception_int_div_zero 0
	.end_amdhsa_kernel
	.section	.text._ZN12_GLOBAL__N_120geam_min_plus_kernelIf15HIP_vector_typeIfLj2EEfLi8ELi32ELi64ELi256ELi4ELi4ELi64ELi64ELi4ELc84ELc84ELb0ELb0ELb1EfKPKfKPfEEviiiT16_PT17_ilSA_ilS8_SA_ilPT18_ili26rocblas_geam_ex_operation_,"axG",@progbits,_ZN12_GLOBAL__N_120geam_min_plus_kernelIf15HIP_vector_typeIfLj2EEfLi8ELi32ELi64ELi256ELi4ELi4ELi64ELi64ELi4ELc84ELc84ELb0ELb0ELb1EfKPKfKPfEEviiiT16_PT17_ilSA_ilS8_SA_ilPT18_ili26rocblas_geam_ex_operation_,comdat
.Lfunc_end23:
	.size	_ZN12_GLOBAL__N_120geam_min_plus_kernelIf15HIP_vector_typeIfLj2EEfLi8ELi32ELi64ELi256ELi4ELi4ELi64ELi64ELi4ELc84ELc84ELb0ELb0ELb1EfKPKfKPfEEviiiT16_PT17_ilSA_ilS8_SA_ilPT18_ili26rocblas_geam_ex_operation_, .Lfunc_end23-_ZN12_GLOBAL__N_120geam_min_plus_kernelIf15HIP_vector_typeIfLj2EEfLi8ELi32ELi64ELi256ELi4ELi4ELi64ELi64ELi4ELc84ELc84ELb0ELb0ELb1EfKPKfKPfEEviiiT16_PT17_ilSA_ilS8_SA_ilPT18_ili26rocblas_geam_ex_operation_
                                        ; -- End function
	.set _ZN12_GLOBAL__N_120geam_min_plus_kernelIf15HIP_vector_typeIfLj2EEfLi8ELi32ELi64ELi256ELi4ELi4ELi64ELi64ELi4ELc84ELc84ELb0ELb0ELb1EfKPKfKPfEEviiiT16_PT17_ilSA_ilS8_SA_ilPT18_ili26rocblas_geam_ex_operation_.num_vgpr, 166
	.set _ZN12_GLOBAL__N_120geam_min_plus_kernelIf15HIP_vector_typeIfLj2EEfLi8ELi32ELi64ELi256ELi4ELi4ELi64ELi64ELi4ELc84ELc84ELb0ELb0ELb1EfKPKfKPfEEviiiT16_PT17_ilSA_ilS8_SA_ilPT18_ili26rocblas_geam_ex_operation_.num_agpr, 0
	.set _ZN12_GLOBAL__N_120geam_min_plus_kernelIf15HIP_vector_typeIfLj2EEfLi8ELi32ELi64ELi256ELi4ELi4ELi64ELi64ELi4ELc84ELc84ELb0ELb0ELb1EfKPKfKPfEEviiiT16_PT17_ilSA_ilS8_SA_ilPT18_ili26rocblas_geam_ex_operation_.numbered_sgpr, 26
	.set _ZN12_GLOBAL__N_120geam_min_plus_kernelIf15HIP_vector_typeIfLj2EEfLi8ELi32ELi64ELi256ELi4ELi4ELi64ELi64ELi4ELc84ELc84ELb0ELb0ELb1EfKPKfKPfEEviiiT16_PT17_ilSA_ilS8_SA_ilPT18_ili26rocblas_geam_ex_operation_.num_named_barrier, 0
	.set _ZN12_GLOBAL__N_120geam_min_plus_kernelIf15HIP_vector_typeIfLj2EEfLi8ELi32ELi64ELi256ELi4ELi4ELi64ELi64ELi4ELc84ELc84ELb0ELb0ELb1EfKPKfKPfEEviiiT16_PT17_ilSA_ilS8_SA_ilPT18_ili26rocblas_geam_ex_operation_.private_seg_size, 0
	.set _ZN12_GLOBAL__N_120geam_min_plus_kernelIf15HIP_vector_typeIfLj2EEfLi8ELi32ELi64ELi256ELi4ELi4ELi64ELi64ELi4ELc84ELc84ELb0ELb0ELb1EfKPKfKPfEEviiiT16_PT17_ilSA_ilS8_SA_ilPT18_ili26rocblas_geam_ex_operation_.uses_vcc, 1
	.set _ZN12_GLOBAL__N_120geam_min_plus_kernelIf15HIP_vector_typeIfLj2EEfLi8ELi32ELi64ELi256ELi4ELi4ELi64ELi64ELi4ELc84ELc84ELb0ELb0ELb1EfKPKfKPfEEviiiT16_PT17_ilSA_ilS8_SA_ilPT18_ili26rocblas_geam_ex_operation_.uses_flat_scratch, 1
	.set _ZN12_GLOBAL__N_120geam_min_plus_kernelIf15HIP_vector_typeIfLj2EEfLi8ELi32ELi64ELi256ELi4ELi4ELi64ELi64ELi4ELc84ELc84ELb0ELb0ELb1EfKPKfKPfEEviiiT16_PT17_ilSA_ilS8_SA_ilPT18_ili26rocblas_geam_ex_operation_.has_dyn_sized_stack, 0
	.set _ZN12_GLOBAL__N_120geam_min_plus_kernelIf15HIP_vector_typeIfLj2EEfLi8ELi32ELi64ELi256ELi4ELi4ELi64ELi64ELi4ELc84ELc84ELb0ELb0ELb1EfKPKfKPfEEviiiT16_PT17_ilSA_ilS8_SA_ilPT18_ili26rocblas_geam_ex_operation_.has_recursion, 0
	.set _ZN12_GLOBAL__N_120geam_min_plus_kernelIf15HIP_vector_typeIfLj2EEfLi8ELi32ELi64ELi256ELi4ELi4ELi64ELi64ELi4ELc84ELc84ELb0ELb0ELb1EfKPKfKPfEEviiiT16_PT17_ilSA_ilS8_SA_ilPT18_ili26rocblas_geam_ex_operation_.has_indirect_call, 0
	.section	.AMDGPU.csdata,"",@progbits
; Kernel info:
; codeLenInByte = 17540
; TotalNumSgprs: 28
; NumVgprs: 166
; ScratchSize: 0
; MemoryBound: 0
; FloatMode: 240
; IeeeMode: 1
; LDSByteSize: 10240 bytes/workgroup (compile time only)
; SGPRBlocks: 0
; VGPRBlocks: 20
; NumSGPRsForWavesPerEU: 28
; NumVGPRsForWavesPerEU: 166
; Occupancy: 5
; WaveLimiterHint : 1
; COMPUTE_PGM_RSRC2:SCRATCH_EN: 0
; COMPUTE_PGM_RSRC2:USER_SGPR: 6
; COMPUTE_PGM_RSRC2:TRAP_HANDLER: 0
; COMPUTE_PGM_RSRC2:TGID_X_EN: 1
; COMPUTE_PGM_RSRC2:TGID_Y_EN: 0
; COMPUTE_PGM_RSRC2:TGID_Z_EN: 1
; COMPUTE_PGM_RSRC2:TIDIG_COMP_CNT: 1
	.section	.text._ZN12_GLOBAL__N_120geam_min_plus_kernelIf15HIP_vector_typeIfLj2EEfLi8ELi32ELi64ELi256ELi4ELi4ELi64ELi64ELi4ELc84ELc84ELb0ELb1ELb1EPKfKS4_KPfEEviiiT16_PT17_ilSA_ilS8_SA_ilPT18_ili26rocblas_geam_ex_operation_,"axG",@progbits,_ZN12_GLOBAL__N_120geam_min_plus_kernelIf15HIP_vector_typeIfLj2EEfLi8ELi32ELi64ELi256ELi4ELi4ELi64ELi64ELi4ELc84ELc84ELb0ELb1ELb1EPKfKS4_KPfEEviiiT16_PT17_ilSA_ilS8_SA_ilPT18_ili26rocblas_geam_ex_operation_,comdat
	.globl	_ZN12_GLOBAL__N_120geam_min_plus_kernelIf15HIP_vector_typeIfLj2EEfLi8ELi32ELi64ELi256ELi4ELi4ELi64ELi64ELi4ELc84ELc84ELb0ELb1ELb1EPKfKS4_KPfEEviiiT16_PT17_ilSA_ilS8_SA_ilPT18_ili26rocblas_geam_ex_operation_ ; -- Begin function _ZN12_GLOBAL__N_120geam_min_plus_kernelIf15HIP_vector_typeIfLj2EEfLi8ELi32ELi64ELi256ELi4ELi4ELi64ELi64ELi4ELc84ELc84ELb0ELb1ELb1EPKfKS4_KPfEEviiiT16_PT17_ilSA_ilS8_SA_ilPT18_ili26rocblas_geam_ex_operation_
	.p2align	8
	.type	_ZN12_GLOBAL__N_120geam_min_plus_kernelIf15HIP_vector_typeIfLj2EEfLi8ELi32ELi64ELi256ELi4ELi4ELi64ELi64ELi4ELc84ELc84ELb0ELb1ELb1EPKfKS4_KPfEEviiiT16_PT17_ilSA_ilS8_SA_ilPT18_ili26rocblas_geam_ex_operation_,@function
_ZN12_GLOBAL__N_120geam_min_plus_kernelIf15HIP_vector_typeIfLj2EEfLi8ELi32ELi64ELi256ELi4ELi4ELi64ELi64ELi4ELc84ELc84ELb0ELb1ELb1EPKfKS4_KPfEEviiiT16_PT17_ilSA_ilS8_SA_ilPT18_ili26rocblas_geam_ex_operation_: ; @_ZN12_GLOBAL__N_120geam_min_plus_kernelIf15HIP_vector_typeIfLj2EEfLi8ELi32ELi64ELi256ELi4ELi4ELi64ELi64ELi4ELc84ELc84ELb0ELb1ELb1EPKfKS4_KPfEEviiiT16_PT17_ilSA_ilS8_SA_ilPT18_ili26rocblas_geam_ex_operation_
; %bb.0:
	s_clause 0x1
	s_load_dwordx4 s[12:15], s[4:5], 0x10
	s_load_dwordx4 s[0:3], s[4:5], 0x28
	s_mov_b32 s18, s7
	s_mov_b32 s19, 0
	s_lshl_b64 s[16:17], s[18:19], 2
	s_waitcnt lgkmcnt(0)
	s_add_u32 s8, s12, s16
	s_addc_u32 s9, s13, s17
	s_load_dword s25, s[8:9], 0x0
	s_clause 0x1
	s_load_dwordx4 s[8:11], s[4:5], 0x40
	s_load_dwordx2 s[12:13], s[4:5], 0x50
	s_waitcnt lgkmcnt(0)
	v_cmp_eq_f32_e64 s20, s25, 0
	v_cmp_neq_f32_e64 s7, s25, 0
	s_add_u32 s10, s10, s16
	s_addc_u32 s11, s11, s17
	s_mov_b64 s[16:17], 0
	s_and_b32 vcc_lo, exec_lo, s20
	s_mov_b64 s[20:21], 0
	s_cbranch_vccnz .LBB24_2
; %bb.1:
	s_lshl_b64 s[20:21], s[18:19], 3
	s_add_u32 s14, s14, s20
	s_addc_u32 s15, s15, s21
	s_lshl_b64 s[0:1], s[0:1], 2
	s_load_dwordx2 s[14:15], s[14:15], 0x0
	s_waitcnt lgkmcnt(0)
	s_add_u32 s20, s14, s0
	s_addc_u32 s21, s15, s1
.LBB24_2:
	s_load_dword s22, s[10:11], 0x0
	s_andn2_b32 vcc_lo, exec_lo, s7
	s_cbranch_vccnz .LBB24_4
; %bb.3:
	s_lshl_b64 s[0:1], s[18:19], 3
	s_add_u32 s0, s2, s0
	s_addc_u32 s1, s3, s1
	s_lshl_b64 s[2:3], s[8:9], 2
	s_load_dwordx2 s[0:1], s[0:1], 0x0
	s_waitcnt lgkmcnt(0)
	s_add_u32 s16, s0, s2
	s_addc_u32 s17, s1, s3
.LBB24_4:
	s_load_dwordx4 s[0:3], s[4:5], 0x60
	s_waitcnt lgkmcnt(0)
	v_cmp_eq_f32_e64 s7, s22, 0
	v_cmp_neq_f32_e64 s23, s22, 0
	s_and_b32 vcc_lo, exec_lo, s7
	s_cbranch_vccnz .LBB24_6
; %bb.5:
	s_lshl_b64 s[8:9], s[18:19], 3
	s_add_u32 s8, s12, s8
	s_addc_u32 s9, s13, s9
	s_lshl_b64 s[0:1], s[0:1], 2
	s_load_dwordx2 s[8:9], s[8:9], 0x0
	s_waitcnt lgkmcnt(0)
	s_add_u32 s10, s8, s0
	s_addc_u32 s11, s9, s1
	s_branch .LBB24_7
.LBB24_6:
	s_mov_b64 s[10:11], 0
.LBB24_7:
	s_clause 0x1
	s_load_dwordx4 s[12:15], s[4:5], 0x0
	s_load_dword s28, s[4:5], 0x20
	s_lshl_b64 s[0:1], s[18:19], 3
	v_lshl_add_u32 v4, v1, 3, v0
	s_add_u32 s8, s2, s0
	s_addc_u32 s9, s3, s1
	v_and_b32_e32 v70, 3, v0
	v_cmp_eq_f32_e64 s26, s25, 0
                                        ; implicit-def: $vgpr3
	s_waitcnt lgkmcnt(0)
	s_add_i32 s0, s12, -1
	s_ashr_i32 s1, s0, 31
	s_lshr_b32 s1, s1, 26
	s_add_i32 s0, s0, s1
	s_ashr_i32 s0, s0, 6
	s_add_i32 s2, s0, 1
	s_not_b32 s0, s0
	v_cvt_f32_u32_e32 v2, s2
	v_rcp_iflag_f32_e32 v2, v2
	v_mul_f32_e32 v2, 0x4f7ffffe, v2
	v_cvt_u32_f32_e32 v2, v2
	v_readfirstlane_b32 s1, v2
	v_lshrrev_b32_e32 v2, 2, v4
	s_mul_i32 s0, s0, s1
	s_mul_hi_u32 s0, s1, s0
	s_add_i32 s1, s1, s0
	s_mul_hi_u32 s0, s6, s1
	s_mul_i32 s1, s0, s2
	s_add_i32 s3, s0, 1
	s_sub_i32 s1, s6, s1
	s_sub_i32 s7, s1, s2
	s_cmp_ge_u32 s1, s2
	s_cselect_b32 s0, s3, s0
	s_cselect_b32 s1, s7, s1
	s_add_i32 s3, s0, 1
	s_cmp_ge_u32 s1, s2
	s_cselect_b32 s1, s3, s0
	s_mul_i32 s0, s1, s2
	s_sub_i32 s0, s6, s0
                                        ; implicit-def: $sgpr6
	s_lshl_b32 s15, s0, 6
	v_cmp_le_i32_e64 s0, s14, v70
	v_add_nc_u32_e32 v68, s15, v2
	v_cmp_le_i32_e32 vcc_lo, s12, v68
	s_or_b32 s2, s0, vcc_lo
	s_nor_b32 s0, s26, s2
	s_and_saveexec_b32 s3, s0
	s_xor_b32 s3, exec_lo, s3
	s_cbranch_execz .LBB24_9
; %bb.8:
	v_mad_i64_i32 v[5:6], null, v68, s28, 0
	s_add_i32 s6, s14, -1
	v_min_u32_e32 v3, s6, v70
	v_lshlrev_b64 v[5:6], 2, v[5:6]
	v_lshlrev_b32_e32 v3, 2, v3
	v_add_co_u32 v5, s0, s20, v5
	v_add_co_ci_u32_e64 v6, null, s21, v6, s0
	v_add_co_u32 v5, s0, v5, v3
	v_add_co_ci_u32_e64 v6, null, 0, v6, s0
	flat_load_dword v3, v[5:6]
	s_waitcnt vmcnt(0) lgkmcnt(0)
	v_mul_f32_e32 v3, s25, v3
.LBB24_9:
	s_or_saveexec_b32 s0, s3
	v_mov_b32_e32 v5, s6
	s_xor_b32 exec_lo, exec_lo, s0
; %bb.10:
	s_add_i32 s3, s14, -1
	v_cndmask_b32_e64 v3, 0, 0x7f7fffff, s2
	v_mov_b32_e32 v5, s3
; %bb.11:
	s_or_b32 exec_lo, exec_lo, s0
	s_load_dword s27, s[4:5], 0x38
	v_lshrrev_b32_e32 v71, 6, v4
	v_and_b32_e32 v4, 63, v4
	s_lshl_b32 s24, s1, 8
	v_min_i32_e32 v5, v71, v5
	v_or_b32_e32 v66, s24, v4
	v_cmp_le_i32_e64 s6, s14, v71
	v_cmp_le_i32_e64 s0, s13, v66
	v_ashrrev_i32_e32 v67, 31, v66
	s_or_b32 s2, s0, s6
	s_waitcnt lgkmcnt(0)
	v_mad_i64_i32 v[5:6], null, v5, s27, 0
	v_lshlrev_b64 v[6:7], 2, v[5:6]
	v_cndmask_b32_e64 v5, 0, 0x7f7fffff, s2
	v_add_co_u32 v9, s1, s16, v6
	v_add_co_ci_u32_e64 v10, null, s17, v7, s1
	s_nor_b32 s1, s26, s2
	s_and_saveexec_b32 s2, s1
	s_cbranch_execz .LBB24_13
; %bb.12:
	v_lshlrev_b64 v[5:6], 2, v[66:67]
	v_add_co_u32 v5, s1, v9, v5
	v_add_co_ci_u32_e64 v6, null, v10, v6, s1
	flat_load_dword v5, v[5:6]
	s_waitcnt vmcnt(0) lgkmcnt(0)
	v_mul_f32_e32 v5, s25, v5
.LBB24_13:
	s_or_b32 exec_lo, exec_lo, s2
	v_or_b32_e32 v6, 64, v66
	v_cmp_le_i32_e64 s1, s13, v6
	s_or_b32 s2, s1, s6
	v_cndmask_b32_e64 v6, 0, 0x7f7fffff, s2
	s_nor_b32 s2, s26, s2
	s_and_saveexec_b32 s3, s2
	s_cbranch_execz .LBB24_15
; %bb.14:
	v_lshlrev_b64 v[6:7], 2, v[66:67]
	v_add_co_u32 v6, s2, v9, v6
	v_add_co_ci_u32_e64 v7, null, v10, v7, s2
	flat_load_dword v6, v[6:7] offset:256
	s_waitcnt vmcnt(0) lgkmcnt(0)
	v_mul_f32_e32 v6, s25, v6
.LBB24_15:
	s_or_b32 exec_lo, exec_lo, s3
	v_or_b32_e32 v7, 0x80, v66
	v_cmp_le_i32_e64 s2, s13, v7
	s_or_b32 s3, s2, s6
	v_cndmask_b32_e64 v7, 0, 0x7f7fffff, s3
	s_nor_b32 s3, s26, s3
	s_and_saveexec_b32 s7, s3
	s_cbranch_execz .LBB24_17
; %bb.16:
	v_lshlrev_b64 v[7:8], 2, v[66:67]
	v_add_co_u32 v7, s3, v9, v7
	v_add_co_ci_u32_e64 v8, null, v10, v8, s3
	flat_load_dword v7, v[7:8] offset:512
	s_waitcnt vmcnt(0) lgkmcnt(0)
	v_mul_f32_e32 v7, s25, v7
.LBB24_17:
	;; [unrolled: 16-line block ×3, first 2 shown]
	s_or_b32 exec_lo, exec_lo, s7
	v_or_b32_e32 v9, 4, v70
                                        ; implicit-def: $vgpr69
                                        ; implicit-def: $sgpr19
	v_cmp_le_i32_e64 s6, s14, v9
	s_or_b32 s7, s6, vcc_lo
	s_nor_b32 s6, s26, s7
	s_and_saveexec_b32 s18, s6
	s_xor_b32 s18, exec_lo, s18
	s_cbranch_execz .LBB24_21
; %bb.20:
	v_mad_i64_i32 v[10:11], null, v68, s28, 0
	s_add_i32 s19, s14, -1
	v_min_u32_e32 v12, s19, v9
	v_lshlrev_b64 v[9:10], 2, v[10:11]
	v_lshlrev_b32_e32 v11, 2, v12
	v_add_co_u32 v9, s6, s20, v9
	v_add_co_ci_u32_e64 v10, null, s21, v10, s6
	v_add_co_u32 v9, s6, v9, v11
	v_add_co_ci_u32_e64 v10, null, 0, v10, s6
	flat_load_dword v9, v[9:10]
	s_waitcnt vmcnt(0) lgkmcnt(0)
	v_mul_f32_e32 v69, s25, v9
.LBB24_21:
	s_or_saveexec_b32 s6, s18
	v_mov_b32_e32 v9, s19
	s_xor_b32 exec_lo, exec_lo, s6
; %bb.22:
	s_add_i32 s18, s14, -1
	v_cndmask_b32_e64 v69, 0, 0x7f7fffff, s7
	v_mov_b32_e32 v9, s18
; %bb.23:
	s_or_b32 exec_lo, exec_lo, s6
	v_add_nc_u32_e32 v11, 4, v71
	v_min_i32_e32 v9, v11, v9
	v_cmp_le_i32_e64 s6, s14, v11
	v_mad_i64_i32 v[9:10], null, v9, s27, 0
	v_lshlrev_b64 v[9:10], 2, v[9:10]
	v_add_co_u32 v9, s7, s16, v9
	v_add_co_ci_u32_e64 v10, null, s17, v10, s7
	s_or_b32 s7, s0, s6
	v_cndmask_b32_e64 v123, 0, 0x7f7fffff, s7
	s_nor_b32 s7, s26, s7
	s_and_saveexec_b32 s18, s7
	s_cbranch_execz .LBB24_25
; %bb.24:
	v_lshlrev_b64 v[11:12], 2, v[66:67]
	v_add_co_u32 v11, s7, v9, v11
	v_add_co_ci_u32_e64 v12, null, v10, v12, s7
	flat_load_dword v11, v[11:12]
	s_waitcnt vmcnt(0) lgkmcnt(0)
	v_mul_f32_e32 v123, s25, v11
.LBB24_25:
	s_or_b32 exec_lo, exec_lo, s18
	s_or_b32 s7, s1, s6
	v_cndmask_b32_e64 v132, 0, 0x7f7fffff, s7
	s_nor_b32 s7, s26, s7
	s_and_saveexec_b32 s18, s7
	s_cbranch_execz .LBB24_27
; %bb.26:
	v_lshlrev_b64 v[11:12], 2, v[66:67]
	v_add_co_u32 v11, s7, v9, v11
	v_add_co_ci_u32_e64 v12, null, v10, v12, s7
	flat_load_dword v11, v[11:12] offset:256
	s_waitcnt vmcnt(0) lgkmcnt(0)
	v_mul_f32_e32 v132, s25, v11
.LBB24_27:
	s_or_b32 exec_lo, exec_lo, s18
	s_or_b32 s7, s2, s6
	v_cndmask_b32_e64 v141, 0, 0x7f7fffff, s7
	s_nor_b32 s7, s26, s7
	s_and_saveexec_b32 s18, s7
	s_cbranch_execz .LBB24_29
; %bb.28:
	v_lshlrev_b64 v[11:12], 2, v[66:67]
	v_add_co_u32 v11, s7, v9, v11
	v_add_co_ci_u32_e64 v12, null, v10, v12, s7
	flat_load_dword v11, v[11:12] offset:512
	s_waitcnt vmcnt(0) lgkmcnt(0)
	v_mul_f32_e32 v141, s25, v11
.LBB24_29:
	;; [unrolled: 14-line block ×3, first 2 shown]
	s_or_b32 exec_lo, exec_lo, s7
	v_lshlrev_b32_e32 v142, 2, v70
	v_lshlrev_b32_e32 v73, 4, v0
	s_load_dwordx2 s[18:19], s[8:9], 0x0
	v_lshlrev_b32_e32 v72, 4, v1
	s_cmp_lt_i32 s14, 9
	v_lshl_or_b32 v143, v2, 4, v142
	v_lshlrev_b32_e32 v2, 4, v4
	ds_write_b32 v143, v3 offset:8192
	v_lshl_add_u32 v74, v71, 2, v2
	ds_write2st64_b32 v74, v5, v6 offset1:4
	ds_write2st64_b32 v74, v7, v8 offset0:8 offset1:12
	s_waitcnt lgkmcnt(0)
	s_barrier
	buffer_gl0_inv
	ds_read_b128 v[34:37], v73 offset:8192
	ds_read_b128 v[30:33], v73 offset:8320
	;; [unrolled: 1-line block ×8, first 2 shown]
	ds_read_b128 v[62:65], v72
	ds_read_b128 v[58:61], v72 offset:512
	ds_read_b128 v[54:57], v72 offset:1024
	;; [unrolled: 1-line block ×7, first 2 shown]
	ds_write_b32 v143, v69 offset:9216
	ds_write2st64_b32 v74, v123, v132 offset0:16 offset1:20
	ds_write2st64_b32 v74, v141, v144 offset0:24 offset1:28
	s_waitcnt lgkmcnt(0)
	s_barrier
	buffer_gl0_inv
	v_add_f32_e32 v75, v35, v63
	v_add_f32_e32 v76, v34, v62
	;; [unrolled: 1-line block ×6, first 2 shown]
	v_min3_f32 v75, v76, v75, 0x7f7fffff
	v_add_f32_e32 v76, v31, v63
	v_add_f32_e32 v81, v10, v62
	v_min3_f32 v76, v77, v76, 0x7f7fffff
	v_add_f32_e32 v77, v27, v63
	v_min3_f32 v77, v78, v77, 0x7f7fffff
	;; [unrolled: 2-line block ×5, first 2 shown]
	v_add_f32_e32 v79, v7, v63
	v_add_f32_e32 v81, v6, v62
	;; [unrolled: 1-line block ×4, first 2 shown]
	v_min3_f32 v118, v81, v79, 0x7f7fffff
	v_add_f32_e32 v79, v6, v38
	v_min3_f32 v119, v62, v63, 0x7f7fffff
	v_add_f32_e32 v62, v35, v59
	v_add_f32_e32 v63, v34, v58
	v_min3_f32 v116, v63, v62, 0x7f7fffff
	v_add_f32_e32 v62, v31, v59
	;; [unrolled: 3-line block ×7, first 2 shown]
	v_add_f32_e32 v63, v6, v58
	v_add_f32_e32 v59, v3, v59
	v_add_f32_e32 v58, v2, v58
	v_min3_f32 v110, v63, v62, 0x7f7fffff
	v_min3_f32 v109, v58, v59, 0x7f7fffff
	v_add_f32_e32 v58, v35, v55
	v_add_f32_e32 v59, v34, v54
	v_min3_f32 v108, v59, v58, 0x7f7fffff
	v_add_f32_e32 v58, v31, v55
	v_add_f32_e32 v59, v30, v54
	v_min3_f32 v107, v59, v58, 0x7f7fffff
	v_add_f32_e32 v58, v27, v55
	v_add_f32_e32 v59, v26, v54
	v_min3_f32 v106, v59, v58, 0x7f7fffff
	v_add_f32_e32 v58, v19, v55
	v_add_f32_e32 v59, v18, v54
	v_min3_f32 v105, v59, v58, 0x7f7fffff
	v_add_f32_e32 v58, v15, v55
	v_add_f32_e32 v59, v14, v54
	v_min3_f32 v104, v59, v58, 0x7f7fffff
	v_add_f32_e32 v58, v11, v55
	v_add_f32_e32 v59, v10, v54
	v_min3_f32 v103, v59, v58, 0x7f7fffff
	v_add_f32_e32 v58, v7, v55
	v_add_f32_e32 v59, v6, v54
	v_add_f32_e32 v55, v3, v55
	v_add_f32_e32 v54, v2, v54
	v_min3_f32 v102, v59, v58, 0x7f7fffff
	v_min3_f32 v101, v54, v55, 0x7f7fffff
	v_add_f32_e32 v54, v35, v51
	v_add_f32_e32 v55, v34, v50
	v_min3_f32 v100, v55, v54, 0x7f7fffff
	v_add_f32_e32 v54, v31, v51
	v_add_f32_e32 v55, v30, v50
	v_min3_f32 v99, v55, v54, 0x7f7fffff
	v_add_f32_e32 v54, v27, v51
	v_add_f32_e32 v55, v26, v50
	v_min3_f32 v98, v55, v54, 0x7f7fffff
	v_add_f32_e32 v54, v19, v51
	v_add_f32_e32 v55, v18, v50
	v_min3_f32 v97, v55, v54, 0x7f7fffff
	v_add_f32_e32 v54, v15, v51
	v_add_f32_e32 v55, v14, v50
	v_min3_f32 v96, v55, v54, 0x7f7fffff
	v_add_f32_e32 v54, v11, v51
	v_add_f32_e32 v55, v10, v50
	v_min3_f32 v95, v55, v54, 0x7f7fffff
	v_add_f32_e32 v54, v7, v51
	;; [unrolled: 24-line block ×4, first 2 shown]
	v_add_f32_e32 v47, v6, v42
	v_add_f32_e32 v43, v3, v43
	;; [unrolled: 1-line block ×4, first 2 shown]
	v_min3_f32 v58, v47, v46, 0x7f7fffff
	v_min3_f32 v55, v42, v43, 0x7f7fffff
	v_add_f32_e32 v42, v35, v39
	v_add_f32_e32 v43, v34, v38
	v_add_f32_e32 v35, v35, v23
	v_add_f32_e32 v34, v34, v22
	v_min3_f32 v54, v43, v42, 0x7f7fffff
	v_add_f32_e32 v42, v31, v39
	v_add_f32_e32 v43, v30, v38
	v_min3_f32 v34, v34, v35, 0x7f7fffff
	v_add_f32_e32 v31, v31, v23
	v_add_f32_e32 v30, v30, v22
	;; [unrolled: 3-line block ×9, first 2 shown]
	v_add_f32_e32 v38, v2, v38
	v_add_f32_e32 v2, v2, v22
	v_min3_f32 v14, v14, v15, 0x7f7fffff
	v_add_f32_e32 v11, v11, v23
	v_min3_f32 v43, v43, v42, 0x7f7fffff
	v_add_f32_e32 v42, v7, v39
	v_add_f32_e32 v39, v3, v39
	;; [unrolled: 1-line block ×5, first 2 shown]
	v_min3_f32 v42, v79, v42, 0x7f7fffff
	v_min3_f32 v38, v38, v39, 0x7f7fffff
	;; [unrolled: 1-line block ×4, first 2 shown]
	v_add_f32_e32 v3, v37, v65
	v_add_f32_e32 v7, v36, v64
	v_min3_f32 v10, v10, v11, 0x7f7fffff
	v_min3_f32 v81, v7, v3, v75
	v_add_f32_e32 v3, v33, v65
	v_add_f32_e32 v7, v32, v64
	v_min3_f32 v79, v7, v3, v76
	v_add_f32_e32 v3, v29, v65
	v_add_f32_e32 v7, v28, v64
	v_min3_f32 v77, v7, v3, v77
	v_add_f32_e32 v3, v21, v65
	v_add_f32_e32 v7, v20, v64
	v_min3_f32 v75, v7, v3, v78
	v_add_f32_e32 v3, v17, v65
	v_add_f32_e32 v7, v16, v64
	v_min3_f32 v76, v7, v3, v80
	v_add_f32_e32 v3, v13, v65
	v_add_f32_e32 v7, v12, v64
	v_min3_f32 v78, v7, v3, v117
	v_add_f32_e32 v3, v9, v65
	v_add_f32_e32 v7, v8, v64
	v_min3_f32 v80, v7, v3, v118
	v_add_f32_e32 v3, v5, v65
	v_add_f32_e32 v7, v4, v64
	v_min3_f32 v140, v7, v3, v119
	v_add_f32_e32 v3, v37, v61
	v_add_f32_e32 v7, v36, v60
	v_min3_f32 v139, v7, v3, v116
	v_add_f32_e32 v3, v33, v61
	v_add_f32_e32 v7, v32, v60
	v_min3_f32 v138, v7, v3, v115
	v_add_f32_e32 v3, v29, v61
	v_add_f32_e32 v7, v28, v60
	v_min3_f32 v137, v7, v3, v114
	v_add_f32_e32 v3, v21, v61
	v_add_f32_e32 v7, v20, v60
	v_min3_f32 v136, v7, v3, v113
	v_add_f32_e32 v3, v17, v61
	v_add_f32_e32 v7, v16, v60
	v_min3_f32 v135, v7, v3, v112
	v_add_f32_e32 v3, v13, v61
	v_add_f32_e32 v7, v12, v60
	v_min3_f32 v134, v7, v3, v111
	v_add_f32_e32 v3, v9, v61
	v_add_f32_e32 v7, v8, v60
	v_min3_f32 v133, v7, v3, v110
	v_add_f32_e32 v3, v5, v61
	v_add_f32_e32 v7, v4, v60
	v_min3_f32 v131, v7, v3, v109
	v_add_f32_e32 v3, v37, v57
	v_add_f32_e32 v7, v36, v56
	v_min3_f32 v130, v7, v3, v108
	v_add_f32_e32 v3, v33, v57
	v_add_f32_e32 v7, v32, v56
	v_min3_f32 v129, v7, v3, v107
	v_add_f32_e32 v3, v29, v57
	v_add_f32_e32 v7, v28, v56
	v_min3_f32 v128, v7, v3, v106
	v_add_f32_e32 v3, v21, v57
	v_add_f32_e32 v7, v20, v56
	v_min3_f32 v127, v7, v3, v105
	v_add_f32_e32 v3, v17, v57
	v_add_f32_e32 v7, v16, v56
	v_min3_f32 v126, v7, v3, v104
	v_add_f32_e32 v3, v13, v57
	v_add_f32_e32 v7, v12, v56
	v_min3_f32 v125, v7, v3, v103
	v_add_f32_e32 v3, v9, v57
	v_add_f32_e32 v7, v8, v56
	v_min3_f32 v124, v7, v3, v102
	v_add_f32_e32 v3, v5, v57
	v_add_f32_e32 v7, v4, v56
	v_min3_f32 v121, v7, v3, v101
	v_add_f32_e32 v3, v37, v53
	v_add_f32_e32 v7, v36, v52
	v_min3_f32 v122, v7, v3, v100
	v_add_f32_e32 v3, v33, v53
	v_add_f32_e32 v7, v32, v52
	v_min3_f32 v120, v7, v3, v99
	v_add_f32_e32 v3, v29, v53
	v_add_f32_e32 v7, v28, v52
	v_min3_f32 v119, v7, v3, v98
	v_add_f32_e32 v3, v21, v53
	v_add_f32_e32 v7, v20, v52
	v_min3_f32 v118, v7, v3, v97
	v_add_f32_e32 v3, v17, v53
	v_add_f32_e32 v7, v16, v52
	v_min3_f32 v117, v7, v3, v96
	v_add_f32_e32 v3, v13, v53
	v_add_f32_e32 v7, v12, v52
	v_min3_f32 v116, v7, v3, v95
	v_add_f32_e32 v3, v9, v53
	v_add_f32_e32 v7, v8, v52
	v_min3_f32 v115, v7, v3, v94
	v_add_f32_e32 v3, v5, v53
	v_add_f32_e32 v7, v4, v52
	v_min3_f32 v114, v7, v3, v93
	v_add_f32_e32 v3, v37, v49
	v_add_f32_e32 v7, v36, v48
	v_min3_f32 v113, v7, v3, v92
	v_add_f32_e32 v3, v33, v49
	v_add_f32_e32 v7, v32, v48
	v_min3_f32 v112, v7, v3, v91
	v_add_f32_e32 v3, v29, v49
	v_add_f32_e32 v7, v28, v48
	v_min3_f32 v111, v7, v3, v90
	v_add_f32_e32 v3, v21, v49
	v_add_f32_e32 v7, v20, v48
	v_min3_f32 v110, v7, v3, v89
	v_add_f32_e32 v3, v17, v49
	v_add_f32_e32 v7, v16, v48
	v_min3_f32 v109, v7, v3, v88
	v_add_f32_e32 v3, v13, v49
	v_add_f32_e32 v7, v12, v48
	v_min3_f32 v108, v7, v3, v87
	v_add_f32_e32 v3, v9, v49
	v_add_f32_e32 v7, v8, v48
	v_min3_f32 v107, v7, v3, v86
	v_add_f32_e32 v3, v5, v49
	v_add_f32_e32 v7, v4, v48
	v_min3_f32 v106, v7, v3, v85
	v_add_f32_e32 v3, v37, v45
	v_add_f32_e32 v7, v36, v44
	v_min3_f32 v105, v7, v3, v84
	v_add_f32_e32 v3, v33, v45
	v_add_f32_e32 v7, v32, v44
	v_min3_f32 v104, v7, v3, v83
	v_add_f32_e32 v3, v29, v45
	v_add_f32_e32 v7, v28, v44
	v_min3_f32 v103, v7, v3, v82
	v_add_f32_e32 v3, v21, v45
	v_add_f32_e32 v7, v20, v44
	v_min3_f32 v102, v7, v3, v63
	v_add_f32_e32 v3, v17, v45
	v_add_f32_e32 v7, v16, v44
	v_min3_f32 v101, v7, v3, v62
	v_add_f32_e32 v3, v13, v45
	v_add_f32_e32 v7, v12, v44
	v_min3_f32 v100, v7, v3, v59
	v_add_f32_e32 v3, v9, v45
	v_add_f32_e32 v7, v8, v44
	v_min3_f32 v99, v7, v3, v58
	v_add_f32_e32 v3, v5, v45
	v_add_f32_e32 v7, v4, v44
	v_min3_f32 v98, v7, v3, v55
	v_add_f32_e32 v3, v37, v41
	v_add_f32_e32 v7, v36, v40
	v_min3_f32 v97, v7, v3, v54
	v_add_f32_e32 v3, v33, v41
	v_add_f32_e32 v7, v32, v40
	v_min3_f32 v96, v7, v3, v51
	v_add_f32_e32 v3, v29, v41
	v_add_f32_e32 v7, v28, v40
	v_min3_f32 v95, v7, v3, v50
	v_add_f32_e32 v3, v21, v41
	v_add_f32_e32 v7, v20, v40
	v_min3_f32 v94, v7, v3, v47
	v_add_f32_e32 v3, v17, v41
	v_add_f32_e32 v7, v16, v40
	v_min3_f32 v93, v7, v3, v46
	v_add_f32_e32 v3, v13, v41
	v_add_f32_e32 v7, v12, v40
	v_min3_f32 v91, v7, v3, v43
	v_add_f32_e32 v3, v9, v41
	v_add_f32_e32 v7, v8, v40
	v_min3_f32 v90, v7, v3, v42
	v_add_f32_e32 v3, v5, v41
	v_add_f32_e32 v7, v4, v40
	v_add_f32_e32 v4, v4, v24
	v_min3_f32 v89, v7, v3, v38
	v_add_f32_e32 v3, v37, v25
	v_add_f32_e32 v7, v36, v24
	v_min3_f32 v88, v7, v3, v34
	v_add_f32_e32 v3, v33, v25
	;; [unrolled: 3-line block ×8, first 2 shown]
	v_min3_f32 v92, v4, v3, v2
	s_cbranch_scc1 .LBB24_58
; %bb.32:
	v_mad_i64_i32 v[2:3], null, s28, v68, 0
	v_lshlrev_b64 v[66:67], 2, v[66:67]
	v_add_nc_u32_e32 v123, 0x2000, v143
	v_or_b32_e32 v132, 0x2000, v73
	v_add_nc_u32_e32 v141, 0x2400, v143
	v_add_nc_u32_e32 v143, 0x1000, v74
	v_lshl_add_u32 v144, v0, 4, 0x2400
	v_lshlrev_b64 v[2:3], 2, v[2:3]
	s_add_i32 s8, s14, -8
	s_add_i32 s9, s14, -1
	v_add_co_u32 v2, s6, v2, v142
	v_add_co_ci_u32_e64 v3, null, 0, v3, s6
	v_lshl_or_b32 v142, v1, 4, 0x1000
	v_add_co_u32 v2, s6, s20, v2
	v_add_co_ci_u32_e64 v3, null, s21, v3, s6
	s_mov_b32 s20, 0
	v_add_co_u32 v68, s6, v2, 48
	v_add_co_ci_u32_e64 v69, null, 0, v3, s6
	s_branch .LBB24_34
.LBB24_33:                              ;   in Loop: Header=BB24_34 Depth=1
	s_or_b32 exec_lo, exec_lo, s7
	v_add_f32_e32 v150, v35, v63
	v_add_f32_e32 v151, v34, v62
	;; [unrolled: 1-line block ×6, first 2 shown]
	v_min3_f32 v81, v151, v150, v81
	v_add_f32_e32 v150, v23, v63
	v_min3_f32 v79, v153, v152, v79
	v_add_f32_e32 v151, v22, v62
	v_min3_f32 v77, v155, v154, v77
	v_add_f32_e32 v152, v19, v63
	v_add_f32_e32 v153, v18, v62
	v_add_f32_e32 v154, v15, v63
	;; [unrolled: 1-line block ×7, first 2 shown]
	v_min3_f32 v75, v151, v150, v75
	v_min3_f32 v76, v153, v152, v76
	v_add_f32_e32 v150, v31, v59
	v_add_f32_e32 v151, v30, v58
	v_min3_f32 v62, v62, v63, v140
	v_add_f32_e32 v63, v35, v59
	v_add_f32_e32 v140, v34, v58
	;; [unrolled: 1-line block ×4, first 2 shown]
	v_min3_f32 v78, v155, v154, v78
	v_min3_f32 v80, v157, v156, v80
	v_add_f32_e32 v154, v23, v59
	v_add_f32_e32 v155, v22, v58
	;; [unrolled: 1-line block ×4, first 2 shown]
	v_min3_f32 v63, v140, v63, v139
	v_min3_f32 v138, v151, v150, v138
	;; [unrolled: 1-line block ×3, first 2 shown]
	v_add_f32_e32 v139, v15, v59
	v_add_f32_e32 v140, v14, v58
	;; [unrolled: 1-line block ×8, first 2 shown]
	v_min3_f32 v136, v155, v154, v136
	v_add_f32_e32 v154, v31, v55
	v_add_f32_e32 v155, v30, v54
	v_min3_f32 v134, v140, v139, v134
	v_min3_f32 v133, v151, v150, v133
	;; [unrolled: 1-line block ×4, first 2 shown]
	v_add_f32_e32 v130, v27, v55
	v_add_f32_e32 v131, v26, v54
	;; [unrolled: 1-line block ×6, first 2 shown]
	v_min3_f32 v129, v155, v154, v129
	v_add_f32_e32 v152, v15, v55
	v_add_f32_e32 v153, v14, v54
	;; [unrolled: 1-line block ×4, first 2 shown]
	v_min3_f32 v128, v131, v130, v128
	v_min3_f32 v127, v140, v139, v127
	;; [unrolled: 1-line block ×3, first 2 shown]
	v_add_f32_e32 v55, v3, v55
	v_add_f32_e32 v54, v2, v54
	;; [unrolled: 1-line block ×8, first 2 shown]
	v_min3_f32 v125, v153, v152, v125
	v_add_f32_e32 v152, v23, v51
	v_add_f32_e32 v153, v22, v50
	v_min3_f32 v54, v54, v55, v121
	v_min3_f32 v55, v131, v130, v122
	v_min3_f32 v120, v140, v139, v120
	v_min3_f32 v119, v151, v150, v119
	v_add_f32_e32 v121, v19, v51
	v_add_f32_e32 v122, v18, v50
	;; [unrolled: 1-line block ×10, first 2 shown]
	v_min3_f32 v117, v122, v121, v117
	v_min3_f32 v116, v131, v130, v116
	;; [unrolled: 1-line block ×3, first 2 shown]
	v_add_f32_e32 v114, v30, v46
	v_min3_f32 v51, v151, v150, v113
	v_add_f32_e32 v113, v31, v47
	v_add_f32_e32 v121, v27, v47
	;; [unrolled: 1-line block ×5, first 2 shown]
	v_min3_f32 v115, v140, v139, v115
	v_add_f32_e32 v139, v19, v47
	v_add_f32_e32 v140, v18, v46
	;; [unrolled: 1-line block ×4, first 2 shown]
	v_min3_f32 v112, v114, v113, v112
	v_min3_f32 v111, v122, v121, v111
	;; [unrolled: 1-line block ×3, first 2 shown]
	v_add_f32_e32 v113, v11, v47
	v_add_f32_e32 v114, v10, v46
	;; [unrolled: 1-line block ×8, first 2 shown]
	v_min3_f32 v109, v140, v139, v109
	v_add_f32_e32 v139, v27, v43
	v_add_f32_e32 v140, v26, v42
	v_min3_f32 v107, v114, v113, v107
	v_min3_f32 v46, v46, v47, v106
	;; [unrolled: 1-line block ×4, first 2 shown]
	v_add_f32_e32 v105, v23, v43
	v_add_f32_e32 v106, v22, v42
	;; [unrolled: 1-line block ×10, first 2 shown]
	v_min3_f32 v102, v106, v105, v102
	v_add_f32_e32 v105, v31, v39
	v_add_f32_e32 v106, v30, v38
	v_min3_f32 v101, v114, v113, v101
	v_min3_f32 v42, v42, v43, v98
	v_add_f32_e32 v43, v35, v39
	v_add_f32_e32 v98, v34, v38
	v_min3_f32 v100, v122, v121, v100
	v_min3_f32 v99, v131, v130, v99
	v_add_f32_e32 v113, v27, v39
	v_add_f32_e32 v114, v26, v38
	;; [unrolled: 1-line block ×6, first 2 shown]
	v_min3_f32 v43, v98, v43, v97
	v_min3_f32 v96, v106, v105, v96
	v_add_f32_e32 v97, v15, v39
	v_add_f32_e32 v98, v14, v38
	;; [unrolled: 1-line block ×20, first 2 shown]
	v_min3_f32 v30, v30, v31, v87
	v_min3_f32 v26, v26, v27, v86
	v_min3_f32 v22, v22, v23, v85
	v_min3_f32 v23, v18, v19, v84
	v_min3_f32 v27, v14, v15, v83
	v_min3_f32 v31, v10, v11, v82
	v_add_f32_e32 v3, v3, v7
	v_add_f32_e32 v2, v2, v6
	v_add_f32_e32 v6, v37, v65
	v_add_f32_e32 v7, v36, v64
	v_add_f32_e32 v10, v33, v65
	v_add_f32_e32 v11, v32, v64
	v_add_f32_e32 v14, v29, v65
	v_add_f32_e32 v15, v28, v64
	v_add_f32_e32 v18, v25, v65
	v_add_f32_e32 v19, v24, v64
	v_min3_f32 v34, v34, v35, v88
	v_min3_f32 v35, v2, v3, v92
	v_min3_f32 v81, v7, v6, v81
	v_min3_f32 v79, v11, v10, v79
	v_min3_f32 v77, v15, v14, v77
	v_min3_f32 v75, v19, v18, v75
	v_add_f32_e32 v2, v21, v65
	v_add_f32_e32 v3, v20, v64
	v_add_f32_e32 v6, v17, v65
	v_add_f32_e32 v7, v16, v64
	v_add_f32_e32 v10, v13, v65
	v_add_f32_e32 v11, v12, v64
	v_add_f32_e32 v14, v5, v65
	v_add_f32_e32 v15, v4, v64
	v_add_f32_e32 v18, v37, v61
	v_add_f32_e32 v19, v36, v60
	;; [unrolled: 16-line block ×3, first 2 shown]
	v_min3_f32 v84, v3, v2, v138
	v_min3_f32 v85, v7, v6, v137
	;; [unrolled: 1-line block ×5, first 2 shown]
	v_add_f32_e32 v2, v13, v61
	v_add_f32_e32 v3, v12, v60
	;; [unrolled: 1-line block ×10, first 2 shown]
	v_min3_f32 v124, v155, v154, v124
	v_min3_f32 v91, v98, v97, v91
	;; [unrolled: 1-line block ×9, first 2 shown]
	v_add_f32_e32 v2, v25, v57
	v_add_f32_e32 v3, v24, v56
	;; [unrolled: 1-line block ×10, first 2 shown]
	v_min3_f32 v118, v153, v152, v118
	v_min3_f32 v95, v114, v113, v95
	;; [unrolled: 1-line block ×8, first 2 shown]
	v_add_f32_e32 v2, v37, v53
	v_add_f32_e32 v3, v36, v52
	v_add_f32_e32 v6, v33, v53
	v_add_f32_e32 v7, v32, v52
	v_add_f32_e32 v10, v29, v53
	v_add_f32_e32 v11, v28, v52
	v_add_f32_e32 v14, v25, v53
	v_add_f32_e32 v15, v24, v52
	v_add_f32_e32 v18, v21, v53
	v_add_f32_e32 v19, v20, v52
	v_min3_f32 v124, v3, v2, v55
	v_min3_f32 v120, v7, v6, v120
	v_min3_f32 v119, v11, v10, v119
	v_min3_f32 v118, v15, v14, v118
	v_min3_f32 v117, v19, v18, v117
	v_add_f32_e32 v2, v17, v53
	v_add_f32_e32 v3, v16, v52
	v_add_f32_e32 v6, v13, v53
	v_add_f32_e32 v7, v12, v52
	v_add_f32_e32 v10, v5, v53
	v_add_f32_e32 v11, v4, v52
	v_add_f32_e32 v14, v37, v49
	v_add_f32_e32 v15, v36, v48
	v_add_f32_e32 v18, v33, v49
	v_add_f32_e32 v19, v32, v48
	v_min3_f32 v108, v151, v150, v108
	v_min3_f32 v116, v3, v2, v116
	v_min3_f32 v115, v7, v6, v115
	v_min3_f32 v125, v11, v10, v50
	v_min3_f32 v126, v15, v14, v51
	v_min3_f32 v112, v19, v18, v112
	v_add_f32_e32 v2, v29, v49
	v_add_f32_e32 v3, v28, v48
	v_add_f32_e32 v6, v25, v49
	v_add_f32_e32 v7, v24, v48
	v_add_f32_e32 v10, v21, v49
	v_add_f32_e32 v11, v20, v48
	v_add_f32_e32 v14, v17, v49
	v_add_f32_e32 v15, v16, v48
	v_add_f32_e32 v18, v13, v49
	v_add_f32_e32 v19, v12, v48
	v_min3_f32 v103, v140, v139, v103
	;; [unrolled: 16-line block ×3, first 2 shown]
	v_min3_f32 v128, v7, v6, v47
	v_min3_f32 v104, v11, v10, v104
	;; [unrolled: 1-line block ×4, first 2 shown]
	v_add_f32_e32 v2, v21, v45
	v_add_f32_e32 v3, v20, v44
	;; [unrolled: 1-line block ×10, first 2 shown]
	v_min3_f32 v93, v131, v130, v93
	v_min3_f32 v101, v3, v2, v101
	;; [unrolled: 1-line block ×6, first 2 shown]
	v_add_f32_e32 v2, v33, v41
	v_add_f32_e32 v3, v32, v40
	;; [unrolled: 1-line block ×10, first 2 shown]
	v_min3_f32 v96, v3, v2, v96
	v_min3_f32 v95, v7, v6, v95
	;; [unrolled: 1-line block ×5, first 2 shown]
	v_add_f32_e32 v2, v13, v41
	v_add_f32_e32 v3, v12, v40
	;; [unrolled: 1-line block ×10, first 2 shown]
	v_min3_f32 v90, v3, v2, v90
	v_min3_f32 v131, v7, v6, v38
	;; [unrolled: 1-line block ×5, first 2 shown]
	v_add_f32_e32 v6, v25, v9
	v_add_f32_e32 v7, v24, v8
	v_add_f32_e32 v24, v21, v9
	v_add_f32_e32 v25, v20, v8
	v_add_f32_e32 v26, v17, v9
	v_add_f32_e32 v28, v16, v8
	v_add_f32_e32 v29, v13, v9
	v_add_f32_e32 v30, v12, v8
	ds_read_b128 v[10:13], v132
	ds_read_b128 v[14:17], v72
	v_add_f32_e32 v9, v5, v9
	ds_read_b128 v[18:21], v132 offset:128
	v_add_f32_e32 v8, v4, v8
	ds_read_b128 v[2:5], v132 offset:256
	v_min3_f32 v136, v7, v6, v22
	v_min3_f32 v137, v25, v24, v23
	;; [unrolled: 1-line block ×5, first 2 shown]
	ds_read_b128 v[6:9], v132 offset:384
	ds_read_b128 v[22:25], v132 offset:512
	;; [unrolled: 1-line block ×12, first 2 shown]
	v_add_co_u32 v68, s6, v68, 32
	v_add_co_ci_u32_e64 v69, null, 0, v69, s6
	s_add_i32 s20, s20, 8
	ds_write_b32 v141, v145
	ds_write2st64_b32 v143, v146, v147 offset1:4
	ds_write2st64_b32 v143, v148, v149 offset0:8 offset1:12
	s_cmp_ge_i32 s20, s8
	s_waitcnt lgkmcnt(0)
	v_add_f32_e32 v150, v11, v15
	v_add_f32_e32 v151, v10, v14
	;; [unrolled: 1-line block ×6, first 2 shown]
	v_min3_f32 v81, v151, v150, v81
	v_add_f32_e32 v150, v7, v15
	v_min3_f32 v79, v153, v152, v79
	v_add_f32_e32 v151, v6, v14
	v_min3_f32 v77, v155, v154, v77
	v_add_f32_e32 v152, v23, v15
	v_add_f32_e32 v153, v22, v14
	v_add_f32_e32 v154, v27, v15
	v_add_f32_e32 v155, v26, v14
	v_add_f32_e32 v156, v31, v15
	v_add_f32_e32 v157, v30, v14
	v_add_f32_e32 v15, v35, v15
	v_add_f32_e32 v14, v34, v14
	v_min3_f32 v75, v151, v150, v75
	v_min3_f32 v76, v153, v152, v76
	v_min3_f32 v78, v155, v154, v78
	v_min3_f32 v80, v157, v156, v80
	v_min3_f32 v14, v14, v15, v82
	v_add_f32_e32 v15, v11, v39
	v_add_f32_e32 v82, v10, v38
	v_add_f32_e32 v150, v19, v39
	v_add_f32_e32 v151, v18, v38
	v_add_f32_e32 v152, v3, v39
	v_add_f32_e32 v153, v2, v38
	v_add_f32_e32 v154, v7, v39
	v_add_f32_e32 v155, v6, v38
	v_add_f32_e32 v156, v23, v39
	v_add_f32_e32 v157, v22, v38
	v_min3_f32 v15, v82, v15, v83
	v_min3_f32 v82, v151, v150, v84
	v_min3_f32 v83, v153, v152, v85
	v_min3_f32 v84, v155, v154, v86
	v_min3_f32 v85, v157, v156, v87
	v_add_f32_e32 v86, v27, v39
	v_add_f32_e32 v87, v26, v38
	v_add_f32_e32 v150, v31, v39
	v_add_f32_e32 v151, v30, v38
	v_add_f32_e32 v39, v35, v39
	v_add_f32_e32 v38, v34, v38
	v_add_f32_e32 v152, v11, v43
	v_add_f32_e32 v153, v10, v42
	v_add_f32_e32 v154, v19, v43
	v_add_f32_e32 v155, v18, v42
	v_min3_f32 v86, v87, v86, v88
	v_min3_f32 v87, v151, v150, v89
	v_min3_f32 v38, v38, v39, v92
	v_min3_f32 v39, v153, v152, v97
	v_min3_f32 v88, v155, v154, v98
	v_add_f32_e32 v89, v3, v43
	v_add_f32_e32 v92, v2, v42
	v_add_f32_e32 v97, v7, v43
	v_add_f32_e32 v98, v6, v42
	v_add_f32_e32 v150, v23, v43
	v_add_f32_e32 v151, v22, v42
	v_add_f32_e32 v152, v27, v43
	v_add_f32_e32 v153, v26, v42
	v_add_f32_e32 v154, v31, v43
	v_add_f32_e32 v155, v30, v42
	v_min3_f32 v89, v92, v89, v105
	v_min3_f32 v92, v98, v97, v106
	v_min3_f32 v97, v151, v150, v113
	v_min3_f32 v98, v153, v152, v114
	v_min3_f32 v105, v155, v154, v121
	v_add_f32_e32 v43, v35, v43
	v_add_f32_e32 v42, v34, v42
	v_add_f32_e32 v106, v11, v47
	v_add_f32_e32 v113, v10, v46
	v_add_f32_e32 v114, v19, v47
	v_add_f32_e32 v121, v18, v46
	v_add_f32_e32 v150, v3, v47
	v_add_f32_e32 v151, v2, v46
	v_add_f32_e32 v152, v7, v47
	v_add_f32_e32 v153, v6, v46
	v_min3_f32 v42, v42, v43, v122
	v_min3_f32 v43, v113, v106, v124
	v_min3_f32 v106, v121, v114, v120
	v_min3_f32 v113, v151, v150, v119
	v_min3_f32 v114, v153, v152, v118
	v_add_f32_e32 v118, v23, v47
	v_add_f32_e32 v119, v22, v46
	v_add_f32_e32 v120, v27, v47
	v_add_f32_e32 v121, v26, v46
	v_add_f32_e32 v122, v31, v47
	v_add_f32_e32 v124, v30, v46
	v_add_f32_e32 v47, v35, v47
	v_add_f32_e32 v46, v34, v46
	v_add_f32_e32 v150, v11, v51
	v_add_f32_e32 v151, v10, v50
	v_min3_f32 v117, v119, v118, v117
	v_min3_f32 v116, v121, v120, v116
	v_min3_f32 v115, v124, v122, v115
	v_min3_f32 v46, v46, v47, v125
	v_min3_f32 v47, v151, v150, v126
	v_add_f32_e32 v118, v19, v51
	v_add_f32_e32 v119, v18, v50
	v_add_f32_e32 v120, v3, v51
	v_add_f32_e32 v121, v2, v50
	v_add_f32_e32 v122, v7, v51
	;; [unrolled: 1-line block ×7, first 2 shown]
	v_min3_f32 v112, v119, v118, v112
	v_min3_f32 v111, v121, v120, v111
	;; [unrolled: 1-line block ×4, first 2 shown]
	v_add_f32_e32 v118, v31, v51
	v_add_f32_e32 v119, v30, v50
	;; [unrolled: 1-line block ×10, first 2 shown]
	v_min3_f32 v107, v119, v118, v107
	v_min3_f32 v50, v50, v51, v127
	;; [unrolled: 1-line block ×5, first 2 shown]
	v_add_f32_e32 v118, v7, v55
	v_add_f32_e32 v119, v6, v54
	;; [unrolled: 1-line block ×10, first 2 shown]
	v_min3_f32 v102, v119, v118, v102
	v_min3_f32 v101, v121, v120, v101
	;; [unrolled: 1-line block ×3, first 2 shown]
	v_add_f32_e32 v118, v10, v58
	v_min3_f32 v54, v54, v55, v129
	v_add_f32_e32 v55, v11, v59
	v_add_f32_e32 v119, v19, v59
	;; [unrolled: 1-line block ×9, first 2 shown]
	v_min3_f32 v99, v126, v125, v99
	v_add_f32_e32 v124, v7, v59
	v_add_f32_e32 v125, v6, v58
	v_add_f32_e32 v126, v23, v59
	v_add_f32_e32 v127, v22, v58
	v_min3_f32 v55, v118, v55, v130
	v_min3_f32 v96, v120, v119, v96
	;; [unrolled: 1-line block ×3, first 2 shown]
	v_add_f32_e32 v118, v27, v59
	v_add_f32_e32 v119, v26, v58
	;; [unrolled: 1-line block ×6, first 2 shown]
	v_min3_f32 v10, v10, v11, v133
	v_min3_f32 v11, v18, v19, v134
	v_add_f32_e32 v3, v3, v63
	v_add_f32_e32 v2, v2, v62
	v_add_f32_e32 v7, v7, v63
	v_add_f32_e32 v6, v6, v62
	v_add_f32_e32 v18, v23, v63
	v_add_f32_e32 v19, v22, v62
	v_add_f32_e32 v22, v27, v63
	v_add_f32_e32 v23, v26, v62
	v_add_f32_e32 v26, v31, v63
	v_add_f32_e32 v27, v30, v62
	v_min3_f32 v58, v58, v59, v131
	v_min3_f32 v2, v2, v3, v135
	;; [unrolled: 1-line block ×6, first 2 shown]
	v_add_f32_e32 v19, v35, v63
	v_add_f32_e32 v22, v34, v62
	;; [unrolled: 1-line block ×10, first 2 shown]
	v_min3_f32 v19, v22, v19, v140
	v_min3_f32 v81, v26, v23, v81
	;; [unrolled: 1-line block ×5, first 2 shown]
	v_add_f32_e32 v22, v25, v17
	v_add_f32_e32 v23, v24, v16
	;; [unrolled: 1-line block ×10, first 2 shown]
	v_min3_f32 v76, v23, v22, v76
	v_min3_f32 v78, v27, v26, v78
	;; [unrolled: 1-line block ×3, first 2 shown]
	v_add_f32_e32 v14, v21, v41
	v_min3_f32 v139, v35, v34, v15
	v_add_f32_e32 v15, v20, v40
	v_add_f32_e32 v16, v5, v41
	;; [unrolled: 1-line block ×3, first 2 shown]
	v_min3_f32 v80, v31, v30, v80
	v_add_f32_e32 v22, v9, v41
	v_min3_f32 v138, v15, v14, v82
	v_add_f32_e32 v14, v33, v41
	v_add_f32_e32 v15, v32, v40
	;; [unrolled: 1-line block ×7, first 2 shown]
	v_min3_f32 v137, v17, v16, v83
	v_add_f32_e32 v16, v37, v41
	v_add_f32_e32 v17, v36, v40
	v_min3_f32 v133, v15, v14, v87
	v_add_f32_e32 v14, v9, v45
	v_add_f32_e32 v15, v8, v44
	v_min3_f32 v93, v127, v126, v93
	v_min3_f32 v136, v23, v22, v84
	;; [unrolled: 1-line block ×4, first 2 shown]
	v_add_f32_e32 v22, v13, v45
	v_add_f32_e32 v23, v12, v44
	;; [unrolled: 1-line block ×6, first 2 shown]
	v_min3_f32 v131, v17, v16, v38
	v_add_f32_e32 v16, v25, v45
	v_add_f32_e32 v17, v24, v44
	v_min3_f32 v127, v15, v14, v92
	v_add_f32_e32 v14, v13, v49
	v_add_f32_e32 v15, v12, v48
	v_min3_f32 v130, v23, v22, v39
	v_min3_f32 v129, v27, v26, v88
	;; [unrolled: 1-line block ×3, first 2 shown]
	v_add_f32_e32 v22, v29, v45
	v_add_f32_e32 v23, v28, v44
	;; [unrolled: 1-line block ×6, first 2 shown]
	v_min3_f32 v126, v17, v16, v97
	v_add_f32_e32 v16, v21, v49
	v_add_f32_e32 v17, v20, v48
	v_min3_f32 v122, v15, v14, v43
	v_add_f32_e32 v14, v29, v49
	v_add_f32_e32 v15, v28, v48
	v_min3_f32 v94, v125, v124, v94
	v_min3_f32 v90, v121, v120, v90
	v_min3_f32 v125, v23, v22, v98
	v_min3_f32 v124, v27, v26, v105
	v_min3_f32 v121, v31, v30, v42
	v_add_f32_e32 v22, v5, v49
	v_add_f32_e32 v23, v4, v48
	;; [unrolled: 1-line block ×6, first 2 shown]
	v_min3_f32 v120, v17, v16, v106
	v_add_f32_e32 v16, v33, v49
	v_add_f32_e32 v17, v32, v48
	v_min3_f32 v116, v15, v14, v116
	v_add_f32_e32 v14, v5, v53
	v_add_f32_e32 v15, v4, v52
	v_min3_f32 v91, v119, v118, v91
	v_min3_f32 v119, v23, v22, v113
	;; [unrolled: 1-line block ×4, first 2 shown]
	v_add_f32_e32 v22, v37, v49
	v_add_f32_e32 v23, v36, v48
	;; [unrolled: 1-line block ×6, first 2 shown]
	v_min3_f32 v115, v17, v16, v115
	v_add_f32_e32 v16, v9, v53
	v_add_f32_e32 v17, v8, v52
	v_min3_f32 v111, v15, v14, v111
	v_add_f32_e32 v14, v37, v53
	v_add_f32_e32 v15, v36, v52
	v_min3_f32 v108, v151, v150, v108
	v_min3_f32 v114, v23, v22, v46
	;; [unrolled: 1-line block ×4, first 2 shown]
	v_add_f32_e32 v22, v25, v53
	v_add_f32_e32 v23, v24, v52
	v_add_f32_e32 v26, v29, v53
	v_add_f32_e32 v27, v28, v52
	v_add_f32_e32 v30, v33, v53
	v_add_f32_e32 v31, v32, v52
	v_min3_f32 v110, v17, v16, v110
	v_add_f32_e32 v16, v13, v57
	v_add_f32_e32 v17, v12, v56
	v_min3_f32 v106, v15, v14, v50
	v_add_f32_e32 v14, v25, v57
	v_add_f32_e32 v15, v24, v56
	v_min3_f32 v109, v23, v22, v109
	v_min3_f32 v108, v27, v26, v108
	v_min3_f32 v107, v31, v30, v107
	v_add_f32_e32 v22, v21, v57
	v_add_f32_e32 v23, v20, v56
	;; [unrolled: 1-line block ×6, first 2 shown]
	v_min3_f32 v105, v17, v16, v51
	v_add_f32_e32 v16, v29, v57
	v_add_f32_e32 v17, v28, v56
	v_min3_f32 v101, v15, v14, v101
	v_add_f32_e32 v14, v21, v61
	v_add_f32_e32 v15, v20, v60
	v_min3_f32 v104, v23, v22, v104
	v_min3_f32 v103, v27, v26, v103
	;; [unrolled: 1-line block ×3, first 2 shown]
	v_add_f32_e32 v22, v33, v57
	v_add_f32_e32 v23, v32, v56
	;; [unrolled: 1-line block ×6, first 2 shown]
	v_min3_f32 v100, v17, v16, v100
	v_add_f32_e32 v16, v5, v61
	v_add_f32_e32 v17, v4, v60
	v_min3_f32 v96, v15, v14, v96
	v_add_f32_e32 v14, v33, v61
	v_add_f32_e32 v15, v32, v60
	v_add_f32_e32 v13, v13, v65
	v_add_f32_e32 v12, v12, v64
	v_add_f32_e32 v21, v21, v65
	v_add_f32_e32 v20, v20, v64
	v_add_f32_e32 v5, v5, v65
	v_add_f32_e32 v4, v4, v64
	v_min3_f32 v99, v23, v22, v99
	v_min3_f32 v98, v27, v26, v54
	;; [unrolled: 1-line block ×3, first 2 shown]
	v_add_f32_e32 v22, v9, v61
	v_add_f32_e32 v23, v8, v60
	;; [unrolled: 1-line block ×6, first 2 shown]
	v_min3_f32 v95, v17, v16, v95
	v_add_f32_e32 v16, v37, v61
	v_add_f32_e32 v17, v36, v60
	v_min3_f32 v90, v15, v14, v90
	v_min3_f32 v88, v12, v13, v10
	;; [unrolled: 1-line block ×4, first 2 shown]
	v_add_f32_e32 v2, v9, v65
	v_add_f32_e32 v4, v8, v64
	;; [unrolled: 1-line block ×10, first 2 shown]
	v_min3_f32 v94, v23, v22, v94
	v_min3_f32 v93, v27, v26, v93
	;; [unrolled: 1-line block ×9, first 2 shown]
	s_barrier
	buffer_gl0_inv
	s_cbranch_scc1 .LBB24_58
.LBB24_34:                              ; =>This Inner Loop Header: Depth=1
	v_add_nc_u32_e32 v145, s20, v70
                                        ; implicit-def: $vgpr147
	v_add_nc_u32_e32 v2, 8, v145
	v_cmp_le_i32_e64 s6, s14, v2
	s_or_b32 s7, s6, vcc_lo
	s_nor_b32 s6, s26, s7
	s_and_saveexec_b32 s21, s6
	s_xor_b32 s21, exec_lo, s21
	s_cbranch_execz .LBB24_36
; %bb.35:                               ;   in Loop: Header=BB24_34 Depth=1
	v_add_co_u32 v2, s6, -16, v68
	v_add_co_ci_u32_e64 v3, null, -1, v69, s6
	flat_load_dword v2, v[2:3]
	s_waitcnt vmcnt(0) lgkmcnt(0)
	v_mul_f32_e32 v147, s25, v2
.LBB24_36:                              ;   in Loop: Header=BB24_34 Depth=1
	s_andn2_saveexec_b32 s6, s21
; %bb.37:                               ;   in Loop: Header=BB24_34 Depth=1
	v_cndmask_b32_e64 v147, 0, 0x7f7fffff, s7
; %bb.38:                               ;   in Loop: Header=BB24_34 Depth=1
	s_or_b32 exec_lo, exec_lo, s6
	v_add_nc_u32_e32 v146, s20, v71
	v_add_nc_u32_e32 v4, 8, v146
	v_min_i32_e32 v2, s9, v4
	v_cmp_le_i32_e64 s6, s14, v4
	v_mad_i64_i32 v[2:3], null, v2, s27, 0
	v_lshlrev_b64 v[2:3], 2, v[2:3]
	v_add_co_u32 v2, s7, s16, v2
	v_add_co_ci_u32_e64 v3, null, s17, v3, s7
	s_or_b32 s7, s0, s6
	v_cndmask_b32_e64 v148, 0, 0x7f7fffff, s7
	s_nor_b32 s7, s26, s7
	s_and_saveexec_b32 s21, s7
	s_cbranch_execz .LBB24_40
; %bb.39:                               ;   in Loop: Header=BB24_34 Depth=1
	v_add_co_u32 v4, s7, v2, v66
	v_add_co_ci_u32_e64 v5, null, v3, v67, s7
	flat_load_dword v4, v[4:5]
	s_waitcnt vmcnt(0) lgkmcnt(0)
	v_mul_f32_e32 v148, s25, v4
.LBB24_40:                              ;   in Loop: Header=BB24_34 Depth=1
	s_or_b32 exec_lo, exec_lo, s21
	s_or_b32 s7, s1, s6
	v_cndmask_b32_e64 v149, 0, 0x7f7fffff, s7
	s_nor_b32 s7, s26, s7
	s_and_saveexec_b32 s21, s7
	s_cbranch_execz .LBB24_42
; %bb.41:                               ;   in Loop: Header=BB24_34 Depth=1
	v_add_co_u32 v4, s7, v2, v66
	v_add_co_ci_u32_e64 v5, null, v3, v67, s7
	flat_load_dword v4, v[4:5] offset:256
	s_waitcnt vmcnt(0) lgkmcnt(0)
	v_mul_f32_e32 v149, s25, v4
.LBB24_42:                              ;   in Loop: Header=BB24_34 Depth=1
	s_or_b32 exec_lo, exec_lo, s21
	s_or_b32 s7, s2, s6
	v_cndmask_b32_e64 v150, 0, 0x7f7fffff, s7
	s_nor_b32 s7, s26, s7
	s_and_saveexec_b32 s21, s7
	s_cbranch_execz .LBB24_44
; %bb.43:                               ;   in Loop: Header=BB24_34 Depth=1
	v_add_co_u32 v4, s7, v2, v66
	v_add_co_ci_u32_e64 v5, null, v3, v67, s7
	flat_load_dword v4, v[4:5] offset:512
	s_waitcnt vmcnt(0) lgkmcnt(0)
	v_mul_f32_e32 v150, s25, v4
.LBB24_44:                              ;   in Loop: Header=BB24_34 Depth=1
	;; [unrolled: 13-line block ×3, first 2 shown]
	s_or_b32 exec_lo, exec_lo, s7
	ds_read_b128 v[34:37], v144
	ds_read_b128 v[30:33], v144 offset:128
	ds_read_b128 v[26:29], v144 offset:256
	;; [unrolled: 1-line block ×7, first 2 shown]
	ds_read_b128 v[62:65], v142
	ds_read_b128 v[58:61], v142 offset:512
	ds_read_b128 v[54:57], v142 offset:1024
	;; [unrolled: 1-line block ×7, first 2 shown]
	v_add_nc_u32_e32 v145, 12, v145
	ds_write_b32 v123, v147
	ds_write2st64_b32 v74, v148, v149 offset1:4
	ds_write2st64_b32 v74, v150, v151 offset0:8 offset1:12
	s_waitcnt lgkmcnt(0)
	s_barrier
	buffer_gl0_inv
	v_cmp_le_i32_e64 s6, s14, v145
                                        ; implicit-def: $vgpr145
	s_or_b32 s6, s6, vcc_lo
	s_nor_b32 s7, s26, s6
	s_and_saveexec_b32 s21, s7
	s_xor_b32 s7, exec_lo, s21
	s_cbranch_execz .LBB24_48
; %bb.47:                               ;   in Loop: Header=BB24_34 Depth=1
	flat_load_dword v145, v[68:69]
	s_waitcnt vmcnt(0) lgkmcnt(0)
	v_mul_f32_e32 v145, s25, v145
.LBB24_48:                              ;   in Loop: Header=BB24_34 Depth=1
	s_andn2_saveexec_b32 s7, s7
; %bb.49:                               ;   in Loop: Header=BB24_34 Depth=1
	v_cndmask_b32_e64 v145, 0, 0x7f7fffff, s6
; %bb.50:                               ;   in Loop: Header=BB24_34 Depth=1
	s_or_b32 exec_lo, exec_lo, s7
	v_add_nc_u32_e32 v148, 12, v146
	v_min_i32_e32 v146, s9, v148
	v_cmp_le_i32_e64 s6, s14, v148
	v_mad_i64_i32 v[146:147], null, v146, s27, 0
	v_lshlrev_b64 v[146:147], 2, v[146:147]
	v_add_co_u32 v150, s7, s16, v146
	v_add_co_ci_u32_e64 v151, null, s17, v147, s7
	s_or_b32 s7, s0, s6
	v_cndmask_b32_e64 v146, 0, 0x7f7fffff, s7
	s_nor_b32 s7, s26, s7
	s_and_saveexec_b32 s21, s7
	s_cbranch_execz .LBB24_52
; %bb.51:                               ;   in Loop: Header=BB24_34 Depth=1
	v_add_co_u32 v146, s7, v150, v66
	v_add_co_ci_u32_e64 v147, null, v151, v67, s7
	flat_load_dword v146, v[146:147]
	s_waitcnt vmcnt(0) lgkmcnt(0)
	v_mul_f32_e32 v146, s25, v146
.LBB24_52:                              ;   in Loop: Header=BB24_34 Depth=1
	s_or_b32 exec_lo, exec_lo, s21
	s_or_b32 s7, s1, s6
	v_cndmask_b32_e64 v147, 0, 0x7f7fffff, s7
	s_nor_b32 s7, s26, s7
	s_and_saveexec_b32 s21, s7
	s_cbranch_execz .LBB24_54
; %bb.53:                               ;   in Loop: Header=BB24_34 Depth=1
	v_add_co_u32 v147, s7, v150, v66
	v_add_co_ci_u32_e64 v148, null, v151, v67, s7
	flat_load_dword v147, v[147:148] offset:256
	s_waitcnt vmcnt(0) lgkmcnt(0)
	v_mul_f32_e32 v147, s25, v147
.LBB24_54:                              ;   in Loop: Header=BB24_34 Depth=1
	s_or_b32 exec_lo, exec_lo, s21
	s_or_b32 s7, s2, s6
	v_cndmask_b32_e64 v148, 0, 0x7f7fffff, s7
	s_nor_b32 s7, s26, s7
	s_and_saveexec_b32 s21, s7
	s_cbranch_execz .LBB24_56
; %bb.55:                               ;   in Loop: Header=BB24_34 Depth=1
	v_add_co_u32 v148, s7, v150, v66
	v_add_co_ci_u32_e64 v149, null, v151, v67, s7
	flat_load_dword v148, v[148:149] offset:512
	s_waitcnt vmcnt(0) lgkmcnt(0)
	v_mul_f32_e32 v148, s25, v148
.LBB24_56:                              ;   in Loop: Header=BB24_34 Depth=1
	s_or_b32 exec_lo, exec_lo, s21
	s_or_b32 s6, s3, s6
	v_cndmask_b32_e64 v149, 0, 0x7f7fffff, s6
	s_nor_b32 s6, s26, s6
	s_and_saveexec_b32 s7, s6
	s_cbranch_execz .LBB24_33
; %bb.57:                               ;   in Loop: Header=BB24_34 Depth=1
	v_add_co_u32 v149, s6, v150, v66
	v_add_co_ci_u32_e64 v150, null, v151, v67, s6
	flat_load_dword v149, v[149:150] offset:768
	s_waitcnt vmcnt(0) lgkmcnt(0)
	v_mul_f32_e32 v149, s25, v149
	s_branch .LBB24_33
.LBB24_58:
	s_clause 0x2
	s_load_dword s14, s[4:5], 0x58
	s_load_dword s9, s[4:5], 0x70
	s_load_dwordx2 s[0:1], s[4:5], 0x78
	v_add_nc_u32_e32 v132, s24, v1
	ds_read_b128 v[34:37], v73 offset:9216
	ds_read_b128 v[30:33], v73 offset:9344
	ds_read_b128 v[26:29], v73 offset:9472
	ds_read_b128 v[22:25], v73 offset:9600
	ds_read_b128 v[18:21], v73 offset:9728
	ds_read_b128 v[14:17], v73 offset:9856
	ds_read_b128 v[10:13], v73 offset:9984
	ds_read_b128 v[2:5], v73 offset:10112
	ds_read_b128 v[62:65], v72 offset:4096
	ds_read_b128 v[58:61], v72 offset:4608
	ds_read_b128 v[54:57], v72 offset:5120
	ds_read_b128 v[50:53], v72 offset:5632
	ds_read_b128 v[46:49], v72 offset:6144
	ds_read_b128 v[42:45], v72 offset:6656
	ds_read_b128 v[38:41], v72 offset:7168
	ds_read_b128 v[6:9], v72 offset:7680
	v_add_nc_u32_e32 v0, s15, v0
	v_cmp_gt_i32_e64 s8, s13, v132
	v_cndmask_b32_e64 v123, 0, 1, s23
	v_ashrrev_i32_e32 v1, 31, v0
	s_waitcnt lgkmcnt(0)
	v_mad_i64_i32 v[66:67], null, v132, s14, 0
	v_mad_i64_i32 v[68:69], null, v132, s9, 0
	s_lshl_b64 s[0:1], s[0:1], 2
	s_add_u32 s15, s18, s0
	s_addc_u32 s16, s19, s1
	v_lshlrev_b64 v[66:67], 2, v[66:67]
	v_cmp_gt_i32_e64 s0, s12, v0
	v_lshlrev_b64 v[68:69], 2, v[68:69]
	s_and_b32 s2, s0, s8
	v_add_co_u32 v143, vcc_lo, s10, v66
	v_add_co_ci_u32_e64 v144, null, s11, v67, vcc_lo
	v_add_co_u32 v141, vcc_lo, s15, v68
	v_add_co_ci_u32_e64 v142, null, s16, v69, vcc_lo
	s_and_saveexec_b32 s1, s2
	s_cbranch_execz .LBB24_63
; %bb.59:
	v_lshlrev_b64 v[66:67], 2, v[0:1]
	s_andn2_b32 vcc_lo, exec_lo, s23
	s_cbranch_vccnz .LBB24_61
; %bb.60:
	v_add_co_u32 v68, vcc_lo, v143, v66
	v_add_co_ci_u32_e64 v69, null, v144, v67, vcc_lo
	flat_load_dword v68, v[68:69]
	s_waitcnt vmcnt(0) lgkmcnt(0)
	v_mul_f32_e32 v68, s22, v68
	s_branch .LBB24_62
.LBB24_61:
	v_mov_b32_e32 v68, 0
.LBB24_62:
	v_add_f32_e32 v69, v35, v63
	v_add_f32_e32 v70, v34, v62
	;; [unrolled: 1-line block ×4, first 2 shown]
	v_add_co_u32 v66, vcc_lo, v141, v66
	v_min3_f32 v69, v70, v69, v81
	v_add_co_ci_u32_e64 v67, null, v142, v67, vcc_lo
	v_min_f32_e32 v70, v72, v71
	v_min3_f32 v68, v68, v70, v69
	flat_store_dword v[66:67], v68
.LBB24_63:
	s_or_b32 exec_lo, exec_lo, s1
	v_add_nc_u32_e32 v66, 8, v0
	v_cmp_gt_i32_e64 s1, s12, v66
	v_ashrrev_i32_e32 v67, 31, v66
	s_and_b32 s3, s1, s8
	s_and_saveexec_b32 s2, s3
	s_cbranch_execz .LBB24_68
; %bb.64:
	v_cmp_ne_u32_e32 vcc_lo, 1, v123
	v_lshlrev_b64 v[68:69], 2, v[66:67]
	s_cbranch_vccnz .LBB24_66
; %bb.65:
	v_add_co_u32 v70, vcc_lo, v143, v68
	v_add_co_ci_u32_e64 v71, null, v144, v69, vcc_lo
	flat_load_dword v70, v[70:71]
	s_waitcnt vmcnt(0) lgkmcnt(0)
	v_mul_f32_e32 v70, s22, v70
	s_branch .LBB24_67
.LBB24_66:
	v_mov_b32_e32 v70, 0
.LBB24_67:
	v_add_f32_e32 v71, v31, v63
	v_add_f32_e32 v72, v30, v62
	v_add_f32_e32 v73, v33, v65
	v_add_f32_e32 v74, v32, v64
	v_add_co_u32 v68, vcc_lo, v141, v68
	v_min3_f32 v71, v72, v71, v79
	v_add_co_ci_u32_e64 v69, null, v142, v69, vcc_lo
	v_min_f32_e32 v72, v74, v73
	v_min3_f32 v70, v70, v72, v71
	flat_store_dword v[68:69], v70
.LBB24_68:
	s_or_b32 exec_lo, exec_lo, s2
	v_add_nc_u32_e32 v68, 16, v0
	v_cmp_gt_i32_e64 s2, s12, v68
	v_ashrrev_i32_e32 v69, 31, v68
	s_and_b32 s4, s2, s8
	s_and_saveexec_b32 s3, s4
	s_cbranch_execz .LBB24_73
; %bb.69:
	v_cmp_ne_u32_e32 vcc_lo, 1, v123
	v_lshlrev_b64 v[70:71], 2, v[68:69]
	s_cbranch_vccnz .LBB24_71
; %bb.70:
	v_add_co_u32 v72, vcc_lo, v143, v70
	v_add_co_ci_u32_e64 v73, null, v144, v71, vcc_lo
	flat_load_dword v72, v[72:73]
	s_waitcnt vmcnt(0) lgkmcnt(0)
	v_mul_f32_e32 v72, s22, v72
	s_branch .LBB24_72
.LBB24_71:
	v_mov_b32_e32 v72, 0
.LBB24_72:
	v_add_f32_e32 v73, v27, v63
	v_add_f32_e32 v74, v26, v62
	v_add_f32_e32 v79, v29, v65
	v_add_f32_e32 v81, v28, v64
	v_add_co_u32 v70, vcc_lo, v141, v70
	v_min3_f32 v73, v74, v73, v77
	v_add_co_ci_u32_e64 v71, null, v142, v71, vcc_lo
	v_min_f32_e32 v74, v81, v79
	v_min3_f32 v72, v72, v74, v73
	flat_store_dword v[70:71], v72
.LBB24_73:
	;; [unrolled: 32-line block ×6, first 2 shown]
	s_or_b32 exec_lo, exec_lo, s7
	v_add_nc_u32_e32 v78, 56, v0
	v_cmp_gt_i32_e64 s7, s12, v78
	v_ashrrev_i32_e32 v79, 31, v78
	s_and_b32 s12, s7, s8
	s_and_saveexec_b32 s8, s12
	s_cbranch_execz .LBB24_98
; %bb.94:
	v_cmp_ne_u32_e32 vcc_lo, 1, v123
	v_lshlrev_b64 v[80:81], 2, v[78:79]
	s_cbranch_vccnz .LBB24_96
; %bb.95:
	v_add_co_u32 v143, vcc_lo, v143, v80
	v_add_co_ci_u32_e64 v144, null, v144, v81, vcc_lo
	flat_load_dword v143, v[143:144]
	s_waitcnt vmcnt(0) lgkmcnt(0)
	v_mul_f32_e32 v143, s22, v143
	s_branch .LBB24_97
.LBB24_96:
	v_mov_b32_e32 v143, 0
.LBB24_97:
	v_add_f32_e32 v63, v3, v63
	v_add_f32_e32 v62, v2, v62
	v_add_f32_e32 v65, v5, v65
	v_add_f32_e32 v64, v4, v64
	v_min3_f32 v62, v62, v63, v140
	v_min_f32_e32 v63, v64, v65
	v_min3_f32 v64, v143, v63, v62
	v_add_co_u32 v62, vcc_lo, v141, v80
	v_add_co_ci_u32_e64 v63, null, v142, v81, vcc_lo
	flat_store_dword v[62:63], v64
.LBB24_98:
	s_or_b32 exec_lo, exec_lo, s8
	v_add_nc_u32_e32 v80, 32, v132
	v_mad_i64_i32 v[62:63], null, v80, s14, 0
	v_mad_i64_i32 v[64:65], null, v80, s9, 0
	v_cmp_gt_i32_e64 s8, s13, v80
	v_lshlrev_b64 v[62:63], 2, v[62:63]
	s_and_b32 s17, s0, s8
	v_lshlrev_b64 v[64:65], 2, v[64:65]
	v_add_co_u32 v80, vcc_lo, s10, v62
	v_add_co_ci_u32_e64 v81, null, s11, v63, vcc_lo
	v_add_co_u32 v64, vcc_lo, s15, v64
	v_add_co_ci_u32_e64 v65, null, s16, v65, vcc_lo
	s_and_saveexec_b32 s12, s17
	s_cbranch_execnz .LBB24_106
; %bb.99:
	s_or_b32 exec_lo, exec_lo, s12
	s_and_b32 s17, s1, s8
	s_and_saveexec_b32 s12, s17
	s_cbranch_execnz .LBB24_110
.LBB24_100:
	s_or_b32 exec_lo, exec_lo, s12
	s_and_b32 s17, s2, s8
	s_and_saveexec_b32 s12, s17
	s_cbranch_execnz .LBB24_114
.LBB24_101:
	s_or_b32 exec_lo, exec_lo, s12
	s_and_b32 s17, s3, s8
	s_and_saveexec_b32 s12, s17
	s_cbranch_execnz .LBB24_118
.LBB24_102:
	s_or_b32 exec_lo, exec_lo, s12
	s_and_b32 s17, s4, s8
	s_and_saveexec_b32 s12, s17
	s_cbranch_execnz .LBB24_122
.LBB24_103:
	s_or_b32 exec_lo, exec_lo, s12
	s_and_b32 s17, s5, s8
	s_and_saveexec_b32 s12, s17
	s_cbranch_execnz .LBB24_126
.LBB24_104:
	s_or_b32 exec_lo, exec_lo, s12
	s_and_b32 s17, s6, s8
	s_and_saveexec_b32 s12, s17
	s_cbranch_execnz .LBB24_130
.LBB24_105:
	s_or_b32 exec_lo, exec_lo, s12
	s_and_b32 s12, s7, s8
	s_and_saveexec_b32 s8, s12
	s_cbranch_execnz .LBB24_134
	s_branch .LBB24_138
.LBB24_106:
	v_cmp_ne_u32_e32 vcc_lo, 1, v123
	v_lshlrev_b64 v[62:63], 2, v[0:1]
	s_cbranch_vccnz .LBB24_108
; %bb.107:
	v_add_co_u32 v140, vcc_lo, v80, v62
	v_add_co_ci_u32_e64 v141, null, v81, v63, vcc_lo
	flat_load_dword v140, v[140:141]
	s_waitcnt vmcnt(0) lgkmcnt(0)
	v_mul_f32_e32 v140, s22, v140
	s_branch .LBB24_109
.LBB24_108:
	v_mov_b32_e32 v140, 0
.LBB24_109:
	v_add_f32_e32 v141, v35, v59
	v_add_f32_e32 v142, v34, v58
	;; [unrolled: 1-line block ×4, first 2 shown]
	v_add_co_u32 v62, vcc_lo, v64, v62
	v_min3_f32 v139, v142, v141, v139
	v_add_co_ci_u32_e64 v63, null, v65, v63, vcc_lo
	v_min_f32_e32 v141, v144, v143
	v_min3_f32 v139, v140, v141, v139
	flat_store_dword v[62:63], v139
	s_or_b32 exec_lo, exec_lo, s12
	s_and_b32 s17, s1, s8
	s_and_saveexec_b32 s12, s17
	s_cbranch_execz .LBB24_100
.LBB24_110:
	v_cmp_ne_u32_e32 vcc_lo, 1, v123
	v_lshlrev_b64 v[62:63], 2, v[66:67]
	s_cbranch_vccnz .LBB24_112
; %bb.111:
	v_add_co_u32 v139, vcc_lo, v80, v62
	v_add_co_ci_u32_e64 v140, null, v81, v63, vcc_lo
	flat_load_dword v139, v[139:140]
	s_waitcnt vmcnt(0) lgkmcnt(0)
	v_mul_f32_e32 v139, s22, v139
	s_branch .LBB24_113
.LBB24_112:
	v_mov_b32_e32 v139, 0
.LBB24_113:
	v_add_f32_e32 v140, v31, v59
	v_add_f32_e32 v141, v30, v58
	;; [unrolled: 1-line block ×4, first 2 shown]
	v_add_co_u32 v62, vcc_lo, v64, v62
	v_min3_f32 v138, v141, v140, v138
	v_add_co_ci_u32_e64 v63, null, v65, v63, vcc_lo
	v_min_f32_e32 v140, v143, v142
	v_min3_f32 v138, v139, v140, v138
	flat_store_dword v[62:63], v138
	s_or_b32 exec_lo, exec_lo, s12
	s_and_b32 s17, s2, s8
	s_and_saveexec_b32 s12, s17
	s_cbranch_execz .LBB24_101
.LBB24_114:
	v_cmp_ne_u32_e32 vcc_lo, 1, v123
	v_lshlrev_b64 v[62:63], 2, v[68:69]
	s_cbranch_vccnz .LBB24_116
; %bb.115:
	v_add_co_u32 v138, vcc_lo, v80, v62
	v_add_co_ci_u32_e64 v139, null, v81, v63, vcc_lo
	flat_load_dword v138, v[138:139]
	s_waitcnt vmcnt(0) lgkmcnt(0)
	v_mul_f32_e32 v138, s22, v138
	s_branch .LBB24_117
.LBB24_116:
	v_mov_b32_e32 v138, 0
.LBB24_117:
	v_add_f32_e32 v139, v27, v59
	v_add_f32_e32 v140, v26, v58
	;; [unrolled: 1-line block ×4, first 2 shown]
	v_add_co_u32 v62, vcc_lo, v64, v62
	v_min3_f32 v137, v140, v139, v137
	v_add_co_ci_u32_e64 v63, null, v65, v63, vcc_lo
	v_min_f32_e32 v139, v142, v141
	v_min3_f32 v137, v138, v139, v137
	flat_store_dword v[62:63], v137
	s_or_b32 exec_lo, exec_lo, s12
	s_and_b32 s17, s3, s8
	s_and_saveexec_b32 s12, s17
	s_cbranch_execz .LBB24_102
.LBB24_118:
	v_cmp_ne_u32_e32 vcc_lo, 1, v123
	v_lshlrev_b64 v[62:63], 2, v[70:71]
	s_cbranch_vccnz .LBB24_120
; %bb.119:
	v_add_co_u32 v137, vcc_lo, v80, v62
	v_add_co_ci_u32_e64 v138, null, v81, v63, vcc_lo
	flat_load_dword v137, v[137:138]
	s_waitcnt vmcnt(0) lgkmcnt(0)
	v_mul_f32_e32 v137, s22, v137
	s_branch .LBB24_121
.LBB24_120:
	v_mov_b32_e32 v137, 0
.LBB24_121:
	v_add_f32_e32 v138, v23, v59
	v_add_f32_e32 v139, v22, v58
	;; [unrolled: 1-line block ×4, first 2 shown]
	v_add_co_u32 v62, vcc_lo, v64, v62
	v_min3_f32 v136, v139, v138, v136
	v_add_co_ci_u32_e64 v63, null, v65, v63, vcc_lo
	v_min_f32_e32 v138, v141, v140
	v_min3_f32 v136, v137, v138, v136
	flat_store_dword v[62:63], v136
	s_or_b32 exec_lo, exec_lo, s12
	s_and_b32 s17, s4, s8
	s_and_saveexec_b32 s12, s17
	s_cbranch_execz .LBB24_103
.LBB24_122:
	v_cmp_ne_u32_e32 vcc_lo, 1, v123
	v_lshlrev_b64 v[62:63], 2, v[72:73]
	s_cbranch_vccnz .LBB24_124
; %bb.123:
	v_add_co_u32 v136, vcc_lo, v80, v62
	v_add_co_ci_u32_e64 v137, null, v81, v63, vcc_lo
	flat_load_dword v136, v[136:137]
	s_waitcnt vmcnt(0) lgkmcnt(0)
	v_mul_f32_e32 v136, s22, v136
	s_branch .LBB24_125
.LBB24_124:
	v_mov_b32_e32 v136, 0
.LBB24_125:
	v_add_f32_e32 v137, v19, v59
	v_add_f32_e32 v138, v18, v58
	;; [unrolled: 1-line block ×4, first 2 shown]
	v_add_co_u32 v62, vcc_lo, v64, v62
	v_min3_f32 v135, v138, v137, v135
	v_add_co_ci_u32_e64 v63, null, v65, v63, vcc_lo
	v_min_f32_e32 v137, v140, v139
	v_min3_f32 v135, v136, v137, v135
	flat_store_dword v[62:63], v135
	s_or_b32 exec_lo, exec_lo, s12
	s_and_b32 s17, s5, s8
	s_and_saveexec_b32 s12, s17
	s_cbranch_execz .LBB24_104
.LBB24_126:
	v_cmp_ne_u32_e32 vcc_lo, 1, v123
	v_lshlrev_b64 v[62:63], 2, v[74:75]
	s_cbranch_vccnz .LBB24_128
; %bb.127:
	v_add_co_u32 v135, vcc_lo, v80, v62
	v_add_co_ci_u32_e64 v136, null, v81, v63, vcc_lo
	flat_load_dword v135, v[135:136]
	s_waitcnt vmcnt(0) lgkmcnt(0)
	v_mul_f32_e32 v135, s22, v135
	s_branch .LBB24_129
.LBB24_128:
	v_mov_b32_e32 v135, 0
.LBB24_129:
	v_add_f32_e32 v136, v15, v59
	v_add_f32_e32 v137, v14, v58
	;; [unrolled: 1-line block ×4, first 2 shown]
	v_add_co_u32 v62, vcc_lo, v64, v62
	v_min3_f32 v134, v137, v136, v134
	v_add_co_ci_u32_e64 v63, null, v65, v63, vcc_lo
	v_min_f32_e32 v136, v139, v138
	v_min3_f32 v134, v135, v136, v134
	flat_store_dword v[62:63], v134
	s_or_b32 exec_lo, exec_lo, s12
	s_and_b32 s17, s6, s8
	s_and_saveexec_b32 s12, s17
	s_cbranch_execz .LBB24_105
.LBB24_130:
	v_cmp_ne_u32_e32 vcc_lo, 1, v123
	v_lshlrev_b64 v[62:63], 2, v[76:77]
	s_cbranch_vccnz .LBB24_132
; %bb.131:
	v_add_co_u32 v134, vcc_lo, v80, v62
	v_add_co_ci_u32_e64 v135, null, v81, v63, vcc_lo
	flat_load_dword v134, v[134:135]
	s_waitcnt vmcnt(0) lgkmcnt(0)
	v_mul_f32_e32 v134, s22, v134
	s_branch .LBB24_133
.LBB24_132:
	v_mov_b32_e32 v134, 0
.LBB24_133:
	v_add_f32_e32 v135, v11, v59
	v_add_f32_e32 v136, v10, v58
	;; [unrolled: 1-line block ×4, first 2 shown]
	v_add_co_u32 v62, vcc_lo, v64, v62
	v_min3_f32 v133, v136, v135, v133
	v_add_co_ci_u32_e64 v63, null, v65, v63, vcc_lo
	v_min_f32_e32 v135, v138, v137
	v_min3_f32 v133, v134, v135, v133
	flat_store_dword v[62:63], v133
	s_or_b32 exec_lo, exec_lo, s12
	s_and_b32 s12, s7, s8
	s_and_saveexec_b32 s8, s12
	s_cbranch_execz .LBB24_138
.LBB24_134:
	v_cmp_ne_u32_e32 vcc_lo, 1, v123
	v_lshlrev_b64 v[62:63], 2, v[78:79]
	s_cbranch_vccnz .LBB24_136
; %bb.135:
	v_add_co_u32 v80, vcc_lo, v80, v62
	v_add_co_ci_u32_e64 v81, null, v81, v63, vcc_lo
	flat_load_dword v80, v[80:81]
	s_waitcnt vmcnt(0) lgkmcnt(0)
	v_mul_f32_e32 v80, s22, v80
	s_branch .LBB24_137
.LBB24_136:
	v_mov_b32_e32 v80, 0
.LBB24_137:
	v_add_f32_e32 v59, v3, v59
	v_add_f32_e32 v58, v2, v58
	;; [unrolled: 1-line block ×4, first 2 shown]
	v_min3_f32 v58, v58, v59, v131
	v_min_f32_e32 v59, v60, v61
	v_min3_f32 v60, v80, v59, v58
	v_add_co_u32 v58, vcc_lo, v64, v62
	v_add_co_ci_u32_e64 v59, null, v65, v63, vcc_lo
	flat_store_dword v[58:59], v60
.LBB24_138:
	s_or_b32 exec_lo, exec_lo, s8
	v_add_nc_u32_e32 v62, 64, v132
	v_mad_i64_i32 v[58:59], null, v62, s14, 0
	v_mad_i64_i32 v[60:61], null, v62, s9, 0
	v_cmp_gt_i32_e64 s8, s13, v62
	v_lshlrev_b64 v[58:59], 2, v[58:59]
	s_and_b32 s17, s0, s8
	v_lshlrev_b64 v[60:61], 2, v[60:61]
	v_add_co_u32 v62, vcc_lo, s10, v58
	v_add_co_ci_u32_e64 v63, null, s11, v59, vcc_lo
	v_add_co_u32 v60, vcc_lo, s15, v60
	v_add_co_ci_u32_e64 v61, null, s16, v61, vcc_lo
	s_and_saveexec_b32 s12, s17
	s_cbranch_execnz .LBB24_146
; %bb.139:
	s_or_b32 exec_lo, exec_lo, s12
	s_and_b32 s17, s1, s8
	s_and_saveexec_b32 s12, s17
	s_cbranch_execnz .LBB24_150
.LBB24_140:
	s_or_b32 exec_lo, exec_lo, s12
	s_and_b32 s17, s2, s8
	s_and_saveexec_b32 s12, s17
	s_cbranch_execnz .LBB24_154
.LBB24_141:
	s_or_b32 exec_lo, exec_lo, s12
	s_and_b32 s17, s3, s8
	s_and_saveexec_b32 s12, s17
	s_cbranch_execnz .LBB24_158
.LBB24_142:
	s_or_b32 exec_lo, exec_lo, s12
	s_and_b32 s17, s4, s8
	s_and_saveexec_b32 s12, s17
	s_cbranch_execnz .LBB24_162
.LBB24_143:
	s_or_b32 exec_lo, exec_lo, s12
	s_and_b32 s17, s5, s8
	s_and_saveexec_b32 s12, s17
	s_cbranch_execnz .LBB24_166
.LBB24_144:
	s_or_b32 exec_lo, exec_lo, s12
	s_and_b32 s17, s6, s8
	s_and_saveexec_b32 s12, s17
	s_cbranch_execnz .LBB24_170
.LBB24_145:
	s_or_b32 exec_lo, exec_lo, s12
	s_and_b32 s12, s7, s8
	s_and_saveexec_b32 s8, s12
	s_cbranch_execnz .LBB24_174
	s_branch .LBB24_178
.LBB24_146:
	v_cmp_ne_u32_e32 vcc_lo, 1, v123
	v_lshlrev_b64 v[58:59], 2, v[0:1]
	s_cbranch_vccnz .LBB24_148
; %bb.147:
	v_add_co_u32 v64, vcc_lo, v62, v58
	v_add_co_ci_u32_e64 v65, null, v63, v59, vcc_lo
	flat_load_dword v64, v[64:65]
	s_waitcnt vmcnt(0) lgkmcnt(0)
	v_mul_f32_e32 v64, s22, v64
	s_branch .LBB24_149
.LBB24_148:
	v_mov_b32_e32 v64, 0
.LBB24_149:
	v_add_f32_e32 v65, v35, v55
	v_add_f32_e32 v80, v34, v54
	;; [unrolled: 1-line block ×4, first 2 shown]
	v_add_co_u32 v58, vcc_lo, v60, v58
	v_min3_f32 v65, v80, v65, v130
	v_add_co_ci_u32_e64 v59, null, v61, v59, vcc_lo
	v_min_f32_e32 v80, v131, v81
	v_min3_f32 v64, v64, v80, v65
	flat_store_dword v[58:59], v64
	s_or_b32 exec_lo, exec_lo, s12
	s_and_b32 s17, s1, s8
	s_and_saveexec_b32 s12, s17
	s_cbranch_execz .LBB24_140
.LBB24_150:
	v_cmp_ne_u32_e32 vcc_lo, 1, v123
	v_lshlrev_b64 v[58:59], 2, v[66:67]
	s_cbranch_vccnz .LBB24_152
; %bb.151:
	v_add_co_u32 v64, vcc_lo, v62, v58
	v_add_co_ci_u32_e64 v65, null, v63, v59, vcc_lo
	flat_load_dword v64, v[64:65]
	s_waitcnt vmcnt(0) lgkmcnt(0)
	v_mul_f32_e32 v64, s22, v64
	s_branch .LBB24_153
.LBB24_152:
	v_mov_b32_e32 v64, 0
.LBB24_153:
	v_add_f32_e32 v65, v31, v55
	v_add_f32_e32 v80, v30, v54
	;; [unrolled: 1-line block ×4, first 2 shown]
	v_add_co_u32 v58, vcc_lo, v60, v58
	v_min3_f32 v65, v80, v65, v129
	v_add_co_ci_u32_e64 v59, null, v61, v59, vcc_lo
	v_min_f32_e32 v80, v130, v81
	v_min3_f32 v64, v64, v80, v65
	flat_store_dword v[58:59], v64
	s_or_b32 exec_lo, exec_lo, s12
	s_and_b32 s17, s2, s8
	s_and_saveexec_b32 s12, s17
	s_cbranch_execz .LBB24_141
.LBB24_154:
	v_cmp_ne_u32_e32 vcc_lo, 1, v123
	v_lshlrev_b64 v[58:59], 2, v[68:69]
	s_cbranch_vccnz .LBB24_156
; %bb.155:
	v_add_co_u32 v64, vcc_lo, v62, v58
	v_add_co_ci_u32_e64 v65, null, v63, v59, vcc_lo
	flat_load_dword v64, v[64:65]
	s_waitcnt vmcnt(0) lgkmcnt(0)
	v_mul_f32_e32 v64, s22, v64
	s_branch .LBB24_157
.LBB24_156:
	v_mov_b32_e32 v64, 0
.LBB24_157:
	v_add_f32_e32 v65, v27, v55
	v_add_f32_e32 v80, v26, v54
	;; [unrolled: 1-line block ×4, first 2 shown]
	v_add_co_u32 v58, vcc_lo, v60, v58
	v_min3_f32 v65, v80, v65, v128
	v_add_co_ci_u32_e64 v59, null, v61, v59, vcc_lo
	v_min_f32_e32 v80, v129, v81
	v_min3_f32 v64, v64, v80, v65
	flat_store_dword v[58:59], v64
	s_or_b32 exec_lo, exec_lo, s12
	s_and_b32 s17, s3, s8
	s_and_saveexec_b32 s12, s17
	s_cbranch_execz .LBB24_142
.LBB24_158:
	v_cmp_ne_u32_e32 vcc_lo, 1, v123
	v_lshlrev_b64 v[58:59], 2, v[70:71]
	s_cbranch_vccnz .LBB24_160
; %bb.159:
	v_add_co_u32 v64, vcc_lo, v62, v58
	v_add_co_ci_u32_e64 v65, null, v63, v59, vcc_lo
	flat_load_dword v64, v[64:65]
	s_waitcnt vmcnt(0) lgkmcnt(0)
	v_mul_f32_e32 v64, s22, v64
	s_branch .LBB24_161
.LBB24_160:
	v_mov_b32_e32 v64, 0
.LBB24_161:
	v_add_f32_e32 v65, v23, v55
	v_add_f32_e32 v80, v22, v54
	;; [unrolled: 1-line block ×4, first 2 shown]
	v_add_co_u32 v58, vcc_lo, v60, v58
	v_min3_f32 v65, v80, v65, v127
	v_add_co_ci_u32_e64 v59, null, v61, v59, vcc_lo
	v_min_f32_e32 v80, v128, v81
	v_min3_f32 v64, v64, v80, v65
	flat_store_dword v[58:59], v64
	s_or_b32 exec_lo, exec_lo, s12
	s_and_b32 s17, s4, s8
	s_and_saveexec_b32 s12, s17
	s_cbranch_execz .LBB24_143
.LBB24_162:
	v_cmp_ne_u32_e32 vcc_lo, 1, v123
	v_lshlrev_b64 v[58:59], 2, v[72:73]
	s_cbranch_vccnz .LBB24_164
; %bb.163:
	v_add_co_u32 v64, vcc_lo, v62, v58
	v_add_co_ci_u32_e64 v65, null, v63, v59, vcc_lo
	flat_load_dword v64, v[64:65]
	s_waitcnt vmcnt(0) lgkmcnt(0)
	v_mul_f32_e32 v64, s22, v64
	s_branch .LBB24_165
.LBB24_164:
	v_mov_b32_e32 v64, 0
.LBB24_165:
	v_add_f32_e32 v65, v19, v55
	v_add_f32_e32 v80, v18, v54
	;; [unrolled: 1-line block ×4, first 2 shown]
	v_add_co_u32 v58, vcc_lo, v60, v58
	v_min3_f32 v65, v80, v65, v126
	v_add_co_ci_u32_e64 v59, null, v61, v59, vcc_lo
	v_min_f32_e32 v80, v127, v81
	v_min3_f32 v64, v64, v80, v65
	flat_store_dword v[58:59], v64
	s_or_b32 exec_lo, exec_lo, s12
	s_and_b32 s17, s5, s8
	s_and_saveexec_b32 s12, s17
	s_cbranch_execz .LBB24_144
.LBB24_166:
	v_cmp_ne_u32_e32 vcc_lo, 1, v123
	v_lshlrev_b64 v[58:59], 2, v[74:75]
	s_cbranch_vccnz .LBB24_168
; %bb.167:
	v_add_co_u32 v64, vcc_lo, v62, v58
	v_add_co_ci_u32_e64 v65, null, v63, v59, vcc_lo
	flat_load_dword v64, v[64:65]
	s_waitcnt vmcnt(0) lgkmcnt(0)
	v_mul_f32_e32 v64, s22, v64
	s_branch .LBB24_169
.LBB24_168:
	v_mov_b32_e32 v64, 0
.LBB24_169:
	v_add_f32_e32 v65, v15, v55
	v_add_f32_e32 v80, v14, v54
	;; [unrolled: 1-line block ×4, first 2 shown]
	v_add_co_u32 v58, vcc_lo, v60, v58
	v_min3_f32 v65, v80, v65, v125
	v_add_co_ci_u32_e64 v59, null, v61, v59, vcc_lo
	v_min_f32_e32 v80, v126, v81
	v_min3_f32 v64, v64, v80, v65
	flat_store_dword v[58:59], v64
	s_or_b32 exec_lo, exec_lo, s12
	s_and_b32 s17, s6, s8
	s_and_saveexec_b32 s12, s17
	s_cbranch_execz .LBB24_145
.LBB24_170:
	v_cmp_ne_u32_e32 vcc_lo, 1, v123
	v_lshlrev_b64 v[58:59], 2, v[76:77]
	s_cbranch_vccnz .LBB24_172
; %bb.171:
	v_add_co_u32 v64, vcc_lo, v62, v58
	v_add_co_ci_u32_e64 v65, null, v63, v59, vcc_lo
	flat_load_dword v64, v[64:65]
	s_waitcnt vmcnt(0) lgkmcnt(0)
	v_mul_f32_e32 v64, s22, v64
	s_branch .LBB24_173
.LBB24_172:
	v_mov_b32_e32 v64, 0
.LBB24_173:
	v_add_f32_e32 v65, v11, v55
	v_add_f32_e32 v80, v10, v54
	;; [unrolled: 1-line block ×4, first 2 shown]
	v_add_co_u32 v58, vcc_lo, v60, v58
	v_min3_f32 v65, v80, v65, v124
	v_add_co_ci_u32_e64 v59, null, v61, v59, vcc_lo
	v_min_f32_e32 v80, v125, v81
	v_min3_f32 v64, v64, v80, v65
	flat_store_dword v[58:59], v64
	s_or_b32 exec_lo, exec_lo, s12
	s_and_b32 s12, s7, s8
	s_and_saveexec_b32 s8, s12
	s_cbranch_execz .LBB24_178
.LBB24_174:
	v_cmp_ne_u32_e32 vcc_lo, 1, v123
	v_lshlrev_b64 v[58:59], 2, v[78:79]
	s_cbranch_vccnz .LBB24_176
; %bb.175:
	v_add_co_u32 v62, vcc_lo, v62, v58
	v_add_co_ci_u32_e64 v63, null, v63, v59, vcc_lo
	flat_load_dword v62, v[62:63]
	s_waitcnt vmcnt(0) lgkmcnt(0)
	v_mul_f32_e32 v62, s22, v62
	s_branch .LBB24_177
.LBB24_176:
	v_mov_b32_e32 v62, 0
.LBB24_177:
	v_add_f32_e32 v55, v3, v55
	v_add_f32_e32 v54, v2, v54
	;; [unrolled: 1-line block ×4, first 2 shown]
	v_min3_f32 v54, v54, v55, v121
	v_min_f32_e32 v55, v56, v57
	v_min3_f32 v56, v62, v55, v54
	v_add_co_u32 v54, vcc_lo, v60, v58
	v_add_co_ci_u32_e64 v55, null, v61, v59, vcc_lo
	flat_store_dword v[54:55], v56
.LBB24_178:
	s_or_b32 exec_lo, exec_lo, s8
	v_add_nc_u32_e32 v58, 0x60, v132
	v_mad_i64_i32 v[54:55], null, v58, s14, 0
	v_mad_i64_i32 v[56:57], null, v58, s9, 0
	v_cmp_gt_i32_e64 s8, s13, v58
	v_lshlrev_b64 v[54:55], 2, v[54:55]
	s_and_b32 s17, s0, s8
	v_lshlrev_b64 v[56:57], 2, v[56:57]
	v_add_co_u32 v58, vcc_lo, s10, v54
	v_add_co_ci_u32_e64 v59, null, s11, v55, vcc_lo
	v_add_co_u32 v56, vcc_lo, s15, v56
	v_add_co_ci_u32_e64 v57, null, s16, v57, vcc_lo
	s_and_saveexec_b32 s12, s17
	s_cbranch_execnz .LBB24_186
; %bb.179:
	s_or_b32 exec_lo, exec_lo, s12
	s_and_b32 s17, s1, s8
	s_and_saveexec_b32 s12, s17
	s_cbranch_execnz .LBB24_190
.LBB24_180:
	s_or_b32 exec_lo, exec_lo, s12
	s_and_b32 s17, s2, s8
	s_and_saveexec_b32 s12, s17
	s_cbranch_execnz .LBB24_194
.LBB24_181:
	s_or_b32 exec_lo, exec_lo, s12
	s_and_b32 s17, s3, s8
	s_and_saveexec_b32 s12, s17
	s_cbranch_execnz .LBB24_198
.LBB24_182:
	s_or_b32 exec_lo, exec_lo, s12
	s_and_b32 s17, s4, s8
	s_and_saveexec_b32 s12, s17
	s_cbranch_execnz .LBB24_202
.LBB24_183:
	s_or_b32 exec_lo, exec_lo, s12
	s_and_b32 s17, s5, s8
	s_and_saveexec_b32 s12, s17
	s_cbranch_execnz .LBB24_206
.LBB24_184:
	s_or_b32 exec_lo, exec_lo, s12
	s_and_b32 s17, s6, s8
	s_and_saveexec_b32 s12, s17
	s_cbranch_execnz .LBB24_210
.LBB24_185:
	s_or_b32 exec_lo, exec_lo, s12
	s_and_b32 s12, s7, s8
	s_and_saveexec_b32 s8, s12
	s_cbranch_execnz .LBB24_214
	s_branch .LBB24_218
.LBB24_186:
	v_cmp_ne_u32_e32 vcc_lo, 1, v123
	v_lshlrev_b64 v[54:55], 2, v[0:1]
	s_cbranch_vccnz .LBB24_188
; %bb.187:
	v_add_co_u32 v60, vcc_lo, v58, v54
	v_add_co_ci_u32_e64 v61, null, v59, v55, vcc_lo
	flat_load_dword v60, v[60:61]
	s_waitcnt vmcnt(0) lgkmcnt(0)
	v_mul_f32_e32 v60, s22, v60
	s_branch .LBB24_189
.LBB24_188:
	v_mov_b32_e32 v60, 0
.LBB24_189:
	v_add_f32_e32 v61, v35, v51
	v_add_f32_e32 v62, v34, v50
	;; [unrolled: 1-line block ×4, first 2 shown]
	v_add_co_u32 v54, vcc_lo, v56, v54
	v_min3_f32 v61, v62, v61, v122
	v_add_co_ci_u32_e64 v55, null, v57, v55, vcc_lo
	v_min_f32_e32 v62, v64, v63
	v_min3_f32 v60, v60, v62, v61
	flat_store_dword v[54:55], v60
	s_or_b32 exec_lo, exec_lo, s12
	s_and_b32 s17, s1, s8
	s_and_saveexec_b32 s12, s17
	s_cbranch_execz .LBB24_180
.LBB24_190:
	v_cmp_ne_u32_e32 vcc_lo, 1, v123
	v_lshlrev_b64 v[54:55], 2, v[66:67]
	s_cbranch_vccnz .LBB24_192
; %bb.191:
	v_add_co_u32 v60, vcc_lo, v58, v54
	v_add_co_ci_u32_e64 v61, null, v59, v55, vcc_lo
	flat_load_dword v60, v[60:61]
	s_waitcnt vmcnt(0) lgkmcnt(0)
	v_mul_f32_e32 v60, s22, v60
	s_branch .LBB24_193
.LBB24_192:
	v_mov_b32_e32 v60, 0
.LBB24_193:
	v_add_f32_e32 v61, v31, v51
	v_add_f32_e32 v62, v30, v50
	;; [unrolled: 1-line block ×4, first 2 shown]
	v_add_co_u32 v54, vcc_lo, v56, v54
	v_min3_f32 v61, v62, v61, v120
	v_add_co_ci_u32_e64 v55, null, v57, v55, vcc_lo
	v_min_f32_e32 v62, v64, v63
	v_min3_f32 v60, v60, v62, v61
	flat_store_dword v[54:55], v60
	s_or_b32 exec_lo, exec_lo, s12
	s_and_b32 s17, s2, s8
	s_and_saveexec_b32 s12, s17
	s_cbranch_execz .LBB24_181
.LBB24_194:
	v_cmp_ne_u32_e32 vcc_lo, 1, v123
	v_lshlrev_b64 v[54:55], 2, v[68:69]
	s_cbranch_vccnz .LBB24_196
; %bb.195:
	v_add_co_u32 v60, vcc_lo, v58, v54
	v_add_co_ci_u32_e64 v61, null, v59, v55, vcc_lo
	flat_load_dword v60, v[60:61]
	s_waitcnt vmcnt(0) lgkmcnt(0)
	v_mul_f32_e32 v60, s22, v60
	s_branch .LBB24_197
.LBB24_196:
	v_mov_b32_e32 v60, 0
.LBB24_197:
	v_add_f32_e32 v61, v27, v51
	v_add_f32_e32 v62, v26, v50
	v_add_f32_e32 v63, v29, v53
	v_add_f32_e32 v64, v28, v52
	v_add_co_u32 v54, vcc_lo, v56, v54
	v_min3_f32 v61, v62, v61, v119
	v_add_co_ci_u32_e64 v55, null, v57, v55, vcc_lo
	v_min_f32_e32 v62, v64, v63
	v_min3_f32 v60, v60, v62, v61
	flat_store_dword v[54:55], v60
	s_or_b32 exec_lo, exec_lo, s12
	s_and_b32 s17, s3, s8
	s_and_saveexec_b32 s12, s17
	s_cbranch_execz .LBB24_182
.LBB24_198:
	v_cmp_ne_u32_e32 vcc_lo, 1, v123
	v_lshlrev_b64 v[54:55], 2, v[70:71]
	s_cbranch_vccnz .LBB24_200
; %bb.199:
	v_add_co_u32 v60, vcc_lo, v58, v54
	v_add_co_ci_u32_e64 v61, null, v59, v55, vcc_lo
	flat_load_dword v60, v[60:61]
	s_waitcnt vmcnt(0) lgkmcnt(0)
	v_mul_f32_e32 v60, s22, v60
	s_branch .LBB24_201
.LBB24_200:
	v_mov_b32_e32 v60, 0
.LBB24_201:
	v_add_f32_e32 v61, v23, v51
	v_add_f32_e32 v62, v22, v50
	v_add_f32_e32 v63, v25, v53
	v_add_f32_e32 v64, v24, v52
	v_add_co_u32 v54, vcc_lo, v56, v54
	v_min3_f32 v61, v62, v61, v118
	v_add_co_ci_u32_e64 v55, null, v57, v55, vcc_lo
	v_min_f32_e32 v62, v64, v63
	v_min3_f32 v60, v60, v62, v61
	flat_store_dword v[54:55], v60
	s_or_b32 exec_lo, exec_lo, s12
	s_and_b32 s17, s4, s8
	s_and_saveexec_b32 s12, s17
	s_cbranch_execz .LBB24_183
.LBB24_202:
	v_cmp_ne_u32_e32 vcc_lo, 1, v123
	v_lshlrev_b64 v[54:55], 2, v[72:73]
	s_cbranch_vccnz .LBB24_204
; %bb.203:
	v_add_co_u32 v60, vcc_lo, v58, v54
	v_add_co_ci_u32_e64 v61, null, v59, v55, vcc_lo
	flat_load_dword v60, v[60:61]
	s_waitcnt vmcnt(0) lgkmcnt(0)
	v_mul_f32_e32 v60, s22, v60
	s_branch .LBB24_205
.LBB24_204:
	v_mov_b32_e32 v60, 0
.LBB24_205:
	v_add_f32_e32 v61, v19, v51
	v_add_f32_e32 v62, v18, v50
	;; [unrolled: 1-line block ×4, first 2 shown]
	v_add_co_u32 v54, vcc_lo, v56, v54
	v_min3_f32 v61, v62, v61, v117
	v_add_co_ci_u32_e64 v55, null, v57, v55, vcc_lo
	v_min_f32_e32 v62, v64, v63
	v_min3_f32 v60, v60, v62, v61
	flat_store_dword v[54:55], v60
	s_or_b32 exec_lo, exec_lo, s12
	s_and_b32 s17, s5, s8
	s_and_saveexec_b32 s12, s17
	s_cbranch_execz .LBB24_184
.LBB24_206:
	v_cmp_ne_u32_e32 vcc_lo, 1, v123
	v_lshlrev_b64 v[54:55], 2, v[74:75]
	s_cbranch_vccnz .LBB24_208
; %bb.207:
	v_add_co_u32 v60, vcc_lo, v58, v54
	v_add_co_ci_u32_e64 v61, null, v59, v55, vcc_lo
	flat_load_dword v60, v[60:61]
	s_waitcnt vmcnt(0) lgkmcnt(0)
	v_mul_f32_e32 v60, s22, v60
	s_branch .LBB24_209
.LBB24_208:
	v_mov_b32_e32 v60, 0
.LBB24_209:
	v_add_f32_e32 v61, v15, v51
	v_add_f32_e32 v62, v14, v50
	;; [unrolled: 1-line block ×4, first 2 shown]
	v_add_co_u32 v54, vcc_lo, v56, v54
	v_min3_f32 v61, v62, v61, v116
	v_add_co_ci_u32_e64 v55, null, v57, v55, vcc_lo
	v_min_f32_e32 v62, v64, v63
	v_min3_f32 v60, v60, v62, v61
	flat_store_dword v[54:55], v60
	s_or_b32 exec_lo, exec_lo, s12
	s_and_b32 s17, s6, s8
	s_and_saveexec_b32 s12, s17
	s_cbranch_execz .LBB24_185
.LBB24_210:
	v_cmp_ne_u32_e32 vcc_lo, 1, v123
	v_lshlrev_b64 v[54:55], 2, v[76:77]
	s_cbranch_vccnz .LBB24_212
; %bb.211:
	v_add_co_u32 v60, vcc_lo, v58, v54
	v_add_co_ci_u32_e64 v61, null, v59, v55, vcc_lo
	flat_load_dword v60, v[60:61]
	s_waitcnt vmcnt(0) lgkmcnt(0)
	v_mul_f32_e32 v60, s22, v60
	s_branch .LBB24_213
.LBB24_212:
	v_mov_b32_e32 v60, 0
.LBB24_213:
	v_add_f32_e32 v61, v11, v51
	v_add_f32_e32 v62, v10, v50
	;; [unrolled: 1-line block ×4, first 2 shown]
	v_add_co_u32 v54, vcc_lo, v56, v54
	v_min3_f32 v61, v62, v61, v115
	v_add_co_ci_u32_e64 v55, null, v57, v55, vcc_lo
	v_min_f32_e32 v62, v64, v63
	v_min3_f32 v60, v60, v62, v61
	flat_store_dword v[54:55], v60
	s_or_b32 exec_lo, exec_lo, s12
	s_and_b32 s12, s7, s8
	s_and_saveexec_b32 s8, s12
	s_cbranch_execz .LBB24_218
.LBB24_214:
	v_cmp_ne_u32_e32 vcc_lo, 1, v123
	v_lshlrev_b64 v[54:55], 2, v[78:79]
	s_cbranch_vccnz .LBB24_216
; %bb.215:
	v_add_co_u32 v58, vcc_lo, v58, v54
	v_add_co_ci_u32_e64 v59, null, v59, v55, vcc_lo
	flat_load_dword v58, v[58:59]
	s_waitcnt vmcnt(0) lgkmcnt(0)
	v_mul_f32_e32 v58, s22, v58
	s_branch .LBB24_217
.LBB24_216:
	v_mov_b32_e32 v58, 0
.LBB24_217:
	v_add_f32_e32 v51, v3, v51
	v_add_f32_e32 v50, v2, v50
	;; [unrolled: 1-line block ×4, first 2 shown]
	v_min3_f32 v50, v50, v51, v114
	v_min_f32_e32 v51, v52, v53
	v_min3_f32 v52, v58, v51, v50
	v_add_co_u32 v50, vcc_lo, v56, v54
	v_add_co_ci_u32_e64 v51, null, v57, v55, vcc_lo
	flat_store_dword v[50:51], v52
.LBB24_218:
	s_or_b32 exec_lo, exec_lo, s8
	v_add_nc_u32_e32 v54, 0x80, v132
	v_mad_i64_i32 v[50:51], null, v54, s14, 0
	v_mad_i64_i32 v[52:53], null, v54, s9, 0
	v_cmp_gt_i32_e64 s8, s13, v54
	v_lshlrev_b64 v[50:51], 2, v[50:51]
	s_and_b32 s17, s0, s8
	v_lshlrev_b64 v[52:53], 2, v[52:53]
	v_add_co_u32 v54, vcc_lo, s10, v50
	v_add_co_ci_u32_e64 v55, null, s11, v51, vcc_lo
	v_add_co_u32 v52, vcc_lo, s15, v52
	v_add_co_ci_u32_e64 v53, null, s16, v53, vcc_lo
	s_and_saveexec_b32 s12, s17
	s_cbranch_execnz .LBB24_226
; %bb.219:
	s_or_b32 exec_lo, exec_lo, s12
	s_and_b32 s17, s1, s8
	s_and_saveexec_b32 s12, s17
	s_cbranch_execnz .LBB24_230
.LBB24_220:
	s_or_b32 exec_lo, exec_lo, s12
	s_and_b32 s17, s2, s8
	s_and_saveexec_b32 s12, s17
	s_cbranch_execnz .LBB24_234
.LBB24_221:
	s_or_b32 exec_lo, exec_lo, s12
	s_and_b32 s17, s3, s8
	s_and_saveexec_b32 s12, s17
	s_cbranch_execnz .LBB24_238
.LBB24_222:
	s_or_b32 exec_lo, exec_lo, s12
	s_and_b32 s17, s4, s8
	s_and_saveexec_b32 s12, s17
	s_cbranch_execnz .LBB24_242
.LBB24_223:
	s_or_b32 exec_lo, exec_lo, s12
	s_and_b32 s17, s5, s8
	s_and_saveexec_b32 s12, s17
	s_cbranch_execnz .LBB24_246
.LBB24_224:
	s_or_b32 exec_lo, exec_lo, s12
	s_and_b32 s17, s6, s8
	s_and_saveexec_b32 s12, s17
	s_cbranch_execnz .LBB24_250
.LBB24_225:
	s_or_b32 exec_lo, exec_lo, s12
	s_and_b32 s12, s7, s8
	s_and_saveexec_b32 s8, s12
	s_cbranch_execnz .LBB24_254
	s_branch .LBB24_258
.LBB24_226:
	v_cmp_ne_u32_e32 vcc_lo, 1, v123
	v_lshlrev_b64 v[50:51], 2, v[0:1]
	s_cbranch_vccnz .LBB24_228
; %bb.227:
	v_add_co_u32 v56, vcc_lo, v54, v50
	v_add_co_ci_u32_e64 v57, null, v55, v51, vcc_lo
	flat_load_dword v56, v[56:57]
	s_waitcnt vmcnt(0) lgkmcnt(0)
	v_mul_f32_e32 v56, s22, v56
	s_branch .LBB24_229
.LBB24_228:
	v_mov_b32_e32 v56, 0
.LBB24_229:
	v_add_f32_e32 v57, v35, v47
	v_add_f32_e32 v58, v34, v46
	;; [unrolled: 1-line block ×4, first 2 shown]
	v_add_co_u32 v50, vcc_lo, v52, v50
	v_min3_f32 v57, v58, v57, v113
	v_add_co_ci_u32_e64 v51, null, v53, v51, vcc_lo
	v_min_f32_e32 v58, v60, v59
	v_min3_f32 v56, v56, v58, v57
	flat_store_dword v[50:51], v56
	s_or_b32 exec_lo, exec_lo, s12
	s_and_b32 s17, s1, s8
	s_and_saveexec_b32 s12, s17
	s_cbranch_execz .LBB24_220
.LBB24_230:
	v_cmp_ne_u32_e32 vcc_lo, 1, v123
	v_lshlrev_b64 v[50:51], 2, v[66:67]
	s_cbranch_vccnz .LBB24_232
; %bb.231:
	v_add_co_u32 v56, vcc_lo, v54, v50
	v_add_co_ci_u32_e64 v57, null, v55, v51, vcc_lo
	flat_load_dword v56, v[56:57]
	s_waitcnt vmcnt(0) lgkmcnt(0)
	v_mul_f32_e32 v56, s22, v56
	s_branch .LBB24_233
.LBB24_232:
	v_mov_b32_e32 v56, 0
.LBB24_233:
	v_add_f32_e32 v57, v31, v47
	v_add_f32_e32 v58, v30, v46
	;; [unrolled: 1-line block ×4, first 2 shown]
	v_add_co_u32 v50, vcc_lo, v52, v50
	v_min3_f32 v57, v58, v57, v112
	v_add_co_ci_u32_e64 v51, null, v53, v51, vcc_lo
	v_min_f32_e32 v58, v60, v59
	v_min3_f32 v56, v56, v58, v57
	flat_store_dword v[50:51], v56
	s_or_b32 exec_lo, exec_lo, s12
	s_and_b32 s17, s2, s8
	s_and_saveexec_b32 s12, s17
	s_cbranch_execz .LBB24_221
.LBB24_234:
	v_cmp_ne_u32_e32 vcc_lo, 1, v123
	v_lshlrev_b64 v[50:51], 2, v[68:69]
	s_cbranch_vccnz .LBB24_236
; %bb.235:
	v_add_co_u32 v56, vcc_lo, v54, v50
	v_add_co_ci_u32_e64 v57, null, v55, v51, vcc_lo
	flat_load_dword v56, v[56:57]
	s_waitcnt vmcnt(0) lgkmcnt(0)
	v_mul_f32_e32 v56, s22, v56
	s_branch .LBB24_237
.LBB24_236:
	v_mov_b32_e32 v56, 0
.LBB24_237:
	v_add_f32_e32 v57, v27, v47
	v_add_f32_e32 v58, v26, v46
	v_add_f32_e32 v59, v29, v49
	v_add_f32_e32 v60, v28, v48
	v_add_co_u32 v50, vcc_lo, v52, v50
	v_min3_f32 v57, v58, v57, v111
	v_add_co_ci_u32_e64 v51, null, v53, v51, vcc_lo
	v_min_f32_e32 v58, v60, v59
	v_min3_f32 v56, v56, v58, v57
	flat_store_dword v[50:51], v56
	s_or_b32 exec_lo, exec_lo, s12
	s_and_b32 s17, s3, s8
	s_and_saveexec_b32 s12, s17
	s_cbranch_execz .LBB24_222
.LBB24_238:
	v_cmp_ne_u32_e32 vcc_lo, 1, v123
	v_lshlrev_b64 v[50:51], 2, v[70:71]
	s_cbranch_vccnz .LBB24_240
; %bb.239:
	v_add_co_u32 v56, vcc_lo, v54, v50
	v_add_co_ci_u32_e64 v57, null, v55, v51, vcc_lo
	flat_load_dword v56, v[56:57]
	s_waitcnt vmcnt(0) lgkmcnt(0)
	v_mul_f32_e32 v56, s22, v56
	s_branch .LBB24_241
.LBB24_240:
	v_mov_b32_e32 v56, 0
.LBB24_241:
	v_add_f32_e32 v57, v23, v47
	v_add_f32_e32 v58, v22, v46
	;; [unrolled: 1-line block ×4, first 2 shown]
	v_add_co_u32 v50, vcc_lo, v52, v50
	v_min3_f32 v57, v58, v57, v110
	v_add_co_ci_u32_e64 v51, null, v53, v51, vcc_lo
	v_min_f32_e32 v58, v60, v59
	v_min3_f32 v56, v56, v58, v57
	flat_store_dword v[50:51], v56
	s_or_b32 exec_lo, exec_lo, s12
	s_and_b32 s17, s4, s8
	s_and_saveexec_b32 s12, s17
	s_cbranch_execz .LBB24_223
.LBB24_242:
	v_cmp_ne_u32_e32 vcc_lo, 1, v123
	v_lshlrev_b64 v[50:51], 2, v[72:73]
	s_cbranch_vccnz .LBB24_244
; %bb.243:
	v_add_co_u32 v56, vcc_lo, v54, v50
	v_add_co_ci_u32_e64 v57, null, v55, v51, vcc_lo
	flat_load_dword v56, v[56:57]
	s_waitcnt vmcnt(0) lgkmcnt(0)
	v_mul_f32_e32 v56, s22, v56
	s_branch .LBB24_245
.LBB24_244:
	v_mov_b32_e32 v56, 0
.LBB24_245:
	v_add_f32_e32 v57, v19, v47
	v_add_f32_e32 v58, v18, v46
	v_add_f32_e32 v59, v21, v49
	v_add_f32_e32 v60, v20, v48
	v_add_co_u32 v50, vcc_lo, v52, v50
	v_min3_f32 v57, v58, v57, v109
	v_add_co_ci_u32_e64 v51, null, v53, v51, vcc_lo
	v_min_f32_e32 v58, v60, v59
	v_min3_f32 v56, v56, v58, v57
	flat_store_dword v[50:51], v56
	s_or_b32 exec_lo, exec_lo, s12
	s_and_b32 s17, s5, s8
	s_and_saveexec_b32 s12, s17
	s_cbranch_execz .LBB24_224
.LBB24_246:
	v_cmp_ne_u32_e32 vcc_lo, 1, v123
	v_lshlrev_b64 v[50:51], 2, v[74:75]
	s_cbranch_vccnz .LBB24_248
; %bb.247:
	v_add_co_u32 v56, vcc_lo, v54, v50
	v_add_co_ci_u32_e64 v57, null, v55, v51, vcc_lo
	flat_load_dword v56, v[56:57]
	s_waitcnt vmcnt(0) lgkmcnt(0)
	v_mul_f32_e32 v56, s22, v56
	s_branch .LBB24_249
.LBB24_248:
	v_mov_b32_e32 v56, 0
.LBB24_249:
	v_add_f32_e32 v57, v15, v47
	v_add_f32_e32 v58, v14, v46
	;; [unrolled: 1-line block ×4, first 2 shown]
	v_add_co_u32 v50, vcc_lo, v52, v50
	v_min3_f32 v57, v58, v57, v108
	v_add_co_ci_u32_e64 v51, null, v53, v51, vcc_lo
	v_min_f32_e32 v58, v60, v59
	v_min3_f32 v56, v56, v58, v57
	flat_store_dword v[50:51], v56
	s_or_b32 exec_lo, exec_lo, s12
	s_and_b32 s17, s6, s8
	s_and_saveexec_b32 s12, s17
	s_cbranch_execz .LBB24_225
.LBB24_250:
	v_cmp_ne_u32_e32 vcc_lo, 1, v123
	v_lshlrev_b64 v[50:51], 2, v[76:77]
	s_cbranch_vccnz .LBB24_252
; %bb.251:
	v_add_co_u32 v56, vcc_lo, v54, v50
	v_add_co_ci_u32_e64 v57, null, v55, v51, vcc_lo
	flat_load_dword v56, v[56:57]
	s_waitcnt vmcnt(0) lgkmcnt(0)
	v_mul_f32_e32 v56, s22, v56
	s_branch .LBB24_253
.LBB24_252:
	v_mov_b32_e32 v56, 0
.LBB24_253:
	v_add_f32_e32 v57, v11, v47
	v_add_f32_e32 v58, v10, v46
	v_add_f32_e32 v59, v13, v49
	v_add_f32_e32 v60, v12, v48
	v_add_co_u32 v50, vcc_lo, v52, v50
	v_min3_f32 v57, v58, v57, v107
	v_add_co_ci_u32_e64 v51, null, v53, v51, vcc_lo
	v_min_f32_e32 v58, v60, v59
	v_min3_f32 v56, v56, v58, v57
	flat_store_dword v[50:51], v56
	s_or_b32 exec_lo, exec_lo, s12
	s_and_b32 s12, s7, s8
	s_and_saveexec_b32 s8, s12
	s_cbranch_execz .LBB24_258
.LBB24_254:
	v_cmp_ne_u32_e32 vcc_lo, 1, v123
	v_lshlrev_b64 v[50:51], 2, v[78:79]
	s_cbranch_vccnz .LBB24_256
; %bb.255:
	v_add_co_u32 v54, vcc_lo, v54, v50
	v_add_co_ci_u32_e64 v55, null, v55, v51, vcc_lo
	flat_load_dword v54, v[54:55]
	s_waitcnt vmcnt(0) lgkmcnt(0)
	v_mul_f32_e32 v54, s22, v54
	s_branch .LBB24_257
.LBB24_256:
	v_mov_b32_e32 v54, 0
.LBB24_257:
	v_add_f32_e32 v47, v3, v47
	v_add_f32_e32 v46, v2, v46
	;; [unrolled: 1-line block ×4, first 2 shown]
	v_min3_f32 v46, v46, v47, v106
	v_min_f32_e32 v47, v48, v49
	v_min3_f32 v48, v54, v47, v46
	v_add_co_u32 v46, vcc_lo, v52, v50
	v_add_co_ci_u32_e64 v47, null, v53, v51, vcc_lo
	flat_store_dword v[46:47], v48
.LBB24_258:
	s_or_b32 exec_lo, exec_lo, s8
	v_add_nc_u32_e32 v50, 0xa0, v132
	v_mad_i64_i32 v[46:47], null, v50, s14, 0
	v_mad_i64_i32 v[48:49], null, v50, s9, 0
	v_cmp_gt_i32_e64 s8, s13, v50
	v_lshlrev_b64 v[46:47], 2, v[46:47]
	s_and_b32 s17, s0, s8
	v_lshlrev_b64 v[48:49], 2, v[48:49]
	v_add_co_u32 v50, vcc_lo, s10, v46
	v_add_co_ci_u32_e64 v51, null, s11, v47, vcc_lo
	v_add_co_u32 v48, vcc_lo, s15, v48
	v_add_co_ci_u32_e64 v49, null, s16, v49, vcc_lo
	s_and_saveexec_b32 s12, s17
	s_cbranch_execnz .LBB24_266
; %bb.259:
	s_or_b32 exec_lo, exec_lo, s12
	s_and_b32 s17, s1, s8
	s_and_saveexec_b32 s12, s17
	s_cbranch_execnz .LBB24_270
.LBB24_260:
	s_or_b32 exec_lo, exec_lo, s12
	s_and_b32 s17, s2, s8
	s_and_saveexec_b32 s12, s17
	s_cbranch_execnz .LBB24_274
.LBB24_261:
	s_or_b32 exec_lo, exec_lo, s12
	s_and_b32 s17, s3, s8
	s_and_saveexec_b32 s12, s17
	s_cbranch_execnz .LBB24_278
.LBB24_262:
	s_or_b32 exec_lo, exec_lo, s12
	s_and_b32 s17, s4, s8
	s_and_saveexec_b32 s12, s17
	s_cbranch_execnz .LBB24_282
.LBB24_263:
	s_or_b32 exec_lo, exec_lo, s12
	s_and_b32 s17, s5, s8
	s_and_saveexec_b32 s12, s17
	s_cbranch_execnz .LBB24_286
.LBB24_264:
	s_or_b32 exec_lo, exec_lo, s12
	s_and_b32 s17, s6, s8
	s_and_saveexec_b32 s12, s17
	s_cbranch_execnz .LBB24_290
.LBB24_265:
	s_or_b32 exec_lo, exec_lo, s12
	s_and_b32 s12, s7, s8
	s_and_saveexec_b32 s8, s12
	s_cbranch_execnz .LBB24_294
	s_branch .LBB24_298
.LBB24_266:
	v_cmp_ne_u32_e32 vcc_lo, 1, v123
	v_lshlrev_b64 v[46:47], 2, v[0:1]
	s_cbranch_vccnz .LBB24_268
; %bb.267:
	v_add_co_u32 v52, vcc_lo, v50, v46
	v_add_co_ci_u32_e64 v53, null, v51, v47, vcc_lo
	flat_load_dword v52, v[52:53]
	s_waitcnt vmcnt(0) lgkmcnt(0)
	v_mul_f32_e32 v52, s22, v52
	s_branch .LBB24_269
.LBB24_268:
	v_mov_b32_e32 v52, 0
.LBB24_269:
	v_add_f32_e32 v53, v35, v43
	v_add_f32_e32 v54, v34, v42
	v_add_f32_e32 v55, v37, v45
	v_add_f32_e32 v56, v36, v44
	v_add_co_u32 v46, vcc_lo, v48, v46
	v_min3_f32 v53, v54, v53, v105
	v_add_co_ci_u32_e64 v47, null, v49, v47, vcc_lo
	v_min_f32_e32 v54, v56, v55
	v_min3_f32 v52, v52, v54, v53
	flat_store_dword v[46:47], v52
	s_or_b32 exec_lo, exec_lo, s12
	s_and_b32 s17, s1, s8
	s_and_saveexec_b32 s12, s17
	s_cbranch_execz .LBB24_260
.LBB24_270:
	v_cmp_ne_u32_e32 vcc_lo, 1, v123
	v_lshlrev_b64 v[46:47], 2, v[66:67]
	s_cbranch_vccnz .LBB24_272
; %bb.271:
	v_add_co_u32 v52, vcc_lo, v50, v46
	v_add_co_ci_u32_e64 v53, null, v51, v47, vcc_lo
	flat_load_dword v52, v[52:53]
	s_waitcnt vmcnt(0) lgkmcnt(0)
	v_mul_f32_e32 v52, s22, v52
	s_branch .LBB24_273
.LBB24_272:
	v_mov_b32_e32 v52, 0
.LBB24_273:
	v_add_f32_e32 v53, v31, v43
	v_add_f32_e32 v54, v30, v42
	;; [unrolled: 1-line block ×4, first 2 shown]
	v_add_co_u32 v46, vcc_lo, v48, v46
	v_min3_f32 v53, v54, v53, v104
	v_add_co_ci_u32_e64 v47, null, v49, v47, vcc_lo
	v_min_f32_e32 v54, v56, v55
	v_min3_f32 v52, v52, v54, v53
	flat_store_dword v[46:47], v52
	s_or_b32 exec_lo, exec_lo, s12
	s_and_b32 s17, s2, s8
	s_and_saveexec_b32 s12, s17
	s_cbranch_execz .LBB24_261
.LBB24_274:
	v_cmp_ne_u32_e32 vcc_lo, 1, v123
	v_lshlrev_b64 v[46:47], 2, v[68:69]
	s_cbranch_vccnz .LBB24_276
; %bb.275:
	v_add_co_u32 v52, vcc_lo, v50, v46
	v_add_co_ci_u32_e64 v53, null, v51, v47, vcc_lo
	flat_load_dword v52, v[52:53]
	s_waitcnt vmcnt(0) lgkmcnt(0)
	v_mul_f32_e32 v52, s22, v52
	s_branch .LBB24_277
.LBB24_276:
	v_mov_b32_e32 v52, 0
.LBB24_277:
	v_add_f32_e32 v53, v27, v43
	v_add_f32_e32 v54, v26, v42
	;; [unrolled: 1-line block ×4, first 2 shown]
	v_add_co_u32 v46, vcc_lo, v48, v46
	v_min3_f32 v53, v54, v53, v103
	v_add_co_ci_u32_e64 v47, null, v49, v47, vcc_lo
	v_min_f32_e32 v54, v56, v55
	v_min3_f32 v52, v52, v54, v53
	flat_store_dword v[46:47], v52
	s_or_b32 exec_lo, exec_lo, s12
	s_and_b32 s17, s3, s8
	s_and_saveexec_b32 s12, s17
	s_cbranch_execz .LBB24_262
.LBB24_278:
	v_cmp_ne_u32_e32 vcc_lo, 1, v123
	v_lshlrev_b64 v[46:47], 2, v[70:71]
	s_cbranch_vccnz .LBB24_280
; %bb.279:
	v_add_co_u32 v52, vcc_lo, v50, v46
	v_add_co_ci_u32_e64 v53, null, v51, v47, vcc_lo
	flat_load_dword v52, v[52:53]
	s_waitcnt vmcnt(0) lgkmcnt(0)
	v_mul_f32_e32 v52, s22, v52
	s_branch .LBB24_281
.LBB24_280:
	v_mov_b32_e32 v52, 0
.LBB24_281:
	v_add_f32_e32 v53, v23, v43
	v_add_f32_e32 v54, v22, v42
	;; [unrolled: 1-line block ×4, first 2 shown]
	v_add_co_u32 v46, vcc_lo, v48, v46
	v_min3_f32 v53, v54, v53, v102
	v_add_co_ci_u32_e64 v47, null, v49, v47, vcc_lo
	v_min_f32_e32 v54, v56, v55
	v_min3_f32 v52, v52, v54, v53
	flat_store_dword v[46:47], v52
	s_or_b32 exec_lo, exec_lo, s12
	s_and_b32 s17, s4, s8
	s_and_saveexec_b32 s12, s17
	s_cbranch_execz .LBB24_263
.LBB24_282:
	v_cmp_ne_u32_e32 vcc_lo, 1, v123
	v_lshlrev_b64 v[46:47], 2, v[72:73]
	s_cbranch_vccnz .LBB24_284
; %bb.283:
	v_add_co_u32 v52, vcc_lo, v50, v46
	v_add_co_ci_u32_e64 v53, null, v51, v47, vcc_lo
	flat_load_dword v52, v[52:53]
	s_waitcnt vmcnt(0) lgkmcnt(0)
	v_mul_f32_e32 v52, s22, v52
	s_branch .LBB24_285
.LBB24_284:
	v_mov_b32_e32 v52, 0
.LBB24_285:
	v_add_f32_e32 v53, v19, v43
	v_add_f32_e32 v54, v18, v42
	;; [unrolled: 1-line block ×4, first 2 shown]
	v_add_co_u32 v46, vcc_lo, v48, v46
	v_min3_f32 v53, v54, v53, v101
	v_add_co_ci_u32_e64 v47, null, v49, v47, vcc_lo
	v_min_f32_e32 v54, v56, v55
	v_min3_f32 v52, v52, v54, v53
	flat_store_dword v[46:47], v52
	s_or_b32 exec_lo, exec_lo, s12
	s_and_b32 s17, s5, s8
	s_and_saveexec_b32 s12, s17
	s_cbranch_execz .LBB24_264
.LBB24_286:
	v_cmp_ne_u32_e32 vcc_lo, 1, v123
	v_lshlrev_b64 v[46:47], 2, v[74:75]
	s_cbranch_vccnz .LBB24_288
; %bb.287:
	v_add_co_u32 v52, vcc_lo, v50, v46
	v_add_co_ci_u32_e64 v53, null, v51, v47, vcc_lo
	flat_load_dword v52, v[52:53]
	s_waitcnt vmcnt(0) lgkmcnt(0)
	v_mul_f32_e32 v52, s22, v52
	s_branch .LBB24_289
.LBB24_288:
	v_mov_b32_e32 v52, 0
.LBB24_289:
	v_add_f32_e32 v53, v15, v43
	v_add_f32_e32 v54, v14, v42
	;; [unrolled: 1-line block ×4, first 2 shown]
	v_add_co_u32 v46, vcc_lo, v48, v46
	v_min3_f32 v53, v54, v53, v100
	v_add_co_ci_u32_e64 v47, null, v49, v47, vcc_lo
	v_min_f32_e32 v54, v56, v55
	v_min3_f32 v52, v52, v54, v53
	flat_store_dword v[46:47], v52
	s_or_b32 exec_lo, exec_lo, s12
	s_and_b32 s17, s6, s8
	s_and_saveexec_b32 s12, s17
	s_cbranch_execz .LBB24_265
.LBB24_290:
	v_cmp_ne_u32_e32 vcc_lo, 1, v123
	v_lshlrev_b64 v[46:47], 2, v[76:77]
	s_cbranch_vccnz .LBB24_292
; %bb.291:
	v_add_co_u32 v52, vcc_lo, v50, v46
	v_add_co_ci_u32_e64 v53, null, v51, v47, vcc_lo
	flat_load_dword v52, v[52:53]
	s_waitcnt vmcnt(0) lgkmcnt(0)
	v_mul_f32_e32 v52, s22, v52
	s_branch .LBB24_293
.LBB24_292:
	v_mov_b32_e32 v52, 0
.LBB24_293:
	v_add_f32_e32 v53, v11, v43
	v_add_f32_e32 v54, v10, v42
	;; [unrolled: 1-line block ×4, first 2 shown]
	v_add_co_u32 v46, vcc_lo, v48, v46
	v_min3_f32 v53, v54, v53, v99
	v_add_co_ci_u32_e64 v47, null, v49, v47, vcc_lo
	v_min_f32_e32 v54, v56, v55
	v_min3_f32 v52, v52, v54, v53
	flat_store_dword v[46:47], v52
	s_or_b32 exec_lo, exec_lo, s12
	s_and_b32 s12, s7, s8
	s_and_saveexec_b32 s8, s12
	s_cbranch_execz .LBB24_298
.LBB24_294:
	v_cmp_ne_u32_e32 vcc_lo, 1, v123
	v_lshlrev_b64 v[46:47], 2, v[78:79]
	s_cbranch_vccnz .LBB24_296
; %bb.295:
	v_add_co_u32 v50, vcc_lo, v50, v46
	v_add_co_ci_u32_e64 v51, null, v51, v47, vcc_lo
	flat_load_dword v50, v[50:51]
	s_waitcnt vmcnt(0) lgkmcnt(0)
	v_mul_f32_e32 v50, s22, v50
	s_branch .LBB24_297
.LBB24_296:
	v_mov_b32_e32 v50, 0
.LBB24_297:
	v_add_f32_e32 v43, v3, v43
	v_add_f32_e32 v42, v2, v42
	;; [unrolled: 1-line block ×4, first 2 shown]
	v_min3_f32 v42, v42, v43, v98
	v_min_f32_e32 v43, v44, v45
	v_min3_f32 v44, v50, v43, v42
	v_add_co_u32 v42, vcc_lo, v48, v46
	v_add_co_ci_u32_e64 v43, null, v49, v47, vcc_lo
	flat_store_dword v[42:43], v44
.LBB24_298:
	s_or_b32 exec_lo, exec_lo, s8
	v_add_nc_u32_e32 v46, 0xc0, v132
	v_mad_i64_i32 v[42:43], null, v46, s14, 0
	v_mad_i64_i32 v[44:45], null, v46, s9, 0
	v_cmp_gt_i32_e64 s8, s13, v46
	v_lshlrev_b64 v[42:43], 2, v[42:43]
	s_and_b32 s17, s0, s8
	v_lshlrev_b64 v[44:45], 2, v[44:45]
	v_add_co_u32 v46, vcc_lo, s10, v42
	v_add_co_ci_u32_e64 v47, null, s11, v43, vcc_lo
	v_add_co_u32 v44, vcc_lo, s15, v44
	v_add_co_ci_u32_e64 v45, null, s16, v45, vcc_lo
	s_and_saveexec_b32 s12, s17
	s_cbranch_execnz .LBB24_306
; %bb.299:
	s_or_b32 exec_lo, exec_lo, s12
	s_and_b32 s17, s1, s8
	s_and_saveexec_b32 s12, s17
	s_cbranch_execnz .LBB24_310
.LBB24_300:
	s_or_b32 exec_lo, exec_lo, s12
	s_and_b32 s17, s2, s8
	s_and_saveexec_b32 s12, s17
	s_cbranch_execnz .LBB24_314
.LBB24_301:
	s_or_b32 exec_lo, exec_lo, s12
	s_and_b32 s17, s3, s8
	s_and_saveexec_b32 s12, s17
	s_cbranch_execnz .LBB24_318
.LBB24_302:
	s_or_b32 exec_lo, exec_lo, s12
	s_and_b32 s17, s4, s8
	s_and_saveexec_b32 s12, s17
	s_cbranch_execnz .LBB24_322
.LBB24_303:
	s_or_b32 exec_lo, exec_lo, s12
	s_and_b32 s17, s5, s8
	s_and_saveexec_b32 s12, s17
	s_cbranch_execnz .LBB24_326
.LBB24_304:
	s_or_b32 exec_lo, exec_lo, s12
	s_and_b32 s17, s6, s8
	s_and_saveexec_b32 s12, s17
	s_cbranch_execnz .LBB24_330
.LBB24_305:
	s_or_b32 exec_lo, exec_lo, s12
	s_and_b32 s12, s7, s8
	s_and_saveexec_b32 s8, s12
	s_cbranch_execnz .LBB24_334
	s_branch .LBB24_338
.LBB24_306:
	v_cmp_ne_u32_e32 vcc_lo, 1, v123
	v_lshlrev_b64 v[42:43], 2, v[0:1]
	s_cbranch_vccnz .LBB24_308
; %bb.307:
	v_add_co_u32 v48, vcc_lo, v46, v42
	v_add_co_ci_u32_e64 v49, null, v47, v43, vcc_lo
	flat_load_dword v48, v[48:49]
	s_waitcnt vmcnt(0) lgkmcnt(0)
	v_mul_f32_e32 v48, s22, v48
	s_branch .LBB24_309
.LBB24_308:
	v_mov_b32_e32 v48, 0
.LBB24_309:
	v_add_f32_e32 v49, v35, v39
	v_add_f32_e32 v50, v34, v38
	;; [unrolled: 1-line block ×4, first 2 shown]
	v_add_co_u32 v42, vcc_lo, v44, v42
	v_min3_f32 v49, v50, v49, v97
	v_add_co_ci_u32_e64 v43, null, v45, v43, vcc_lo
	v_min_f32_e32 v50, v52, v51
	v_min3_f32 v48, v48, v50, v49
	flat_store_dword v[42:43], v48
	s_or_b32 exec_lo, exec_lo, s12
	s_and_b32 s17, s1, s8
	s_and_saveexec_b32 s12, s17
	s_cbranch_execz .LBB24_300
.LBB24_310:
	v_cmp_ne_u32_e32 vcc_lo, 1, v123
	v_lshlrev_b64 v[42:43], 2, v[66:67]
	s_cbranch_vccnz .LBB24_312
; %bb.311:
	v_add_co_u32 v48, vcc_lo, v46, v42
	v_add_co_ci_u32_e64 v49, null, v47, v43, vcc_lo
	flat_load_dword v48, v[48:49]
	s_waitcnt vmcnt(0) lgkmcnt(0)
	v_mul_f32_e32 v48, s22, v48
	s_branch .LBB24_313
.LBB24_312:
	v_mov_b32_e32 v48, 0
.LBB24_313:
	v_add_f32_e32 v49, v31, v39
	v_add_f32_e32 v50, v30, v38
	;; [unrolled: 1-line block ×4, first 2 shown]
	v_add_co_u32 v42, vcc_lo, v44, v42
	v_min3_f32 v49, v50, v49, v96
	v_add_co_ci_u32_e64 v43, null, v45, v43, vcc_lo
	v_min_f32_e32 v50, v52, v51
	v_min3_f32 v48, v48, v50, v49
	flat_store_dword v[42:43], v48
	s_or_b32 exec_lo, exec_lo, s12
	s_and_b32 s17, s2, s8
	s_and_saveexec_b32 s12, s17
	s_cbranch_execz .LBB24_301
.LBB24_314:
	v_cmp_ne_u32_e32 vcc_lo, 1, v123
	v_lshlrev_b64 v[42:43], 2, v[68:69]
	s_cbranch_vccnz .LBB24_316
; %bb.315:
	v_add_co_u32 v48, vcc_lo, v46, v42
	v_add_co_ci_u32_e64 v49, null, v47, v43, vcc_lo
	flat_load_dword v48, v[48:49]
	s_waitcnt vmcnt(0) lgkmcnt(0)
	v_mul_f32_e32 v48, s22, v48
	s_branch .LBB24_317
.LBB24_316:
	v_mov_b32_e32 v48, 0
.LBB24_317:
	v_add_f32_e32 v49, v27, v39
	v_add_f32_e32 v50, v26, v38
	;; [unrolled: 1-line block ×4, first 2 shown]
	v_add_co_u32 v42, vcc_lo, v44, v42
	v_min3_f32 v49, v50, v49, v95
	v_add_co_ci_u32_e64 v43, null, v45, v43, vcc_lo
	v_min_f32_e32 v50, v52, v51
	v_min3_f32 v48, v48, v50, v49
	flat_store_dword v[42:43], v48
	s_or_b32 exec_lo, exec_lo, s12
	s_and_b32 s17, s3, s8
	s_and_saveexec_b32 s12, s17
	s_cbranch_execz .LBB24_302
.LBB24_318:
	v_cmp_ne_u32_e32 vcc_lo, 1, v123
	v_lshlrev_b64 v[42:43], 2, v[70:71]
	s_cbranch_vccnz .LBB24_320
; %bb.319:
	v_add_co_u32 v48, vcc_lo, v46, v42
	v_add_co_ci_u32_e64 v49, null, v47, v43, vcc_lo
	flat_load_dword v48, v[48:49]
	s_waitcnt vmcnt(0) lgkmcnt(0)
	v_mul_f32_e32 v48, s22, v48
	s_branch .LBB24_321
.LBB24_320:
	v_mov_b32_e32 v48, 0
.LBB24_321:
	v_add_f32_e32 v49, v23, v39
	v_add_f32_e32 v50, v22, v38
	;; [unrolled: 1-line block ×4, first 2 shown]
	v_add_co_u32 v42, vcc_lo, v44, v42
	v_min3_f32 v49, v50, v49, v94
	v_add_co_ci_u32_e64 v43, null, v45, v43, vcc_lo
	v_min_f32_e32 v50, v52, v51
	v_min3_f32 v48, v48, v50, v49
	flat_store_dword v[42:43], v48
	s_or_b32 exec_lo, exec_lo, s12
	s_and_b32 s17, s4, s8
	s_and_saveexec_b32 s12, s17
	s_cbranch_execz .LBB24_303
.LBB24_322:
	v_cmp_ne_u32_e32 vcc_lo, 1, v123
	v_lshlrev_b64 v[42:43], 2, v[72:73]
	s_cbranch_vccnz .LBB24_324
; %bb.323:
	v_add_co_u32 v48, vcc_lo, v46, v42
	v_add_co_ci_u32_e64 v49, null, v47, v43, vcc_lo
	flat_load_dword v48, v[48:49]
	s_waitcnt vmcnt(0) lgkmcnt(0)
	v_mul_f32_e32 v48, s22, v48
	s_branch .LBB24_325
.LBB24_324:
	v_mov_b32_e32 v48, 0
.LBB24_325:
	v_add_f32_e32 v49, v19, v39
	v_add_f32_e32 v50, v18, v38
	;; [unrolled: 1-line block ×4, first 2 shown]
	v_add_co_u32 v42, vcc_lo, v44, v42
	v_min3_f32 v49, v50, v49, v93
	v_add_co_ci_u32_e64 v43, null, v45, v43, vcc_lo
	v_min_f32_e32 v50, v52, v51
	v_min3_f32 v48, v48, v50, v49
	flat_store_dword v[42:43], v48
	s_or_b32 exec_lo, exec_lo, s12
	s_and_b32 s17, s5, s8
	s_and_saveexec_b32 s12, s17
	s_cbranch_execz .LBB24_304
.LBB24_326:
	v_cmp_ne_u32_e32 vcc_lo, 1, v123
	v_lshlrev_b64 v[42:43], 2, v[74:75]
	s_cbranch_vccnz .LBB24_328
; %bb.327:
	v_add_co_u32 v48, vcc_lo, v46, v42
	v_add_co_ci_u32_e64 v49, null, v47, v43, vcc_lo
	flat_load_dword v48, v[48:49]
	s_waitcnt vmcnt(0) lgkmcnt(0)
	v_mul_f32_e32 v48, s22, v48
	s_branch .LBB24_329
.LBB24_328:
	v_mov_b32_e32 v48, 0
.LBB24_329:
	v_add_f32_e32 v49, v15, v39
	v_add_f32_e32 v50, v14, v38
	;; [unrolled: 1-line block ×4, first 2 shown]
	v_add_co_u32 v42, vcc_lo, v44, v42
	v_min3_f32 v49, v50, v49, v91
	v_add_co_ci_u32_e64 v43, null, v45, v43, vcc_lo
	v_min_f32_e32 v50, v52, v51
	v_min3_f32 v48, v48, v50, v49
	flat_store_dword v[42:43], v48
	s_or_b32 exec_lo, exec_lo, s12
	s_and_b32 s17, s6, s8
	s_and_saveexec_b32 s12, s17
	s_cbranch_execz .LBB24_305
.LBB24_330:
	v_cmp_ne_u32_e32 vcc_lo, 1, v123
	v_lshlrev_b64 v[42:43], 2, v[76:77]
	s_cbranch_vccnz .LBB24_332
; %bb.331:
	v_add_co_u32 v48, vcc_lo, v46, v42
	v_add_co_ci_u32_e64 v49, null, v47, v43, vcc_lo
	flat_load_dword v48, v[48:49]
	s_waitcnt vmcnt(0) lgkmcnt(0)
	v_mul_f32_e32 v48, s22, v48
	s_branch .LBB24_333
.LBB24_332:
	v_mov_b32_e32 v48, 0
.LBB24_333:
	v_add_f32_e32 v49, v11, v39
	v_add_f32_e32 v50, v10, v38
	;; [unrolled: 1-line block ×4, first 2 shown]
	v_add_co_u32 v42, vcc_lo, v44, v42
	v_min3_f32 v49, v50, v49, v90
	v_add_co_ci_u32_e64 v43, null, v45, v43, vcc_lo
	v_min_f32_e32 v50, v52, v51
	v_min3_f32 v48, v48, v50, v49
	flat_store_dword v[42:43], v48
	s_or_b32 exec_lo, exec_lo, s12
	s_and_b32 s12, s7, s8
	s_and_saveexec_b32 s8, s12
	s_cbranch_execz .LBB24_338
.LBB24_334:
	v_cmp_ne_u32_e32 vcc_lo, 1, v123
	v_lshlrev_b64 v[42:43], 2, v[78:79]
	s_cbranch_vccnz .LBB24_336
; %bb.335:
	v_add_co_u32 v46, vcc_lo, v46, v42
	v_add_co_ci_u32_e64 v47, null, v47, v43, vcc_lo
	flat_load_dword v46, v[46:47]
	s_waitcnt vmcnt(0) lgkmcnt(0)
	v_mul_f32_e32 v46, s22, v46
	s_branch .LBB24_337
.LBB24_336:
	v_mov_b32_e32 v46, 0
.LBB24_337:
	v_add_f32_e32 v39, v3, v39
	v_add_f32_e32 v38, v2, v38
	;; [unrolled: 1-line block ×4, first 2 shown]
	v_min3_f32 v38, v38, v39, v89
	v_min_f32_e32 v39, v40, v41
	v_min3_f32 v40, v46, v39, v38
	v_add_co_u32 v38, vcc_lo, v44, v42
	v_add_co_ci_u32_e64 v39, null, v45, v43, vcc_lo
	flat_store_dword v[38:39], v40
.LBB24_338:
	s_or_b32 exec_lo, exec_lo, s8
	v_add_nc_u32_e32 v42, 0xe0, v132
	v_mad_i64_i32 v[38:39], null, v42, s14, 0
	v_mad_i64_i32 v[40:41], null, v42, s9, 0
	v_cmp_gt_i32_e64 s8, s13, v42
	v_lshlrev_b64 v[38:39], 2, v[38:39]
	s_and_b32 s9, s0, s8
	v_lshlrev_b64 v[42:43], 2, v[40:41]
	v_add_co_u32 v40, vcc_lo, s10, v38
	v_add_co_ci_u32_e64 v41, null, s11, v39, vcc_lo
	v_add_co_u32 v38, vcc_lo, s15, v42
	v_add_co_ci_u32_e64 v39, null, s16, v43, vcc_lo
	s_and_saveexec_b32 s0, s9
	s_cbranch_execnz .LBB24_347
; %bb.339:
	s_or_b32 exec_lo, exec_lo, s0
	s_and_b32 s1, s1, s8
	s_and_saveexec_b32 s0, s1
	s_cbranch_execnz .LBB24_351
.LBB24_340:
	s_or_b32 exec_lo, exec_lo, s0
	s_and_b32 s1, s2, s8
	s_and_saveexec_b32 s0, s1
	s_cbranch_execnz .LBB24_355
.LBB24_341:
	s_or_b32 exec_lo, exec_lo, s0
	s_and_b32 s1, s3, s8
	s_and_saveexec_b32 s0, s1
	s_cbranch_execnz .LBB24_359
.LBB24_342:
	s_or_b32 exec_lo, exec_lo, s0
	s_and_b32 s1, s4, s8
	s_and_saveexec_b32 s0, s1
	s_cbranch_execnz .LBB24_363
.LBB24_343:
	s_or_b32 exec_lo, exec_lo, s0
	s_and_b32 s1, s5, s8
	s_and_saveexec_b32 s0, s1
	s_cbranch_execnz .LBB24_367
.LBB24_344:
	s_or_b32 exec_lo, exec_lo, s0
	s_and_b32 s1, s6, s8
	s_and_saveexec_b32 s0, s1
	s_cbranch_execnz .LBB24_371
.LBB24_345:
	s_or_b32 exec_lo, exec_lo, s0
	s_and_b32 s0, s7, s8
	s_and_saveexec_b32 s1, s0
	s_cbranch_execnz .LBB24_375
.LBB24_346:
	s_endpgm
.LBB24_347:
	v_cmp_ne_u32_e32 vcc_lo, 1, v123
	v_lshlrev_b64 v[0:1], 2, v[0:1]
	s_cbranch_vccnz .LBB24_349
; %bb.348:
	v_add_co_u32 v42, vcc_lo, v40, v0
	v_add_co_ci_u32_e64 v43, null, v41, v1, vcc_lo
	flat_load_dword v42, v[42:43]
	s_waitcnt vmcnt(0) lgkmcnt(0)
	v_mul_f32_e32 v42, s22, v42
	s_branch .LBB24_350
.LBB24_349:
	v_mov_b32_e32 v42, 0
.LBB24_350:
	v_add_f32_e32 v35, v35, v7
	v_add_f32_e32 v34, v34, v6
	;; [unrolled: 1-line block ×4, first 2 shown]
	v_add_co_u32 v0, vcc_lo, v38, v0
	v_min3_f32 v34, v34, v35, v88
	v_add_co_ci_u32_e64 v1, null, v39, v1, vcc_lo
	v_min_f32_e32 v35, v36, v37
	v_min3_f32 v34, v42, v35, v34
	flat_store_dword v[0:1], v34
	s_or_b32 exec_lo, exec_lo, s0
	s_and_b32 s1, s1, s8
	s_and_saveexec_b32 s0, s1
	s_cbranch_execz .LBB24_340
.LBB24_351:
	v_cmp_ne_u32_e32 vcc_lo, 1, v123
	v_lshlrev_b64 v[0:1], 2, v[66:67]
	s_cbranch_vccnz .LBB24_353
; %bb.352:
	v_add_co_u32 v34, vcc_lo, v40, v0
	v_add_co_ci_u32_e64 v35, null, v41, v1, vcc_lo
	flat_load_dword v34, v[34:35]
	s_waitcnt vmcnt(0) lgkmcnt(0)
	v_mul_f32_e32 v34, s22, v34
	s_branch .LBB24_354
.LBB24_353:
	v_mov_b32_e32 v34, 0
.LBB24_354:
	v_add_f32_e32 v31, v31, v7
	v_add_f32_e32 v30, v30, v6
	;; [unrolled: 1-line block ×4, first 2 shown]
	v_add_co_u32 v0, vcc_lo, v38, v0
	v_min3_f32 v30, v30, v31, v87
	v_add_co_ci_u32_e64 v1, null, v39, v1, vcc_lo
	v_min_f32_e32 v31, v32, v33
	v_min3_f32 v30, v34, v31, v30
	flat_store_dword v[0:1], v30
	s_or_b32 exec_lo, exec_lo, s0
	s_and_b32 s1, s2, s8
	s_and_saveexec_b32 s0, s1
	s_cbranch_execz .LBB24_341
.LBB24_355:
	v_cmp_ne_u32_e32 vcc_lo, 1, v123
	v_lshlrev_b64 v[0:1], 2, v[68:69]
	s_cbranch_vccnz .LBB24_357
; %bb.356:
	v_add_co_u32 v30, vcc_lo, v40, v0
	v_add_co_ci_u32_e64 v31, null, v41, v1, vcc_lo
	flat_load_dword v30, v[30:31]
	s_waitcnt vmcnt(0) lgkmcnt(0)
	v_mul_f32_e32 v30, s22, v30
	s_branch .LBB24_358
.LBB24_357:
	v_mov_b32_e32 v30, 0
.LBB24_358:
	v_add_f32_e32 v27, v27, v7
	v_add_f32_e32 v26, v26, v6
	;; [unrolled: 1-line block ×4, first 2 shown]
	v_add_co_u32 v0, vcc_lo, v38, v0
	v_min3_f32 v26, v26, v27, v86
	v_add_co_ci_u32_e64 v1, null, v39, v1, vcc_lo
	v_min_f32_e32 v27, v28, v29
	v_min3_f32 v26, v30, v27, v26
	flat_store_dword v[0:1], v26
	s_or_b32 exec_lo, exec_lo, s0
	s_and_b32 s1, s3, s8
	s_and_saveexec_b32 s0, s1
	s_cbranch_execz .LBB24_342
.LBB24_359:
	v_cmp_ne_u32_e32 vcc_lo, 1, v123
	v_lshlrev_b64 v[0:1], 2, v[70:71]
	s_cbranch_vccnz .LBB24_361
; %bb.360:
	v_add_co_u32 v26, vcc_lo, v40, v0
	v_add_co_ci_u32_e64 v27, null, v41, v1, vcc_lo
	flat_load_dword v26, v[26:27]
	s_waitcnt vmcnt(0) lgkmcnt(0)
	v_mul_f32_e32 v26, s22, v26
	s_branch .LBB24_362
.LBB24_361:
	v_mov_b32_e32 v26, 0
.LBB24_362:
	v_add_f32_e32 v23, v23, v7
	v_add_f32_e32 v22, v22, v6
	;; [unrolled: 1-line block ×4, first 2 shown]
	v_add_co_u32 v0, vcc_lo, v38, v0
	v_min3_f32 v22, v22, v23, v85
	v_add_co_ci_u32_e64 v1, null, v39, v1, vcc_lo
	v_min_f32_e32 v23, v24, v25
	v_min3_f32 v22, v26, v23, v22
	flat_store_dword v[0:1], v22
	s_or_b32 exec_lo, exec_lo, s0
	s_and_b32 s1, s4, s8
	s_and_saveexec_b32 s0, s1
	s_cbranch_execz .LBB24_343
.LBB24_363:
	v_cmp_ne_u32_e32 vcc_lo, 1, v123
	v_lshlrev_b64 v[0:1], 2, v[72:73]
	s_cbranch_vccnz .LBB24_365
; %bb.364:
	v_add_co_u32 v22, vcc_lo, v40, v0
	v_add_co_ci_u32_e64 v23, null, v41, v1, vcc_lo
	flat_load_dword v22, v[22:23]
	s_waitcnt vmcnt(0) lgkmcnt(0)
	v_mul_f32_e32 v22, s22, v22
	s_branch .LBB24_366
.LBB24_365:
	v_mov_b32_e32 v22, 0
.LBB24_366:
	v_add_f32_e32 v19, v19, v7
	v_add_f32_e32 v18, v18, v6
	;; [unrolled: 1-line block ×4, first 2 shown]
	v_add_co_u32 v0, vcc_lo, v38, v0
	v_min3_f32 v18, v18, v19, v84
	v_add_co_ci_u32_e64 v1, null, v39, v1, vcc_lo
	v_min_f32_e32 v19, v20, v21
	v_min3_f32 v18, v22, v19, v18
	flat_store_dword v[0:1], v18
	s_or_b32 exec_lo, exec_lo, s0
	s_and_b32 s1, s5, s8
	s_and_saveexec_b32 s0, s1
	s_cbranch_execz .LBB24_344
.LBB24_367:
	v_cmp_ne_u32_e32 vcc_lo, 1, v123
	v_lshlrev_b64 v[0:1], 2, v[74:75]
	s_cbranch_vccnz .LBB24_369
; %bb.368:
	v_add_co_u32 v18, vcc_lo, v40, v0
	v_add_co_ci_u32_e64 v19, null, v41, v1, vcc_lo
	flat_load_dword v18, v[18:19]
	s_waitcnt vmcnt(0) lgkmcnt(0)
	v_mul_f32_e32 v18, s22, v18
	s_branch .LBB24_370
.LBB24_369:
	v_mov_b32_e32 v18, 0
.LBB24_370:
	v_add_f32_e32 v15, v15, v7
	v_add_f32_e32 v14, v14, v6
	;; [unrolled: 1-line block ×4, first 2 shown]
	v_add_co_u32 v0, vcc_lo, v38, v0
	v_min3_f32 v14, v14, v15, v83
	v_add_co_ci_u32_e64 v1, null, v39, v1, vcc_lo
	v_min_f32_e32 v15, v16, v17
	v_min3_f32 v14, v18, v15, v14
	flat_store_dword v[0:1], v14
	s_or_b32 exec_lo, exec_lo, s0
	s_and_b32 s1, s6, s8
	s_and_saveexec_b32 s0, s1
	s_cbranch_execz .LBB24_345
.LBB24_371:
	v_cmp_ne_u32_e32 vcc_lo, 1, v123
	v_lshlrev_b64 v[0:1], 2, v[76:77]
	s_cbranch_vccnz .LBB24_373
; %bb.372:
	v_add_co_u32 v14, vcc_lo, v40, v0
	v_add_co_ci_u32_e64 v15, null, v41, v1, vcc_lo
	flat_load_dword v14, v[14:15]
	s_waitcnt vmcnt(0) lgkmcnt(0)
	v_mul_f32_e32 v14, s22, v14
	s_branch .LBB24_374
.LBB24_373:
	v_mov_b32_e32 v14, 0
.LBB24_374:
	v_add_f32_e32 v11, v11, v7
	v_add_f32_e32 v10, v10, v6
	v_add_f32_e32 v13, v13, v9
	v_add_f32_e32 v12, v12, v8
	v_add_co_u32 v0, vcc_lo, v38, v0
	v_min3_f32 v10, v10, v11, v82
	v_add_co_ci_u32_e64 v1, null, v39, v1, vcc_lo
	v_min_f32_e32 v11, v12, v13
	v_min3_f32 v10, v14, v11, v10
	flat_store_dword v[0:1], v10
	s_or_b32 exec_lo, exec_lo, s0
	s_and_b32 s0, s7, s8
	s_and_saveexec_b32 s1, s0
	s_cbranch_execz .LBB24_346
.LBB24_375:
	v_cmp_ne_u32_e32 vcc_lo, 1, v123
	v_lshlrev_b64 v[0:1], 2, v[78:79]
	s_cbranch_vccnz .LBB24_377
; %bb.376:
	v_add_co_u32 v10, vcc_lo, v40, v0
	v_add_co_ci_u32_e64 v11, null, v41, v1, vcc_lo
	flat_load_dword v10, v[10:11]
	s_waitcnt vmcnt(0) lgkmcnt(0)
	v_mul_f32_e32 v10, s22, v10
	s_branch .LBB24_378
.LBB24_377:
	v_mov_b32_e32 v10, 0
.LBB24_378:
	v_add_f32_e32 v3, v3, v7
	v_add_f32_e32 v2, v2, v6
	;; [unrolled: 1-line block ×4, first 2 shown]
	v_add_co_u32 v0, vcc_lo, v38, v0
	v_min3_f32 v2, v2, v3, v92
	v_add_co_ci_u32_e64 v1, null, v39, v1, vcc_lo
	v_min_f32_e32 v3, v4, v5
	v_min3_f32 v2, v10, v3, v2
	flat_store_dword v[0:1], v2
	s_endpgm
	.section	.rodata,"a",@progbits
	.p2align	6, 0x0
	.amdhsa_kernel _ZN12_GLOBAL__N_120geam_min_plus_kernelIf15HIP_vector_typeIfLj2EEfLi8ELi32ELi64ELi256ELi4ELi4ELi64ELi64ELi4ELc84ELc84ELb0ELb1ELb1EPKfKS4_KPfEEviiiT16_PT17_ilSA_ilS8_SA_ilPT18_ili26rocblas_geam_ex_operation_
		.amdhsa_group_segment_fixed_size 10240
		.amdhsa_private_segment_fixed_size 0
		.amdhsa_kernarg_size 136
		.amdhsa_user_sgpr_count 6
		.amdhsa_user_sgpr_private_segment_buffer 1
		.amdhsa_user_sgpr_dispatch_ptr 0
		.amdhsa_user_sgpr_queue_ptr 0
		.amdhsa_user_sgpr_kernarg_segment_ptr 1
		.amdhsa_user_sgpr_dispatch_id 0
		.amdhsa_user_sgpr_flat_scratch_init 0
		.amdhsa_user_sgpr_private_segment_size 0
		.amdhsa_wavefront_size32 1
		.amdhsa_uses_dynamic_stack 0
		.amdhsa_system_sgpr_private_segment_wavefront_offset 0
		.amdhsa_system_sgpr_workgroup_id_x 1
		.amdhsa_system_sgpr_workgroup_id_y 0
		.amdhsa_system_sgpr_workgroup_id_z 1
		.amdhsa_system_sgpr_workgroup_info 0
		.amdhsa_system_vgpr_workitem_id 1
		.amdhsa_next_free_vgpr 158
		.amdhsa_next_free_sgpr 29
		.amdhsa_reserve_vcc 1
		.amdhsa_reserve_flat_scratch 0
		.amdhsa_float_round_mode_32 0
		.amdhsa_float_round_mode_16_64 0
		.amdhsa_float_denorm_mode_32 3
		.amdhsa_float_denorm_mode_16_64 3
		.amdhsa_dx10_clamp 1
		.amdhsa_ieee_mode 1
		.amdhsa_fp16_overflow 0
		.amdhsa_workgroup_processor_mode 1
		.amdhsa_memory_ordered 1
		.amdhsa_forward_progress 1
		.amdhsa_shared_vgpr_count 0
		.amdhsa_exception_fp_ieee_invalid_op 0
		.amdhsa_exception_fp_denorm_src 0
		.amdhsa_exception_fp_ieee_div_zero 0
		.amdhsa_exception_fp_ieee_overflow 0
		.amdhsa_exception_fp_ieee_underflow 0
		.amdhsa_exception_fp_ieee_inexact 0
		.amdhsa_exception_int_div_zero 0
	.end_amdhsa_kernel
	.section	.text._ZN12_GLOBAL__N_120geam_min_plus_kernelIf15HIP_vector_typeIfLj2EEfLi8ELi32ELi64ELi256ELi4ELi4ELi64ELi64ELi4ELc84ELc84ELb0ELb1ELb1EPKfKS4_KPfEEviiiT16_PT17_ilSA_ilS8_SA_ilPT18_ili26rocblas_geam_ex_operation_,"axG",@progbits,_ZN12_GLOBAL__N_120geam_min_plus_kernelIf15HIP_vector_typeIfLj2EEfLi8ELi32ELi64ELi256ELi4ELi4ELi64ELi64ELi4ELc84ELc84ELb0ELb1ELb1EPKfKS4_KPfEEviiiT16_PT17_ilSA_ilS8_SA_ilPT18_ili26rocblas_geam_ex_operation_,comdat
.Lfunc_end24:
	.size	_ZN12_GLOBAL__N_120geam_min_plus_kernelIf15HIP_vector_typeIfLj2EEfLi8ELi32ELi64ELi256ELi4ELi4ELi64ELi64ELi4ELc84ELc84ELb0ELb1ELb1EPKfKS4_KPfEEviiiT16_PT17_ilSA_ilS8_SA_ilPT18_ili26rocblas_geam_ex_operation_, .Lfunc_end24-_ZN12_GLOBAL__N_120geam_min_plus_kernelIf15HIP_vector_typeIfLj2EEfLi8ELi32ELi64ELi256ELi4ELi4ELi64ELi64ELi4ELc84ELc84ELb0ELb1ELb1EPKfKS4_KPfEEviiiT16_PT17_ilSA_ilS8_SA_ilPT18_ili26rocblas_geam_ex_operation_
                                        ; -- End function
	.set _ZN12_GLOBAL__N_120geam_min_plus_kernelIf15HIP_vector_typeIfLj2EEfLi8ELi32ELi64ELi256ELi4ELi4ELi64ELi64ELi4ELc84ELc84ELb0ELb1ELb1EPKfKS4_KPfEEviiiT16_PT17_ilSA_ilS8_SA_ilPT18_ili26rocblas_geam_ex_operation_.num_vgpr, 158
	.set _ZN12_GLOBAL__N_120geam_min_plus_kernelIf15HIP_vector_typeIfLj2EEfLi8ELi32ELi64ELi256ELi4ELi4ELi64ELi64ELi4ELc84ELc84ELb0ELb1ELb1EPKfKS4_KPfEEviiiT16_PT17_ilSA_ilS8_SA_ilPT18_ili26rocblas_geam_ex_operation_.num_agpr, 0
	.set _ZN12_GLOBAL__N_120geam_min_plus_kernelIf15HIP_vector_typeIfLj2EEfLi8ELi32ELi64ELi256ELi4ELi4ELi64ELi64ELi4ELc84ELc84ELb0ELb1ELb1EPKfKS4_KPfEEviiiT16_PT17_ilSA_ilS8_SA_ilPT18_ili26rocblas_geam_ex_operation_.numbered_sgpr, 29
	.set _ZN12_GLOBAL__N_120geam_min_plus_kernelIf15HIP_vector_typeIfLj2EEfLi8ELi32ELi64ELi256ELi4ELi4ELi64ELi64ELi4ELc84ELc84ELb0ELb1ELb1EPKfKS4_KPfEEviiiT16_PT17_ilSA_ilS8_SA_ilPT18_ili26rocblas_geam_ex_operation_.num_named_barrier, 0
	.set _ZN12_GLOBAL__N_120geam_min_plus_kernelIf15HIP_vector_typeIfLj2EEfLi8ELi32ELi64ELi256ELi4ELi4ELi64ELi64ELi4ELc84ELc84ELb0ELb1ELb1EPKfKS4_KPfEEviiiT16_PT17_ilSA_ilS8_SA_ilPT18_ili26rocblas_geam_ex_operation_.private_seg_size, 0
	.set _ZN12_GLOBAL__N_120geam_min_plus_kernelIf15HIP_vector_typeIfLj2EEfLi8ELi32ELi64ELi256ELi4ELi4ELi64ELi64ELi4ELc84ELc84ELb0ELb1ELb1EPKfKS4_KPfEEviiiT16_PT17_ilSA_ilS8_SA_ilPT18_ili26rocblas_geam_ex_operation_.uses_vcc, 1
	.set _ZN12_GLOBAL__N_120geam_min_plus_kernelIf15HIP_vector_typeIfLj2EEfLi8ELi32ELi64ELi256ELi4ELi4ELi64ELi64ELi4ELc84ELc84ELb0ELb1ELb1EPKfKS4_KPfEEviiiT16_PT17_ilSA_ilS8_SA_ilPT18_ili26rocblas_geam_ex_operation_.uses_flat_scratch, 0
	.set _ZN12_GLOBAL__N_120geam_min_plus_kernelIf15HIP_vector_typeIfLj2EEfLi8ELi32ELi64ELi256ELi4ELi4ELi64ELi64ELi4ELc84ELc84ELb0ELb1ELb1EPKfKS4_KPfEEviiiT16_PT17_ilSA_ilS8_SA_ilPT18_ili26rocblas_geam_ex_operation_.has_dyn_sized_stack, 0
	.set _ZN12_GLOBAL__N_120geam_min_plus_kernelIf15HIP_vector_typeIfLj2EEfLi8ELi32ELi64ELi256ELi4ELi4ELi64ELi64ELi4ELc84ELc84ELb0ELb1ELb1EPKfKS4_KPfEEviiiT16_PT17_ilSA_ilS8_SA_ilPT18_ili26rocblas_geam_ex_operation_.has_recursion, 0
	.set _ZN12_GLOBAL__N_120geam_min_plus_kernelIf15HIP_vector_typeIfLj2EEfLi8ELi32ELi64ELi256ELi4ELi4ELi64ELi64ELi4ELc84ELc84ELb0ELb1ELb1EPKfKS4_KPfEEviiiT16_PT17_ilSA_ilS8_SA_ilPT18_ili26rocblas_geam_ex_operation_.has_indirect_call, 0
	.section	.AMDGPU.csdata,"",@progbits
; Kernel info:
; codeLenInByte = 19640
; TotalNumSgprs: 31
; NumVgprs: 158
; ScratchSize: 0
; MemoryBound: 0
; FloatMode: 240
; IeeeMode: 1
; LDSByteSize: 10240 bytes/workgroup (compile time only)
; SGPRBlocks: 0
; VGPRBlocks: 19
; NumSGPRsForWavesPerEU: 31
; NumVGPRsForWavesPerEU: 158
; Occupancy: 6
; WaveLimiterHint : 1
; COMPUTE_PGM_RSRC2:SCRATCH_EN: 0
; COMPUTE_PGM_RSRC2:USER_SGPR: 6
; COMPUTE_PGM_RSRC2:TRAP_HANDLER: 0
; COMPUTE_PGM_RSRC2:TGID_X_EN: 1
; COMPUTE_PGM_RSRC2:TGID_Y_EN: 0
; COMPUTE_PGM_RSRC2:TGID_Z_EN: 1
; COMPUTE_PGM_RSRC2:TIDIG_COMP_CNT: 1
	.section	.text._ZN12_GLOBAL__N_120geam_min_plus_kernelIf15HIP_vector_typeIfLj2EEfLi8ELi32ELi64ELi256ELi4ELi4ELi64ELi64ELi4ELc84ELc84ELb1ELb1ELb1EfKPKfKPfEEviiiT16_PT17_ilSA_ilS8_SA_ilPT18_ili26rocblas_geam_ex_operation_,"axG",@progbits,_ZN12_GLOBAL__N_120geam_min_plus_kernelIf15HIP_vector_typeIfLj2EEfLi8ELi32ELi64ELi256ELi4ELi4ELi64ELi64ELi4ELc84ELc84ELb1ELb1ELb1EfKPKfKPfEEviiiT16_PT17_ilSA_ilS8_SA_ilPT18_ili26rocblas_geam_ex_operation_,comdat
	.globl	_ZN12_GLOBAL__N_120geam_min_plus_kernelIf15HIP_vector_typeIfLj2EEfLi8ELi32ELi64ELi256ELi4ELi4ELi64ELi64ELi4ELc84ELc84ELb1ELb1ELb1EfKPKfKPfEEviiiT16_PT17_ilSA_ilS8_SA_ilPT18_ili26rocblas_geam_ex_operation_ ; -- Begin function _ZN12_GLOBAL__N_120geam_min_plus_kernelIf15HIP_vector_typeIfLj2EEfLi8ELi32ELi64ELi256ELi4ELi4ELi64ELi64ELi4ELc84ELc84ELb1ELb1ELb1EfKPKfKPfEEviiiT16_PT17_ilSA_ilS8_SA_ilPT18_ili26rocblas_geam_ex_operation_
	.p2align	8
	.type	_ZN12_GLOBAL__N_120geam_min_plus_kernelIf15HIP_vector_typeIfLj2EEfLi8ELi32ELi64ELi256ELi4ELi4ELi64ELi64ELi4ELc84ELc84ELb1ELb1ELb1EfKPKfKPfEEviiiT16_PT17_ilSA_ilS8_SA_ilPT18_ili26rocblas_geam_ex_operation_,@function
_ZN12_GLOBAL__N_120geam_min_plus_kernelIf15HIP_vector_typeIfLj2EEfLi8ELi32ELi64ELi256ELi4ELi4ELi64ELi64ELi4ELc84ELc84ELb1ELb1ELb1EfKPKfKPfEEviiiT16_PT17_ilSA_ilS8_SA_ilPT18_ili26rocblas_geam_ex_operation_: ; @_ZN12_GLOBAL__N_120geam_min_plus_kernelIf15HIP_vector_typeIfLj2EEfLi8ELi32ELi64ELi256ELi4ELi4ELi64ELi64ELi4ELc84ELc84ELb1ELb1ELb1EfKPKfKPfEEviiiT16_PT17_ilSA_ilS8_SA_ilPT18_ili26rocblas_geam_ex_operation_
; %bb.0:
	s_clause 0x1
	s_load_dwordx4 s[12:15], s[4:5], 0x0
	s_load_dwordx4 s[0:3], s[4:5], 0x20
	s_mov_b32 s16, s7
	s_mov_b32 s17, 0
	s_waitcnt lgkmcnt(0)
	v_cmp_eq_f32_e64 s7, s15, 0
	s_and_b32 vcc_lo, exec_lo, s7
	s_cbranch_vccnz .LBB25_3
; %bb.1:
	s_load_dwordx2 s[8:9], s[4:5], 0x10
	s_lshl_b64 s[10:11], s[16:17], 3
	s_waitcnt lgkmcnt(0)
	s_add_u32 s8, s8, s10
	s_addc_u32 s9, s9, s11
	s_lshl_b64 s[0:1], s[0:1], 2
	s_load_dwordx2 s[8:9], s[8:9], 0x0
	s_waitcnt lgkmcnt(0)
	s_add_u32 s8, s8, s0
	s_addc_u32 s9, s9, s1
	s_andn2_b32 vcc_lo, exec_lo, s7
	s_cbranch_vccnz .LBB25_4
.LBB25_2:
	s_mov_b32 s21, 0
	s_mov_b32 s20, s16
	;; [unrolled: 1-line block ×3, first 2 shown]
	s_mov_b64 s[10:11], 0
	s_andn2_b32 vcc_lo, exec_lo, s0
	s_mov_b64 s[18:19], 0
	s_cbranch_vccz .LBB25_5
	s_branch .LBB25_6
.LBB25_3:
	s_mov_b64 s[8:9], 0
	s_andn2_b32 vcc_lo, exec_lo, s7
	s_cbranch_vccz .LBB25_2
.LBB25_4:
	s_mov_b64 s[20:21], s[16:17]
	s_mov_b64 s[10:11], 0
	;; [unrolled: 1-line block ×3, first 2 shown]
.LBB25_5:
	s_lshl_b64 s[0:1], s[16:17], 3
	s_load_dwordx2 s[16:17], s[4:5], 0x38
	s_add_u32 s0, s2, s0
	s_addc_u32 s1, s3, s1
	s_load_dwordx2 s[0:1], s[0:1], 0x0
	s_waitcnt lgkmcnt(0)
	s_lshl_b64 s[2:3], s[16:17], 2
	s_add_u32 s18, s0, s2
	s_addc_u32 s19, s1, s3
.LBB25_6:
	s_clause 0x1
	s_load_dword s15, s[4:5], 0x40
	s_load_dwordx4 s[0:3], s[4:5], 0x58
	s_waitcnt lgkmcnt(0)
	v_cmp_eq_f32_e64 s7, s15, 0
	v_cmp_neq_f32_e64 s22, s15, 0
	s_and_b32 vcc_lo, exec_lo, s7
	s_cbranch_vccnz .LBB25_8
; %bb.7:
	s_load_dwordx2 s[10:11], s[4:5], 0x48
	s_lshl_b64 s[16:17], s[20:21], 3
	s_waitcnt lgkmcnt(0)
	s_add_u32 s10, s10, s16
	s_addc_u32 s11, s11, s17
	s_lshl_b64 s[0:1], s[0:1], 2
	s_load_dwordx2 s[10:11], s[10:11], 0x0
	s_waitcnt lgkmcnt(0)
	s_add_u32 s10, s10, s0
	s_addc_u32 s11, s11, s1
.LBB25_8:
	s_lshl_b64 s[0:1], s[20:21], 3
	v_lshl_add_u32 v4, v1, 3, v0
	s_add_u32 s16, s2, s0
	s_addc_u32 s17, s3, s1
	s_add_i32 s0, s12, -1
	s_load_dword s26, s[4:5], 0x18
	s_ashr_i32 s1, s0, 31
	v_lshrrev_b32_e32 v69, 2, v4
	s_lshr_b32 s1, s1, 26
	v_and_b32_e32 v72, 3, v0
	s_add_i32 s0, s0, s1
	v_mov_b32_e32 v3, 0x7f7fffff
	s_ashr_i32 s0, s0, 6
	s_add_i32 s2, s0, 1
	s_not_b32 s0, s0
	v_cvt_f32_u32_e32 v2, s2
	v_cmp_gt_i32_e32 vcc_lo, s14, v72
	v_lshlrev_b32_e32 v68, 2, v72
	v_rcp_iflag_f32_e32 v2, v2
	v_mul_f32_e32 v2, 0x4f7ffffe, v2
	v_cvt_u32_f32_e32 v2, v2
	v_readfirstlane_b32 s1, v2
	v_mov_b32_e32 v2, 0x7f7fffff
	s_mul_i32 s0, s0, s1
	s_mul_hi_u32 s0, s1, s0
	s_add_i32 s1, s1, s0
	s_mul_hi_u32 s0, s6, s1
	s_mul_i32 s1, s0, s2
	s_add_i32 s3, s0, 1
	s_sub_i32 s1, s6, s1
	s_sub_i32 s7, s1, s2
	s_cmp_ge_u32 s1, s2
	s_cselect_b32 s0, s3, s0
	s_cselect_b32 s1, s7, s1
	s_add_i32 s3, s0, 1
	s_cmp_ge_u32 s1, s2
	s_cselect_b32 s1, s3, s0
	s_mul_i32 s27, s1, s2
	s_sub_i32 s0, s6, s27
	s_lshl_b32 s23, s0, 6
	v_add_nc_u32_e32 v7, s23, v69
	v_cmp_gt_i32_e64 s0, s12, v7
	v_cmp_le_i32_e64 s3, s12, v7
	s_and_b32 s2, vcc_lo, s0
	s_and_saveexec_b32 s0, s2
	s_cbranch_execz .LBB25_10
; %bb.9:
	s_waitcnt lgkmcnt(0)
	v_mad_i64_i32 v[5:6], null, v7, s26, 0
	v_lshlrev_b64 v[5:6], 2, v[5:6]
	v_add_co_u32 v3, vcc_lo, s8, v5
	v_add_co_ci_u32_e64 v6, null, s9, v6, vcc_lo
	v_add_co_u32 v5, vcc_lo, v3, v68
	v_add_co_ci_u32_e64 v6, null, 0, v6, vcc_lo
	flat_load_dword v3, v[5:6]
.LBB25_10:
	s_or_b32 exec_lo, exec_lo, s0
	s_load_dword s20, s[4:5], 0x30
	v_lshrrev_b32_e32 v73, 6, v4
	v_and_b32_e32 v4, 63, v4
	s_lshl_b32 s24, s1, 8
	v_cmp_le_i32_e64 s7, s14, v73
	v_or_b32_e32 v66, s24, v4
	v_cmp_le_i32_e32 vcc_lo, s13, v66
	v_ashrrev_i32_e32 v67, 31, v66
	s_waitcnt lgkmcnt(0)
	v_mad_i64_i32 v[5:6], null, s20, v73, 0
	v_lshlrev_b64 v[5:6], 2, v[5:6]
	v_add_co_u32 v9, s0, s18, v5
	v_add_co_ci_u32_e64 v10, null, s19, v6, s0
	s_nor_b32 s0, vcc_lo, s7
	s_and_saveexec_b32 s1, s0
	s_cbranch_execz .LBB25_12
; %bb.11:
	v_lshlrev_b64 v[5:6], 2, v[66:67]
	v_add_co_u32 v5, s0, v9, v5
	v_add_co_ci_u32_e64 v6, null, v10, v6, s0
	flat_load_dword v2, v[5:6]
.LBB25_12:
	s_or_b32 exec_lo, exec_lo, s1
	v_or_b32_e32 v5, 64, v66
	v_mov_b32_e32 v6, 0x7f7fffff
	v_cmp_le_i32_e64 s0, s13, v5
	v_mov_b32_e32 v5, 0x7f7fffff
	s_nor_b32 s1, s0, s7
	s_and_saveexec_b32 s2, s1
	s_cbranch_execz .LBB25_14
; %bb.13:
	v_lshlrev_b64 v[11:12], 2, v[66:67]
	v_add_co_u32 v11, s1, v9, v11
	v_add_co_ci_u32_e64 v12, null, v10, v12, s1
	flat_load_dword v6, v[11:12] offset:256
.LBB25_14:
	s_or_b32 exec_lo, exec_lo, s2
	v_or_b32_e32 v8, 0x80, v66
	s_ashr_i32 s21, s20, 31
	v_cmp_le_i32_e64 s1, s13, v8
	s_nor_b32 s2, s1, s7
	s_and_saveexec_b32 s25, s2
	s_cbranch_execz .LBB25_16
; %bb.15:
	v_lshlrev_b64 v[11:12], 2, v[66:67]
	v_add_co_u32 v11, s2, v9, v11
	v_add_co_ci_u32_e64 v12, null, v10, v12, s2
	flat_load_dword v5, v[11:12] offset:512
.LBB25_16:
	s_or_b32 exec_lo, exec_lo, s25
	v_or_b32_e32 v8, 0xc0, v66
	v_mov_b32_e32 v70, 0x7f7fffff
	v_cmp_le_i32_e64 s2, s13, v8
	v_mov_b32_e32 v8, 0x7f7fffff
	s_nor_b32 s7, s2, s7
	s_and_saveexec_b32 s25, s7
	s_cbranch_execz .LBB25_18
; %bb.17:
	v_lshlrev_b64 v[11:12], 2, v[66:67]
	v_add_co_u32 v8, s7, v9, v11
	v_add_co_ci_u32_e64 v9, null, v10, v12, s7
	flat_load_dword v8, v[8:9] offset:768
.LBB25_18:
	s_or_b32 exec_lo, exec_lo, s25
	v_or_b32_e32 v9, 4, v72
	s_xor_b32 s25, s3, -1
	v_cmp_gt_i32_e64 s7, s14, v9
	s_and_b32 s3, s7, s25
	s_and_saveexec_b32 s7, s3
	s_cbranch_execz .LBB25_20
; %bb.19:
	v_mad_i64_i32 v[9:10], null, v7, s26, 0
	v_lshlrev_b64 v[9:10], 2, v[9:10]
	v_add_co_u32 v7, s3, s8, v9
	v_add_co_ci_u32_e64 v10, null, s9, v10, s3
	v_add_co_u32 v9, s3, v7, v68
	v_add_co_ci_u32_e64 v10, null, 0, v10, s3
	flat_load_dword v70, v[9:10] offset:16
.LBB25_20:
	s_or_b32 exec_lo, exec_lo, s7
	v_add_nc_u32_e32 v12, 4, v73
	v_mov_b32_e32 v71, 0x7f7fffff
	v_mov_b32_e32 v121, 0x7f7fffff
	v_mad_u64_u32 v[9:10], null, s20, v12, 0
	v_cmp_le_i32_e64 s3, s14, v12
	v_mov_b32_e32 v7, v10
	s_waitcnt vmcnt(0) lgkmcnt(0)
	v_mad_u64_u32 v[10:11], null, s21, v12, v[7:8]
	v_lshlrev_b64 v[9:10], 2, v[9:10]
	v_add_co_u32 v7, s7, s18, v9
	v_add_co_ci_u32_e64 v9, null, s19, v10, s7
	s_nor_b32 s7, vcc_lo, s3
	s_and_saveexec_b32 s28, s7
	s_cbranch_execz .LBB25_22
; %bb.21:
	v_lshlrev_b64 v[10:11], 2, v[66:67]
	v_add_co_u32 v10, s7, v7, v10
	v_add_co_ci_u32_e64 v11, null, v9, v11, s7
	flat_load_dword v121, v[10:11]
.LBB25_22:
	s_or_b32 exec_lo, exec_lo, s28
	s_nor_b32 s7, s0, s3
	s_and_saveexec_b32 s28, s7
	s_cbranch_execz .LBB25_24
; %bb.23:
	v_lshlrev_b64 v[10:11], 2, v[66:67]
	v_add_co_u32 v10, s7, v7, v10
	v_add_co_ci_u32_e64 v11, null, v9, v11, s7
	flat_load_dword v71, v[10:11] offset:256
.LBB25_24:
	s_or_b32 exec_lo, exec_lo, s28
	v_mov_b32_e32 v143, 0x7f7fffff
	v_mov_b32_e32 v144, 0x7f7fffff
	s_nor_b32 s7, s1, s3
	s_and_saveexec_b32 s28, s7
	s_cbranch_execz .LBB25_26
; %bb.25:
	v_lshlrev_b64 v[10:11], 2, v[66:67]
	v_add_co_u32 v10, s7, v7, v10
	v_add_co_ci_u32_e64 v11, null, v9, v11, s7
	flat_load_dword v144, v[10:11] offset:512
.LBB25_26:
	s_or_b32 exec_lo, exec_lo, s28
	s_nor_b32 s3, s2, s3
	s_and_saveexec_b32 s7, s3
	s_cbranch_execz .LBB25_28
; %bb.27:
	v_lshlrev_b64 v[10:11], 2, v[66:67]
	v_add_co_u32 v10, s3, v7, v10
	v_add_co_ci_u32_e64 v11, null, v9, v11, s3
	flat_load_dword v143, v[10:11] offset:768
.LBB25_28:
	s_or_b32 exec_lo, exec_lo, s7
	v_lshl_or_b32 v130, v69, 4, v68
	v_lshlrev_b32_e32 v75, 4, v0
	s_load_dwordx2 s[16:17], s[16:17], 0x0
	v_lshlrev_b32_e32 v74, 4, v1
	s_cmp_lt_i32 s14, 9
	ds_write_b32 v130, v3 offset:8192
	v_lshlrev_b32_e32 v3, 4, v4
	v_lshl_add_u32 v76, v73, 2, v3
	ds_write2st64_b32 v76, v2, v6 offset1:4
	ds_write2st64_b32 v76, v5, v8 offset0:8 offset1:12
	s_waitcnt vmcnt(0) lgkmcnt(0)
	s_barrier
	buffer_gl0_inv
	ds_read_b128 v[34:37], v75 offset:8192
	ds_read_b128 v[30:33], v75 offset:8320
	;; [unrolled: 1-line block ×8, first 2 shown]
	ds_read_b128 v[62:65], v74
	ds_read_b128 v[58:61], v74 offset:512
	ds_read_b128 v[54:57], v74 offset:1024
	;; [unrolled: 1-line block ×7, first 2 shown]
	ds_write_b32 v130, v70 offset:9216
	ds_write2st64_b32 v76, v121, v71 offset0:16 offset1:20
	ds_write2st64_b32 v76, v144, v143 offset0:24 offset1:28
	s_waitcnt lgkmcnt(0)
	s_barrier
	buffer_gl0_inv
	v_add_f32_e32 v77, v35, v63
	v_add_f32_e32 v78, v34, v62
	;; [unrolled: 1-line block ×6, first 2 shown]
	v_min3_f32 v77, v78, v77, 0x7f7fffff
	v_add_f32_e32 v78, v31, v63
	v_min3_f32 v78, v79, v78, 0x7f7fffff
	v_add_f32_e32 v79, v27, v63
	;; [unrolled: 2-line block ×5, first 2 shown]
	v_add_f32_e32 v82, v10, v62
	v_min3_f32 v118, v82, v81, 0x7f7fffff
	v_add_f32_e32 v81, v7, v63
	v_add_f32_e32 v82, v6, v62
	;; [unrolled: 1-line block ×4, first 2 shown]
	v_min3_f32 v119, v82, v81, 0x7f7fffff
	v_add_f32_e32 v81, v6, v38
	v_min3_f32 v120, v62, v63, 0x7f7fffff
	v_add_f32_e32 v62, v35, v59
	v_add_f32_e32 v63, v34, v58
	v_min3_f32 v116, v63, v62, 0x7f7fffff
	v_add_f32_e32 v62, v31, v59
	;; [unrolled: 3-line block ×7, first 2 shown]
	v_add_f32_e32 v63, v6, v58
	v_add_f32_e32 v59, v3, v59
	v_add_f32_e32 v58, v2, v58
	v_min3_f32 v110, v63, v62, 0x7f7fffff
	v_min3_f32 v109, v58, v59, 0x7f7fffff
	v_add_f32_e32 v58, v35, v55
	v_add_f32_e32 v59, v34, v54
	v_min3_f32 v108, v59, v58, 0x7f7fffff
	v_add_f32_e32 v58, v31, v55
	v_add_f32_e32 v59, v30, v54
	v_min3_f32 v107, v59, v58, 0x7f7fffff
	v_add_f32_e32 v58, v27, v55
	v_add_f32_e32 v59, v26, v54
	v_min3_f32 v106, v59, v58, 0x7f7fffff
	v_add_f32_e32 v58, v19, v55
	v_add_f32_e32 v59, v18, v54
	v_min3_f32 v105, v59, v58, 0x7f7fffff
	v_add_f32_e32 v58, v15, v55
	v_add_f32_e32 v59, v14, v54
	v_min3_f32 v104, v59, v58, 0x7f7fffff
	v_add_f32_e32 v58, v11, v55
	v_add_f32_e32 v59, v10, v54
	v_min3_f32 v103, v59, v58, 0x7f7fffff
	v_add_f32_e32 v58, v7, v55
	v_add_f32_e32 v59, v6, v54
	v_add_f32_e32 v55, v3, v55
	v_add_f32_e32 v54, v2, v54
	v_min3_f32 v102, v59, v58, 0x7f7fffff
	v_min3_f32 v101, v54, v55, 0x7f7fffff
	v_add_f32_e32 v54, v35, v51
	v_add_f32_e32 v55, v34, v50
	v_min3_f32 v100, v55, v54, 0x7f7fffff
	v_add_f32_e32 v54, v31, v51
	v_add_f32_e32 v55, v30, v50
	v_min3_f32 v99, v55, v54, 0x7f7fffff
	v_add_f32_e32 v54, v27, v51
	v_add_f32_e32 v55, v26, v50
	v_min3_f32 v98, v55, v54, 0x7f7fffff
	v_add_f32_e32 v54, v19, v51
	v_add_f32_e32 v55, v18, v50
	v_min3_f32 v97, v55, v54, 0x7f7fffff
	v_add_f32_e32 v54, v15, v51
	v_add_f32_e32 v55, v14, v50
	v_min3_f32 v96, v55, v54, 0x7f7fffff
	v_add_f32_e32 v54, v11, v51
	v_add_f32_e32 v55, v10, v50
	v_min3_f32 v95, v55, v54, 0x7f7fffff
	v_add_f32_e32 v54, v7, v51
	;; [unrolled: 24-line block ×4, first 2 shown]
	v_add_f32_e32 v47, v6, v42
	v_add_f32_e32 v43, v3, v43
	;; [unrolled: 1-line block ×4, first 2 shown]
	v_min3_f32 v58, v47, v46, 0x7f7fffff
	v_min3_f32 v55, v42, v43, 0x7f7fffff
	v_add_f32_e32 v42, v35, v39
	v_add_f32_e32 v43, v34, v38
	;; [unrolled: 1-line block ×4, first 2 shown]
	v_min3_f32 v54, v43, v42, 0x7f7fffff
	v_add_f32_e32 v42, v31, v39
	v_add_f32_e32 v43, v30, v38
	v_min3_f32 v34, v34, v35, 0x7f7fffff
	v_add_f32_e32 v31, v31, v23
	v_add_f32_e32 v30, v30, v22
	;; [unrolled: 3-line block ×9, first 2 shown]
	v_add_f32_e32 v38, v2, v38
	v_add_f32_e32 v2, v2, v22
	v_min3_f32 v14, v14, v15, 0x7f7fffff
	v_add_f32_e32 v11, v11, v23
	v_min3_f32 v43, v43, v42, 0x7f7fffff
	v_add_f32_e32 v42, v7, v39
	v_add_f32_e32 v39, v3, v39
	;; [unrolled: 1-line block ×5, first 2 shown]
	v_min3_f32 v42, v81, v42, 0x7f7fffff
	v_min3_f32 v38, v38, v39, 0x7f7fffff
	;; [unrolled: 1-line block ×4, first 2 shown]
	v_add_f32_e32 v3, v37, v65
	v_add_f32_e32 v7, v36, v64
	v_min3_f32 v10, v10, v11, 0x7f7fffff
	v_min3_f32 v142, v7, v3, v77
	v_add_f32_e32 v3, v33, v65
	v_add_f32_e32 v7, v32, v64
	v_min3_f32 v141, v7, v3, v78
	v_add_f32_e32 v3, v29, v65
	v_add_f32_e32 v7, v28, v64
	;; [unrolled: 3-line block ×55, first 2 shown]
	v_add_f32_e32 v4, v4, v24
	v_min3_f32 v89, v7, v3, v38
	v_add_f32_e32 v3, v37, v25
	v_add_f32_e32 v7, v36, v24
	v_min3_f32 v88, v7, v3, v34
	v_add_f32_e32 v3, v33, v25
	v_add_f32_e32 v7, v32, v24
	v_min3_f32 v87, v7, v3, v30
	v_add_f32_e32 v3, v29, v25
	v_add_f32_e32 v7, v28, v24
	v_min3_f32 v86, v7, v3, v26
	v_add_f32_e32 v3, v21, v25
	v_add_f32_e32 v7, v20, v24
	v_min3_f32 v85, v7, v3, v18
	v_add_f32_e32 v3, v17, v25
	v_add_f32_e32 v7, v16, v24
	v_min3_f32 v84, v7, v3, v14
	v_add_f32_e32 v3, v13, v25
	v_add_f32_e32 v7, v12, v24
	v_min3_f32 v83, v7, v3, v10
	v_add_f32_e32 v3, v9, v25
	v_add_f32_e32 v7, v8, v24
	v_min3_f32 v82, v7, v3, v6
	v_add_f32_e32 v3, v5, v25
	v_min3_f32 v91, v4, v3, v2
	s_cbranch_scc1 .LBB25_51
; %bb.29:
	v_lshl_add_u32 v2, s6, 6, v69
	s_lshl_b32 s3, s27, 6
	v_add_nc_u32_e32 v4, 8, v73
	v_add_nc_u32_e32 v8, 12, v73
	v_lshlrev_b64 v[6:7], 2, v[66:67]
	v_subrev_nc_u32_e32 v2, s3, v2
	v_add_nc_u32_e32 v121, 0x2000, v130
	v_mad_i64_i32 v[4:5], null, v4, s20, 0
	v_mad_i64_i32 v[8:9], null, v8, s20, 0
	;; [unrolled: 1-line block ×3, first 2 shown]
	v_or_b32_e32 v143, 0x2000, v75
	v_add_nc_u32_e32 v130, 0x2400, v130
	v_lshlrev_b64 v[66:67], 2, v[4:5]
	v_add_nc_u32_e32 v144, 0x1000, v76
	v_lshl_add_u32 v145, v0, 4, 0x2400
	v_lshl_or_b32 v146, v1, 4, 0x1000
	v_lshlrev_b64 v[2:3], 2, v[2:3]
	s_add_i32 s7, s14, -8
	v_add_co_u32 v2, s3, v2, v68
	v_add_co_ci_u32_e64 v3, null, 0, v3, s3
	v_lshlrev_b64 v[68:69], 2, v[8:9]
	v_add_co_u32 v2, s3, s8, v2
	v_add_co_ci_u32_e64 v3, null, s9, v3, s3
	s_lshl_b64 s[8:9], s[20:21], 5
	v_add_co_u32 v70, s3, v2, 32
	v_add_co_ci_u32_e64 v71, null, 0, v3, s3
	v_add_co_u32 v147, s3, s18, v6
	v_add_co_ci_u32_e64 v148, null, s19, v7, s3
	s_mov_b32 s18, 0
	s_branch .LBB25_31
.LBB25_30:                              ;   in Loop: Header=BB25_31 Depth=1
	s_or_b32 exec_lo, exec_lo, s6
	v_add_f32_e32 v154, v35, v63
	v_add_f32_e32 v155, v34, v62
	;; [unrolled: 1-line block ×6, first 2 shown]
	v_min3_f32 v142, v155, v154, v142
	v_add_f32_e32 v154, v23, v63
	v_min3_f32 v141, v157, v156, v141
	v_add_f32_e32 v155, v22, v62
	v_min3_f32 v81, v159, v158, v81
	v_add_f32_e32 v156, v19, v63
	v_add_f32_e32 v157, v18, v62
	v_add_f32_e32 v158, v15, v63
	;; [unrolled: 1-line block ×7, first 2 shown]
	v_min3_f32 v79, v155, v154, v79
	v_min3_f32 v77, v157, v156, v77
	v_add_f32_e32 v154, v31, v59
	v_add_f32_e32 v155, v30, v58
	v_min3_f32 v62, v62, v63, v140
	v_add_f32_e32 v63, v35, v59
	v_add_f32_e32 v140, v34, v58
	;; [unrolled: 1-line block ×4, first 2 shown]
	v_min3_f32 v78, v159, v158, v78
	v_min3_f32 v80, v161, v160, v80
	v_add_f32_e32 v158, v23, v59
	v_add_f32_e32 v159, v22, v58
	;; [unrolled: 1-line block ×4, first 2 shown]
	v_min3_f32 v63, v140, v63, v139
	v_min3_f32 v138, v155, v154, v138
	;; [unrolled: 1-line block ×3, first 2 shown]
	v_add_f32_e32 v139, v15, v59
	v_add_f32_e32 v140, v14, v58
	;; [unrolled: 1-line block ×8, first 2 shown]
	v_min3_f32 v136, v159, v158, v136
	v_add_f32_e32 v158, v31, v55
	v_add_f32_e32 v159, v30, v54
	v_min3_f32 v134, v140, v139, v134
	v_min3_f32 v133, v155, v154, v133
	;; [unrolled: 1-line block ×4, first 2 shown]
	v_add_f32_e32 v131, v27, v55
	v_add_f32_e32 v132, v26, v54
	v_add_f32_e32 v139, v23, v55
	v_add_f32_e32 v140, v22, v54
	v_add_f32_e32 v154, v19, v55
	v_add_f32_e32 v155, v18, v54
	v_min3_f32 v129, v159, v158, v129
	v_add_f32_e32 v156, v15, v55
	v_add_f32_e32 v157, v14, v54
	;; [unrolled: 1-line block ×4, first 2 shown]
	v_min3_f32 v128, v132, v131, v128
	v_min3_f32 v127, v140, v139, v127
	;; [unrolled: 1-line block ×3, first 2 shown]
	v_add_f32_e32 v55, v3, v55
	v_add_f32_e32 v54, v2, v54
	;; [unrolled: 1-line block ×8, first 2 shown]
	v_min3_f32 v125, v157, v156, v125
	v_add_f32_e32 v156, v23, v51
	v_add_f32_e32 v157, v22, v50
	v_min3_f32 v54, v54, v55, v122
	v_min3_f32 v55, v132, v131, v123
	;; [unrolled: 1-line block ×4, first 2 shown]
	v_add_f32_e32 v122, v19, v51
	v_add_f32_e32 v123, v18, v50
	;; [unrolled: 1-line block ×10, first 2 shown]
	v_min3_f32 v117, v123, v122, v117
	v_min3_f32 v116, v132, v131, v116
	v_min3_f32 v50, v50, v51, v114
	v_add_f32_e32 v114, v30, v46
	v_min3_f32 v51, v155, v154, v113
	v_add_f32_e32 v113, v31, v47
	v_add_f32_e32 v122, v27, v47
	;; [unrolled: 1-line block ×5, first 2 shown]
	v_min3_f32 v115, v140, v139, v115
	v_add_f32_e32 v139, v19, v47
	v_add_f32_e32 v140, v18, v46
	;; [unrolled: 1-line block ×4, first 2 shown]
	v_min3_f32 v112, v114, v113, v112
	v_min3_f32 v111, v123, v122, v111
	;; [unrolled: 1-line block ×3, first 2 shown]
	v_add_f32_e32 v113, v7, v47
	v_add_f32_e32 v114, v6, v46
	;; [unrolled: 1-line block ×8, first 2 shown]
	v_min3_f32 v109, v140, v139, v109
	v_add_f32_e32 v139, v27, v43
	v_add_f32_e32 v140, v26, v42
	v_min3_f32 v107, v114, v113, v107
	v_min3_f32 v46, v46, v47, v106
	;; [unrolled: 1-line block ×4, first 2 shown]
	v_add_f32_e32 v105, v23, v43
	v_add_f32_e32 v106, v22, v42
	;; [unrolled: 1-line block ×10, first 2 shown]
	v_min3_f32 v102, v106, v105, v102
	v_add_f32_e32 v105, v31, v39
	v_add_f32_e32 v106, v30, v38
	v_min3_f32 v101, v114, v113, v101
	v_min3_f32 v42, v42, v43, v98
	v_add_f32_e32 v43, v35, v39
	v_add_f32_e32 v98, v34, v38
	v_min3_f32 v100, v123, v122, v100
	v_min3_f32 v99, v132, v131, v99
	v_add_f32_e32 v113, v27, v39
	v_add_f32_e32 v114, v26, v38
	;; [unrolled: 1-line block ×6, first 2 shown]
	v_min3_f32 v43, v98, v43, v97
	v_min3_f32 v96, v106, v105, v96
	v_add_f32_e32 v97, v15, v39
	v_add_f32_e32 v98, v14, v38
	;; [unrolled: 1-line block ×16, first 2 shown]
	v_min3_f32 v38, v38, v39, v89
	v_min3_f32 v34, v34, v35, v88
	;; [unrolled: 1-line block ×3, first 2 shown]
	v_add_f32_e32 v27, v27, v11
	v_add_f32_e32 v26, v26, v10
	;; [unrolled: 1-line block ×4, first 2 shown]
	v_min3_f32 v31, v18, v19, v84
	v_min3_f32 v35, v14, v15, v83
	v_min3_f32 v39, v6, v7, v82
	v_add_f32_e32 v3, v3, v11
	v_add_f32_e32 v2, v2, v10
	;; [unrolled: 1-line block ×10, first 2 shown]
	v_min3_f32 v26, v26, v27, v86
	v_min3_f32 v27, v22, v23, v85
	;; [unrolled: 1-line block ×7, first 2 shown]
	v_add_f32_e32 v3, v21, v65
	v_add_f32_e32 v6, v20, v64
	;; [unrolled: 1-line block ×10, first 2 shown]
	v_min3_f32 v135, v161, v160, v135
	v_min3_f32 v64, v6, v3, v77
	;; [unrolled: 1-line block ×6, first 2 shown]
	v_add_f32_e32 v3, v33, v61
	v_add_f32_e32 v6, v32, v60
	;; [unrolled: 1-line block ×10, first 2 shown]
	v_min3_f32 v78, v6, v3, v138
	v_min3_f32 v80, v10, v7, v137
	;; [unrolled: 1-line block ×5, first 2 shown]
	v_add_f32_e32 v3, v9, v61
	v_add_f32_e32 v6, v8, v60
	;; [unrolled: 1-line block ×10, first 2 shown]
	v_min3_f32 v124, v159, v158, v124
	v_min3_f32 v92, v98, v97, v92
	;; [unrolled: 1-line block ×7, first 2 shown]
	v_add_f32_e32 v3, v25, v57
	v_add_f32_e32 v6, v24, v56
	;; [unrolled: 1-line block ×10, first 2 shown]
	v_min3_f32 v118, v157, v156, v118
	v_min3_f32 v95, v114, v113, v95
	;; [unrolled: 1-line block ×8, first 2 shown]
	v_add_f32_e32 v3, v37, v53
	v_add_f32_e32 v6, v36, v52
	v_add_f32_e32 v7, v33, v53
	v_add_f32_e32 v10, v32, v52
	v_add_f32_e32 v11, v29, v53
	v_add_f32_e32 v14, v28, v52
	v_add_f32_e32 v15, v25, v53
	v_add_f32_e32 v18, v24, v52
	v_add_f32_e32 v19, v21, v53
	v_add_f32_e32 v22, v20, v52
	v_min3_f32 v94, v123, v122, v94
	v_min3_f32 v122, v6, v3, v55
	v_min3_f32 v120, v10, v7, v120
	v_min3_f32 v119, v14, v11, v119
	v_min3_f32 v118, v18, v15, v118
	v_min3_f32 v117, v22, v19, v117
	v_add_f32_e32 v3, v17, v53
	v_add_f32_e32 v6, v16, v52
	v_add_f32_e32 v7, v9, v53
	v_add_f32_e32 v10, v8, v52
	v_add_f32_e32 v11, v5, v53
	v_add_f32_e32 v14, v4, v52
	v_add_f32_e32 v15, v37, v49
	v_add_f32_e32 v18, v36, v48
	v_add_f32_e32 v19, v33, v49
	v_add_f32_e32 v22, v32, v48
	v_min3_f32 v108, v155, v154, v108
	v_min3_f32 v116, v6, v3, v116
	v_min3_f32 v115, v10, v7, v115
	v_min3_f32 v123, v14, v11, v50
	v_min3_f32 v124, v18, v15, v51
	v_min3_f32 v112, v22, v19, v112
	;; [unrolled: 16-line block ×3, first 2 shown]
	v_add_f32_e32 v3, v5, v49
	v_add_f32_e32 v6, v4, v48
	;; [unrolled: 1-line block ×10, first 2 shown]
	v_min3_f32 v125, v6, v3, v46
	v_min3_f32 v126, v10, v7, v47
	v_min3_f32 v104, v14, v11, v104
	v_min3_f32 v103, v18, v15, v103
	v_min3_f32 v102, v22, v19, v102
	v_add_f32_e32 v3, v21, v45
	v_add_f32_e32 v6, v20, v44
	;; [unrolled: 1-line block ×10, first 2 shown]
	v_min3_f32 v93, v132, v131, v93
	v_min3_f32 v101, v6, v3, v101
	v_min3_f32 v100, v10, v7, v100
	v_min3_f32 v99, v14, v11, v99
	v_min3_f32 v127, v18, v15, v42
	v_min3_f32 v128, v22, v19, v43
	v_add_f32_e32 v3, v33, v41
	v_add_f32_e32 v6, v32, v40
	;; [unrolled: 1-line block ×10, first 2 shown]
	v_min3_f32 v96, v6, v3, v96
	v_min3_f32 v95, v10, v7, v95
	v_min3_f32 v94, v14, v11, v94
	v_min3_f32 v93, v18, v15, v93
	v_min3_f32 v92, v22, v19, v92
	v_add_f32_e32 v3, v9, v41
	v_add_f32_e32 v6, v8, v40
	;; [unrolled: 1-line block ×10, first 2 shown]
	v_min3_f32 v90, v6, v3, v90
	v_min3_f32 v129, v10, v7, v38
	;; [unrolled: 1-line block ×5, first 2 shown]
	v_add_f32_e32 v3, v25, v13
	v_add_f32_e32 v10, v24, v12
	;; [unrolled: 1-line block ×6, first 2 shown]
	ds_read_b128 v[14:17], v143
	ds_read_b128 v[18:21], v74
	v_add_f32_e32 v30, v9, v13
	ds_read_b128 v[22:25], v143 offset:128
	v_add_f32_e32 v32, v8, v12
	ds_read_b128 v[6:9], v143 offset:256
	v_add_f32_e32 v5, v5, v13
	v_add_f32_e32 v4, v4, v12
	v_min3_f32 v134, v10, v3, v27
	v_min3_f32 v135, v26, v11, v31
	;; [unrolled: 1-line block ×5, first 2 shown]
	ds_read_b128 v[2:5], v143 offset:384
	ds_read_b128 v[10:13], v143 offset:512
	;; [unrolled: 1-line block ×11, first 2 shown]
	v_add_co_u32 v70, s3, v70, 32
	v_add_co_ci_u32_e64 v71, null, 0, v71, s3
	v_add_co_u32 v147, s3, v147, s8
	s_waitcnt lgkmcnt(13)
	v_add_f32_e32 v139, v15, v19
	v_add_f32_e32 v140, v14, v18
	s_waitcnt lgkmcnt(12)
	v_add_f32_e32 v141, v23, v19
	v_add_f32_e32 v142, v22, v18
	;; [unrolled: 3-line block ×3, first 2 shown]
	v_min3_f32 v82, v140, v139, v82
	s_waitcnt lgkmcnt(10)
	v_add_f32_e32 v139, v3, v19
	v_min3_f32 v83, v142, v141, v83
	v_add_f32_e32 v140, v2, v18
	v_min3_f32 v81, v155, v154, v81
	s_waitcnt lgkmcnt(9)
	v_add_f32_e32 v141, v11, v19
	v_add_f32_e32 v142, v10, v18
	s_waitcnt lgkmcnt(8)
	v_add_f32_e32 v154, v27, v19
	v_add_f32_e32 v155, v26, v18
	;; [unrolled: 3-line block ×4, first 2 shown]
	v_min3_f32 v79, v140, v139, v79
	v_min3_f32 v139, v142, v141, v64
	;; [unrolled: 1-line block ×5, first 2 shown]
	s_waitcnt lgkmcnt(5)
	v_add_f32_e32 v19, v15, v39
	v_add_f32_e32 v62, v14, v38
	;; [unrolled: 1-line block ×6, first 2 shown]
	v_min3_f32 v19, v62, v19, v63
	v_add_f32_e32 v62, v27, v39
	v_add_f32_e32 v63, v26, v38
	;; [unrolled: 1-line block ×6, first 2 shown]
	v_min3_f32 v158, v65, v64, v78
	v_min3_f32 v159, v141, v77, v80
	v_add_f32_e32 v64, v31, v39
	v_add_f32_e32 v65, v30, v38
	;; [unrolled: 1-line block ×4, first 2 shown]
	s_waitcnt lgkmcnt(4)
	v_add_f32_e32 v77, v15, v43
	v_add_f32_e32 v78, v14, v42
	;; [unrolled: 1-line block ×4, first 2 shown]
	v_min3_f32 v86, v63, v62, v86
	v_add_f32_e32 v62, v7, v43
	v_add_f32_e32 v63, v6, v42
	v_min3_f32 v87, v65, v64, v87
	v_min3_f32 v38, v38, v39, v88
	;; [unrolled: 1-line block ×4, first 2 shown]
	v_add_f32_e32 v64, v3, v43
	v_add_f32_e32 v65, v2, v42
	;; [unrolled: 1-line block ×8, first 2 shown]
	v_min3_f32 v97, v63, v62, v97
	v_add_f32_e32 v43, v35, v43
	v_add_f32_e32 v42, v34, v42
	s_waitcnt lgkmcnt(3)
	v_add_f32_e32 v62, v15, v47
	v_add_f32_e32 v63, v14, v46
	v_min3_f32 v98, v65, v64, v98
	v_add_f32_e32 v64, v23, v47
	v_add_f32_e32 v65, v22, v46
	v_min3_f32 v42, v42, v43, v114
	v_min3_f32 v43, v63, v62, v122
	v_add_f32_e32 v62, v11, v47
	v_add_f32_e32 v63, v10, v46
	v_min3_f32 v105, v78, v77, v105
	v_min3_f32 v89, v89, v80, v106
	;; [unrolled: 1-line block ×3, first 2 shown]
	v_add_f32_e32 v77, v7, v47
	v_add_f32_e32 v78, v6, v46
	;; [unrolled: 1-line block ×4, first 2 shown]
	v_min3_f32 v113, v65, v64, v120
	v_add_f32_e32 v64, v27, v47
	v_add_f32_e32 v65, v26, v46
	v_min3_f32 v117, v63, v62, v117
	s_waitcnt lgkmcnt(2)
	v_add_f32_e32 v62, v23, v51
	v_add_f32_e32 v63, v22, v50
	v_min3_f32 v114, v78, v77, v119
	v_min3_f32 v106, v106, v80, v118
	v_add_f32_e32 v77, v31, v47
	v_add_f32_e32 v78, v30, v46
	;; [unrolled: 1-line block ×6, first 2 shown]
	v_min3_f32 v116, v65, v64, v116
	v_add_f32_e32 v64, v7, v51
	v_add_f32_e32 v65, v6, v50
	v_min3_f32 v112, v63, v62, v112
	v_add_f32_e32 v62, v31, v51
	v_add_f32_e32 v63, v30, v50
	v_min3_f32 v115, v78, v77, v115
	v_min3_f32 v46, v46, v47, v123
	;; [unrolled: 1-line block ×3, first 2 shown]
	v_add_f32_e32 v77, v3, v51
	v_add_f32_e32 v78, v2, v50
	;; [unrolled: 1-line block ×6, first 2 shown]
	v_min3_f32 v111, v65, v64, v111
	v_add_f32_e32 v51, v35, v51
	v_add_f32_e32 v50, v34, v50
	s_waitcnt lgkmcnt(1)
	v_add_f32_e32 v64, v15, v55
	v_add_f32_e32 v65, v14, v54
	v_min3_f32 v107, v63, v62, v107
	v_add_f32_e32 v62, v3, v55
	v_add_f32_e32 v63, v2, v54
	v_min3_f32 v50, v50, v51, v125
	v_min3_f32 v51, v65, v64, v126
	;; [unrolled: 1-line block ×5, first 2 shown]
	ds_read_b128 v[62:65], v74 offset:3584
	v_add_f32_e32 v77, v23, v55
	v_add_f32_e32 v78, v22, v54
	;; [unrolled: 1-line block ×4, first 2 shown]
	v_min3_f32 v108, v120, v119, v108
	v_add_f32_e32 v119, v31, v55
	v_min3_f32 v104, v78, v77, v104
	v_add_f32_e32 v77, v11, v55
	;; [unrolled: 2-line block ×3, first 2 shown]
	v_add_f32_e32 v80, v27, v55
	v_add_f32_e32 v118, v26, v54
	;; [unrolled: 1-line block ×5, first 2 shown]
	v_min3_f32 v101, v78, v77, v101
	v_min3_f32 v100, v118, v80, v100
	s_waitcnt lgkmcnt(1)
	v_add_f32_e32 v77, v14, v58
	v_add_f32_e32 v78, v23, v59
	v_min3_f32 v54, v54, v55, v127
	v_add_f32_e32 v55, v15, v59
	v_add_f32_e32 v80, v22, v58
	s_waitcnt lgkmcnt(0)
	v_add_f32_e32 v15, v15, v63
	v_add_f32_e32 v14, v14, v62
	;; [unrolled: 1-line block ×4, first 2 shown]
	v_min3_f32 v99, v120, v119, v99
	v_add_f32_e32 v118, v7, v59
	v_add_f32_e32 v119, v6, v58
	;; [unrolled: 1-line block ×6, first 2 shown]
	v_min3_f32 v55, v77, v55, v128
	v_min3_f32 v96, v80, v78, v96
	v_add_f32_e32 v77, v27, v59
	v_add_f32_e32 v78, v26, v58
	v_min3_f32 v14, v14, v15, v131
	v_min3_f32 v15, v22, v23, v132
	v_add_f32_e32 v7, v7, v63
	v_add_f32_e32 v6, v6, v62
	;; [unrolled: 1-line block ×10, first 2 shown]
	v_min3_f32 v95, v119, v118, v95
	v_add_f32_e32 v80, v31, v59
	v_add_f32_e32 v118, v30, v58
	;; [unrolled: 1-line block ×4, first 2 shown]
	v_min3_f32 v6, v6, v7, v133
	v_min3_f32 v2, v2, v3, v134
	;; [unrolled: 1-line block ×5, first 2 shown]
	v_add_f32_e32 v11, v35, v63
	v_add_f32_e32 v22, v34, v62
	;; [unrolled: 1-line block ×4, first 2 shown]
	v_min3_f32 v84, v155, v142, v84
	v_min3_f32 v58, v58, v59, v129
	v_add_f32_e32 v27, v25, v21
	v_add_f32_e32 v30, v24, v20
	;; [unrolled: 1-line block ×6, first 2 shown]
	v_min3_f32 v11, v22, v11, v138
	v_min3_f32 v142, v26, v23, v82
	v_add_f32_e32 v22, v13, v21
	v_add_f32_e32 v23, v12, v20
	v_min3_f32 v92, v78, v77, v92
	v_min3_f32 v141, v30, v27, v83
	;; [unrolled: 1-line block ×4, first 2 shown]
	v_add_f32_e32 v26, v29, v21
	v_add_f32_e32 v27, v28, v20
	;; [unrolled: 1-line block ×8, first 2 shown]
	v_min3_f32 v77, v23, v22, v139
	v_add_f32_e32 v22, v5, v41
	v_add_f32_e32 v23, v4, v40
	v_min3_f32 v78, v27, v26, v140
	v_min3_f32 v140, v20, v21, v18
	;; [unrolled: 1-line block ×3, first 2 shown]
	v_add_f32_e32 v18, v25, v41
	v_add_f32_e32 v19, v24, v40
	;; [unrolled: 1-line block ×4, first 2 shown]
	v_min3_f32 v136, v23, v22, v84
	v_add_f32_e32 v22, v17, v45
	v_add_f32_e32 v23, v16, v44
	v_min3_f32 v85, v157, v156, v85
	v_min3_f32 v90, v118, v80, v90
	;; [unrolled: 1-line block ×3, first 2 shown]
	v_add_f32_e32 v26, v13, v41
	v_add_f32_e32 v27, v12, v40
	v_add_f32_e32 v30, v29, v41
	v_add_f32_e32 v31, v28, v40
	v_min3_f32 v138, v19, v18, v158
	v_min3_f32 v137, v21, v20, v159
	v_add_f32_e32 v18, v33, v41
	v_add_f32_e32 v19, v32, v40
	v_add_f32_e32 v20, v37, v41
	v_add_f32_e32 v21, v36, v40
	v_min3_f32 v131, v23, v22, v39
	v_add_f32_e32 v22, v29, v45
	v_add_f32_e32 v23, v28, v44
	v_min3_f32 v135, v27, v26, v85
	v_min3_f32 v134, v31, v30, v86
	v_add_f32_e32 v26, v25, v45
	v_add_f32_e32 v27, v24, v44
	v_add_f32_e32 v30, v9, v45
	v_add_f32_e32 v31, v8, v44
	v_min3_f32 v133, v19, v18, v87
	v_min3_f32 v132, v21, v20, v38
	v_add_f32_e32 v18, v5, v45
	v_add_f32_e32 v19, v4, v44
	v_add_f32_e32 v20, v13, v45
	v_add_f32_e32 v21, v12, v44
	v_min3_f32 v125, v23, v22, v89
	v_add_f32_e32 v22, v9, v49
	v_add_f32_e32 v23, v8, v48
	v_min3_f32 v129, v27, v26, v88
	v_min3_f32 v128, v31, v30, v97
	;; [unrolled: 15-line block ×3, first 2 shown]
	v_min3_f32 v124, v27, v26, v91
	v_min3_f32 v122, v31, v30, v42
	v_add_f32_e32 v26, v5, v49
	v_add_f32_e32 v27, v4, v48
	v_add_f32_e32 v30, v13, v49
	v_add_f32_e32 v31, v12, v48
	v_min3_f32 v123, v19, v18, v43
	v_min3_f32 v120, v21, v20, v113
	v_add_f32_e32 v18, v29, v49
	v_add_f32_e32 v19, v28, v48
	v_add_f32_e32 v20, v33, v49
	v_add_f32_e32 v21, v32, v48
	v_min3_f32 v114, v23, v22, v46
	v_add_f32_e32 v22, v13, v53
	v_add_f32_e32 v23, v12, v52
	v_min3_f32 v118, v27, v26, v106
	v_min3_f32 v117, v31, v30, v117
	v_add_f32_e32 v26, v17, v53
	v_add_f32_e32 v27, v16, v52
	v_add_f32_e32 v30, v25, v53
	v_add_f32_e32 v31, v24, v52
	v_min3_f32 v116, v19, v18, v116
	v_min3_f32 v115, v21, v20, v115
	v_add_f32_e32 v18, v9, v53
	v_add_f32_e32 v19, v8, v52
	v_add_f32_e32 v20, v5, v53
	v_add_f32_e32 v21, v4, v52
	v_min3_f32 v109, v23, v22, v109
	v_add_f32_e32 v22, v25, v57
	v_add_f32_e32 v23, v24, v56
	;; [unrolled: 15-line block ×5, first 2 shown]
	v_add_f32_e32 v22, v25, v65
	v_add_f32_e32 v23, v24, v64
	v_add_f32_e32 v9, v9, v65
	v_add_f32_e32 v8, v8, v64
	v_min3_f32 v98, v27, v26, v54
	v_min3_f32 v97, v31, v30, v55
	v_add_f32_e32 v26, v13, v61
	v_add_f32_e32 v27, v12, v60
	v_add_f32_e32 v30, v29, v61
	v_add_f32_e32 v31, v28, v60
	v_min3_f32 v96, v19, v18, v96
	v_min3_f32 v95, v21, v20, v95
	v_add_f32_e32 v18, v33, v61
	v_add_f32_e32 v19, v32, v60
	v_add_f32_e32 v20, v37, v61
	v_add_f32_e32 v21, v36, v60
	v_min3_f32 v88, v16, v17, v14
	v_min3_f32 v87, v23, v22, v15
	v_min3_f32 v86, v8, v9, v6
	v_add_f32_e32 v5, v5, v65
	v_add_f32_e32 v4, v4, v64
	;; [unrolled: 1-line block ×10, first 2 shown]
	v_min3_f32 v93, v27, v26, v93
	v_min3_f32 v92, v31, v30, v92
	v_min3_f32 v90, v19, v18, v90
	v_min3_f32 v89, v21, v20, v58
	v_min3_f32 v85, v4, v5, v2
	v_min3_f32 v84, v8, v6, v3
	v_min3_f32 v83, v12, v9, v7
	v_min3_f32 v82, v14, v13, v10
	v_min3_f32 v91, v16, v15, v11
	v_add_co_ci_u32_e64 v148, null, s9, v148, s3
	s_add_i32 s18, s18, 8
	s_waitcnt vmcnt(0)
	ds_write_b32 v130, v149
	ds_write2st64_b32 v144, v151, v150 offset1:4
	ds_write2st64_b32 v144, v153, v152 offset0:8 offset1:12
	s_cmp_ge_i32 s18, s7
	s_waitcnt lgkmcnt(0)
	s_barrier
	buffer_gl0_inv
	s_cbranch_scc1 .LBB25_51
.LBB25_31:                              ; =>This Inner Loop Header: Depth=1
	v_add_nc_u32_e32 v151, s18, v72
	v_mov_b32_e32 v153, 0x7f7fffff
	v_mov_b32_e32 v152, 0x7f7fffff
	v_add_nc_u32_e32 v2, 8, v151
	v_cmp_gt_i32_e64 s3, s14, v2
	s_and_b32 s6, s3, s25
	s_and_saveexec_b32 s3, s6
	s_cbranch_execz .LBB25_33
; %bb.32:                               ;   in Loop: Header=BB25_31 Depth=1
	flat_load_dword v152, v[70:71]
.LBB25_33:                              ;   in Loop: Header=BB25_31 Depth=1
	s_or_b32 exec_lo, exec_lo, s3
	v_add_nc_u32_e32 v150, s18, v73
	v_add_nc_u32_e32 v2, 8, v150
	v_cmp_le_i32_e64 s3, s14, v2
	s_nor_b32 s6, vcc_lo, s3
	s_and_saveexec_b32 s19, s6
	s_cbranch_execz .LBB25_35
; %bb.34:                               ;   in Loop: Header=BB25_31 Depth=1
	v_add_co_u32 v2, s6, v147, v66
	v_add_co_ci_u32_e64 v3, null, v148, v67, s6
	flat_load_dword v153, v[2:3]
.LBB25_35:                              ;   in Loop: Header=BB25_31 Depth=1
	s_or_b32 exec_lo, exec_lo, s19
	v_mov_b32_e32 v154, 0x7f7fffff
	v_mov_b32_e32 v155, 0x7f7fffff
	s_nor_b32 s6, s0, s3
	s_and_saveexec_b32 s19, s6
	s_cbranch_execz .LBB25_37
; %bb.36:                               ;   in Loop: Header=BB25_31 Depth=1
	v_add_co_u32 v2, s6, v147, v66
	v_add_co_ci_u32_e64 v3, null, v148, v67, s6
	flat_load_dword v155, v[2:3] offset:256
.LBB25_37:                              ;   in Loop: Header=BB25_31 Depth=1
	s_or_b32 exec_lo, exec_lo, s19
	s_nor_b32 s6, s1, s3
	s_and_saveexec_b32 s19, s6
	s_cbranch_execz .LBB25_39
; %bb.38:                               ;   in Loop: Header=BB25_31 Depth=1
	v_add_co_u32 v2, s6, v147, v66
	v_add_co_ci_u32_e64 v3, null, v148, v67, s6
	flat_load_dword v154, v[2:3] offset:512
.LBB25_39:                              ;   in Loop: Header=BB25_31 Depth=1
	s_or_b32 exec_lo, exec_lo, s19
	v_mov_b32_e32 v149, 0x7f7fffff
	v_mov_b32_e32 v156, 0x7f7fffff
	s_nor_b32 s3, s2, s3
	s_and_saveexec_b32 s6, s3
	s_cbranch_execz .LBB25_41
; %bb.40:                               ;   in Loop: Header=BB25_31 Depth=1
	v_add_co_u32 v2, s3, v147, v66
	v_add_co_ci_u32_e64 v3, null, v148, v67, s3
	flat_load_dword v156, v[2:3] offset:768
.LBB25_41:                              ;   in Loop: Header=BB25_31 Depth=1
	s_or_b32 exec_lo, exec_lo, s6
	ds_read_b128 v[34:37], v145
	ds_read_b128 v[30:33], v145 offset:128
	ds_read_b128 v[26:29], v145 offset:256
	;; [unrolled: 1-line block ×7, first 2 shown]
	ds_read_b128 v[62:65], v146
	ds_read_b128 v[58:61], v146 offset:512
	ds_read_b128 v[54:57], v146 offset:1024
	;; [unrolled: 1-line block ×7, first 2 shown]
	v_add_nc_u32_e32 v151, 12, v151
	s_waitcnt vmcnt(0) lgkmcnt(16)
	ds_write_b32 v121, v152
	ds_write2st64_b32 v76, v153, v155 offset1:4
	ds_write2st64_b32 v76, v154, v156 offset0:8 offset1:12
	s_waitcnt lgkmcnt(0)
	s_barrier
	v_cmp_gt_i32_e64 s3, s14, v151
	buffer_gl0_inv
	s_and_b32 s6, s3, s25
	s_and_saveexec_b32 s3, s6
	s_cbranch_execz .LBB25_43
; %bb.42:                               ;   in Loop: Header=BB25_31 Depth=1
	flat_load_dword v149, v[70:71] offset:16
.LBB25_43:                              ;   in Loop: Header=BB25_31 Depth=1
	s_or_b32 exec_lo, exec_lo, s3
	v_add_nc_u32_e32 v150, 12, v150
	v_mov_b32_e32 v151, 0x7f7fffff
	v_cmp_le_i32_e64 s3, s14, v150
	v_mov_b32_e32 v150, 0x7f7fffff
	s_nor_b32 s6, vcc_lo, s3
	s_and_saveexec_b32 s19, s6
	s_cbranch_execz .LBB25_45
; %bb.44:                               ;   in Loop: Header=BB25_31 Depth=1
	v_add_co_u32 v151, s6, v147, v68
	v_add_co_ci_u32_e64 v152, null, v148, v69, s6
	flat_load_dword v151, v[151:152]
.LBB25_45:                              ;   in Loop: Header=BB25_31 Depth=1
	s_or_b32 exec_lo, exec_lo, s19
	s_nor_b32 s6, s0, s3
	s_and_saveexec_b32 s19, s6
	s_cbranch_execz .LBB25_47
; %bb.46:                               ;   in Loop: Header=BB25_31 Depth=1
	v_add_co_u32 v152, s6, v147, v68
	v_add_co_ci_u32_e64 v153, null, v148, v69, s6
	flat_load_dword v150, v[152:153] offset:256
.LBB25_47:                              ;   in Loop: Header=BB25_31 Depth=1
	s_or_b32 exec_lo, exec_lo, s19
	v_mov_b32_e32 v152, 0x7f7fffff
	v_mov_b32_e32 v153, 0x7f7fffff
	s_nor_b32 s6, s1, s3
	s_and_saveexec_b32 s19, s6
	s_cbranch_execz .LBB25_49
; %bb.48:                               ;   in Loop: Header=BB25_31 Depth=1
	v_add_co_u32 v153, s6, v147, v68
	v_add_co_ci_u32_e64 v154, null, v148, v69, s6
	flat_load_dword v153, v[153:154] offset:512
.LBB25_49:                              ;   in Loop: Header=BB25_31 Depth=1
	s_or_b32 exec_lo, exec_lo, s19
	s_nor_b32 s3, s2, s3
	s_and_saveexec_b32 s6, s3
	s_cbranch_execz .LBB25_30
; %bb.50:                               ;   in Loop: Header=BB25_31 Depth=1
	v_add_co_u32 v154, s3, v147, v68
	v_add_co_ci_u32_e64 v155, null, v148, v69, s3
	flat_load_dword v152, v[154:155] offset:768
	s_branch .LBB25_30
.LBB25_51:
	s_clause 0x2
	s_load_dword s14, s[4:5], 0x50
	s_load_dword s9, s[4:5], 0x68
	s_load_dwordx2 s[0:1], s[4:5], 0x70
	v_add_nc_u32_e32 v130, s24, v1
	ds_read_b128 v[34:37], v75 offset:9216
	ds_read_b128 v[30:33], v75 offset:9344
	;; [unrolled: 1-line block ×16, first 2 shown]
	v_add_nc_u32_e32 v0, s23, v0
	v_cmp_gt_i32_e64 s8, s13, v130
	v_cndmask_b32_e64 v121, 0, 1, s22
	v_ashrrev_i32_e32 v1, 31, v0
	s_waitcnt lgkmcnt(0)
	v_mad_i64_i32 v[66:67], null, v130, s14, 0
	v_mad_i64_i32 v[68:69], null, v130, s9, 0
	s_lshl_b64 s[0:1], s[0:1], 2
	s_add_u32 s16, s16, s0
	s_addc_u32 s17, s17, s1
	v_lshlrev_b64 v[66:67], 2, v[66:67]
	v_cmp_gt_i32_e64 s0, s12, v0
	v_lshlrev_b64 v[68:69], 2, v[68:69]
	s_and_b32 s2, s0, s8
	v_add_co_u32 v145, vcc_lo, s10, v66
	v_add_co_ci_u32_e64 v146, null, s11, v67, vcc_lo
	v_add_co_u32 v143, vcc_lo, s16, v68
	v_add_co_ci_u32_e64 v144, null, s17, v69, vcc_lo
	s_and_saveexec_b32 s1, s2
	s_cbranch_execz .LBB25_56
; %bb.52:
	v_lshlrev_b64 v[66:67], 2, v[0:1]
	s_andn2_b32 vcc_lo, exec_lo, s22
	s_cbranch_vccnz .LBB25_54
; %bb.53:
	v_add_co_u32 v68, vcc_lo, v145, v66
	v_add_co_ci_u32_e64 v69, null, v146, v67, vcc_lo
	flat_load_dword v68, v[68:69]
	s_waitcnt vmcnt(0) lgkmcnt(0)
	v_mul_f32_e32 v68, s15, v68
	s_branch .LBB25_55
.LBB25_54:
	v_mov_b32_e32 v68, 0
.LBB25_55:
	v_add_f32_e32 v69, v35, v63
	v_add_f32_e32 v70, v34, v62
	v_add_f32_e32 v71, v37, v65
	v_add_f32_e32 v72, v36, v64
	v_add_co_u32 v66, vcc_lo, v143, v66
	v_min3_f32 v69, v70, v69, v142
	v_add_co_ci_u32_e64 v67, null, v144, v67, vcc_lo
	v_min_f32_e32 v70, v72, v71
	v_min3_f32 v68, v68, v70, v69
	flat_store_dword v[66:67], v68
.LBB25_56:
	s_or_b32 exec_lo, exec_lo, s1
	v_add_nc_u32_e32 v66, 8, v0
	v_cmp_gt_i32_e64 s1, s12, v66
	v_ashrrev_i32_e32 v67, 31, v66
	s_and_b32 s3, s1, s8
	s_and_saveexec_b32 s2, s3
	s_cbranch_execz .LBB25_61
; %bb.57:
	v_cmp_ne_u32_e32 vcc_lo, 1, v121
	v_lshlrev_b64 v[68:69], 2, v[66:67]
	s_cbranch_vccnz .LBB25_59
; %bb.58:
	v_add_co_u32 v70, vcc_lo, v145, v68
	v_add_co_ci_u32_e64 v71, null, v146, v69, vcc_lo
	flat_load_dword v70, v[70:71]
	s_waitcnt vmcnt(0) lgkmcnt(0)
	v_mul_f32_e32 v70, s15, v70
	s_branch .LBB25_60
.LBB25_59:
	v_mov_b32_e32 v70, 0
.LBB25_60:
	v_add_f32_e32 v71, v31, v63
	v_add_f32_e32 v72, v30, v62
	v_add_f32_e32 v73, v33, v65
	v_add_f32_e32 v74, v32, v64
	v_add_co_u32 v68, vcc_lo, v143, v68
	v_min3_f32 v71, v72, v71, v141
	v_add_co_ci_u32_e64 v69, null, v144, v69, vcc_lo
	v_min_f32_e32 v72, v74, v73
	v_min3_f32 v70, v70, v72, v71
	flat_store_dword v[68:69], v70
.LBB25_61:
	s_or_b32 exec_lo, exec_lo, s2
	v_add_nc_u32_e32 v68, 16, v0
	v_cmp_gt_i32_e64 s2, s12, v68
	v_ashrrev_i32_e32 v69, 31, v68
	s_and_b32 s4, s2, s8
	s_and_saveexec_b32 s3, s4
	s_cbranch_execz .LBB25_66
; %bb.62:
	v_cmp_ne_u32_e32 vcc_lo, 1, v121
	v_lshlrev_b64 v[70:71], 2, v[68:69]
	s_cbranch_vccnz .LBB25_64
; %bb.63:
	v_add_co_u32 v72, vcc_lo, v145, v70
	v_add_co_ci_u32_e64 v73, null, v146, v71, vcc_lo
	flat_load_dword v72, v[72:73]
	s_waitcnt vmcnt(0) lgkmcnt(0)
	v_mul_f32_e32 v72, s15, v72
	s_branch .LBB25_65
.LBB25_64:
	v_mov_b32_e32 v72, 0
.LBB25_65:
	v_add_f32_e32 v73, v27, v63
	v_add_f32_e32 v74, v26, v62
	v_add_f32_e32 v75, v29, v65
	v_add_f32_e32 v76, v28, v64
	v_add_co_u32 v70, vcc_lo, v143, v70
	v_min3_f32 v73, v74, v73, v81
	v_add_co_ci_u32_e64 v71, null, v144, v71, vcc_lo
	v_min_f32_e32 v74, v76, v75
	v_min3_f32 v72, v72, v74, v73
	flat_store_dword v[70:71], v72
.LBB25_66:
	;; [unrolled: 32-line block ×6, first 2 shown]
	s_or_b32 exec_lo, exec_lo, s7
	v_add_nc_u32_e32 v78, 56, v0
	v_cmp_gt_i32_e64 s7, s12, v78
	v_ashrrev_i32_e32 v79, 31, v78
	s_and_b32 s12, s7, s8
	s_and_saveexec_b32 s8, s12
	s_cbranch_execz .LBB25_91
; %bb.87:
	v_cmp_ne_u32_e32 vcc_lo, 1, v121
	v_lshlrev_b64 v[80:81], 2, v[78:79]
	s_cbranch_vccnz .LBB25_89
; %bb.88:
	v_add_co_u32 v141, vcc_lo, v145, v80
	v_add_co_ci_u32_e64 v142, null, v146, v81, vcc_lo
	flat_load_dword v141, v[141:142]
	s_waitcnt vmcnt(0) lgkmcnt(0)
	v_mul_f32_e32 v141, s15, v141
	s_branch .LBB25_90
.LBB25_89:
	v_mov_b32_e32 v141, 0
.LBB25_90:
	v_add_f32_e32 v63, v3, v63
	v_add_f32_e32 v62, v2, v62
	;; [unrolled: 1-line block ×4, first 2 shown]
	v_min3_f32 v62, v62, v63, v140
	v_min_f32_e32 v63, v64, v65
	v_min3_f32 v64, v141, v63, v62
	v_add_co_u32 v62, vcc_lo, v143, v80
	v_add_co_ci_u32_e64 v63, null, v144, v81, vcc_lo
	flat_store_dword v[62:63], v64
.LBB25_91:
	s_or_b32 exec_lo, exec_lo, s8
	v_add_nc_u32_e32 v80, 32, v130
	v_mad_i64_i32 v[62:63], null, v80, s14, 0
	v_mad_i64_i32 v[64:65], null, v80, s9, 0
	v_cmp_gt_i32_e64 s8, s13, v80
	v_lshlrev_b64 v[62:63], 2, v[62:63]
	s_and_b32 s18, s0, s8
	v_lshlrev_b64 v[64:65], 2, v[64:65]
	v_add_co_u32 v80, vcc_lo, s10, v62
	v_add_co_ci_u32_e64 v81, null, s11, v63, vcc_lo
	v_add_co_u32 v64, vcc_lo, s16, v64
	v_add_co_ci_u32_e64 v65, null, s17, v65, vcc_lo
	s_and_saveexec_b32 s12, s18
	s_cbranch_execnz .LBB25_99
; %bb.92:
	s_or_b32 exec_lo, exec_lo, s12
	s_and_b32 s18, s1, s8
	s_and_saveexec_b32 s12, s18
	s_cbranch_execnz .LBB25_103
.LBB25_93:
	s_or_b32 exec_lo, exec_lo, s12
	s_and_b32 s18, s2, s8
	s_and_saveexec_b32 s12, s18
	s_cbranch_execnz .LBB25_107
.LBB25_94:
	s_or_b32 exec_lo, exec_lo, s12
	s_and_b32 s18, s3, s8
	s_and_saveexec_b32 s12, s18
	s_cbranch_execnz .LBB25_111
.LBB25_95:
	s_or_b32 exec_lo, exec_lo, s12
	s_and_b32 s18, s4, s8
	s_and_saveexec_b32 s12, s18
	s_cbranch_execnz .LBB25_115
.LBB25_96:
	s_or_b32 exec_lo, exec_lo, s12
	s_and_b32 s18, s5, s8
	s_and_saveexec_b32 s12, s18
	s_cbranch_execnz .LBB25_119
.LBB25_97:
	s_or_b32 exec_lo, exec_lo, s12
	s_and_b32 s18, s6, s8
	s_and_saveexec_b32 s12, s18
	s_cbranch_execnz .LBB25_123
.LBB25_98:
	s_or_b32 exec_lo, exec_lo, s12
	s_and_b32 s12, s7, s8
	s_and_saveexec_b32 s8, s12
	s_cbranch_execnz .LBB25_127
	s_branch .LBB25_131
.LBB25_99:
	v_cmp_ne_u32_e32 vcc_lo, 1, v121
	v_lshlrev_b64 v[62:63], 2, v[0:1]
	s_cbranch_vccnz .LBB25_101
; %bb.100:
	v_add_co_u32 v140, vcc_lo, v80, v62
	v_add_co_ci_u32_e64 v141, null, v81, v63, vcc_lo
	flat_load_dword v140, v[140:141]
	s_waitcnt vmcnt(0) lgkmcnt(0)
	v_mul_f32_e32 v140, s15, v140
	s_branch .LBB25_102
.LBB25_101:
	v_mov_b32_e32 v140, 0
.LBB25_102:
	v_add_f32_e32 v141, v35, v59
	v_add_f32_e32 v142, v34, v58
	;; [unrolled: 1-line block ×4, first 2 shown]
	v_add_co_u32 v62, vcc_lo, v64, v62
	v_min3_f32 v139, v142, v141, v139
	v_add_co_ci_u32_e64 v63, null, v65, v63, vcc_lo
	v_min_f32_e32 v141, v144, v143
	v_min3_f32 v139, v140, v141, v139
	flat_store_dword v[62:63], v139
	s_or_b32 exec_lo, exec_lo, s12
	s_and_b32 s18, s1, s8
	s_and_saveexec_b32 s12, s18
	s_cbranch_execz .LBB25_93
.LBB25_103:
	v_cmp_ne_u32_e32 vcc_lo, 1, v121
	v_lshlrev_b64 v[62:63], 2, v[66:67]
	s_cbranch_vccnz .LBB25_105
; %bb.104:
	v_add_co_u32 v139, vcc_lo, v80, v62
	v_add_co_ci_u32_e64 v140, null, v81, v63, vcc_lo
	flat_load_dword v139, v[139:140]
	s_waitcnt vmcnt(0) lgkmcnt(0)
	v_mul_f32_e32 v139, s15, v139
	s_branch .LBB25_106
.LBB25_105:
	v_mov_b32_e32 v139, 0
.LBB25_106:
	v_add_f32_e32 v140, v31, v59
	v_add_f32_e32 v141, v30, v58
	;; [unrolled: 1-line block ×4, first 2 shown]
	v_add_co_u32 v62, vcc_lo, v64, v62
	v_min3_f32 v138, v141, v140, v138
	v_add_co_ci_u32_e64 v63, null, v65, v63, vcc_lo
	v_min_f32_e32 v140, v143, v142
	v_min3_f32 v138, v139, v140, v138
	flat_store_dword v[62:63], v138
	s_or_b32 exec_lo, exec_lo, s12
	s_and_b32 s18, s2, s8
	s_and_saveexec_b32 s12, s18
	s_cbranch_execz .LBB25_94
.LBB25_107:
	v_cmp_ne_u32_e32 vcc_lo, 1, v121
	v_lshlrev_b64 v[62:63], 2, v[68:69]
	s_cbranch_vccnz .LBB25_109
; %bb.108:
	v_add_co_u32 v138, vcc_lo, v80, v62
	v_add_co_ci_u32_e64 v139, null, v81, v63, vcc_lo
	flat_load_dword v138, v[138:139]
	s_waitcnt vmcnt(0) lgkmcnt(0)
	v_mul_f32_e32 v138, s15, v138
	s_branch .LBB25_110
.LBB25_109:
	v_mov_b32_e32 v138, 0
.LBB25_110:
	v_add_f32_e32 v139, v27, v59
	v_add_f32_e32 v140, v26, v58
	v_add_f32_e32 v141, v29, v61
	v_add_f32_e32 v142, v28, v60
	v_add_co_u32 v62, vcc_lo, v64, v62
	v_min3_f32 v137, v140, v139, v137
	v_add_co_ci_u32_e64 v63, null, v65, v63, vcc_lo
	v_min_f32_e32 v139, v142, v141
	v_min3_f32 v137, v138, v139, v137
	flat_store_dword v[62:63], v137
	s_or_b32 exec_lo, exec_lo, s12
	s_and_b32 s18, s3, s8
	s_and_saveexec_b32 s12, s18
	s_cbranch_execz .LBB25_95
.LBB25_111:
	v_cmp_ne_u32_e32 vcc_lo, 1, v121
	v_lshlrev_b64 v[62:63], 2, v[70:71]
	s_cbranch_vccnz .LBB25_113
; %bb.112:
	v_add_co_u32 v137, vcc_lo, v80, v62
	v_add_co_ci_u32_e64 v138, null, v81, v63, vcc_lo
	flat_load_dword v137, v[137:138]
	s_waitcnt vmcnt(0) lgkmcnt(0)
	v_mul_f32_e32 v137, s15, v137
	s_branch .LBB25_114
.LBB25_113:
	v_mov_b32_e32 v137, 0
.LBB25_114:
	v_add_f32_e32 v138, v23, v59
	v_add_f32_e32 v139, v22, v58
	;; [unrolled: 1-line block ×4, first 2 shown]
	v_add_co_u32 v62, vcc_lo, v64, v62
	v_min3_f32 v136, v139, v138, v136
	v_add_co_ci_u32_e64 v63, null, v65, v63, vcc_lo
	v_min_f32_e32 v138, v141, v140
	v_min3_f32 v136, v137, v138, v136
	flat_store_dword v[62:63], v136
	s_or_b32 exec_lo, exec_lo, s12
	s_and_b32 s18, s4, s8
	s_and_saveexec_b32 s12, s18
	s_cbranch_execz .LBB25_96
.LBB25_115:
	v_cmp_ne_u32_e32 vcc_lo, 1, v121
	v_lshlrev_b64 v[62:63], 2, v[72:73]
	s_cbranch_vccnz .LBB25_117
; %bb.116:
	v_add_co_u32 v136, vcc_lo, v80, v62
	v_add_co_ci_u32_e64 v137, null, v81, v63, vcc_lo
	flat_load_dword v136, v[136:137]
	s_waitcnt vmcnt(0) lgkmcnt(0)
	v_mul_f32_e32 v136, s15, v136
	s_branch .LBB25_118
.LBB25_117:
	v_mov_b32_e32 v136, 0
.LBB25_118:
	v_add_f32_e32 v137, v19, v59
	v_add_f32_e32 v138, v18, v58
	;; [unrolled: 1-line block ×4, first 2 shown]
	v_add_co_u32 v62, vcc_lo, v64, v62
	v_min3_f32 v135, v138, v137, v135
	v_add_co_ci_u32_e64 v63, null, v65, v63, vcc_lo
	v_min_f32_e32 v137, v140, v139
	v_min3_f32 v135, v136, v137, v135
	flat_store_dword v[62:63], v135
	s_or_b32 exec_lo, exec_lo, s12
	s_and_b32 s18, s5, s8
	s_and_saveexec_b32 s12, s18
	s_cbranch_execz .LBB25_97
.LBB25_119:
	v_cmp_ne_u32_e32 vcc_lo, 1, v121
	v_lshlrev_b64 v[62:63], 2, v[74:75]
	s_cbranch_vccnz .LBB25_121
; %bb.120:
	v_add_co_u32 v135, vcc_lo, v80, v62
	v_add_co_ci_u32_e64 v136, null, v81, v63, vcc_lo
	flat_load_dword v135, v[135:136]
	s_waitcnt vmcnt(0) lgkmcnt(0)
	v_mul_f32_e32 v135, s15, v135
	s_branch .LBB25_122
.LBB25_121:
	v_mov_b32_e32 v135, 0
.LBB25_122:
	v_add_f32_e32 v136, v15, v59
	v_add_f32_e32 v137, v14, v58
	;; [unrolled: 1-line block ×4, first 2 shown]
	v_add_co_u32 v62, vcc_lo, v64, v62
	v_min3_f32 v134, v137, v136, v134
	v_add_co_ci_u32_e64 v63, null, v65, v63, vcc_lo
	v_min_f32_e32 v136, v139, v138
	v_min3_f32 v134, v135, v136, v134
	flat_store_dword v[62:63], v134
	s_or_b32 exec_lo, exec_lo, s12
	s_and_b32 s18, s6, s8
	s_and_saveexec_b32 s12, s18
	s_cbranch_execz .LBB25_98
.LBB25_123:
	v_cmp_ne_u32_e32 vcc_lo, 1, v121
	v_lshlrev_b64 v[62:63], 2, v[76:77]
	s_cbranch_vccnz .LBB25_125
; %bb.124:
	v_add_co_u32 v134, vcc_lo, v80, v62
	v_add_co_ci_u32_e64 v135, null, v81, v63, vcc_lo
	flat_load_dword v134, v[134:135]
	s_waitcnt vmcnt(0) lgkmcnt(0)
	v_mul_f32_e32 v134, s15, v134
	s_branch .LBB25_126
.LBB25_125:
	v_mov_b32_e32 v134, 0
.LBB25_126:
	v_add_f32_e32 v135, v11, v59
	v_add_f32_e32 v136, v10, v58
	;; [unrolled: 1-line block ×4, first 2 shown]
	v_add_co_u32 v62, vcc_lo, v64, v62
	v_min3_f32 v133, v136, v135, v133
	v_add_co_ci_u32_e64 v63, null, v65, v63, vcc_lo
	v_min_f32_e32 v135, v138, v137
	v_min3_f32 v133, v134, v135, v133
	flat_store_dword v[62:63], v133
	s_or_b32 exec_lo, exec_lo, s12
	s_and_b32 s12, s7, s8
	s_and_saveexec_b32 s8, s12
	s_cbranch_execz .LBB25_131
.LBB25_127:
	v_cmp_ne_u32_e32 vcc_lo, 1, v121
	v_lshlrev_b64 v[62:63], 2, v[78:79]
	s_cbranch_vccnz .LBB25_129
; %bb.128:
	v_add_co_u32 v80, vcc_lo, v80, v62
	v_add_co_ci_u32_e64 v81, null, v81, v63, vcc_lo
	flat_load_dword v80, v[80:81]
	s_waitcnt vmcnt(0) lgkmcnt(0)
	v_mul_f32_e32 v80, s15, v80
	s_branch .LBB25_130
.LBB25_129:
	v_mov_b32_e32 v80, 0
.LBB25_130:
	v_add_f32_e32 v59, v3, v59
	v_add_f32_e32 v58, v2, v58
	;; [unrolled: 1-line block ×4, first 2 shown]
	v_min3_f32 v58, v58, v59, v132
	v_min_f32_e32 v59, v60, v61
	v_min3_f32 v60, v80, v59, v58
	v_add_co_u32 v58, vcc_lo, v64, v62
	v_add_co_ci_u32_e64 v59, null, v65, v63, vcc_lo
	flat_store_dword v[58:59], v60
.LBB25_131:
	s_or_b32 exec_lo, exec_lo, s8
	v_add_nc_u32_e32 v62, 64, v130
	v_mad_i64_i32 v[58:59], null, v62, s14, 0
	v_mad_i64_i32 v[60:61], null, v62, s9, 0
	v_cmp_gt_i32_e64 s8, s13, v62
	v_lshlrev_b64 v[58:59], 2, v[58:59]
	s_and_b32 s18, s0, s8
	v_lshlrev_b64 v[60:61], 2, v[60:61]
	v_add_co_u32 v62, vcc_lo, s10, v58
	v_add_co_ci_u32_e64 v63, null, s11, v59, vcc_lo
	v_add_co_u32 v60, vcc_lo, s16, v60
	v_add_co_ci_u32_e64 v61, null, s17, v61, vcc_lo
	s_and_saveexec_b32 s12, s18
	s_cbranch_execnz .LBB25_139
; %bb.132:
	s_or_b32 exec_lo, exec_lo, s12
	s_and_b32 s18, s1, s8
	s_and_saveexec_b32 s12, s18
	s_cbranch_execnz .LBB25_143
.LBB25_133:
	s_or_b32 exec_lo, exec_lo, s12
	s_and_b32 s18, s2, s8
	s_and_saveexec_b32 s12, s18
	s_cbranch_execnz .LBB25_147
.LBB25_134:
	s_or_b32 exec_lo, exec_lo, s12
	s_and_b32 s18, s3, s8
	s_and_saveexec_b32 s12, s18
	s_cbranch_execnz .LBB25_151
.LBB25_135:
	s_or_b32 exec_lo, exec_lo, s12
	s_and_b32 s18, s4, s8
	s_and_saveexec_b32 s12, s18
	s_cbranch_execnz .LBB25_155
.LBB25_136:
	s_or_b32 exec_lo, exec_lo, s12
	s_and_b32 s18, s5, s8
	s_and_saveexec_b32 s12, s18
	s_cbranch_execnz .LBB25_159
.LBB25_137:
	s_or_b32 exec_lo, exec_lo, s12
	s_and_b32 s18, s6, s8
	s_and_saveexec_b32 s12, s18
	s_cbranch_execnz .LBB25_163
.LBB25_138:
	s_or_b32 exec_lo, exec_lo, s12
	s_and_b32 s12, s7, s8
	s_and_saveexec_b32 s8, s12
	s_cbranch_execnz .LBB25_167
	s_branch .LBB25_171
.LBB25_139:
	v_cmp_ne_u32_e32 vcc_lo, 1, v121
	v_lshlrev_b64 v[58:59], 2, v[0:1]
	s_cbranch_vccnz .LBB25_141
; %bb.140:
	v_add_co_u32 v64, vcc_lo, v62, v58
	v_add_co_ci_u32_e64 v65, null, v63, v59, vcc_lo
	flat_load_dword v64, v[64:65]
	s_waitcnt vmcnt(0) lgkmcnt(0)
	v_mul_f32_e32 v64, s15, v64
	s_branch .LBB25_142
.LBB25_141:
	v_mov_b32_e32 v64, 0
.LBB25_142:
	v_add_f32_e32 v65, v35, v55
	v_add_f32_e32 v80, v34, v54
	;; [unrolled: 1-line block ×4, first 2 shown]
	v_add_co_u32 v58, vcc_lo, v60, v58
	v_min3_f32 v65, v80, v65, v131
	v_add_co_ci_u32_e64 v59, null, v61, v59, vcc_lo
	v_min_f32_e32 v80, v132, v81
	v_min3_f32 v64, v64, v80, v65
	flat_store_dword v[58:59], v64
	s_or_b32 exec_lo, exec_lo, s12
	s_and_b32 s18, s1, s8
	s_and_saveexec_b32 s12, s18
	s_cbranch_execz .LBB25_133
.LBB25_143:
	v_cmp_ne_u32_e32 vcc_lo, 1, v121
	v_lshlrev_b64 v[58:59], 2, v[66:67]
	s_cbranch_vccnz .LBB25_145
; %bb.144:
	v_add_co_u32 v64, vcc_lo, v62, v58
	v_add_co_ci_u32_e64 v65, null, v63, v59, vcc_lo
	flat_load_dword v64, v[64:65]
	s_waitcnt vmcnt(0) lgkmcnt(0)
	v_mul_f32_e32 v64, s15, v64
	s_branch .LBB25_146
.LBB25_145:
	v_mov_b32_e32 v64, 0
.LBB25_146:
	v_add_f32_e32 v65, v31, v55
	v_add_f32_e32 v80, v30, v54
	v_add_f32_e32 v81, v33, v57
	v_add_f32_e32 v131, v32, v56
	v_add_co_u32 v58, vcc_lo, v60, v58
	v_min3_f32 v65, v80, v65, v129
	v_add_co_ci_u32_e64 v59, null, v61, v59, vcc_lo
	v_min_f32_e32 v80, v131, v81
	v_min3_f32 v64, v64, v80, v65
	flat_store_dword v[58:59], v64
	s_or_b32 exec_lo, exec_lo, s12
	s_and_b32 s18, s2, s8
	s_and_saveexec_b32 s12, s18
	s_cbranch_execz .LBB25_134
.LBB25_147:
	v_cmp_ne_u32_e32 vcc_lo, 1, v121
	v_lshlrev_b64 v[58:59], 2, v[68:69]
	s_cbranch_vccnz .LBB25_149
; %bb.148:
	v_add_co_u32 v64, vcc_lo, v62, v58
	v_add_co_ci_u32_e64 v65, null, v63, v59, vcc_lo
	flat_load_dword v64, v[64:65]
	s_waitcnt vmcnt(0) lgkmcnt(0)
	v_mul_f32_e32 v64, s15, v64
	s_branch .LBB25_150
.LBB25_149:
	v_mov_b32_e32 v64, 0
.LBB25_150:
	v_add_f32_e32 v65, v27, v55
	v_add_f32_e32 v80, v26, v54
	;; [unrolled: 1-line block ×4, first 2 shown]
	v_add_co_u32 v58, vcc_lo, v60, v58
	v_min3_f32 v65, v80, v65, v128
	v_add_co_ci_u32_e64 v59, null, v61, v59, vcc_lo
	v_min_f32_e32 v80, v129, v81
	v_min3_f32 v64, v64, v80, v65
	flat_store_dword v[58:59], v64
	s_or_b32 exec_lo, exec_lo, s12
	s_and_b32 s18, s3, s8
	s_and_saveexec_b32 s12, s18
	s_cbranch_execz .LBB25_135
.LBB25_151:
	v_cmp_ne_u32_e32 vcc_lo, 1, v121
	v_lshlrev_b64 v[58:59], 2, v[70:71]
	s_cbranch_vccnz .LBB25_153
; %bb.152:
	v_add_co_u32 v64, vcc_lo, v62, v58
	v_add_co_ci_u32_e64 v65, null, v63, v59, vcc_lo
	flat_load_dword v64, v[64:65]
	s_waitcnt vmcnt(0) lgkmcnt(0)
	v_mul_f32_e32 v64, s15, v64
	s_branch .LBB25_154
.LBB25_153:
	v_mov_b32_e32 v64, 0
.LBB25_154:
	v_add_f32_e32 v65, v23, v55
	v_add_f32_e32 v80, v22, v54
	;; [unrolled: 1-line block ×4, first 2 shown]
	v_add_co_u32 v58, vcc_lo, v60, v58
	v_min3_f32 v65, v80, v65, v127
	v_add_co_ci_u32_e64 v59, null, v61, v59, vcc_lo
	v_min_f32_e32 v80, v128, v81
	v_min3_f32 v64, v64, v80, v65
	flat_store_dword v[58:59], v64
	s_or_b32 exec_lo, exec_lo, s12
	s_and_b32 s18, s4, s8
	s_and_saveexec_b32 s12, s18
	s_cbranch_execz .LBB25_136
.LBB25_155:
	v_cmp_ne_u32_e32 vcc_lo, 1, v121
	v_lshlrev_b64 v[58:59], 2, v[72:73]
	s_cbranch_vccnz .LBB25_157
; %bb.156:
	v_add_co_u32 v64, vcc_lo, v62, v58
	v_add_co_ci_u32_e64 v65, null, v63, v59, vcc_lo
	flat_load_dword v64, v[64:65]
	s_waitcnt vmcnt(0) lgkmcnt(0)
	v_mul_f32_e32 v64, s15, v64
	s_branch .LBB25_158
.LBB25_157:
	v_mov_b32_e32 v64, 0
.LBB25_158:
	v_add_f32_e32 v65, v19, v55
	v_add_f32_e32 v80, v18, v54
	;; [unrolled: 1-line block ×4, first 2 shown]
	v_add_co_u32 v58, vcc_lo, v60, v58
	v_min3_f32 v65, v80, v65, v126
	v_add_co_ci_u32_e64 v59, null, v61, v59, vcc_lo
	v_min_f32_e32 v80, v127, v81
	v_min3_f32 v64, v64, v80, v65
	flat_store_dword v[58:59], v64
	s_or_b32 exec_lo, exec_lo, s12
	s_and_b32 s18, s5, s8
	s_and_saveexec_b32 s12, s18
	s_cbranch_execz .LBB25_137
.LBB25_159:
	v_cmp_ne_u32_e32 vcc_lo, 1, v121
	v_lshlrev_b64 v[58:59], 2, v[74:75]
	s_cbranch_vccnz .LBB25_161
; %bb.160:
	v_add_co_u32 v64, vcc_lo, v62, v58
	v_add_co_ci_u32_e64 v65, null, v63, v59, vcc_lo
	flat_load_dword v64, v[64:65]
	s_waitcnt vmcnt(0) lgkmcnt(0)
	v_mul_f32_e32 v64, s15, v64
	s_branch .LBB25_162
.LBB25_161:
	v_mov_b32_e32 v64, 0
.LBB25_162:
	v_add_f32_e32 v65, v15, v55
	v_add_f32_e32 v80, v14, v54
	;; [unrolled: 1-line block ×4, first 2 shown]
	v_add_co_u32 v58, vcc_lo, v60, v58
	v_min3_f32 v65, v80, v65, v125
	v_add_co_ci_u32_e64 v59, null, v61, v59, vcc_lo
	v_min_f32_e32 v80, v126, v81
	v_min3_f32 v64, v64, v80, v65
	flat_store_dword v[58:59], v64
	s_or_b32 exec_lo, exec_lo, s12
	s_and_b32 s18, s6, s8
	s_and_saveexec_b32 s12, s18
	s_cbranch_execz .LBB25_138
.LBB25_163:
	v_cmp_ne_u32_e32 vcc_lo, 1, v121
	v_lshlrev_b64 v[58:59], 2, v[76:77]
	s_cbranch_vccnz .LBB25_165
; %bb.164:
	v_add_co_u32 v64, vcc_lo, v62, v58
	v_add_co_ci_u32_e64 v65, null, v63, v59, vcc_lo
	flat_load_dword v64, v[64:65]
	s_waitcnt vmcnt(0) lgkmcnt(0)
	v_mul_f32_e32 v64, s15, v64
	s_branch .LBB25_166
.LBB25_165:
	v_mov_b32_e32 v64, 0
.LBB25_166:
	v_add_f32_e32 v65, v11, v55
	v_add_f32_e32 v80, v10, v54
	;; [unrolled: 1-line block ×4, first 2 shown]
	v_add_co_u32 v58, vcc_lo, v60, v58
	v_min3_f32 v65, v80, v65, v124
	v_add_co_ci_u32_e64 v59, null, v61, v59, vcc_lo
	v_min_f32_e32 v80, v125, v81
	v_min3_f32 v64, v64, v80, v65
	flat_store_dword v[58:59], v64
	s_or_b32 exec_lo, exec_lo, s12
	s_and_b32 s12, s7, s8
	s_and_saveexec_b32 s8, s12
	s_cbranch_execz .LBB25_171
.LBB25_167:
	v_cmp_ne_u32_e32 vcc_lo, 1, v121
	v_lshlrev_b64 v[58:59], 2, v[78:79]
	s_cbranch_vccnz .LBB25_169
; %bb.168:
	v_add_co_u32 v62, vcc_lo, v62, v58
	v_add_co_ci_u32_e64 v63, null, v63, v59, vcc_lo
	flat_load_dword v62, v[62:63]
	s_waitcnt vmcnt(0) lgkmcnt(0)
	v_mul_f32_e32 v62, s15, v62
	s_branch .LBB25_170
.LBB25_169:
	v_mov_b32_e32 v62, 0
.LBB25_170:
	v_add_f32_e32 v55, v3, v55
	v_add_f32_e32 v54, v2, v54
	;; [unrolled: 1-line block ×4, first 2 shown]
	v_min3_f32 v54, v54, v55, v122
	v_min_f32_e32 v55, v56, v57
	v_min3_f32 v56, v62, v55, v54
	v_add_co_u32 v54, vcc_lo, v60, v58
	v_add_co_ci_u32_e64 v55, null, v61, v59, vcc_lo
	flat_store_dword v[54:55], v56
.LBB25_171:
	s_or_b32 exec_lo, exec_lo, s8
	v_add_nc_u32_e32 v58, 0x60, v130
	v_mad_i64_i32 v[54:55], null, v58, s14, 0
	v_mad_i64_i32 v[56:57], null, v58, s9, 0
	v_cmp_gt_i32_e64 s8, s13, v58
	v_lshlrev_b64 v[54:55], 2, v[54:55]
	s_and_b32 s18, s0, s8
	v_lshlrev_b64 v[56:57], 2, v[56:57]
	v_add_co_u32 v58, vcc_lo, s10, v54
	v_add_co_ci_u32_e64 v59, null, s11, v55, vcc_lo
	v_add_co_u32 v56, vcc_lo, s16, v56
	v_add_co_ci_u32_e64 v57, null, s17, v57, vcc_lo
	s_and_saveexec_b32 s12, s18
	s_cbranch_execnz .LBB25_179
; %bb.172:
	s_or_b32 exec_lo, exec_lo, s12
	s_and_b32 s18, s1, s8
	s_and_saveexec_b32 s12, s18
	s_cbranch_execnz .LBB25_183
.LBB25_173:
	s_or_b32 exec_lo, exec_lo, s12
	s_and_b32 s18, s2, s8
	s_and_saveexec_b32 s12, s18
	s_cbranch_execnz .LBB25_187
.LBB25_174:
	s_or_b32 exec_lo, exec_lo, s12
	s_and_b32 s18, s3, s8
	s_and_saveexec_b32 s12, s18
	s_cbranch_execnz .LBB25_191
.LBB25_175:
	s_or_b32 exec_lo, exec_lo, s12
	s_and_b32 s18, s4, s8
	s_and_saveexec_b32 s12, s18
	s_cbranch_execnz .LBB25_195
.LBB25_176:
	s_or_b32 exec_lo, exec_lo, s12
	s_and_b32 s18, s5, s8
	s_and_saveexec_b32 s12, s18
	s_cbranch_execnz .LBB25_199
.LBB25_177:
	s_or_b32 exec_lo, exec_lo, s12
	s_and_b32 s18, s6, s8
	s_and_saveexec_b32 s12, s18
	s_cbranch_execnz .LBB25_203
.LBB25_178:
	s_or_b32 exec_lo, exec_lo, s12
	s_and_b32 s12, s7, s8
	s_and_saveexec_b32 s8, s12
	s_cbranch_execnz .LBB25_207
	s_branch .LBB25_211
.LBB25_179:
	v_cmp_ne_u32_e32 vcc_lo, 1, v121
	v_lshlrev_b64 v[54:55], 2, v[0:1]
	s_cbranch_vccnz .LBB25_181
; %bb.180:
	v_add_co_u32 v60, vcc_lo, v58, v54
	v_add_co_ci_u32_e64 v61, null, v59, v55, vcc_lo
	flat_load_dword v60, v[60:61]
	s_waitcnt vmcnt(0) lgkmcnt(0)
	v_mul_f32_e32 v60, s15, v60
	s_branch .LBB25_182
.LBB25_181:
	v_mov_b32_e32 v60, 0
.LBB25_182:
	v_add_f32_e32 v61, v35, v51
	v_add_f32_e32 v62, v34, v50
	;; [unrolled: 1-line block ×4, first 2 shown]
	v_add_co_u32 v54, vcc_lo, v56, v54
	v_min3_f32 v61, v62, v61, v123
	v_add_co_ci_u32_e64 v55, null, v57, v55, vcc_lo
	v_min_f32_e32 v62, v64, v63
	v_min3_f32 v60, v60, v62, v61
	flat_store_dword v[54:55], v60
	s_or_b32 exec_lo, exec_lo, s12
	s_and_b32 s18, s1, s8
	s_and_saveexec_b32 s12, s18
	s_cbranch_execz .LBB25_173
.LBB25_183:
	v_cmp_ne_u32_e32 vcc_lo, 1, v121
	v_lshlrev_b64 v[54:55], 2, v[66:67]
	s_cbranch_vccnz .LBB25_185
; %bb.184:
	v_add_co_u32 v60, vcc_lo, v58, v54
	v_add_co_ci_u32_e64 v61, null, v59, v55, vcc_lo
	flat_load_dword v60, v[60:61]
	s_waitcnt vmcnt(0) lgkmcnt(0)
	v_mul_f32_e32 v60, s15, v60
	s_branch .LBB25_186
.LBB25_185:
	v_mov_b32_e32 v60, 0
.LBB25_186:
	v_add_f32_e32 v61, v31, v51
	v_add_f32_e32 v62, v30, v50
	;; [unrolled: 1-line block ×4, first 2 shown]
	v_add_co_u32 v54, vcc_lo, v56, v54
	v_min3_f32 v61, v62, v61, v120
	v_add_co_ci_u32_e64 v55, null, v57, v55, vcc_lo
	v_min_f32_e32 v62, v64, v63
	v_min3_f32 v60, v60, v62, v61
	flat_store_dword v[54:55], v60
	s_or_b32 exec_lo, exec_lo, s12
	s_and_b32 s18, s2, s8
	s_and_saveexec_b32 s12, s18
	s_cbranch_execz .LBB25_174
.LBB25_187:
	v_cmp_ne_u32_e32 vcc_lo, 1, v121
	v_lshlrev_b64 v[54:55], 2, v[68:69]
	s_cbranch_vccnz .LBB25_189
; %bb.188:
	v_add_co_u32 v60, vcc_lo, v58, v54
	v_add_co_ci_u32_e64 v61, null, v59, v55, vcc_lo
	flat_load_dword v60, v[60:61]
	s_waitcnt vmcnt(0) lgkmcnt(0)
	v_mul_f32_e32 v60, s15, v60
	s_branch .LBB25_190
.LBB25_189:
	v_mov_b32_e32 v60, 0
.LBB25_190:
	v_add_f32_e32 v61, v27, v51
	v_add_f32_e32 v62, v26, v50
	;; [unrolled: 1-line block ×4, first 2 shown]
	v_add_co_u32 v54, vcc_lo, v56, v54
	v_min3_f32 v61, v62, v61, v119
	v_add_co_ci_u32_e64 v55, null, v57, v55, vcc_lo
	v_min_f32_e32 v62, v64, v63
	v_min3_f32 v60, v60, v62, v61
	flat_store_dword v[54:55], v60
	s_or_b32 exec_lo, exec_lo, s12
	s_and_b32 s18, s3, s8
	s_and_saveexec_b32 s12, s18
	s_cbranch_execz .LBB25_175
.LBB25_191:
	v_cmp_ne_u32_e32 vcc_lo, 1, v121
	v_lshlrev_b64 v[54:55], 2, v[70:71]
	s_cbranch_vccnz .LBB25_193
; %bb.192:
	v_add_co_u32 v60, vcc_lo, v58, v54
	v_add_co_ci_u32_e64 v61, null, v59, v55, vcc_lo
	flat_load_dword v60, v[60:61]
	s_waitcnt vmcnt(0) lgkmcnt(0)
	v_mul_f32_e32 v60, s15, v60
	s_branch .LBB25_194
.LBB25_193:
	v_mov_b32_e32 v60, 0
.LBB25_194:
	v_add_f32_e32 v61, v23, v51
	v_add_f32_e32 v62, v22, v50
	;; [unrolled: 1-line block ×4, first 2 shown]
	v_add_co_u32 v54, vcc_lo, v56, v54
	v_min3_f32 v61, v62, v61, v118
	v_add_co_ci_u32_e64 v55, null, v57, v55, vcc_lo
	v_min_f32_e32 v62, v64, v63
	v_min3_f32 v60, v60, v62, v61
	flat_store_dword v[54:55], v60
	s_or_b32 exec_lo, exec_lo, s12
	s_and_b32 s18, s4, s8
	s_and_saveexec_b32 s12, s18
	s_cbranch_execz .LBB25_176
.LBB25_195:
	v_cmp_ne_u32_e32 vcc_lo, 1, v121
	v_lshlrev_b64 v[54:55], 2, v[72:73]
	s_cbranch_vccnz .LBB25_197
; %bb.196:
	v_add_co_u32 v60, vcc_lo, v58, v54
	v_add_co_ci_u32_e64 v61, null, v59, v55, vcc_lo
	flat_load_dword v60, v[60:61]
	s_waitcnt vmcnt(0) lgkmcnt(0)
	v_mul_f32_e32 v60, s15, v60
	s_branch .LBB25_198
.LBB25_197:
	v_mov_b32_e32 v60, 0
.LBB25_198:
	v_add_f32_e32 v61, v19, v51
	v_add_f32_e32 v62, v18, v50
	;; [unrolled: 1-line block ×4, first 2 shown]
	v_add_co_u32 v54, vcc_lo, v56, v54
	v_min3_f32 v61, v62, v61, v117
	v_add_co_ci_u32_e64 v55, null, v57, v55, vcc_lo
	v_min_f32_e32 v62, v64, v63
	v_min3_f32 v60, v60, v62, v61
	flat_store_dword v[54:55], v60
	s_or_b32 exec_lo, exec_lo, s12
	s_and_b32 s18, s5, s8
	s_and_saveexec_b32 s12, s18
	s_cbranch_execz .LBB25_177
.LBB25_199:
	v_cmp_ne_u32_e32 vcc_lo, 1, v121
	v_lshlrev_b64 v[54:55], 2, v[74:75]
	s_cbranch_vccnz .LBB25_201
; %bb.200:
	v_add_co_u32 v60, vcc_lo, v58, v54
	v_add_co_ci_u32_e64 v61, null, v59, v55, vcc_lo
	flat_load_dword v60, v[60:61]
	s_waitcnt vmcnt(0) lgkmcnt(0)
	v_mul_f32_e32 v60, s15, v60
	s_branch .LBB25_202
.LBB25_201:
	v_mov_b32_e32 v60, 0
.LBB25_202:
	v_add_f32_e32 v61, v15, v51
	v_add_f32_e32 v62, v14, v50
	;; [unrolled: 1-line block ×4, first 2 shown]
	v_add_co_u32 v54, vcc_lo, v56, v54
	v_min3_f32 v61, v62, v61, v116
	v_add_co_ci_u32_e64 v55, null, v57, v55, vcc_lo
	v_min_f32_e32 v62, v64, v63
	v_min3_f32 v60, v60, v62, v61
	flat_store_dword v[54:55], v60
	s_or_b32 exec_lo, exec_lo, s12
	s_and_b32 s18, s6, s8
	s_and_saveexec_b32 s12, s18
	s_cbranch_execz .LBB25_178
.LBB25_203:
	v_cmp_ne_u32_e32 vcc_lo, 1, v121
	v_lshlrev_b64 v[54:55], 2, v[76:77]
	s_cbranch_vccnz .LBB25_205
; %bb.204:
	v_add_co_u32 v60, vcc_lo, v58, v54
	v_add_co_ci_u32_e64 v61, null, v59, v55, vcc_lo
	flat_load_dword v60, v[60:61]
	s_waitcnt vmcnt(0) lgkmcnt(0)
	v_mul_f32_e32 v60, s15, v60
	s_branch .LBB25_206
.LBB25_205:
	v_mov_b32_e32 v60, 0
.LBB25_206:
	v_add_f32_e32 v61, v11, v51
	v_add_f32_e32 v62, v10, v50
	;; [unrolled: 1-line block ×4, first 2 shown]
	v_add_co_u32 v54, vcc_lo, v56, v54
	v_min3_f32 v61, v62, v61, v115
	v_add_co_ci_u32_e64 v55, null, v57, v55, vcc_lo
	v_min_f32_e32 v62, v64, v63
	v_min3_f32 v60, v60, v62, v61
	flat_store_dword v[54:55], v60
	s_or_b32 exec_lo, exec_lo, s12
	s_and_b32 s12, s7, s8
	s_and_saveexec_b32 s8, s12
	s_cbranch_execz .LBB25_211
.LBB25_207:
	v_cmp_ne_u32_e32 vcc_lo, 1, v121
	v_lshlrev_b64 v[54:55], 2, v[78:79]
	s_cbranch_vccnz .LBB25_209
; %bb.208:
	v_add_co_u32 v58, vcc_lo, v58, v54
	v_add_co_ci_u32_e64 v59, null, v59, v55, vcc_lo
	flat_load_dword v58, v[58:59]
	s_waitcnt vmcnt(0) lgkmcnt(0)
	v_mul_f32_e32 v58, s15, v58
	s_branch .LBB25_210
.LBB25_209:
	v_mov_b32_e32 v58, 0
.LBB25_210:
	v_add_f32_e32 v51, v3, v51
	v_add_f32_e32 v50, v2, v50
	;; [unrolled: 1-line block ×4, first 2 shown]
	v_min3_f32 v50, v50, v51, v114
	v_min_f32_e32 v51, v52, v53
	v_min3_f32 v52, v58, v51, v50
	v_add_co_u32 v50, vcc_lo, v56, v54
	v_add_co_ci_u32_e64 v51, null, v57, v55, vcc_lo
	flat_store_dword v[50:51], v52
.LBB25_211:
	s_or_b32 exec_lo, exec_lo, s8
	v_add_nc_u32_e32 v54, 0x80, v130
	v_mad_i64_i32 v[50:51], null, v54, s14, 0
	v_mad_i64_i32 v[52:53], null, v54, s9, 0
	v_cmp_gt_i32_e64 s8, s13, v54
	v_lshlrev_b64 v[50:51], 2, v[50:51]
	s_and_b32 s18, s0, s8
	v_lshlrev_b64 v[52:53], 2, v[52:53]
	v_add_co_u32 v54, vcc_lo, s10, v50
	v_add_co_ci_u32_e64 v55, null, s11, v51, vcc_lo
	v_add_co_u32 v52, vcc_lo, s16, v52
	v_add_co_ci_u32_e64 v53, null, s17, v53, vcc_lo
	s_and_saveexec_b32 s12, s18
	s_cbranch_execnz .LBB25_219
; %bb.212:
	s_or_b32 exec_lo, exec_lo, s12
	s_and_b32 s18, s1, s8
	s_and_saveexec_b32 s12, s18
	s_cbranch_execnz .LBB25_223
.LBB25_213:
	s_or_b32 exec_lo, exec_lo, s12
	s_and_b32 s18, s2, s8
	s_and_saveexec_b32 s12, s18
	s_cbranch_execnz .LBB25_227
.LBB25_214:
	s_or_b32 exec_lo, exec_lo, s12
	s_and_b32 s18, s3, s8
	s_and_saveexec_b32 s12, s18
	s_cbranch_execnz .LBB25_231
.LBB25_215:
	s_or_b32 exec_lo, exec_lo, s12
	s_and_b32 s18, s4, s8
	s_and_saveexec_b32 s12, s18
	s_cbranch_execnz .LBB25_235
.LBB25_216:
	s_or_b32 exec_lo, exec_lo, s12
	s_and_b32 s18, s5, s8
	s_and_saveexec_b32 s12, s18
	s_cbranch_execnz .LBB25_239
.LBB25_217:
	s_or_b32 exec_lo, exec_lo, s12
	s_and_b32 s18, s6, s8
	s_and_saveexec_b32 s12, s18
	s_cbranch_execnz .LBB25_243
.LBB25_218:
	s_or_b32 exec_lo, exec_lo, s12
	s_and_b32 s12, s7, s8
	s_and_saveexec_b32 s8, s12
	s_cbranch_execnz .LBB25_247
	s_branch .LBB25_251
.LBB25_219:
	v_cmp_ne_u32_e32 vcc_lo, 1, v121
	v_lshlrev_b64 v[50:51], 2, v[0:1]
	s_cbranch_vccnz .LBB25_221
; %bb.220:
	v_add_co_u32 v56, vcc_lo, v54, v50
	v_add_co_ci_u32_e64 v57, null, v55, v51, vcc_lo
	flat_load_dword v56, v[56:57]
	s_waitcnt vmcnt(0) lgkmcnt(0)
	v_mul_f32_e32 v56, s15, v56
	s_branch .LBB25_222
.LBB25_221:
	v_mov_b32_e32 v56, 0
.LBB25_222:
	v_add_f32_e32 v57, v35, v47
	v_add_f32_e32 v58, v34, v46
	;; [unrolled: 1-line block ×4, first 2 shown]
	v_add_co_u32 v50, vcc_lo, v52, v50
	v_min3_f32 v57, v58, v57, v113
	v_add_co_ci_u32_e64 v51, null, v53, v51, vcc_lo
	v_min_f32_e32 v58, v60, v59
	v_min3_f32 v56, v56, v58, v57
	flat_store_dword v[50:51], v56
	s_or_b32 exec_lo, exec_lo, s12
	s_and_b32 s18, s1, s8
	s_and_saveexec_b32 s12, s18
	s_cbranch_execz .LBB25_213
.LBB25_223:
	v_cmp_ne_u32_e32 vcc_lo, 1, v121
	v_lshlrev_b64 v[50:51], 2, v[66:67]
	s_cbranch_vccnz .LBB25_225
; %bb.224:
	v_add_co_u32 v56, vcc_lo, v54, v50
	v_add_co_ci_u32_e64 v57, null, v55, v51, vcc_lo
	flat_load_dword v56, v[56:57]
	s_waitcnt vmcnt(0) lgkmcnt(0)
	v_mul_f32_e32 v56, s15, v56
	s_branch .LBB25_226
.LBB25_225:
	v_mov_b32_e32 v56, 0
.LBB25_226:
	v_add_f32_e32 v57, v31, v47
	v_add_f32_e32 v58, v30, v46
	;; [unrolled: 1-line block ×4, first 2 shown]
	v_add_co_u32 v50, vcc_lo, v52, v50
	v_min3_f32 v57, v58, v57, v112
	v_add_co_ci_u32_e64 v51, null, v53, v51, vcc_lo
	v_min_f32_e32 v58, v60, v59
	v_min3_f32 v56, v56, v58, v57
	flat_store_dword v[50:51], v56
	s_or_b32 exec_lo, exec_lo, s12
	s_and_b32 s18, s2, s8
	s_and_saveexec_b32 s12, s18
	s_cbranch_execz .LBB25_214
.LBB25_227:
	v_cmp_ne_u32_e32 vcc_lo, 1, v121
	v_lshlrev_b64 v[50:51], 2, v[68:69]
	s_cbranch_vccnz .LBB25_229
; %bb.228:
	v_add_co_u32 v56, vcc_lo, v54, v50
	v_add_co_ci_u32_e64 v57, null, v55, v51, vcc_lo
	flat_load_dword v56, v[56:57]
	s_waitcnt vmcnt(0) lgkmcnt(0)
	v_mul_f32_e32 v56, s15, v56
	s_branch .LBB25_230
.LBB25_229:
	v_mov_b32_e32 v56, 0
.LBB25_230:
	v_add_f32_e32 v57, v27, v47
	v_add_f32_e32 v58, v26, v46
	;; [unrolled: 1-line block ×4, first 2 shown]
	v_add_co_u32 v50, vcc_lo, v52, v50
	v_min3_f32 v57, v58, v57, v111
	v_add_co_ci_u32_e64 v51, null, v53, v51, vcc_lo
	v_min_f32_e32 v58, v60, v59
	v_min3_f32 v56, v56, v58, v57
	flat_store_dword v[50:51], v56
	s_or_b32 exec_lo, exec_lo, s12
	s_and_b32 s18, s3, s8
	s_and_saveexec_b32 s12, s18
	s_cbranch_execz .LBB25_215
.LBB25_231:
	v_cmp_ne_u32_e32 vcc_lo, 1, v121
	v_lshlrev_b64 v[50:51], 2, v[70:71]
	s_cbranch_vccnz .LBB25_233
; %bb.232:
	v_add_co_u32 v56, vcc_lo, v54, v50
	v_add_co_ci_u32_e64 v57, null, v55, v51, vcc_lo
	flat_load_dword v56, v[56:57]
	s_waitcnt vmcnt(0) lgkmcnt(0)
	v_mul_f32_e32 v56, s15, v56
	s_branch .LBB25_234
.LBB25_233:
	v_mov_b32_e32 v56, 0
.LBB25_234:
	v_add_f32_e32 v57, v23, v47
	v_add_f32_e32 v58, v22, v46
	v_add_f32_e32 v59, v25, v49
	v_add_f32_e32 v60, v24, v48
	v_add_co_u32 v50, vcc_lo, v52, v50
	v_min3_f32 v57, v58, v57, v110
	v_add_co_ci_u32_e64 v51, null, v53, v51, vcc_lo
	v_min_f32_e32 v58, v60, v59
	v_min3_f32 v56, v56, v58, v57
	flat_store_dword v[50:51], v56
	s_or_b32 exec_lo, exec_lo, s12
	s_and_b32 s18, s4, s8
	s_and_saveexec_b32 s12, s18
	s_cbranch_execz .LBB25_216
.LBB25_235:
	v_cmp_ne_u32_e32 vcc_lo, 1, v121
	v_lshlrev_b64 v[50:51], 2, v[72:73]
	s_cbranch_vccnz .LBB25_237
; %bb.236:
	v_add_co_u32 v56, vcc_lo, v54, v50
	v_add_co_ci_u32_e64 v57, null, v55, v51, vcc_lo
	flat_load_dword v56, v[56:57]
	s_waitcnt vmcnt(0) lgkmcnt(0)
	v_mul_f32_e32 v56, s15, v56
	s_branch .LBB25_238
.LBB25_237:
	v_mov_b32_e32 v56, 0
.LBB25_238:
	v_add_f32_e32 v57, v19, v47
	v_add_f32_e32 v58, v18, v46
	;; [unrolled: 1-line block ×4, first 2 shown]
	v_add_co_u32 v50, vcc_lo, v52, v50
	v_min3_f32 v57, v58, v57, v109
	v_add_co_ci_u32_e64 v51, null, v53, v51, vcc_lo
	v_min_f32_e32 v58, v60, v59
	v_min3_f32 v56, v56, v58, v57
	flat_store_dword v[50:51], v56
	s_or_b32 exec_lo, exec_lo, s12
	s_and_b32 s18, s5, s8
	s_and_saveexec_b32 s12, s18
	s_cbranch_execz .LBB25_217
.LBB25_239:
	v_cmp_ne_u32_e32 vcc_lo, 1, v121
	v_lshlrev_b64 v[50:51], 2, v[74:75]
	s_cbranch_vccnz .LBB25_241
; %bb.240:
	v_add_co_u32 v56, vcc_lo, v54, v50
	v_add_co_ci_u32_e64 v57, null, v55, v51, vcc_lo
	flat_load_dword v56, v[56:57]
	s_waitcnt vmcnt(0) lgkmcnt(0)
	v_mul_f32_e32 v56, s15, v56
	s_branch .LBB25_242
.LBB25_241:
	v_mov_b32_e32 v56, 0
.LBB25_242:
	v_add_f32_e32 v57, v15, v47
	v_add_f32_e32 v58, v14, v46
	;; [unrolled: 1-line block ×4, first 2 shown]
	v_add_co_u32 v50, vcc_lo, v52, v50
	v_min3_f32 v57, v58, v57, v108
	v_add_co_ci_u32_e64 v51, null, v53, v51, vcc_lo
	v_min_f32_e32 v58, v60, v59
	v_min3_f32 v56, v56, v58, v57
	flat_store_dword v[50:51], v56
	s_or_b32 exec_lo, exec_lo, s12
	s_and_b32 s18, s6, s8
	s_and_saveexec_b32 s12, s18
	s_cbranch_execz .LBB25_218
.LBB25_243:
	v_cmp_ne_u32_e32 vcc_lo, 1, v121
	v_lshlrev_b64 v[50:51], 2, v[76:77]
	s_cbranch_vccnz .LBB25_245
; %bb.244:
	v_add_co_u32 v56, vcc_lo, v54, v50
	v_add_co_ci_u32_e64 v57, null, v55, v51, vcc_lo
	flat_load_dword v56, v[56:57]
	s_waitcnt vmcnt(0) lgkmcnt(0)
	v_mul_f32_e32 v56, s15, v56
	s_branch .LBB25_246
.LBB25_245:
	v_mov_b32_e32 v56, 0
.LBB25_246:
	v_add_f32_e32 v57, v11, v47
	v_add_f32_e32 v58, v10, v46
	;; [unrolled: 1-line block ×4, first 2 shown]
	v_add_co_u32 v50, vcc_lo, v52, v50
	v_min3_f32 v57, v58, v57, v107
	v_add_co_ci_u32_e64 v51, null, v53, v51, vcc_lo
	v_min_f32_e32 v58, v60, v59
	v_min3_f32 v56, v56, v58, v57
	flat_store_dword v[50:51], v56
	s_or_b32 exec_lo, exec_lo, s12
	s_and_b32 s12, s7, s8
	s_and_saveexec_b32 s8, s12
	s_cbranch_execz .LBB25_251
.LBB25_247:
	v_cmp_ne_u32_e32 vcc_lo, 1, v121
	v_lshlrev_b64 v[50:51], 2, v[78:79]
	s_cbranch_vccnz .LBB25_249
; %bb.248:
	v_add_co_u32 v54, vcc_lo, v54, v50
	v_add_co_ci_u32_e64 v55, null, v55, v51, vcc_lo
	flat_load_dword v54, v[54:55]
	s_waitcnt vmcnt(0) lgkmcnt(0)
	v_mul_f32_e32 v54, s15, v54
	s_branch .LBB25_250
.LBB25_249:
	v_mov_b32_e32 v54, 0
.LBB25_250:
	v_add_f32_e32 v47, v3, v47
	v_add_f32_e32 v46, v2, v46
	;; [unrolled: 1-line block ×4, first 2 shown]
	v_min3_f32 v46, v46, v47, v106
	v_min_f32_e32 v47, v48, v49
	v_min3_f32 v48, v54, v47, v46
	v_add_co_u32 v46, vcc_lo, v52, v50
	v_add_co_ci_u32_e64 v47, null, v53, v51, vcc_lo
	flat_store_dword v[46:47], v48
.LBB25_251:
	s_or_b32 exec_lo, exec_lo, s8
	v_add_nc_u32_e32 v50, 0xa0, v130
	v_mad_i64_i32 v[46:47], null, v50, s14, 0
	v_mad_i64_i32 v[48:49], null, v50, s9, 0
	v_cmp_gt_i32_e64 s8, s13, v50
	v_lshlrev_b64 v[46:47], 2, v[46:47]
	s_and_b32 s18, s0, s8
	v_lshlrev_b64 v[48:49], 2, v[48:49]
	v_add_co_u32 v50, vcc_lo, s10, v46
	v_add_co_ci_u32_e64 v51, null, s11, v47, vcc_lo
	v_add_co_u32 v48, vcc_lo, s16, v48
	v_add_co_ci_u32_e64 v49, null, s17, v49, vcc_lo
	s_and_saveexec_b32 s12, s18
	s_cbranch_execnz .LBB25_259
; %bb.252:
	s_or_b32 exec_lo, exec_lo, s12
	s_and_b32 s18, s1, s8
	s_and_saveexec_b32 s12, s18
	s_cbranch_execnz .LBB25_263
.LBB25_253:
	s_or_b32 exec_lo, exec_lo, s12
	s_and_b32 s18, s2, s8
	s_and_saveexec_b32 s12, s18
	s_cbranch_execnz .LBB25_267
.LBB25_254:
	s_or_b32 exec_lo, exec_lo, s12
	s_and_b32 s18, s3, s8
	s_and_saveexec_b32 s12, s18
	s_cbranch_execnz .LBB25_271
.LBB25_255:
	s_or_b32 exec_lo, exec_lo, s12
	s_and_b32 s18, s4, s8
	s_and_saveexec_b32 s12, s18
	s_cbranch_execnz .LBB25_275
.LBB25_256:
	s_or_b32 exec_lo, exec_lo, s12
	s_and_b32 s18, s5, s8
	s_and_saveexec_b32 s12, s18
	s_cbranch_execnz .LBB25_279
.LBB25_257:
	s_or_b32 exec_lo, exec_lo, s12
	s_and_b32 s18, s6, s8
	s_and_saveexec_b32 s12, s18
	s_cbranch_execnz .LBB25_283
.LBB25_258:
	s_or_b32 exec_lo, exec_lo, s12
	s_and_b32 s12, s7, s8
	s_and_saveexec_b32 s8, s12
	s_cbranch_execnz .LBB25_287
	s_branch .LBB25_291
.LBB25_259:
	v_cmp_ne_u32_e32 vcc_lo, 1, v121
	v_lshlrev_b64 v[46:47], 2, v[0:1]
	s_cbranch_vccnz .LBB25_261
; %bb.260:
	v_add_co_u32 v52, vcc_lo, v50, v46
	v_add_co_ci_u32_e64 v53, null, v51, v47, vcc_lo
	flat_load_dword v52, v[52:53]
	s_waitcnt vmcnt(0) lgkmcnt(0)
	v_mul_f32_e32 v52, s15, v52
	s_branch .LBB25_262
.LBB25_261:
	v_mov_b32_e32 v52, 0
.LBB25_262:
	v_add_f32_e32 v53, v35, v43
	v_add_f32_e32 v54, v34, v42
	;; [unrolled: 1-line block ×4, first 2 shown]
	v_add_co_u32 v46, vcc_lo, v48, v46
	v_min3_f32 v53, v54, v53, v105
	v_add_co_ci_u32_e64 v47, null, v49, v47, vcc_lo
	v_min_f32_e32 v54, v56, v55
	v_min3_f32 v52, v52, v54, v53
	flat_store_dword v[46:47], v52
	s_or_b32 exec_lo, exec_lo, s12
	s_and_b32 s18, s1, s8
	s_and_saveexec_b32 s12, s18
	s_cbranch_execz .LBB25_253
.LBB25_263:
	v_cmp_ne_u32_e32 vcc_lo, 1, v121
	v_lshlrev_b64 v[46:47], 2, v[66:67]
	s_cbranch_vccnz .LBB25_265
; %bb.264:
	v_add_co_u32 v52, vcc_lo, v50, v46
	v_add_co_ci_u32_e64 v53, null, v51, v47, vcc_lo
	flat_load_dword v52, v[52:53]
	s_waitcnt vmcnt(0) lgkmcnt(0)
	v_mul_f32_e32 v52, s15, v52
	s_branch .LBB25_266
.LBB25_265:
	v_mov_b32_e32 v52, 0
.LBB25_266:
	v_add_f32_e32 v53, v31, v43
	v_add_f32_e32 v54, v30, v42
	;; [unrolled: 1-line block ×4, first 2 shown]
	v_add_co_u32 v46, vcc_lo, v48, v46
	v_min3_f32 v53, v54, v53, v104
	v_add_co_ci_u32_e64 v47, null, v49, v47, vcc_lo
	v_min_f32_e32 v54, v56, v55
	v_min3_f32 v52, v52, v54, v53
	flat_store_dword v[46:47], v52
	s_or_b32 exec_lo, exec_lo, s12
	s_and_b32 s18, s2, s8
	s_and_saveexec_b32 s12, s18
	s_cbranch_execz .LBB25_254
.LBB25_267:
	v_cmp_ne_u32_e32 vcc_lo, 1, v121
	v_lshlrev_b64 v[46:47], 2, v[68:69]
	s_cbranch_vccnz .LBB25_269
; %bb.268:
	v_add_co_u32 v52, vcc_lo, v50, v46
	v_add_co_ci_u32_e64 v53, null, v51, v47, vcc_lo
	flat_load_dword v52, v[52:53]
	s_waitcnt vmcnt(0) lgkmcnt(0)
	v_mul_f32_e32 v52, s15, v52
	s_branch .LBB25_270
.LBB25_269:
	v_mov_b32_e32 v52, 0
.LBB25_270:
	v_add_f32_e32 v53, v27, v43
	v_add_f32_e32 v54, v26, v42
	v_add_f32_e32 v55, v29, v45
	v_add_f32_e32 v56, v28, v44
	v_add_co_u32 v46, vcc_lo, v48, v46
	v_min3_f32 v53, v54, v53, v103
	v_add_co_ci_u32_e64 v47, null, v49, v47, vcc_lo
	v_min_f32_e32 v54, v56, v55
	v_min3_f32 v52, v52, v54, v53
	flat_store_dword v[46:47], v52
	s_or_b32 exec_lo, exec_lo, s12
	s_and_b32 s18, s3, s8
	s_and_saveexec_b32 s12, s18
	s_cbranch_execz .LBB25_255
.LBB25_271:
	v_cmp_ne_u32_e32 vcc_lo, 1, v121
	v_lshlrev_b64 v[46:47], 2, v[70:71]
	s_cbranch_vccnz .LBB25_273
; %bb.272:
	v_add_co_u32 v52, vcc_lo, v50, v46
	v_add_co_ci_u32_e64 v53, null, v51, v47, vcc_lo
	flat_load_dword v52, v[52:53]
	s_waitcnt vmcnt(0) lgkmcnt(0)
	v_mul_f32_e32 v52, s15, v52
	s_branch .LBB25_274
.LBB25_273:
	v_mov_b32_e32 v52, 0
.LBB25_274:
	v_add_f32_e32 v53, v23, v43
	v_add_f32_e32 v54, v22, v42
	;; [unrolled: 1-line block ×4, first 2 shown]
	v_add_co_u32 v46, vcc_lo, v48, v46
	v_min3_f32 v53, v54, v53, v102
	v_add_co_ci_u32_e64 v47, null, v49, v47, vcc_lo
	v_min_f32_e32 v54, v56, v55
	v_min3_f32 v52, v52, v54, v53
	flat_store_dword v[46:47], v52
	s_or_b32 exec_lo, exec_lo, s12
	s_and_b32 s18, s4, s8
	s_and_saveexec_b32 s12, s18
	s_cbranch_execz .LBB25_256
.LBB25_275:
	v_cmp_ne_u32_e32 vcc_lo, 1, v121
	v_lshlrev_b64 v[46:47], 2, v[72:73]
	s_cbranch_vccnz .LBB25_277
; %bb.276:
	v_add_co_u32 v52, vcc_lo, v50, v46
	v_add_co_ci_u32_e64 v53, null, v51, v47, vcc_lo
	flat_load_dword v52, v[52:53]
	s_waitcnt vmcnt(0) lgkmcnt(0)
	v_mul_f32_e32 v52, s15, v52
	s_branch .LBB25_278
.LBB25_277:
	v_mov_b32_e32 v52, 0
.LBB25_278:
	v_add_f32_e32 v53, v19, v43
	v_add_f32_e32 v54, v18, v42
	;; [unrolled: 1-line block ×4, first 2 shown]
	v_add_co_u32 v46, vcc_lo, v48, v46
	v_min3_f32 v53, v54, v53, v101
	v_add_co_ci_u32_e64 v47, null, v49, v47, vcc_lo
	v_min_f32_e32 v54, v56, v55
	v_min3_f32 v52, v52, v54, v53
	flat_store_dword v[46:47], v52
	s_or_b32 exec_lo, exec_lo, s12
	s_and_b32 s18, s5, s8
	s_and_saveexec_b32 s12, s18
	s_cbranch_execz .LBB25_257
.LBB25_279:
	v_cmp_ne_u32_e32 vcc_lo, 1, v121
	v_lshlrev_b64 v[46:47], 2, v[74:75]
	s_cbranch_vccnz .LBB25_281
; %bb.280:
	v_add_co_u32 v52, vcc_lo, v50, v46
	v_add_co_ci_u32_e64 v53, null, v51, v47, vcc_lo
	flat_load_dword v52, v[52:53]
	s_waitcnt vmcnt(0) lgkmcnt(0)
	v_mul_f32_e32 v52, s15, v52
	s_branch .LBB25_282
.LBB25_281:
	v_mov_b32_e32 v52, 0
.LBB25_282:
	v_add_f32_e32 v53, v15, v43
	v_add_f32_e32 v54, v14, v42
	;; [unrolled: 1-line block ×4, first 2 shown]
	v_add_co_u32 v46, vcc_lo, v48, v46
	v_min3_f32 v53, v54, v53, v100
	v_add_co_ci_u32_e64 v47, null, v49, v47, vcc_lo
	v_min_f32_e32 v54, v56, v55
	v_min3_f32 v52, v52, v54, v53
	flat_store_dword v[46:47], v52
	s_or_b32 exec_lo, exec_lo, s12
	s_and_b32 s18, s6, s8
	s_and_saveexec_b32 s12, s18
	s_cbranch_execz .LBB25_258
.LBB25_283:
	v_cmp_ne_u32_e32 vcc_lo, 1, v121
	v_lshlrev_b64 v[46:47], 2, v[76:77]
	s_cbranch_vccnz .LBB25_285
; %bb.284:
	v_add_co_u32 v52, vcc_lo, v50, v46
	v_add_co_ci_u32_e64 v53, null, v51, v47, vcc_lo
	flat_load_dword v52, v[52:53]
	s_waitcnt vmcnt(0) lgkmcnt(0)
	v_mul_f32_e32 v52, s15, v52
	s_branch .LBB25_286
.LBB25_285:
	v_mov_b32_e32 v52, 0
.LBB25_286:
	v_add_f32_e32 v53, v11, v43
	v_add_f32_e32 v54, v10, v42
	;; [unrolled: 1-line block ×4, first 2 shown]
	v_add_co_u32 v46, vcc_lo, v48, v46
	v_min3_f32 v53, v54, v53, v99
	v_add_co_ci_u32_e64 v47, null, v49, v47, vcc_lo
	v_min_f32_e32 v54, v56, v55
	v_min3_f32 v52, v52, v54, v53
	flat_store_dword v[46:47], v52
	s_or_b32 exec_lo, exec_lo, s12
	s_and_b32 s12, s7, s8
	s_and_saveexec_b32 s8, s12
	s_cbranch_execz .LBB25_291
.LBB25_287:
	v_cmp_ne_u32_e32 vcc_lo, 1, v121
	v_lshlrev_b64 v[46:47], 2, v[78:79]
	s_cbranch_vccnz .LBB25_289
; %bb.288:
	v_add_co_u32 v50, vcc_lo, v50, v46
	v_add_co_ci_u32_e64 v51, null, v51, v47, vcc_lo
	flat_load_dword v50, v[50:51]
	s_waitcnt vmcnt(0) lgkmcnt(0)
	v_mul_f32_e32 v50, s15, v50
	s_branch .LBB25_290
.LBB25_289:
	v_mov_b32_e32 v50, 0
.LBB25_290:
	v_add_f32_e32 v43, v3, v43
	v_add_f32_e32 v42, v2, v42
	;; [unrolled: 1-line block ×4, first 2 shown]
	v_min3_f32 v42, v42, v43, v98
	v_min_f32_e32 v43, v44, v45
	v_min3_f32 v44, v50, v43, v42
	v_add_co_u32 v42, vcc_lo, v48, v46
	v_add_co_ci_u32_e64 v43, null, v49, v47, vcc_lo
	flat_store_dword v[42:43], v44
.LBB25_291:
	s_or_b32 exec_lo, exec_lo, s8
	v_add_nc_u32_e32 v46, 0xc0, v130
	v_mad_i64_i32 v[42:43], null, v46, s14, 0
	v_mad_i64_i32 v[44:45], null, v46, s9, 0
	v_cmp_gt_i32_e64 s8, s13, v46
	v_lshlrev_b64 v[42:43], 2, v[42:43]
	s_and_b32 s18, s0, s8
	v_lshlrev_b64 v[44:45], 2, v[44:45]
	v_add_co_u32 v46, vcc_lo, s10, v42
	v_add_co_ci_u32_e64 v47, null, s11, v43, vcc_lo
	v_add_co_u32 v44, vcc_lo, s16, v44
	v_add_co_ci_u32_e64 v45, null, s17, v45, vcc_lo
	s_and_saveexec_b32 s12, s18
	s_cbranch_execnz .LBB25_299
; %bb.292:
	s_or_b32 exec_lo, exec_lo, s12
	s_and_b32 s18, s1, s8
	s_and_saveexec_b32 s12, s18
	s_cbranch_execnz .LBB25_303
.LBB25_293:
	s_or_b32 exec_lo, exec_lo, s12
	s_and_b32 s18, s2, s8
	s_and_saveexec_b32 s12, s18
	s_cbranch_execnz .LBB25_307
.LBB25_294:
	s_or_b32 exec_lo, exec_lo, s12
	s_and_b32 s18, s3, s8
	s_and_saveexec_b32 s12, s18
	s_cbranch_execnz .LBB25_311
.LBB25_295:
	s_or_b32 exec_lo, exec_lo, s12
	s_and_b32 s18, s4, s8
	s_and_saveexec_b32 s12, s18
	s_cbranch_execnz .LBB25_315
.LBB25_296:
	s_or_b32 exec_lo, exec_lo, s12
	s_and_b32 s18, s5, s8
	s_and_saveexec_b32 s12, s18
	s_cbranch_execnz .LBB25_319
.LBB25_297:
	s_or_b32 exec_lo, exec_lo, s12
	s_and_b32 s18, s6, s8
	s_and_saveexec_b32 s12, s18
	s_cbranch_execnz .LBB25_323
.LBB25_298:
	s_or_b32 exec_lo, exec_lo, s12
	s_and_b32 s12, s7, s8
	s_and_saveexec_b32 s8, s12
	s_cbranch_execnz .LBB25_327
	s_branch .LBB25_331
.LBB25_299:
	v_cmp_ne_u32_e32 vcc_lo, 1, v121
	v_lshlrev_b64 v[42:43], 2, v[0:1]
	s_cbranch_vccnz .LBB25_301
; %bb.300:
	v_add_co_u32 v48, vcc_lo, v46, v42
	v_add_co_ci_u32_e64 v49, null, v47, v43, vcc_lo
	flat_load_dword v48, v[48:49]
	s_waitcnt vmcnt(0) lgkmcnt(0)
	v_mul_f32_e32 v48, s15, v48
	s_branch .LBB25_302
.LBB25_301:
	v_mov_b32_e32 v48, 0
.LBB25_302:
	v_add_f32_e32 v49, v35, v39
	v_add_f32_e32 v50, v34, v38
	;; [unrolled: 1-line block ×4, first 2 shown]
	v_add_co_u32 v42, vcc_lo, v44, v42
	v_min3_f32 v49, v50, v49, v97
	v_add_co_ci_u32_e64 v43, null, v45, v43, vcc_lo
	v_min_f32_e32 v50, v52, v51
	v_min3_f32 v48, v48, v50, v49
	flat_store_dword v[42:43], v48
	s_or_b32 exec_lo, exec_lo, s12
	s_and_b32 s18, s1, s8
	s_and_saveexec_b32 s12, s18
	s_cbranch_execz .LBB25_293
.LBB25_303:
	v_cmp_ne_u32_e32 vcc_lo, 1, v121
	v_lshlrev_b64 v[42:43], 2, v[66:67]
	s_cbranch_vccnz .LBB25_305
; %bb.304:
	v_add_co_u32 v48, vcc_lo, v46, v42
	v_add_co_ci_u32_e64 v49, null, v47, v43, vcc_lo
	flat_load_dword v48, v[48:49]
	s_waitcnt vmcnt(0) lgkmcnt(0)
	v_mul_f32_e32 v48, s15, v48
	s_branch .LBB25_306
.LBB25_305:
	v_mov_b32_e32 v48, 0
.LBB25_306:
	v_add_f32_e32 v49, v31, v39
	v_add_f32_e32 v50, v30, v38
	;; [unrolled: 1-line block ×4, first 2 shown]
	v_add_co_u32 v42, vcc_lo, v44, v42
	v_min3_f32 v49, v50, v49, v96
	v_add_co_ci_u32_e64 v43, null, v45, v43, vcc_lo
	v_min_f32_e32 v50, v52, v51
	v_min3_f32 v48, v48, v50, v49
	flat_store_dword v[42:43], v48
	s_or_b32 exec_lo, exec_lo, s12
	s_and_b32 s18, s2, s8
	s_and_saveexec_b32 s12, s18
	s_cbranch_execz .LBB25_294
.LBB25_307:
	v_cmp_ne_u32_e32 vcc_lo, 1, v121
	v_lshlrev_b64 v[42:43], 2, v[68:69]
	s_cbranch_vccnz .LBB25_309
; %bb.308:
	v_add_co_u32 v48, vcc_lo, v46, v42
	v_add_co_ci_u32_e64 v49, null, v47, v43, vcc_lo
	flat_load_dword v48, v[48:49]
	s_waitcnt vmcnt(0) lgkmcnt(0)
	v_mul_f32_e32 v48, s15, v48
	s_branch .LBB25_310
.LBB25_309:
	v_mov_b32_e32 v48, 0
.LBB25_310:
	v_add_f32_e32 v49, v27, v39
	v_add_f32_e32 v50, v26, v38
	;; [unrolled: 1-line block ×4, first 2 shown]
	v_add_co_u32 v42, vcc_lo, v44, v42
	v_min3_f32 v49, v50, v49, v95
	v_add_co_ci_u32_e64 v43, null, v45, v43, vcc_lo
	v_min_f32_e32 v50, v52, v51
	v_min3_f32 v48, v48, v50, v49
	flat_store_dword v[42:43], v48
	s_or_b32 exec_lo, exec_lo, s12
	s_and_b32 s18, s3, s8
	s_and_saveexec_b32 s12, s18
	s_cbranch_execz .LBB25_295
.LBB25_311:
	v_cmp_ne_u32_e32 vcc_lo, 1, v121
	v_lshlrev_b64 v[42:43], 2, v[70:71]
	s_cbranch_vccnz .LBB25_313
; %bb.312:
	v_add_co_u32 v48, vcc_lo, v46, v42
	v_add_co_ci_u32_e64 v49, null, v47, v43, vcc_lo
	flat_load_dword v48, v[48:49]
	s_waitcnt vmcnt(0) lgkmcnt(0)
	v_mul_f32_e32 v48, s15, v48
	s_branch .LBB25_314
.LBB25_313:
	v_mov_b32_e32 v48, 0
.LBB25_314:
	v_add_f32_e32 v49, v23, v39
	v_add_f32_e32 v50, v22, v38
	;; [unrolled: 1-line block ×4, first 2 shown]
	v_add_co_u32 v42, vcc_lo, v44, v42
	v_min3_f32 v49, v50, v49, v94
	v_add_co_ci_u32_e64 v43, null, v45, v43, vcc_lo
	v_min_f32_e32 v50, v52, v51
	v_min3_f32 v48, v48, v50, v49
	flat_store_dword v[42:43], v48
	s_or_b32 exec_lo, exec_lo, s12
	s_and_b32 s18, s4, s8
	s_and_saveexec_b32 s12, s18
	s_cbranch_execz .LBB25_296
.LBB25_315:
	v_cmp_ne_u32_e32 vcc_lo, 1, v121
	v_lshlrev_b64 v[42:43], 2, v[72:73]
	s_cbranch_vccnz .LBB25_317
; %bb.316:
	v_add_co_u32 v48, vcc_lo, v46, v42
	v_add_co_ci_u32_e64 v49, null, v47, v43, vcc_lo
	flat_load_dword v48, v[48:49]
	s_waitcnt vmcnt(0) lgkmcnt(0)
	v_mul_f32_e32 v48, s15, v48
	s_branch .LBB25_318
.LBB25_317:
	v_mov_b32_e32 v48, 0
.LBB25_318:
	v_add_f32_e32 v49, v19, v39
	v_add_f32_e32 v50, v18, v38
	;; [unrolled: 1-line block ×4, first 2 shown]
	v_add_co_u32 v42, vcc_lo, v44, v42
	v_min3_f32 v49, v50, v49, v93
	v_add_co_ci_u32_e64 v43, null, v45, v43, vcc_lo
	v_min_f32_e32 v50, v52, v51
	v_min3_f32 v48, v48, v50, v49
	flat_store_dword v[42:43], v48
	s_or_b32 exec_lo, exec_lo, s12
	s_and_b32 s18, s5, s8
	s_and_saveexec_b32 s12, s18
	s_cbranch_execz .LBB25_297
.LBB25_319:
	v_cmp_ne_u32_e32 vcc_lo, 1, v121
	v_lshlrev_b64 v[42:43], 2, v[74:75]
	s_cbranch_vccnz .LBB25_321
; %bb.320:
	v_add_co_u32 v48, vcc_lo, v46, v42
	v_add_co_ci_u32_e64 v49, null, v47, v43, vcc_lo
	flat_load_dword v48, v[48:49]
	s_waitcnt vmcnt(0) lgkmcnt(0)
	v_mul_f32_e32 v48, s15, v48
	s_branch .LBB25_322
.LBB25_321:
	v_mov_b32_e32 v48, 0
.LBB25_322:
	v_add_f32_e32 v49, v15, v39
	v_add_f32_e32 v50, v14, v38
	;; [unrolled: 1-line block ×4, first 2 shown]
	v_add_co_u32 v42, vcc_lo, v44, v42
	v_min3_f32 v49, v50, v49, v92
	v_add_co_ci_u32_e64 v43, null, v45, v43, vcc_lo
	v_min_f32_e32 v50, v52, v51
	v_min3_f32 v48, v48, v50, v49
	flat_store_dword v[42:43], v48
	s_or_b32 exec_lo, exec_lo, s12
	s_and_b32 s18, s6, s8
	s_and_saveexec_b32 s12, s18
	s_cbranch_execz .LBB25_298
.LBB25_323:
	v_cmp_ne_u32_e32 vcc_lo, 1, v121
	v_lshlrev_b64 v[42:43], 2, v[76:77]
	s_cbranch_vccnz .LBB25_325
; %bb.324:
	v_add_co_u32 v48, vcc_lo, v46, v42
	v_add_co_ci_u32_e64 v49, null, v47, v43, vcc_lo
	flat_load_dword v48, v[48:49]
	s_waitcnt vmcnt(0) lgkmcnt(0)
	v_mul_f32_e32 v48, s15, v48
	s_branch .LBB25_326
.LBB25_325:
	v_mov_b32_e32 v48, 0
.LBB25_326:
	v_add_f32_e32 v49, v11, v39
	v_add_f32_e32 v50, v10, v38
	;; [unrolled: 1-line block ×4, first 2 shown]
	v_add_co_u32 v42, vcc_lo, v44, v42
	v_min3_f32 v49, v50, v49, v90
	v_add_co_ci_u32_e64 v43, null, v45, v43, vcc_lo
	v_min_f32_e32 v50, v52, v51
	v_min3_f32 v48, v48, v50, v49
	flat_store_dword v[42:43], v48
	s_or_b32 exec_lo, exec_lo, s12
	s_and_b32 s12, s7, s8
	s_and_saveexec_b32 s8, s12
	s_cbranch_execz .LBB25_331
.LBB25_327:
	v_cmp_ne_u32_e32 vcc_lo, 1, v121
	v_lshlrev_b64 v[42:43], 2, v[78:79]
	s_cbranch_vccnz .LBB25_329
; %bb.328:
	v_add_co_u32 v46, vcc_lo, v46, v42
	v_add_co_ci_u32_e64 v47, null, v47, v43, vcc_lo
	flat_load_dword v46, v[46:47]
	s_waitcnt vmcnt(0) lgkmcnt(0)
	v_mul_f32_e32 v46, s15, v46
	s_branch .LBB25_330
.LBB25_329:
	v_mov_b32_e32 v46, 0
.LBB25_330:
	v_add_f32_e32 v39, v3, v39
	v_add_f32_e32 v38, v2, v38
	;; [unrolled: 1-line block ×4, first 2 shown]
	v_min3_f32 v38, v38, v39, v89
	v_min_f32_e32 v39, v40, v41
	v_min3_f32 v40, v46, v39, v38
	v_add_co_u32 v38, vcc_lo, v44, v42
	v_add_co_ci_u32_e64 v39, null, v45, v43, vcc_lo
	flat_store_dword v[38:39], v40
.LBB25_331:
	s_or_b32 exec_lo, exec_lo, s8
	v_add_nc_u32_e32 v42, 0xe0, v130
	v_mad_i64_i32 v[38:39], null, v42, s14, 0
	v_mad_i64_i32 v[40:41], null, v42, s9, 0
	v_cmp_gt_i32_e64 s8, s13, v42
	v_lshlrev_b64 v[38:39], 2, v[38:39]
	s_and_b32 s9, s0, s8
	v_lshlrev_b64 v[42:43], 2, v[40:41]
	v_add_co_u32 v40, vcc_lo, s10, v38
	v_add_co_ci_u32_e64 v41, null, s11, v39, vcc_lo
	v_add_co_u32 v38, vcc_lo, s16, v42
	v_add_co_ci_u32_e64 v39, null, s17, v43, vcc_lo
	s_and_saveexec_b32 s0, s9
	s_cbranch_execnz .LBB25_340
; %bb.332:
	s_or_b32 exec_lo, exec_lo, s0
	s_and_b32 s1, s1, s8
	s_and_saveexec_b32 s0, s1
	s_cbranch_execnz .LBB25_344
.LBB25_333:
	s_or_b32 exec_lo, exec_lo, s0
	s_and_b32 s1, s2, s8
	s_and_saveexec_b32 s0, s1
	s_cbranch_execnz .LBB25_348
.LBB25_334:
	s_or_b32 exec_lo, exec_lo, s0
	s_and_b32 s1, s3, s8
	s_and_saveexec_b32 s0, s1
	s_cbranch_execnz .LBB25_352
.LBB25_335:
	s_or_b32 exec_lo, exec_lo, s0
	s_and_b32 s1, s4, s8
	s_and_saveexec_b32 s0, s1
	s_cbranch_execnz .LBB25_356
.LBB25_336:
	s_or_b32 exec_lo, exec_lo, s0
	s_and_b32 s1, s5, s8
	s_and_saveexec_b32 s0, s1
	s_cbranch_execnz .LBB25_360
.LBB25_337:
	s_or_b32 exec_lo, exec_lo, s0
	s_and_b32 s1, s6, s8
	s_and_saveexec_b32 s0, s1
	s_cbranch_execnz .LBB25_364
.LBB25_338:
	s_or_b32 exec_lo, exec_lo, s0
	s_and_b32 s0, s7, s8
	s_and_saveexec_b32 s1, s0
	s_cbranch_execnz .LBB25_368
.LBB25_339:
	s_endpgm
.LBB25_340:
	v_cmp_ne_u32_e32 vcc_lo, 1, v121
	v_lshlrev_b64 v[0:1], 2, v[0:1]
	s_cbranch_vccnz .LBB25_342
; %bb.341:
	v_add_co_u32 v42, vcc_lo, v40, v0
	v_add_co_ci_u32_e64 v43, null, v41, v1, vcc_lo
	flat_load_dword v42, v[42:43]
	s_waitcnt vmcnt(0) lgkmcnt(0)
	v_mul_f32_e32 v42, s15, v42
	s_branch .LBB25_343
.LBB25_342:
	v_mov_b32_e32 v42, 0
.LBB25_343:
	v_add_f32_e32 v35, v35, v7
	v_add_f32_e32 v34, v34, v6
	;; [unrolled: 1-line block ×4, first 2 shown]
	v_add_co_u32 v0, vcc_lo, v38, v0
	v_min3_f32 v34, v34, v35, v88
	v_add_co_ci_u32_e64 v1, null, v39, v1, vcc_lo
	v_min_f32_e32 v35, v36, v37
	v_min3_f32 v34, v42, v35, v34
	flat_store_dword v[0:1], v34
	s_or_b32 exec_lo, exec_lo, s0
	s_and_b32 s1, s1, s8
	s_and_saveexec_b32 s0, s1
	s_cbranch_execz .LBB25_333
.LBB25_344:
	v_cmp_ne_u32_e32 vcc_lo, 1, v121
	v_lshlrev_b64 v[0:1], 2, v[66:67]
	s_cbranch_vccnz .LBB25_346
; %bb.345:
	v_add_co_u32 v34, vcc_lo, v40, v0
	v_add_co_ci_u32_e64 v35, null, v41, v1, vcc_lo
	flat_load_dword v34, v[34:35]
	s_waitcnt vmcnt(0) lgkmcnt(0)
	v_mul_f32_e32 v34, s15, v34
	s_branch .LBB25_347
.LBB25_346:
	v_mov_b32_e32 v34, 0
.LBB25_347:
	v_add_f32_e32 v31, v31, v7
	v_add_f32_e32 v30, v30, v6
	;; [unrolled: 1-line block ×4, first 2 shown]
	v_add_co_u32 v0, vcc_lo, v38, v0
	v_min3_f32 v30, v30, v31, v87
	v_add_co_ci_u32_e64 v1, null, v39, v1, vcc_lo
	v_min_f32_e32 v31, v32, v33
	v_min3_f32 v30, v34, v31, v30
	flat_store_dword v[0:1], v30
	s_or_b32 exec_lo, exec_lo, s0
	s_and_b32 s1, s2, s8
	s_and_saveexec_b32 s0, s1
	s_cbranch_execz .LBB25_334
.LBB25_348:
	v_cmp_ne_u32_e32 vcc_lo, 1, v121
	v_lshlrev_b64 v[0:1], 2, v[68:69]
	s_cbranch_vccnz .LBB25_350
; %bb.349:
	v_add_co_u32 v30, vcc_lo, v40, v0
	v_add_co_ci_u32_e64 v31, null, v41, v1, vcc_lo
	flat_load_dword v30, v[30:31]
	s_waitcnt vmcnt(0) lgkmcnt(0)
	v_mul_f32_e32 v30, s15, v30
	s_branch .LBB25_351
.LBB25_350:
	v_mov_b32_e32 v30, 0
.LBB25_351:
	v_add_f32_e32 v27, v27, v7
	v_add_f32_e32 v26, v26, v6
	;; [unrolled: 1-line block ×4, first 2 shown]
	v_add_co_u32 v0, vcc_lo, v38, v0
	v_min3_f32 v26, v26, v27, v86
	v_add_co_ci_u32_e64 v1, null, v39, v1, vcc_lo
	v_min_f32_e32 v27, v28, v29
	v_min3_f32 v26, v30, v27, v26
	flat_store_dword v[0:1], v26
	s_or_b32 exec_lo, exec_lo, s0
	s_and_b32 s1, s3, s8
	s_and_saveexec_b32 s0, s1
	s_cbranch_execz .LBB25_335
.LBB25_352:
	v_cmp_ne_u32_e32 vcc_lo, 1, v121
	v_lshlrev_b64 v[0:1], 2, v[70:71]
	s_cbranch_vccnz .LBB25_354
; %bb.353:
	v_add_co_u32 v26, vcc_lo, v40, v0
	v_add_co_ci_u32_e64 v27, null, v41, v1, vcc_lo
	flat_load_dword v26, v[26:27]
	s_waitcnt vmcnt(0) lgkmcnt(0)
	v_mul_f32_e32 v26, s15, v26
	s_branch .LBB25_355
.LBB25_354:
	v_mov_b32_e32 v26, 0
.LBB25_355:
	v_add_f32_e32 v23, v23, v7
	v_add_f32_e32 v22, v22, v6
	;; [unrolled: 1-line block ×4, first 2 shown]
	v_add_co_u32 v0, vcc_lo, v38, v0
	v_min3_f32 v22, v22, v23, v85
	v_add_co_ci_u32_e64 v1, null, v39, v1, vcc_lo
	v_min_f32_e32 v23, v24, v25
	v_min3_f32 v22, v26, v23, v22
	flat_store_dword v[0:1], v22
	s_or_b32 exec_lo, exec_lo, s0
	s_and_b32 s1, s4, s8
	s_and_saveexec_b32 s0, s1
	s_cbranch_execz .LBB25_336
.LBB25_356:
	v_cmp_ne_u32_e32 vcc_lo, 1, v121
	v_lshlrev_b64 v[0:1], 2, v[72:73]
	s_cbranch_vccnz .LBB25_358
; %bb.357:
	v_add_co_u32 v22, vcc_lo, v40, v0
	v_add_co_ci_u32_e64 v23, null, v41, v1, vcc_lo
	flat_load_dword v22, v[22:23]
	s_waitcnt vmcnt(0) lgkmcnt(0)
	v_mul_f32_e32 v22, s15, v22
	s_branch .LBB25_359
.LBB25_358:
	v_mov_b32_e32 v22, 0
.LBB25_359:
	v_add_f32_e32 v19, v19, v7
	v_add_f32_e32 v18, v18, v6
	;; [unrolled: 1-line block ×4, first 2 shown]
	v_add_co_u32 v0, vcc_lo, v38, v0
	v_min3_f32 v18, v18, v19, v84
	v_add_co_ci_u32_e64 v1, null, v39, v1, vcc_lo
	v_min_f32_e32 v19, v20, v21
	v_min3_f32 v18, v22, v19, v18
	flat_store_dword v[0:1], v18
	s_or_b32 exec_lo, exec_lo, s0
	s_and_b32 s1, s5, s8
	s_and_saveexec_b32 s0, s1
	s_cbranch_execz .LBB25_337
.LBB25_360:
	v_cmp_ne_u32_e32 vcc_lo, 1, v121
	v_lshlrev_b64 v[0:1], 2, v[74:75]
	s_cbranch_vccnz .LBB25_362
; %bb.361:
	v_add_co_u32 v18, vcc_lo, v40, v0
	v_add_co_ci_u32_e64 v19, null, v41, v1, vcc_lo
	flat_load_dword v18, v[18:19]
	s_waitcnt vmcnt(0) lgkmcnt(0)
	v_mul_f32_e32 v18, s15, v18
	s_branch .LBB25_363
.LBB25_362:
	v_mov_b32_e32 v18, 0
.LBB25_363:
	v_add_f32_e32 v15, v15, v7
	v_add_f32_e32 v14, v14, v6
	;; [unrolled: 1-line block ×4, first 2 shown]
	v_add_co_u32 v0, vcc_lo, v38, v0
	v_min3_f32 v14, v14, v15, v83
	v_add_co_ci_u32_e64 v1, null, v39, v1, vcc_lo
	v_min_f32_e32 v15, v16, v17
	v_min3_f32 v14, v18, v15, v14
	flat_store_dword v[0:1], v14
	s_or_b32 exec_lo, exec_lo, s0
	s_and_b32 s1, s6, s8
	s_and_saveexec_b32 s0, s1
	s_cbranch_execz .LBB25_338
.LBB25_364:
	v_cmp_ne_u32_e32 vcc_lo, 1, v121
	v_lshlrev_b64 v[0:1], 2, v[76:77]
	s_cbranch_vccnz .LBB25_366
; %bb.365:
	v_add_co_u32 v14, vcc_lo, v40, v0
	v_add_co_ci_u32_e64 v15, null, v41, v1, vcc_lo
	flat_load_dword v14, v[14:15]
	s_waitcnt vmcnt(0) lgkmcnt(0)
	v_mul_f32_e32 v14, s15, v14
	s_branch .LBB25_367
.LBB25_366:
	v_mov_b32_e32 v14, 0
.LBB25_367:
	v_add_f32_e32 v11, v11, v7
	v_add_f32_e32 v10, v10, v6
	;; [unrolled: 1-line block ×4, first 2 shown]
	v_add_co_u32 v0, vcc_lo, v38, v0
	v_min3_f32 v10, v10, v11, v82
	v_add_co_ci_u32_e64 v1, null, v39, v1, vcc_lo
	v_min_f32_e32 v11, v12, v13
	v_min3_f32 v10, v14, v11, v10
	flat_store_dword v[0:1], v10
	s_or_b32 exec_lo, exec_lo, s0
	s_and_b32 s0, s7, s8
	s_and_saveexec_b32 s1, s0
	s_cbranch_execz .LBB25_339
.LBB25_368:
	v_cmp_ne_u32_e32 vcc_lo, 1, v121
	v_lshlrev_b64 v[0:1], 2, v[78:79]
	s_cbranch_vccnz .LBB25_370
; %bb.369:
	v_add_co_u32 v10, vcc_lo, v40, v0
	v_add_co_ci_u32_e64 v11, null, v41, v1, vcc_lo
	flat_load_dword v10, v[10:11]
	s_waitcnt vmcnt(0) lgkmcnt(0)
	v_mul_f32_e32 v10, s15, v10
	s_branch .LBB25_371
.LBB25_370:
	v_mov_b32_e32 v10, 0
.LBB25_371:
	v_add_f32_e32 v3, v3, v7
	v_add_f32_e32 v2, v2, v6
	;; [unrolled: 1-line block ×4, first 2 shown]
	v_add_co_u32 v0, vcc_lo, v38, v0
	v_min3_f32 v2, v2, v3, v91
	v_add_co_ci_u32_e64 v1, null, v39, v1, vcc_lo
	v_min_f32_e32 v3, v4, v5
	v_min3_f32 v2, v10, v3, v2
	flat_store_dword v[0:1], v2
	s_endpgm
	.section	.rodata,"a",@progbits
	.p2align	6, 0x0
	.amdhsa_kernel _ZN12_GLOBAL__N_120geam_min_plus_kernelIf15HIP_vector_typeIfLj2EEfLi8ELi32ELi64ELi256ELi4ELi4ELi64ELi64ELi4ELc84ELc84ELb1ELb1ELb1EfKPKfKPfEEviiiT16_PT17_ilSA_ilS8_SA_ilPT18_ili26rocblas_geam_ex_operation_
		.amdhsa_group_segment_fixed_size 10240
		.amdhsa_private_segment_fixed_size 0
		.amdhsa_kernarg_size 128
		.amdhsa_user_sgpr_count 6
		.amdhsa_user_sgpr_private_segment_buffer 1
		.amdhsa_user_sgpr_dispatch_ptr 0
		.amdhsa_user_sgpr_queue_ptr 0
		.amdhsa_user_sgpr_kernarg_segment_ptr 1
		.amdhsa_user_sgpr_dispatch_id 0
		.amdhsa_user_sgpr_flat_scratch_init 0
		.amdhsa_user_sgpr_private_segment_size 0
		.amdhsa_wavefront_size32 1
		.amdhsa_uses_dynamic_stack 0
		.amdhsa_system_sgpr_private_segment_wavefront_offset 0
		.amdhsa_system_sgpr_workgroup_id_x 1
		.amdhsa_system_sgpr_workgroup_id_y 0
		.amdhsa_system_sgpr_workgroup_id_z 1
		.amdhsa_system_sgpr_workgroup_info 0
		.amdhsa_system_vgpr_workitem_id 1
		.amdhsa_next_free_vgpr 162
		.amdhsa_next_free_sgpr 29
		.amdhsa_reserve_vcc 1
		.amdhsa_reserve_flat_scratch 0
		.amdhsa_float_round_mode_32 0
		.amdhsa_float_round_mode_16_64 0
		.amdhsa_float_denorm_mode_32 3
		.amdhsa_float_denorm_mode_16_64 3
		.amdhsa_dx10_clamp 1
		.amdhsa_ieee_mode 1
		.amdhsa_fp16_overflow 0
		.amdhsa_workgroup_processor_mode 1
		.amdhsa_memory_ordered 1
		.amdhsa_forward_progress 1
		.amdhsa_shared_vgpr_count 0
		.amdhsa_exception_fp_ieee_invalid_op 0
		.amdhsa_exception_fp_denorm_src 0
		.amdhsa_exception_fp_ieee_div_zero 0
		.amdhsa_exception_fp_ieee_overflow 0
		.amdhsa_exception_fp_ieee_underflow 0
		.amdhsa_exception_fp_ieee_inexact 0
		.amdhsa_exception_int_div_zero 0
	.end_amdhsa_kernel
	.section	.text._ZN12_GLOBAL__N_120geam_min_plus_kernelIf15HIP_vector_typeIfLj2EEfLi8ELi32ELi64ELi256ELi4ELi4ELi64ELi64ELi4ELc84ELc84ELb1ELb1ELb1EfKPKfKPfEEviiiT16_PT17_ilSA_ilS8_SA_ilPT18_ili26rocblas_geam_ex_operation_,"axG",@progbits,_ZN12_GLOBAL__N_120geam_min_plus_kernelIf15HIP_vector_typeIfLj2EEfLi8ELi32ELi64ELi256ELi4ELi4ELi64ELi64ELi4ELc84ELc84ELb1ELb1ELb1EfKPKfKPfEEviiiT16_PT17_ilSA_ilS8_SA_ilPT18_ili26rocblas_geam_ex_operation_,comdat
.Lfunc_end25:
	.size	_ZN12_GLOBAL__N_120geam_min_plus_kernelIf15HIP_vector_typeIfLj2EEfLi8ELi32ELi64ELi256ELi4ELi4ELi64ELi64ELi4ELc84ELc84ELb1ELb1ELb1EfKPKfKPfEEviiiT16_PT17_ilSA_ilS8_SA_ilPT18_ili26rocblas_geam_ex_operation_, .Lfunc_end25-_ZN12_GLOBAL__N_120geam_min_plus_kernelIf15HIP_vector_typeIfLj2EEfLi8ELi32ELi64ELi256ELi4ELi4ELi64ELi64ELi4ELc84ELc84ELb1ELb1ELb1EfKPKfKPfEEviiiT16_PT17_ilSA_ilS8_SA_ilPT18_ili26rocblas_geam_ex_operation_
                                        ; -- End function
	.set _ZN12_GLOBAL__N_120geam_min_plus_kernelIf15HIP_vector_typeIfLj2EEfLi8ELi32ELi64ELi256ELi4ELi4ELi64ELi64ELi4ELc84ELc84ELb1ELb1ELb1EfKPKfKPfEEviiiT16_PT17_ilSA_ilS8_SA_ilPT18_ili26rocblas_geam_ex_operation_.num_vgpr, 162
	.set _ZN12_GLOBAL__N_120geam_min_plus_kernelIf15HIP_vector_typeIfLj2EEfLi8ELi32ELi64ELi256ELi4ELi4ELi64ELi64ELi4ELc84ELc84ELb1ELb1ELb1EfKPKfKPfEEviiiT16_PT17_ilSA_ilS8_SA_ilPT18_ili26rocblas_geam_ex_operation_.num_agpr, 0
	.set _ZN12_GLOBAL__N_120geam_min_plus_kernelIf15HIP_vector_typeIfLj2EEfLi8ELi32ELi64ELi256ELi4ELi4ELi64ELi64ELi4ELc84ELc84ELb1ELb1ELb1EfKPKfKPfEEviiiT16_PT17_ilSA_ilS8_SA_ilPT18_ili26rocblas_geam_ex_operation_.numbered_sgpr, 29
	.set _ZN12_GLOBAL__N_120geam_min_plus_kernelIf15HIP_vector_typeIfLj2EEfLi8ELi32ELi64ELi256ELi4ELi4ELi64ELi64ELi4ELc84ELc84ELb1ELb1ELb1EfKPKfKPfEEviiiT16_PT17_ilSA_ilS8_SA_ilPT18_ili26rocblas_geam_ex_operation_.num_named_barrier, 0
	.set _ZN12_GLOBAL__N_120geam_min_plus_kernelIf15HIP_vector_typeIfLj2EEfLi8ELi32ELi64ELi256ELi4ELi4ELi64ELi64ELi4ELc84ELc84ELb1ELb1ELb1EfKPKfKPfEEviiiT16_PT17_ilSA_ilS8_SA_ilPT18_ili26rocblas_geam_ex_operation_.private_seg_size, 0
	.set _ZN12_GLOBAL__N_120geam_min_plus_kernelIf15HIP_vector_typeIfLj2EEfLi8ELi32ELi64ELi256ELi4ELi4ELi64ELi64ELi4ELc84ELc84ELb1ELb1ELb1EfKPKfKPfEEviiiT16_PT17_ilSA_ilS8_SA_ilPT18_ili26rocblas_geam_ex_operation_.uses_vcc, 1
	.set _ZN12_GLOBAL__N_120geam_min_plus_kernelIf15HIP_vector_typeIfLj2EEfLi8ELi32ELi64ELi256ELi4ELi4ELi64ELi64ELi4ELc84ELc84ELb1ELb1ELb1EfKPKfKPfEEviiiT16_PT17_ilSA_ilS8_SA_ilPT18_ili26rocblas_geam_ex_operation_.uses_flat_scratch, 0
	.set _ZN12_GLOBAL__N_120geam_min_plus_kernelIf15HIP_vector_typeIfLj2EEfLi8ELi32ELi64ELi256ELi4ELi4ELi64ELi64ELi4ELc84ELc84ELb1ELb1ELb1EfKPKfKPfEEviiiT16_PT17_ilSA_ilS8_SA_ilPT18_ili26rocblas_geam_ex_operation_.has_dyn_sized_stack, 0
	.set _ZN12_GLOBAL__N_120geam_min_plus_kernelIf15HIP_vector_typeIfLj2EEfLi8ELi32ELi64ELi256ELi4ELi4ELi64ELi64ELi4ELc84ELc84ELb1ELb1ELb1EfKPKfKPfEEviiiT16_PT17_ilSA_ilS8_SA_ilPT18_ili26rocblas_geam_ex_operation_.has_recursion, 0
	.set _ZN12_GLOBAL__N_120geam_min_plus_kernelIf15HIP_vector_typeIfLj2EEfLi8ELi32ELi64ELi256ELi4ELi4ELi64ELi64ELi4ELc84ELc84ELb1ELb1ELb1EfKPKfKPfEEviiiT16_PT17_ilSA_ilS8_SA_ilPT18_ili26rocblas_geam_ex_operation_.has_indirect_call, 0
	.section	.AMDGPU.csdata,"",@progbits
; Kernel info:
; codeLenInByte = 19316
; TotalNumSgprs: 31
; NumVgprs: 162
; ScratchSize: 0
; MemoryBound: 0
; FloatMode: 240
; IeeeMode: 1
; LDSByteSize: 10240 bytes/workgroup (compile time only)
; SGPRBlocks: 0
; VGPRBlocks: 20
; NumSGPRsForWavesPerEU: 31
; NumVGPRsForWavesPerEU: 162
; Occupancy: 5
; WaveLimiterHint : 1
; COMPUTE_PGM_RSRC2:SCRATCH_EN: 0
; COMPUTE_PGM_RSRC2:USER_SGPR: 6
; COMPUTE_PGM_RSRC2:TRAP_HANDLER: 0
; COMPUTE_PGM_RSRC2:TGID_X_EN: 1
; COMPUTE_PGM_RSRC2:TGID_Y_EN: 0
; COMPUTE_PGM_RSRC2:TGID_Z_EN: 1
; COMPUTE_PGM_RSRC2:TIDIG_COMP_CNT: 1
	.section	.text._ZN12_GLOBAL__N_120geam_min_plus_kernelIf15HIP_vector_typeIfLj2EEfLi8ELi32ELi64ELi256ELi4ELi4ELi64ELi64ELi4ELc84ELc84ELb0ELb1ELb1EfKPKfKPfEEviiiT16_PT17_ilSA_ilS8_SA_ilPT18_ili26rocblas_geam_ex_operation_,"axG",@progbits,_ZN12_GLOBAL__N_120geam_min_plus_kernelIf15HIP_vector_typeIfLj2EEfLi8ELi32ELi64ELi256ELi4ELi4ELi64ELi64ELi4ELc84ELc84ELb0ELb1ELb1EfKPKfKPfEEviiiT16_PT17_ilSA_ilS8_SA_ilPT18_ili26rocblas_geam_ex_operation_,comdat
	.globl	_ZN12_GLOBAL__N_120geam_min_plus_kernelIf15HIP_vector_typeIfLj2EEfLi8ELi32ELi64ELi256ELi4ELi4ELi64ELi64ELi4ELc84ELc84ELb0ELb1ELb1EfKPKfKPfEEviiiT16_PT17_ilSA_ilS8_SA_ilPT18_ili26rocblas_geam_ex_operation_ ; -- Begin function _ZN12_GLOBAL__N_120geam_min_plus_kernelIf15HIP_vector_typeIfLj2EEfLi8ELi32ELi64ELi256ELi4ELi4ELi64ELi64ELi4ELc84ELc84ELb0ELb1ELb1EfKPKfKPfEEviiiT16_PT17_ilSA_ilS8_SA_ilPT18_ili26rocblas_geam_ex_operation_
	.p2align	8
	.type	_ZN12_GLOBAL__N_120geam_min_plus_kernelIf15HIP_vector_typeIfLj2EEfLi8ELi32ELi64ELi256ELi4ELi4ELi64ELi64ELi4ELc84ELc84ELb0ELb1ELb1EfKPKfKPfEEviiiT16_PT17_ilSA_ilS8_SA_ilPT18_ili26rocblas_geam_ex_operation_,@function
_ZN12_GLOBAL__N_120geam_min_plus_kernelIf15HIP_vector_typeIfLj2EEfLi8ELi32ELi64ELi256ELi4ELi4ELi64ELi64ELi4ELc84ELc84ELb0ELb1ELb1EfKPKfKPfEEviiiT16_PT17_ilSA_ilS8_SA_ilPT18_ili26rocblas_geam_ex_operation_: ; @_ZN12_GLOBAL__N_120geam_min_plus_kernelIf15HIP_vector_typeIfLj2EEfLi8ELi32ELi64ELi256ELi4ELi4ELi64ELi64ELi4ELc84ELc84ELb0ELb1ELb1EfKPKfKPfEEviiiT16_PT17_ilSA_ilS8_SA_ilPT18_ili26rocblas_geam_ex_operation_
; %bb.0:
	s_clause 0x1
	s_load_dwordx4 s[12:15], s[4:5], 0x0
	s_load_dwordx4 s[0:3], s[4:5], 0x20
	s_mov_b32 s16, s7
	s_mov_b32 s17, 0
	s_waitcnt lgkmcnt(0)
	v_cmp_eq_f32_e64 s7, s15, 0
	s_and_b32 vcc_lo, exec_lo, s7
	s_cbranch_vccnz .LBB26_3
; %bb.1:
	s_load_dwordx2 s[8:9], s[4:5], 0x10
	s_lshl_b64 s[10:11], s[16:17], 3
	s_waitcnt lgkmcnt(0)
	s_add_u32 s8, s8, s10
	s_addc_u32 s9, s9, s11
	s_lshl_b64 s[0:1], s[0:1], 2
	s_load_dwordx2 s[8:9], s[8:9], 0x0
	s_waitcnt lgkmcnt(0)
	s_add_u32 s18, s8, s0
	s_addc_u32 s19, s9, s1
	s_andn2_b32 vcc_lo, exec_lo, s7
	s_cbranch_vccnz .LBB26_4
.LBB26_2:
	s_mov_b32 s21, 0
	s_mov_b32 s20, s16
	;; [unrolled: 1-line block ×3, first 2 shown]
	s_mov_b64 s[10:11], 0
	s_andn2_b32 vcc_lo, exec_lo, s0
	s_mov_b64 s[8:9], 0
	s_cbranch_vccz .LBB26_5
	s_branch .LBB26_6
.LBB26_3:
	s_mov_b64 s[18:19], 0
	s_andn2_b32 vcc_lo, exec_lo, s7
	s_cbranch_vccz .LBB26_2
.LBB26_4:
	s_mov_b64 s[20:21], s[16:17]
	s_mov_b64 s[10:11], 0
	;; [unrolled: 1-line block ×3, first 2 shown]
.LBB26_5:
	s_lshl_b64 s[0:1], s[16:17], 3
	s_load_dwordx2 s[8:9], s[4:5], 0x38
	s_add_u32 s0, s2, s0
	s_addc_u32 s1, s3, s1
	s_load_dwordx2 s[0:1], s[0:1], 0x0
	s_waitcnt lgkmcnt(0)
	s_lshl_b64 s[2:3], s[8:9], 2
	s_add_u32 s8, s0, s2
	s_addc_u32 s9, s1, s3
.LBB26_6:
	s_clause 0x1
	s_load_dword s22, s[4:5], 0x40
	s_load_dwordx4 s[0:3], s[4:5], 0x58
	s_waitcnt lgkmcnt(0)
	v_cmp_eq_f32_e64 s7, s22, 0
	v_cmp_neq_f32_e64 s23, s22, 0
	s_and_b32 vcc_lo, exec_lo, s7
	s_cbranch_vccnz .LBB26_8
; %bb.7:
	s_load_dwordx2 s[10:11], s[4:5], 0x48
	s_lshl_b64 s[16:17], s[20:21], 3
	s_waitcnt lgkmcnt(0)
	s_add_u32 s10, s10, s16
	s_addc_u32 s11, s11, s17
	s_lshl_b64 s[0:1], s[0:1], 2
	s_load_dwordx2 s[10:11], s[10:11], 0x0
	s_waitcnt lgkmcnt(0)
	s_add_u32 s10, s10, s0
	s_addc_u32 s11, s11, s1
.LBB26_8:
	s_lshl_b64 s[0:1], s[20:21], 3
	v_lshl_add_u32 v4, v1, 3, v0
	s_add_u32 s16, s2, s0
	s_addc_u32 s17, s3, s1
	s_add_i32 s0, s12, -1
	s_load_dword s26, s[4:5], 0x18
	s_ashr_i32 s1, s0, 31
	v_and_b32_e32 v70, 3, v0
	s_lshr_b32 s1, s1, 26
	v_cmp_eq_f32_e64 s24, s15, 0
	s_add_i32 s0, s0, s1
                                        ; implicit-def: $vgpr3
	s_ashr_i32 s0, s0, 6
	s_add_i32 s2, s0, 1
	s_not_b32 s0, s0
	v_cvt_f32_u32_e32 v2, s2
	v_rcp_iflag_f32_e32 v2, v2
	v_mul_f32_e32 v2, 0x4f7ffffe, v2
	v_cvt_u32_f32_e32 v2, v2
	v_readfirstlane_b32 s1, v2
	v_lshrrev_b32_e32 v2, 2, v4
	s_mul_i32 s0, s0, s1
	s_mul_hi_u32 s0, s1, s0
	s_add_i32 s1, s1, s0
	s_mul_hi_u32 s0, s6, s1
	s_mul_i32 s1, s0, s2
	s_add_i32 s3, s0, 1
	s_sub_i32 s1, s6, s1
	s_sub_i32 s7, s1, s2
	s_cmp_ge_u32 s1, s2
	s_cselect_b32 s0, s3, s0
	s_cselect_b32 s1, s7, s1
	s_add_i32 s3, s0, 1
	s_cmp_ge_u32 s1, s2
	s_cselect_b32 s1, s3, s0
	s_mul_i32 s0, s1, s2
	s_sub_i32 s0, s6, s0
                                        ; implicit-def: $sgpr6
	s_lshl_b32 s20, s0, 6
	v_cmp_le_i32_e64 s0, s14, v70
	v_add_nc_u32_e32 v68, s20, v2
	v_cmp_le_i32_e32 vcc_lo, s12, v68
	s_or_b32 s2, s0, vcc_lo
	s_nor_b32 s0, s24, s2
	s_and_saveexec_b32 s3, s0
	s_xor_b32 s3, exec_lo, s3
	s_cbranch_execz .LBB26_10
; %bb.9:
	s_waitcnt lgkmcnt(0)
	v_mad_i64_i32 v[5:6], null, v68, s26, 0
	s_add_i32 s6, s14, -1
	v_min_u32_e32 v3, s6, v70
	v_lshlrev_b64 v[5:6], 2, v[5:6]
	v_lshlrev_b32_e32 v3, 2, v3
	v_add_co_u32 v5, s0, s18, v5
	v_add_co_ci_u32_e64 v6, null, s19, v6, s0
	v_add_co_u32 v5, s0, v5, v3
	v_add_co_ci_u32_e64 v6, null, 0, v6, s0
	flat_load_dword v3, v[5:6]
	s_waitcnt vmcnt(0) lgkmcnt(0)
	v_mul_f32_e32 v3, s15, v3
.LBB26_10:
	s_or_saveexec_b32 s0, s3
	v_mov_b32_e32 v5, s6
	s_xor_b32 exec_lo, exec_lo, s0
; %bb.11:
	s_add_i32 s3, s14, -1
	v_cndmask_b32_e64 v3, 0, 0x7f7fffff, s2
	v_mov_b32_e32 v5, s3
; %bb.12:
	s_or_b32 exec_lo, exec_lo, s0
	s_load_dword s25, s[4:5], 0x30
	v_lshrrev_b32_e32 v71, 6, v4
	v_and_b32_e32 v4, 63, v4
	s_lshl_b32 s21, s1, 8
	v_min_i32_e32 v5, v71, v5
	v_or_b32_e32 v66, s21, v4
	v_cmp_le_i32_e64 s6, s14, v71
	v_cmp_le_i32_e64 s0, s13, v66
	v_ashrrev_i32_e32 v67, 31, v66
	s_or_b32 s2, s0, s6
	s_waitcnt lgkmcnt(0)
	v_mad_i64_i32 v[5:6], null, v5, s25, 0
	v_lshlrev_b64 v[6:7], 2, v[5:6]
	v_cndmask_b32_e64 v5, 0, 0x7f7fffff, s2
	v_add_co_u32 v9, s1, s8, v6
	v_add_co_ci_u32_e64 v10, null, s9, v7, s1
	s_nor_b32 s1, s24, s2
	s_and_saveexec_b32 s2, s1
	s_cbranch_execz .LBB26_14
; %bb.13:
	v_lshlrev_b64 v[5:6], 2, v[66:67]
	v_add_co_u32 v5, s1, v9, v5
	v_add_co_ci_u32_e64 v6, null, v10, v6, s1
	flat_load_dword v5, v[5:6]
	s_waitcnt vmcnt(0) lgkmcnt(0)
	v_mul_f32_e32 v5, s15, v5
.LBB26_14:
	s_or_b32 exec_lo, exec_lo, s2
	v_or_b32_e32 v6, 64, v66
	v_cmp_le_i32_e64 s1, s13, v6
	s_or_b32 s2, s1, s6
	v_cndmask_b32_e64 v6, 0, 0x7f7fffff, s2
	s_nor_b32 s2, s24, s2
	s_and_saveexec_b32 s3, s2
	s_cbranch_execz .LBB26_16
; %bb.15:
	v_lshlrev_b64 v[6:7], 2, v[66:67]
	v_add_co_u32 v6, s2, v9, v6
	v_add_co_ci_u32_e64 v7, null, v10, v7, s2
	flat_load_dword v6, v[6:7] offset:256
	s_waitcnt vmcnt(0) lgkmcnt(0)
	v_mul_f32_e32 v6, s15, v6
.LBB26_16:
	s_or_b32 exec_lo, exec_lo, s3
	v_or_b32_e32 v7, 0x80, v66
	v_cmp_le_i32_e64 s2, s13, v7
	s_or_b32 s3, s2, s6
	v_cndmask_b32_e64 v7, 0, 0x7f7fffff, s3
	s_nor_b32 s3, s24, s3
	s_and_saveexec_b32 s7, s3
	s_cbranch_execz .LBB26_18
; %bb.17:
	v_lshlrev_b64 v[7:8], 2, v[66:67]
	v_add_co_u32 v7, s3, v9, v7
	v_add_co_ci_u32_e64 v8, null, v10, v8, s3
	flat_load_dword v7, v[7:8] offset:512
	s_waitcnt vmcnt(0) lgkmcnt(0)
	v_mul_f32_e32 v7, s15, v7
.LBB26_18:
	;; [unrolled: 16-line block ×3, first 2 shown]
	s_or_b32 exec_lo, exec_lo, s7
	v_or_b32_e32 v9, 4, v70
                                        ; implicit-def: $vgpr69
                                        ; implicit-def: $sgpr28
	v_cmp_le_i32_e64 s6, s14, v9
	s_or_b32 s7, s6, vcc_lo
	s_nor_b32 s6, s24, s7
	s_and_saveexec_b32 s27, s6
	s_xor_b32 s27, exec_lo, s27
	s_cbranch_execz .LBB26_22
; %bb.21:
	v_mad_i64_i32 v[10:11], null, v68, s26, 0
	s_add_i32 s28, s14, -1
	v_min_u32_e32 v12, s28, v9
	v_lshlrev_b64 v[9:10], 2, v[10:11]
	v_lshlrev_b32_e32 v11, 2, v12
	v_add_co_u32 v9, s6, s18, v9
	v_add_co_ci_u32_e64 v10, null, s19, v10, s6
	v_add_co_u32 v9, s6, v9, v11
	v_add_co_ci_u32_e64 v10, null, 0, v10, s6
	flat_load_dword v9, v[9:10]
	s_waitcnt vmcnt(0) lgkmcnt(0)
	v_mul_f32_e32 v69, s15, v9
.LBB26_22:
	s_or_saveexec_b32 s6, s27
	v_mov_b32_e32 v9, s28
	s_xor_b32 exec_lo, exec_lo, s6
; %bb.23:
	s_add_i32 s27, s14, -1
	v_cndmask_b32_e64 v69, 0, 0x7f7fffff, s7
	v_mov_b32_e32 v9, s27
; %bb.24:
	s_or_b32 exec_lo, exec_lo, s6
	v_add_nc_u32_e32 v11, 4, v71
	v_min_i32_e32 v9, v11, v9
	v_cmp_le_i32_e64 s6, s14, v11
	v_mad_i64_i32 v[9:10], null, v9, s25, 0
	v_lshlrev_b64 v[9:10], 2, v[9:10]
	v_add_co_u32 v9, s7, s8, v9
	v_add_co_ci_u32_e64 v10, null, s9, v10, s7
	s_or_b32 s7, s0, s6
	v_cndmask_b32_e64 v123, 0, 0x7f7fffff, s7
	s_nor_b32 s7, s24, s7
	s_and_saveexec_b32 s27, s7
	s_cbranch_execz .LBB26_26
; %bb.25:
	v_lshlrev_b64 v[11:12], 2, v[66:67]
	v_add_co_u32 v11, s7, v9, v11
	v_add_co_ci_u32_e64 v12, null, v10, v12, s7
	flat_load_dword v11, v[11:12]
	s_waitcnt vmcnt(0) lgkmcnt(0)
	v_mul_f32_e32 v123, s15, v11
.LBB26_26:
	s_or_b32 exec_lo, exec_lo, s27
	s_or_b32 s7, s1, s6
	v_cndmask_b32_e64 v132, 0, 0x7f7fffff, s7
	s_nor_b32 s7, s24, s7
	s_and_saveexec_b32 s27, s7
	s_cbranch_execz .LBB26_28
; %bb.27:
	v_lshlrev_b64 v[11:12], 2, v[66:67]
	v_add_co_u32 v11, s7, v9, v11
	v_add_co_ci_u32_e64 v12, null, v10, v12, s7
	flat_load_dword v11, v[11:12] offset:256
	s_waitcnt vmcnt(0) lgkmcnt(0)
	v_mul_f32_e32 v132, s15, v11
.LBB26_28:
	s_or_b32 exec_lo, exec_lo, s27
	s_or_b32 s7, s2, s6
	v_cndmask_b32_e64 v141, 0, 0x7f7fffff, s7
	s_nor_b32 s7, s24, s7
	s_and_saveexec_b32 s27, s7
	s_cbranch_execz .LBB26_30
; %bb.29:
	v_lshlrev_b64 v[11:12], 2, v[66:67]
	v_add_co_u32 v11, s7, v9, v11
	v_add_co_ci_u32_e64 v12, null, v10, v12, s7
	flat_load_dword v11, v[11:12] offset:512
	s_waitcnt vmcnt(0) lgkmcnt(0)
	v_mul_f32_e32 v141, s15, v11
.LBB26_30:
	;; [unrolled: 14-line block ×3, first 2 shown]
	s_or_b32 exec_lo, exec_lo, s7
	v_lshlrev_b32_e32 v142, 2, v70
	v_lshlrev_b32_e32 v73, 4, v0
	s_load_dwordx2 s[16:17], s[16:17], 0x0
	v_lshlrev_b32_e32 v72, 4, v1
	s_cmp_lt_i32 s14, 9
	v_lshl_or_b32 v143, v2, 4, v142
	v_lshlrev_b32_e32 v2, 4, v4
	ds_write_b32 v143, v3 offset:8192
	v_lshl_add_u32 v74, v71, 2, v2
	ds_write2st64_b32 v74, v5, v6 offset1:4
	ds_write2st64_b32 v74, v7, v8 offset0:8 offset1:12
	s_waitcnt lgkmcnt(0)
	s_barrier
	buffer_gl0_inv
	ds_read_b128 v[34:37], v73 offset:8192
	ds_read_b128 v[30:33], v73 offset:8320
	ds_read_b128 v[26:29], v73 offset:8448
	ds_read_b128 v[18:21], v73 offset:8576
	ds_read_b128 v[14:17], v73 offset:8704
	ds_read_b128 v[10:13], v73 offset:8832
	ds_read_b128 v[6:9], v73 offset:8960
	ds_read_b128 v[2:5], v73 offset:9088
	ds_read_b128 v[62:65], v72
	ds_read_b128 v[58:61], v72 offset:512
	ds_read_b128 v[54:57], v72 offset:1024
	;; [unrolled: 1-line block ×7, first 2 shown]
	ds_write_b32 v143, v69 offset:9216
	ds_write2st64_b32 v74, v123, v132 offset0:16 offset1:20
	ds_write2st64_b32 v74, v141, v144 offset0:24 offset1:28
	s_waitcnt lgkmcnt(0)
	s_barrier
	buffer_gl0_inv
	v_add_f32_e32 v75, v35, v63
	v_add_f32_e32 v76, v34, v62
	;; [unrolled: 1-line block ×6, first 2 shown]
	v_min3_f32 v75, v76, v75, 0x7f7fffff
	v_add_f32_e32 v76, v31, v63
	v_add_f32_e32 v81, v10, v62
	v_min3_f32 v76, v77, v76, 0x7f7fffff
	v_add_f32_e32 v77, v27, v63
	v_min3_f32 v77, v78, v77, 0x7f7fffff
	;; [unrolled: 2-line block ×5, first 2 shown]
	v_add_f32_e32 v79, v7, v63
	v_add_f32_e32 v81, v6, v62
	;; [unrolled: 1-line block ×4, first 2 shown]
	v_min3_f32 v118, v81, v79, 0x7f7fffff
	v_add_f32_e32 v79, v6, v38
	v_min3_f32 v119, v62, v63, 0x7f7fffff
	v_add_f32_e32 v62, v35, v59
	v_add_f32_e32 v63, v34, v58
	v_min3_f32 v116, v63, v62, 0x7f7fffff
	v_add_f32_e32 v62, v31, v59
	;; [unrolled: 3-line block ×7, first 2 shown]
	v_add_f32_e32 v63, v6, v58
	v_add_f32_e32 v59, v3, v59
	v_add_f32_e32 v58, v2, v58
	v_min3_f32 v110, v63, v62, 0x7f7fffff
	v_min3_f32 v109, v58, v59, 0x7f7fffff
	v_add_f32_e32 v58, v35, v55
	v_add_f32_e32 v59, v34, v54
	v_min3_f32 v108, v59, v58, 0x7f7fffff
	v_add_f32_e32 v58, v31, v55
	v_add_f32_e32 v59, v30, v54
	v_min3_f32 v107, v59, v58, 0x7f7fffff
	v_add_f32_e32 v58, v27, v55
	v_add_f32_e32 v59, v26, v54
	v_min3_f32 v106, v59, v58, 0x7f7fffff
	v_add_f32_e32 v58, v19, v55
	v_add_f32_e32 v59, v18, v54
	v_min3_f32 v105, v59, v58, 0x7f7fffff
	v_add_f32_e32 v58, v15, v55
	v_add_f32_e32 v59, v14, v54
	v_min3_f32 v104, v59, v58, 0x7f7fffff
	v_add_f32_e32 v58, v11, v55
	v_add_f32_e32 v59, v10, v54
	v_min3_f32 v103, v59, v58, 0x7f7fffff
	v_add_f32_e32 v58, v7, v55
	v_add_f32_e32 v59, v6, v54
	v_add_f32_e32 v55, v3, v55
	v_add_f32_e32 v54, v2, v54
	v_min3_f32 v102, v59, v58, 0x7f7fffff
	v_min3_f32 v101, v54, v55, 0x7f7fffff
	v_add_f32_e32 v54, v35, v51
	v_add_f32_e32 v55, v34, v50
	v_min3_f32 v100, v55, v54, 0x7f7fffff
	v_add_f32_e32 v54, v31, v51
	v_add_f32_e32 v55, v30, v50
	v_min3_f32 v99, v55, v54, 0x7f7fffff
	v_add_f32_e32 v54, v27, v51
	v_add_f32_e32 v55, v26, v50
	v_min3_f32 v98, v55, v54, 0x7f7fffff
	v_add_f32_e32 v54, v19, v51
	v_add_f32_e32 v55, v18, v50
	v_min3_f32 v97, v55, v54, 0x7f7fffff
	v_add_f32_e32 v54, v15, v51
	v_add_f32_e32 v55, v14, v50
	v_min3_f32 v96, v55, v54, 0x7f7fffff
	v_add_f32_e32 v54, v11, v51
	v_add_f32_e32 v55, v10, v50
	v_min3_f32 v95, v55, v54, 0x7f7fffff
	v_add_f32_e32 v54, v7, v51
	;; [unrolled: 24-line block ×4, first 2 shown]
	v_add_f32_e32 v47, v6, v42
	v_add_f32_e32 v43, v3, v43
	;; [unrolled: 1-line block ×4, first 2 shown]
	v_min3_f32 v58, v47, v46, 0x7f7fffff
	v_min3_f32 v55, v42, v43, 0x7f7fffff
	v_add_f32_e32 v42, v35, v39
	v_add_f32_e32 v43, v34, v38
	;; [unrolled: 1-line block ×4, first 2 shown]
	v_min3_f32 v54, v43, v42, 0x7f7fffff
	v_add_f32_e32 v42, v31, v39
	v_add_f32_e32 v43, v30, v38
	v_min3_f32 v34, v34, v35, 0x7f7fffff
	v_add_f32_e32 v31, v31, v23
	v_add_f32_e32 v30, v30, v22
	;; [unrolled: 3-line block ×9, first 2 shown]
	v_add_f32_e32 v38, v2, v38
	v_add_f32_e32 v2, v2, v22
	v_min3_f32 v14, v14, v15, 0x7f7fffff
	v_add_f32_e32 v11, v11, v23
	v_min3_f32 v43, v43, v42, 0x7f7fffff
	v_add_f32_e32 v42, v7, v39
	v_add_f32_e32 v39, v3, v39
	v_add_f32_e32 v7, v7, v23
	v_add_f32_e32 v3, v3, v23
	v_add_f32_e32 v10, v10, v22
	v_min3_f32 v42, v79, v42, 0x7f7fffff
	v_min3_f32 v38, v38, v39, 0x7f7fffff
	;; [unrolled: 1-line block ×4, first 2 shown]
	v_add_f32_e32 v3, v37, v65
	v_add_f32_e32 v7, v36, v64
	v_min3_f32 v10, v10, v11, 0x7f7fffff
	v_min3_f32 v81, v7, v3, v75
	v_add_f32_e32 v3, v33, v65
	v_add_f32_e32 v7, v32, v64
	v_min3_f32 v79, v7, v3, v76
	v_add_f32_e32 v3, v29, v65
	v_add_f32_e32 v7, v28, v64
	;; [unrolled: 3-line block ×55, first 2 shown]
	v_add_f32_e32 v4, v4, v24
	v_min3_f32 v89, v7, v3, v38
	v_add_f32_e32 v3, v37, v25
	v_add_f32_e32 v7, v36, v24
	v_min3_f32 v88, v7, v3, v34
	v_add_f32_e32 v3, v33, v25
	;; [unrolled: 3-line block ×8, first 2 shown]
	v_min3_f32 v92, v4, v3, v2
	s_cbranch_scc1 .LBB26_59
; %bb.33:
	v_mad_i64_i32 v[2:3], null, s26, v68, 0
	v_lshlrev_b64 v[66:67], 2, v[66:67]
	v_add_nc_u32_e32 v123, 0x2000, v143
	v_or_b32_e32 v132, 0x2000, v73
	v_add_nc_u32_e32 v141, 0x2400, v143
	v_add_nc_u32_e32 v143, 0x1000, v74
	v_lshl_add_u32 v144, v0, 4, 0x2400
	v_lshlrev_b64 v[2:3], 2, v[2:3]
	s_mov_b32 s26, 0
	v_add_co_u32 v2, s6, v2, v142
	v_add_co_ci_u32_e64 v3, null, 0, v3, s6
	v_lshl_or_b32 v142, v1, 4, 0x1000
	v_add_co_u32 v2, s6, s18, v2
	v_add_co_ci_u32_e64 v3, null, s19, v3, s6
	s_add_i32 s18, s14, -8
	v_add_co_u32 v68, s6, v2, 48
	v_add_co_ci_u32_e64 v69, null, 0, v3, s6
	s_add_i32 s19, s14, -1
	s_branch .LBB26_35
.LBB26_34:                              ;   in Loop: Header=BB26_35 Depth=1
	s_or_b32 exec_lo, exec_lo, s7
	v_add_f32_e32 v150, v35, v63
	v_add_f32_e32 v151, v34, v62
	;; [unrolled: 1-line block ×6, first 2 shown]
	v_min3_f32 v81, v151, v150, v81
	v_add_f32_e32 v150, v23, v63
	v_min3_f32 v79, v153, v152, v79
	v_add_f32_e32 v151, v22, v62
	;; [unrolled: 2-line block ×3, first 2 shown]
	v_add_f32_e32 v153, v18, v62
	v_add_f32_e32 v154, v15, v63
	;; [unrolled: 1-line block ×7, first 2 shown]
	v_min3_f32 v75, v151, v150, v75
	v_min3_f32 v76, v153, v152, v76
	v_add_f32_e32 v150, v31, v59
	v_add_f32_e32 v151, v30, v58
	v_min3_f32 v62, v62, v63, v140
	v_add_f32_e32 v63, v35, v59
	v_add_f32_e32 v140, v34, v58
	;; [unrolled: 1-line block ×4, first 2 shown]
	v_min3_f32 v78, v155, v154, v78
	v_min3_f32 v80, v157, v156, v80
	v_add_f32_e32 v154, v23, v59
	v_add_f32_e32 v155, v22, v58
	;; [unrolled: 1-line block ×4, first 2 shown]
	v_min3_f32 v63, v140, v63, v139
	v_min3_f32 v138, v151, v150, v138
	;; [unrolled: 1-line block ×3, first 2 shown]
	v_add_f32_e32 v139, v15, v59
	v_add_f32_e32 v140, v14, v58
	;; [unrolled: 1-line block ×8, first 2 shown]
	v_min3_f32 v136, v155, v154, v136
	v_add_f32_e32 v154, v31, v55
	v_add_f32_e32 v155, v30, v54
	v_min3_f32 v134, v140, v139, v134
	v_min3_f32 v133, v151, v150, v133
	;; [unrolled: 1-line block ×4, first 2 shown]
	v_add_f32_e32 v130, v27, v55
	v_add_f32_e32 v131, v26, v54
	v_add_f32_e32 v139, v23, v55
	v_add_f32_e32 v140, v22, v54
	v_add_f32_e32 v150, v19, v55
	v_add_f32_e32 v151, v18, v54
	v_min3_f32 v129, v155, v154, v129
	v_add_f32_e32 v152, v15, v55
	v_add_f32_e32 v153, v14, v54
	;; [unrolled: 1-line block ×4, first 2 shown]
	v_min3_f32 v128, v131, v130, v128
	v_min3_f32 v127, v140, v139, v127
	;; [unrolled: 1-line block ×3, first 2 shown]
	v_add_f32_e32 v55, v3, v55
	v_add_f32_e32 v54, v2, v54
	;; [unrolled: 1-line block ×8, first 2 shown]
	v_min3_f32 v125, v153, v152, v125
	v_add_f32_e32 v152, v23, v51
	v_add_f32_e32 v153, v22, v50
	v_min3_f32 v54, v54, v55, v121
	v_min3_f32 v55, v131, v130, v122
	;; [unrolled: 1-line block ×4, first 2 shown]
	v_add_f32_e32 v121, v19, v51
	v_add_f32_e32 v122, v18, v50
	;; [unrolled: 1-line block ×10, first 2 shown]
	v_min3_f32 v117, v122, v121, v117
	v_min3_f32 v116, v131, v130, v116
	;; [unrolled: 1-line block ×3, first 2 shown]
	v_add_f32_e32 v114, v30, v46
	v_min3_f32 v51, v151, v150, v113
	v_add_f32_e32 v113, v31, v47
	v_add_f32_e32 v121, v27, v47
	;; [unrolled: 1-line block ×5, first 2 shown]
	v_min3_f32 v115, v140, v139, v115
	v_add_f32_e32 v139, v19, v47
	v_add_f32_e32 v140, v18, v46
	;; [unrolled: 1-line block ×4, first 2 shown]
	v_min3_f32 v112, v114, v113, v112
	v_min3_f32 v111, v122, v121, v111
	;; [unrolled: 1-line block ×3, first 2 shown]
	v_add_f32_e32 v113, v11, v47
	v_add_f32_e32 v114, v10, v46
	;; [unrolled: 1-line block ×8, first 2 shown]
	v_min3_f32 v109, v140, v139, v109
	v_add_f32_e32 v139, v27, v43
	v_add_f32_e32 v140, v26, v42
	v_min3_f32 v107, v114, v113, v107
	v_min3_f32 v46, v46, v47, v106
	;; [unrolled: 1-line block ×4, first 2 shown]
	v_add_f32_e32 v105, v23, v43
	v_add_f32_e32 v106, v22, v42
	;; [unrolled: 1-line block ×10, first 2 shown]
	v_min3_f32 v102, v106, v105, v102
	v_add_f32_e32 v105, v31, v39
	v_add_f32_e32 v106, v30, v38
	v_min3_f32 v101, v114, v113, v101
	v_min3_f32 v42, v42, v43, v98
	v_add_f32_e32 v43, v35, v39
	v_add_f32_e32 v98, v34, v38
	v_min3_f32 v100, v122, v121, v100
	v_min3_f32 v99, v131, v130, v99
	v_add_f32_e32 v113, v27, v39
	v_add_f32_e32 v114, v26, v38
	;; [unrolled: 1-line block ×6, first 2 shown]
	v_min3_f32 v43, v98, v43, v97
	v_min3_f32 v96, v106, v105, v96
	v_add_f32_e32 v97, v15, v39
	v_add_f32_e32 v98, v14, v38
	;; [unrolled: 1-line block ×20, first 2 shown]
	v_min3_f32 v30, v30, v31, v87
	v_min3_f32 v26, v26, v27, v86
	v_min3_f32 v22, v22, v23, v85
	v_min3_f32 v23, v18, v19, v84
	v_min3_f32 v27, v14, v15, v83
	v_min3_f32 v31, v10, v11, v82
	v_add_f32_e32 v3, v3, v7
	v_add_f32_e32 v2, v2, v6
	v_add_f32_e32 v6, v37, v65
	v_add_f32_e32 v7, v36, v64
	v_add_f32_e32 v10, v33, v65
	v_add_f32_e32 v11, v32, v64
	v_add_f32_e32 v14, v29, v65
	v_add_f32_e32 v15, v28, v64
	v_add_f32_e32 v18, v25, v65
	v_add_f32_e32 v19, v24, v64
	v_min3_f32 v34, v34, v35, v88
	v_min3_f32 v35, v2, v3, v92
	v_min3_f32 v81, v7, v6, v81
	v_min3_f32 v79, v11, v10, v79
	v_min3_f32 v77, v15, v14, v77
	v_min3_f32 v75, v19, v18, v75
	v_add_f32_e32 v2, v21, v65
	v_add_f32_e32 v3, v20, v64
	v_add_f32_e32 v6, v17, v65
	v_add_f32_e32 v7, v16, v64
	v_add_f32_e32 v10, v13, v65
	v_add_f32_e32 v11, v12, v64
	v_add_f32_e32 v14, v5, v65
	v_add_f32_e32 v15, v4, v64
	v_add_f32_e32 v18, v37, v61
	v_add_f32_e32 v19, v36, v60
	;; [unrolled: 16-line block ×3, first 2 shown]
	v_min3_f32 v84, v3, v2, v138
	v_min3_f32 v85, v7, v6, v137
	;; [unrolled: 1-line block ×5, first 2 shown]
	v_add_f32_e32 v2, v13, v61
	v_add_f32_e32 v3, v12, v60
	;; [unrolled: 1-line block ×10, first 2 shown]
	v_min3_f32 v124, v155, v154, v124
	v_min3_f32 v91, v98, v97, v91
	;; [unrolled: 1-line block ×9, first 2 shown]
	v_add_f32_e32 v2, v25, v57
	v_add_f32_e32 v3, v24, v56
	;; [unrolled: 1-line block ×10, first 2 shown]
	v_min3_f32 v118, v153, v152, v118
	v_min3_f32 v95, v114, v113, v95
	v_min3_f32 v94, v122, v121, v94
	v_min3_f32 v106, v3, v2, v127
	v_min3_f32 v113, v7, v6, v126
	v_min3_f32 v114, v11, v10, v125
	v_min3_f32 v121, v15, v14, v124
	v_min3_f32 v122, v19, v18, v54
	v_add_f32_e32 v2, v37, v53
	v_add_f32_e32 v3, v36, v52
	;; [unrolled: 1-line block ×10, first 2 shown]
	v_min3_f32 v124, v3, v2, v55
	v_min3_f32 v120, v7, v6, v120
	v_min3_f32 v119, v11, v10, v119
	v_min3_f32 v118, v15, v14, v118
	v_min3_f32 v117, v19, v18, v117
	v_add_f32_e32 v2, v17, v53
	v_add_f32_e32 v3, v16, v52
	v_add_f32_e32 v6, v13, v53
	v_add_f32_e32 v7, v12, v52
	v_add_f32_e32 v10, v5, v53
	v_add_f32_e32 v11, v4, v52
	v_add_f32_e32 v14, v37, v49
	v_add_f32_e32 v15, v36, v48
	v_add_f32_e32 v18, v33, v49
	v_add_f32_e32 v19, v32, v48
	v_min3_f32 v108, v151, v150, v108
	v_min3_f32 v116, v3, v2, v116
	v_min3_f32 v115, v7, v6, v115
	v_min3_f32 v125, v11, v10, v50
	v_min3_f32 v126, v15, v14, v51
	v_min3_f32 v112, v19, v18, v112
	v_add_f32_e32 v2, v29, v49
	v_add_f32_e32 v3, v28, v48
	v_add_f32_e32 v6, v25, v49
	v_add_f32_e32 v7, v24, v48
	v_add_f32_e32 v10, v21, v49
	v_add_f32_e32 v11, v20, v48
	v_add_f32_e32 v14, v17, v49
	v_add_f32_e32 v15, v16, v48
	v_add_f32_e32 v18, v13, v49
	v_add_f32_e32 v19, v12, v48
	v_min3_f32 v103, v140, v139, v103
	;; [unrolled: 16-line block ×3, first 2 shown]
	v_min3_f32 v128, v7, v6, v47
	v_min3_f32 v104, v11, v10, v104
	v_min3_f32 v103, v15, v14, v103
	v_min3_f32 v102, v19, v18, v102
	v_add_f32_e32 v2, v21, v45
	v_add_f32_e32 v3, v20, v44
	;; [unrolled: 1-line block ×10, first 2 shown]
	v_min3_f32 v93, v131, v130, v93
	v_min3_f32 v101, v3, v2, v101
	;; [unrolled: 1-line block ×6, first 2 shown]
	v_add_f32_e32 v2, v33, v41
	v_add_f32_e32 v3, v32, v40
	;; [unrolled: 1-line block ×10, first 2 shown]
	v_min3_f32 v96, v3, v2, v96
	v_min3_f32 v95, v7, v6, v95
	v_min3_f32 v94, v11, v10, v94
	v_min3_f32 v93, v15, v14, v93
	v_min3_f32 v91, v19, v18, v91
	v_add_f32_e32 v2, v13, v41
	v_add_f32_e32 v3, v12, v40
	;; [unrolled: 1-line block ×10, first 2 shown]
	v_min3_f32 v90, v3, v2, v90
	v_min3_f32 v131, v7, v6, v38
	;; [unrolled: 1-line block ×5, first 2 shown]
	v_add_f32_e32 v6, v25, v9
	v_add_f32_e32 v7, v24, v8
	;; [unrolled: 1-line block ×8, first 2 shown]
	ds_read_b128 v[10:13], v132
	ds_read_b128 v[14:17], v72
	v_add_f32_e32 v9, v5, v9
	ds_read_b128 v[18:21], v132 offset:128
	v_add_f32_e32 v8, v4, v8
	ds_read_b128 v[2:5], v132 offset:256
	v_min3_f32 v136, v7, v6, v22
	v_min3_f32 v137, v25, v24, v23
	;; [unrolled: 1-line block ×5, first 2 shown]
	ds_read_b128 v[6:9], v132 offset:384
	ds_read_b128 v[22:25], v132 offset:512
	;; [unrolled: 1-line block ×12, first 2 shown]
	v_add_co_u32 v68, s6, v68, 32
	v_add_co_ci_u32_e64 v69, null, 0, v69, s6
	s_add_i32 s26, s26, 8
	ds_write_b32 v141, v145
	ds_write2st64_b32 v143, v146, v147 offset1:4
	ds_write2st64_b32 v143, v148, v149 offset0:8 offset1:12
	s_cmp_ge_i32 s26, s18
	s_waitcnt lgkmcnt(0)
	v_add_f32_e32 v150, v11, v15
	v_add_f32_e32 v151, v10, v14
	;; [unrolled: 1-line block ×6, first 2 shown]
	v_min3_f32 v81, v151, v150, v81
	v_add_f32_e32 v150, v7, v15
	v_min3_f32 v79, v153, v152, v79
	v_add_f32_e32 v151, v6, v14
	;; [unrolled: 2-line block ×3, first 2 shown]
	v_add_f32_e32 v153, v22, v14
	v_add_f32_e32 v154, v27, v15
	v_add_f32_e32 v155, v26, v14
	v_add_f32_e32 v156, v31, v15
	v_add_f32_e32 v157, v30, v14
	v_add_f32_e32 v15, v35, v15
	v_add_f32_e32 v14, v34, v14
	v_min3_f32 v75, v151, v150, v75
	v_min3_f32 v76, v153, v152, v76
	v_min3_f32 v78, v155, v154, v78
	v_min3_f32 v80, v157, v156, v80
	v_min3_f32 v14, v14, v15, v82
	v_add_f32_e32 v15, v11, v39
	v_add_f32_e32 v82, v10, v38
	v_add_f32_e32 v150, v19, v39
	v_add_f32_e32 v151, v18, v38
	v_add_f32_e32 v152, v3, v39
	v_add_f32_e32 v153, v2, v38
	v_add_f32_e32 v154, v7, v39
	v_add_f32_e32 v155, v6, v38
	v_add_f32_e32 v156, v23, v39
	v_add_f32_e32 v157, v22, v38
	v_min3_f32 v15, v82, v15, v83
	v_min3_f32 v82, v151, v150, v84
	v_min3_f32 v83, v153, v152, v85
	v_min3_f32 v84, v155, v154, v86
	v_min3_f32 v85, v157, v156, v87
	v_add_f32_e32 v86, v27, v39
	v_add_f32_e32 v87, v26, v38
	v_add_f32_e32 v150, v31, v39
	;; [unrolled: 15-line block ×6, first 2 shown]
	v_add_f32_e32 v121, v2, v50
	v_add_f32_e32 v122, v7, v51
	;; [unrolled: 1-line block ×7, first 2 shown]
	v_min3_f32 v112, v119, v118, v112
	v_min3_f32 v111, v121, v120, v111
	;; [unrolled: 1-line block ×4, first 2 shown]
	v_add_f32_e32 v118, v31, v51
	v_add_f32_e32 v119, v30, v50
	;; [unrolled: 1-line block ×10, first 2 shown]
	v_min3_f32 v107, v119, v118, v107
	v_min3_f32 v50, v50, v51, v127
	;; [unrolled: 1-line block ×5, first 2 shown]
	v_add_f32_e32 v118, v7, v55
	v_add_f32_e32 v119, v6, v54
	;; [unrolled: 1-line block ×10, first 2 shown]
	v_min3_f32 v102, v119, v118, v102
	v_min3_f32 v101, v121, v120, v101
	v_min3_f32 v100, v124, v122, v100
	v_add_f32_e32 v118, v10, v58
	v_min3_f32 v54, v54, v55, v129
	v_add_f32_e32 v55, v11, v59
	v_add_f32_e32 v119, v19, v59
	;; [unrolled: 1-line block ×9, first 2 shown]
	v_min3_f32 v99, v126, v125, v99
	v_add_f32_e32 v124, v7, v59
	v_add_f32_e32 v125, v6, v58
	;; [unrolled: 1-line block ×4, first 2 shown]
	v_min3_f32 v55, v118, v55, v130
	v_min3_f32 v96, v120, v119, v96
	;; [unrolled: 1-line block ×3, first 2 shown]
	v_add_f32_e32 v118, v27, v59
	v_add_f32_e32 v119, v26, v58
	;; [unrolled: 1-line block ×6, first 2 shown]
	v_min3_f32 v10, v10, v11, v133
	v_min3_f32 v11, v18, v19, v134
	v_add_f32_e32 v3, v3, v63
	v_add_f32_e32 v2, v2, v62
	;; [unrolled: 1-line block ×10, first 2 shown]
	v_min3_f32 v58, v58, v59, v131
	v_min3_f32 v2, v2, v3, v135
	;; [unrolled: 1-line block ×6, first 2 shown]
	v_add_f32_e32 v19, v35, v63
	v_add_f32_e32 v22, v34, v62
	;; [unrolled: 1-line block ×10, first 2 shown]
	v_min3_f32 v19, v22, v19, v140
	v_min3_f32 v81, v26, v23, v81
	;; [unrolled: 1-line block ×5, first 2 shown]
	v_add_f32_e32 v22, v25, v17
	v_add_f32_e32 v23, v24, v16
	;; [unrolled: 1-line block ×10, first 2 shown]
	v_min3_f32 v76, v23, v22, v76
	v_min3_f32 v78, v27, v26, v78
	;; [unrolled: 1-line block ×3, first 2 shown]
	v_add_f32_e32 v14, v21, v41
	v_min3_f32 v139, v35, v34, v15
	v_add_f32_e32 v15, v20, v40
	v_add_f32_e32 v16, v5, v41
	;; [unrolled: 1-line block ×3, first 2 shown]
	v_min3_f32 v80, v31, v30, v80
	v_add_f32_e32 v22, v9, v41
	v_min3_f32 v138, v15, v14, v82
	v_add_f32_e32 v14, v33, v41
	v_add_f32_e32 v15, v32, v40
	v_add_f32_e32 v23, v8, v40
	v_add_f32_e32 v26, v25, v41
	v_add_f32_e32 v27, v24, v40
	v_add_f32_e32 v30, v29, v41
	v_add_f32_e32 v31, v28, v40
	v_min3_f32 v137, v17, v16, v83
	v_add_f32_e32 v16, v37, v41
	v_add_f32_e32 v17, v36, v40
	v_min3_f32 v133, v15, v14, v87
	v_add_f32_e32 v14, v9, v45
	v_add_f32_e32 v15, v8, v44
	v_min3_f32 v93, v127, v126, v93
	v_min3_f32 v136, v23, v22, v84
	;; [unrolled: 1-line block ×4, first 2 shown]
	v_add_f32_e32 v22, v13, v45
	v_add_f32_e32 v23, v12, v44
	;; [unrolled: 1-line block ×6, first 2 shown]
	v_min3_f32 v131, v17, v16, v38
	v_add_f32_e32 v16, v25, v45
	v_add_f32_e32 v17, v24, v44
	v_min3_f32 v127, v15, v14, v92
	v_add_f32_e32 v14, v13, v49
	v_add_f32_e32 v15, v12, v48
	v_min3_f32 v130, v23, v22, v39
	v_min3_f32 v129, v27, v26, v88
	;; [unrolled: 1-line block ×3, first 2 shown]
	v_add_f32_e32 v22, v29, v45
	v_add_f32_e32 v23, v28, v44
	;; [unrolled: 1-line block ×6, first 2 shown]
	v_min3_f32 v126, v17, v16, v97
	v_add_f32_e32 v16, v21, v49
	v_add_f32_e32 v17, v20, v48
	v_min3_f32 v122, v15, v14, v43
	v_add_f32_e32 v14, v29, v49
	v_add_f32_e32 v15, v28, v48
	v_min3_f32 v94, v125, v124, v94
	v_min3_f32 v90, v121, v120, v90
	;; [unrolled: 1-line block ×5, first 2 shown]
	v_add_f32_e32 v22, v5, v49
	v_add_f32_e32 v23, v4, v48
	;; [unrolled: 1-line block ×6, first 2 shown]
	v_min3_f32 v120, v17, v16, v106
	v_add_f32_e32 v16, v33, v49
	v_add_f32_e32 v17, v32, v48
	v_min3_f32 v116, v15, v14, v116
	v_add_f32_e32 v14, v5, v53
	v_add_f32_e32 v15, v4, v52
	v_min3_f32 v91, v119, v118, v91
	v_min3_f32 v119, v23, v22, v113
	;; [unrolled: 1-line block ×4, first 2 shown]
	v_add_f32_e32 v22, v37, v49
	v_add_f32_e32 v23, v36, v48
	;; [unrolled: 1-line block ×6, first 2 shown]
	v_min3_f32 v115, v17, v16, v115
	v_add_f32_e32 v16, v9, v53
	v_add_f32_e32 v17, v8, v52
	v_min3_f32 v111, v15, v14, v111
	v_add_f32_e32 v14, v37, v53
	v_add_f32_e32 v15, v36, v52
	v_min3_f32 v108, v151, v150, v108
	v_min3_f32 v114, v23, v22, v46
	;; [unrolled: 1-line block ×4, first 2 shown]
	v_add_f32_e32 v22, v25, v53
	v_add_f32_e32 v23, v24, v52
	;; [unrolled: 1-line block ×6, first 2 shown]
	v_min3_f32 v110, v17, v16, v110
	v_add_f32_e32 v16, v13, v57
	v_add_f32_e32 v17, v12, v56
	v_min3_f32 v106, v15, v14, v50
	v_add_f32_e32 v14, v25, v57
	v_add_f32_e32 v15, v24, v56
	v_min3_f32 v109, v23, v22, v109
	v_min3_f32 v108, v27, v26, v108
	;; [unrolled: 1-line block ×3, first 2 shown]
	v_add_f32_e32 v22, v21, v57
	v_add_f32_e32 v23, v20, v56
	;; [unrolled: 1-line block ×6, first 2 shown]
	v_min3_f32 v105, v17, v16, v51
	v_add_f32_e32 v16, v29, v57
	v_add_f32_e32 v17, v28, v56
	v_min3_f32 v101, v15, v14, v101
	v_add_f32_e32 v14, v21, v61
	v_add_f32_e32 v15, v20, v60
	v_min3_f32 v104, v23, v22, v104
	v_min3_f32 v103, v27, v26, v103
	;; [unrolled: 1-line block ×3, first 2 shown]
	v_add_f32_e32 v22, v33, v57
	v_add_f32_e32 v23, v32, v56
	;; [unrolled: 1-line block ×6, first 2 shown]
	v_min3_f32 v100, v17, v16, v100
	v_add_f32_e32 v16, v5, v61
	v_add_f32_e32 v17, v4, v60
	v_min3_f32 v96, v15, v14, v96
	v_add_f32_e32 v14, v33, v61
	v_add_f32_e32 v15, v32, v60
	;; [unrolled: 1-line block ×8, first 2 shown]
	v_min3_f32 v99, v23, v22, v99
	v_min3_f32 v98, v27, v26, v54
	;; [unrolled: 1-line block ×3, first 2 shown]
	v_add_f32_e32 v22, v9, v61
	v_add_f32_e32 v23, v8, v60
	;; [unrolled: 1-line block ×6, first 2 shown]
	v_min3_f32 v95, v17, v16, v95
	v_add_f32_e32 v16, v37, v61
	v_add_f32_e32 v17, v36, v60
	v_min3_f32 v90, v15, v14, v90
	v_min3_f32 v88, v12, v13, v10
	;; [unrolled: 1-line block ×4, first 2 shown]
	v_add_f32_e32 v2, v9, v65
	v_add_f32_e32 v4, v8, v64
	;; [unrolled: 1-line block ×10, first 2 shown]
	v_min3_f32 v94, v23, v22, v94
	v_min3_f32 v93, v27, v26, v93
	;; [unrolled: 1-line block ×9, first 2 shown]
	s_barrier
	buffer_gl0_inv
	s_cbranch_scc1 .LBB26_59
.LBB26_35:                              ; =>This Inner Loop Header: Depth=1
	v_add_nc_u32_e32 v145, s26, v70
                                        ; implicit-def: $vgpr147
	v_add_nc_u32_e32 v2, 8, v145
	v_cmp_le_i32_e64 s6, s14, v2
	s_or_b32 s7, s6, vcc_lo
	s_nor_b32 s6, s24, s7
	s_and_saveexec_b32 s27, s6
	s_xor_b32 s27, exec_lo, s27
	s_cbranch_execz .LBB26_37
; %bb.36:                               ;   in Loop: Header=BB26_35 Depth=1
	v_add_co_u32 v2, s6, -16, v68
	v_add_co_ci_u32_e64 v3, null, -1, v69, s6
	flat_load_dword v2, v[2:3]
	s_waitcnt vmcnt(0) lgkmcnt(0)
	v_mul_f32_e32 v147, s15, v2
.LBB26_37:                              ;   in Loop: Header=BB26_35 Depth=1
	s_andn2_saveexec_b32 s6, s27
; %bb.38:                               ;   in Loop: Header=BB26_35 Depth=1
	v_cndmask_b32_e64 v147, 0, 0x7f7fffff, s7
; %bb.39:                               ;   in Loop: Header=BB26_35 Depth=1
	s_or_b32 exec_lo, exec_lo, s6
	v_add_nc_u32_e32 v146, s26, v71
	v_add_nc_u32_e32 v4, 8, v146
	v_min_i32_e32 v2, s19, v4
	v_cmp_le_i32_e64 s6, s14, v4
	v_mad_i64_i32 v[2:3], null, v2, s25, 0
	v_lshlrev_b64 v[2:3], 2, v[2:3]
	v_add_co_u32 v2, s7, s8, v2
	v_add_co_ci_u32_e64 v3, null, s9, v3, s7
	s_or_b32 s7, s0, s6
	v_cndmask_b32_e64 v148, 0, 0x7f7fffff, s7
	s_nor_b32 s7, s24, s7
	s_and_saveexec_b32 s27, s7
	s_cbranch_execz .LBB26_41
; %bb.40:                               ;   in Loop: Header=BB26_35 Depth=1
	v_add_co_u32 v4, s7, v2, v66
	v_add_co_ci_u32_e64 v5, null, v3, v67, s7
	flat_load_dword v4, v[4:5]
	s_waitcnt vmcnt(0) lgkmcnt(0)
	v_mul_f32_e32 v148, s15, v4
.LBB26_41:                              ;   in Loop: Header=BB26_35 Depth=1
	s_or_b32 exec_lo, exec_lo, s27
	s_or_b32 s7, s1, s6
	v_cndmask_b32_e64 v149, 0, 0x7f7fffff, s7
	s_nor_b32 s7, s24, s7
	s_and_saveexec_b32 s27, s7
	s_cbranch_execz .LBB26_43
; %bb.42:                               ;   in Loop: Header=BB26_35 Depth=1
	v_add_co_u32 v4, s7, v2, v66
	v_add_co_ci_u32_e64 v5, null, v3, v67, s7
	flat_load_dword v4, v[4:5] offset:256
	s_waitcnt vmcnt(0) lgkmcnt(0)
	v_mul_f32_e32 v149, s15, v4
.LBB26_43:                              ;   in Loop: Header=BB26_35 Depth=1
	s_or_b32 exec_lo, exec_lo, s27
	s_or_b32 s7, s2, s6
	v_cndmask_b32_e64 v150, 0, 0x7f7fffff, s7
	s_nor_b32 s7, s24, s7
	s_and_saveexec_b32 s27, s7
	s_cbranch_execz .LBB26_45
; %bb.44:                               ;   in Loop: Header=BB26_35 Depth=1
	v_add_co_u32 v4, s7, v2, v66
	v_add_co_ci_u32_e64 v5, null, v3, v67, s7
	flat_load_dword v4, v[4:5] offset:512
	s_waitcnt vmcnt(0) lgkmcnt(0)
	v_mul_f32_e32 v150, s15, v4
.LBB26_45:                              ;   in Loop: Header=BB26_35 Depth=1
	;; [unrolled: 13-line block ×3, first 2 shown]
	s_or_b32 exec_lo, exec_lo, s7
	ds_read_b128 v[34:37], v144
	ds_read_b128 v[30:33], v144 offset:128
	ds_read_b128 v[26:29], v144 offset:256
	;; [unrolled: 1-line block ×7, first 2 shown]
	ds_read_b128 v[62:65], v142
	ds_read_b128 v[58:61], v142 offset:512
	ds_read_b128 v[54:57], v142 offset:1024
	ds_read_b128 v[50:53], v142 offset:1536
	ds_read_b128 v[46:49], v142 offset:2048
	ds_read_b128 v[42:45], v142 offset:2560
	ds_read_b128 v[38:41], v142 offset:3072
	ds_read_b128 v[6:9], v142 offset:3584
	v_add_nc_u32_e32 v145, 12, v145
	ds_write_b32 v123, v147
	ds_write2st64_b32 v74, v148, v149 offset1:4
	ds_write2st64_b32 v74, v150, v151 offset0:8 offset1:12
	s_waitcnt lgkmcnt(0)
	s_barrier
	buffer_gl0_inv
	v_cmp_le_i32_e64 s6, s14, v145
                                        ; implicit-def: $vgpr145
	s_or_b32 s6, s6, vcc_lo
	s_nor_b32 s7, s24, s6
	s_and_saveexec_b32 s27, s7
	s_xor_b32 s7, exec_lo, s27
	s_cbranch_execz .LBB26_49
; %bb.48:                               ;   in Loop: Header=BB26_35 Depth=1
	flat_load_dword v145, v[68:69]
	s_waitcnt vmcnt(0) lgkmcnt(0)
	v_mul_f32_e32 v145, s15, v145
.LBB26_49:                              ;   in Loop: Header=BB26_35 Depth=1
	s_andn2_saveexec_b32 s7, s7
; %bb.50:                               ;   in Loop: Header=BB26_35 Depth=1
	v_cndmask_b32_e64 v145, 0, 0x7f7fffff, s6
; %bb.51:                               ;   in Loop: Header=BB26_35 Depth=1
	s_or_b32 exec_lo, exec_lo, s7
	v_add_nc_u32_e32 v148, 12, v146
	v_min_i32_e32 v146, s19, v148
	v_cmp_le_i32_e64 s6, s14, v148
	v_mad_i64_i32 v[146:147], null, v146, s25, 0
	v_lshlrev_b64 v[146:147], 2, v[146:147]
	v_add_co_u32 v150, s7, s8, v146
	v_add_co_ci_u32_e64 v151, null, s9, v147, s7
	s_or_b32 s7, s0, s6
	v_cndmask_b32_e64 v146, 0, 0x7f7fffff, s7
	s_nor_b32 s7, s24, s7
	s_and_saveexec_b32 s27, s7
	s_cbranch_execz .LBB26_53
; %bb.52:                               ;   in Loop: Header=BB26_35 Depth=1
	v_add_co_u32 v146, s7, v150, v66
	v_add_co_ci_u32_e64 v147, null, v151, v67, s7
	flat_load_dword v146, v[146:147]
	s_waitcnt vmcnt(0) lgkmcnt(0)
	v_mul_f32_e32 v146, s15, v146
.LBB26_53:                              ;   in Loop: Header=BB26_35 Depth=1
	s_or_b32 exec_lo, exec_lo, s27
	s_or_b32 s7, s1, s6
	v_cndmask_b32_e64 v147, 0, 0x7f7fffff, s7
	s_nor_b32 s7, s24, s7
	s_and_saveexec_b32 s27, s7
	s_cbranch_execz .LBB26_55
; %bb.54:                               ;   in Loop: Header=BB26_35 Depth=1
	v_add_co_u32 v147, s7, v150, v66
	v_add_co_ci_u32_e64 v148, null, v151, v67, s7
	flat_load_dword v147, v[147:148] offset:256
	s_waitcnt vmcnt(0) lgkmcnt(0)
	v_mul_f32_e32 v147, s15, v147
.LBB26_55:                              ;   in Loop: Header=BB26_35 Depth=1
	s_or_b32 exec_lo, exec_lo, s27
	s_or_b32 s7, s2, s6
	v_cndmask_b32_e64 v148, 0, 0x7f7fffff, s7
	s_nor_b32 s7, s24, s7
	s_and_saveexec_b32 s27, s7
	s_cbranch_execz .LBB26_57
; %bb.56:                               ;   in Loop: Header=BB26_35 Depth=1
	v_add_co_u32 v148, s7, v150, v66
	v_add_co_ci_u32_e64 v149, null, v151, v67, s7
	flat_load_dword v148, v[148:149] offset:512
	s_waitcnt vmcnt(0) lgkmcnt(0)
	v_mul_f32_e32 v148, s15, v148
.LBB26_57:                              ;   in Loop: Header=BB26_35 Depth=1
	s_or_b32 exec_lo, exec_lo, s27
	s_or_b32 s6, s3, s6
	v_cndmask_b32_e64 v149, 0, 0x7f7fffff, s6
	s_nor_b32 s6, s24, s6
	s_and_saveexec_b32 s7, s6
	s_cbranch_execz .LBB26_34
; %bb.58:                               ;   in Loop: Header=BB26_35 Depth=1
	v_add_co_u32 v149, s6, v150, v66
	v_add_co_ci_u32_e64 v150, null, v151, v67, s6
	flat_load_dword v149, v[149:150] offset:768
	s_waitcnt vmcnt(0) lgkmcnt(0)
	v_mul_f32_e32 v149, s15, v149
	s_branch .LBB26_34
.LBB26_59:
	s_clause 0x2
	s_load_dword s14, s[4:5], 0x50
	s_load_dword s9, s[4:5], 0x68
	s_load_dwordx2 s[0:1], s[4:5], 0x70
	v_add_nc_u32_e32 v132, s21, v1
	ds_read_b128 v[34:37], v73 offset:9216
	ds_read_b128 v[30:33], v73 offset:9344
	ds_read_b128 v[26:29], v73 offset:9472
	ds_read_b128 v[22:25], v73 offset:9600
	ds_read_b128 v[18:21], v73 offset:9728
	ds_read_b128 v[14:17], v73 offset:9856
	ds_read_b128 v[10:13], v73 offset:9984
	ds_read_b128 v[2:5], v73 offset:10112
	ds_read_b128 v[62:65], v72 offset:4096
	ds_read_b128 v[58:61], v72 offset:4608
	ds_read_b128 v[54:57], v72 offset:5120
	ds_read_b128 v[50:53], v72 offset:5632
	ds_read_b128 v[46:49], v72 offset:6144
	ds_read_b128 v[42:45], v72 offset:6656
	ds_read_b128 v[38:41], v72 offset:7168
	ds_read_b128 v[6:9], v72 offset:7680
	v_add_nc_u32_e32 v0, s20, v0
	v_cmp_gt_i32_e64 s8, s13, v132
	v_cndmask_b32_e64 v123, 0, 1, s23
	v_ashrrev_i32_e32 v1, 31, v0
	s_waitcnt lgkmcnt(0)
	v_mad_i64_i32 v[66:67], null, v132, s14, 0
	v_mad_i64_i32 v[68:69], null, v132, s9, 0
	s_lshl_b64 s[0:1], s[0:1], 2
	s_add_u32 s15, s16, s0
	s_addc_u32 s16, s17, s1
	v_lshlrev_b64 v[66:67], 2, v[66:67]
	v_cmp_gt_i32_e64 s0, s12, v0
	v_lshlrev_b64 v[68:69], 2, v[68:69]
	s_and_b32 s2, s0, s8
	v_add_co_u32 v143, vcc_lo, s10, v66
	v_add_co_ci_u32_e64 v144, null, s11, v67, vcc_lo
	v_add_co_u32 v141, vcc_lo, s15, v68
	v_add_co_ci_u32_e64 v142, null, s16, v69, vcc_lo
	s_and_saveexec_b32 s1, s2
	s_cbranch_execz .LBB26_64
; %bb.60:
	v_lshlrev_b64 v[66:67], 2, v[0:1]
	s_andn2_b32 vcc_lo, exec_lo, s23
	s_cbranch_vccnz .LBB26_62
; %bb.61:
	v_add_co_u32 v68, vcc_lo, v143, v66
	v_add_co_ci_u32_e64 v69, null, v144, v67, vcc_lo
	flat_load_dword v68, v[68:69]
	s_waitcnt vmcnt(0) lgkmcnt(0)
	v_mul_f32_e32 v68, s22, v68
	s_branch .LBB26_63
.LBB26_62:
	v_mov_b32_e32 v68, 0
.LBB26_63:
	v_add_f32_e32 v69, v35, v63
	v_add_f32_e32 v70, v34, v62
	;; [unrolled: 1-line block ×4, first 2 shown]
	v_add_co_u32 v66, vcc_lo, v141, v66
	v_min3_f32 v69, v70, v69, v81
	v_add_co_ci_u32_e64 v67, null, v142, v67, vcc_lo
	v_min_f32_e32 v70, v72, v71
	v_min3_f32 v68, v68, v70, v69
	flat_store_dword v[66:67], v68
.LBB26_64:
	s_or_b32 exec_lo, exec_lo, s1
	v_add_nc_u32_e32 v66, 8, v0
	v_cmp_gt_i32_e64 s1, s12, v66
	v_ashrrev_i32_e32 v67, 31, v66
	s_and_b32 s3, s1, s8
	s_and_saveexec_b32 s2, s3
	s_cbranch_execz .LBB26_69
; %bb.65:
	v_cmp_ne_u32_e32 vcc_lo, 1, v123
	v_lshlrev_b64 v[68:69], 2, v[66:67]
	s_cbranch_vccnz .LBB26_67
; %bb.66:
	v_add_co_u32 v70, vcc_lo, v143, v68
	v_add_co_ci_u32_e64 v71, null, v144, v69, vcc_lo
	flat_load_dword v70, v[70:71]
	s_waitcnt vmcnt(0) lgkmcnt(0)
	v_mul_f32_e32 v70, s22, v70
	s_branch .LBB26_68
.LBB26_67:
	v_mov_b32_e32 v70, 0
.LBB26_68:
	v_add_f32_e32 v71, v31, v63
	v_add_f32_e32 v72, v30, v62
	v_add_f32_e32 v73, v33, v65
	v_add_f32_e32 v74, v32, v64
	v_add_co_u32 v68, vcc_lo, v141, v68
	v_min3_f32 v71, v72, v71, v79
	v_add_co_ci_u32_e64 v69, null, v142, v69, vcc_lo
	v_min_f32_e32 v72, v74, v73
	v_min3_f32 v70, v70, v72, v71
	flat_store_dword v[68:69], v70
.LBB26_69:
	s_or_b32 exec_lo, exec_lo, s2
	v_add_nc_u32_e32 v68, 16, v0
	v_cmp_gt_i32_e64 s2, s12, v68
	v_ashrrev_i32_e32 v69, 31, v68
	s_and_b32 s4, s2, s8
	s_and_saveexec_b32 s3, s4
	s_cbranch_execz .LBB26_74
; %bb.70:
	v_cmp_ne_u32_e32 vcc_lo, 1, v123
	v_lshlrev_b64 v[70:71], 2, v[68:69]
	s_cbranch_vccnz .LBB26_72
; %bb.71:
	v_add_co_u32 v72, vcc_lo, v143, v70
	v_add_co_ci_u32_e64 v73, null, v144, v71, vcc_lo
	flat_load_dword v72, v[72:73]
	s_waitcnt vmcnt(0) lgkmcnt(0)
	v_mul_f32_e32 v72, s22, v72
	s_branch .LBB26_73
.LBB26_72:
	v_mov_b32_e32 v72, 0
.LBB26_73:
	v_add_f32_e32 v73, v27, v63
	v_add_f32_e32 v74, v26, v62
	v_add_f32_e32 v79, v29, v65
	v_add_f32_e32 v81, v28, v64
	v_add_co_u32 v70, vcc_lo, v141, v70
	v_min3_f32 v73, v74, v73, v77
	v_add_co_ci_u32_e64 v71, null, v142, v71, vcc_lo
	v_min_f32_e32 v74, v81, v79
	v_min3_f32 v72, v72, v74, v73
	flat_store_dword v[70:71], v72
.LBB26_74:
	;; [unrolled: 32-line block ×6, first 2 shown]
	s_or_b32 exec_lo, exec_lo, s7
	v_add_nc_u32_e32 v78, 56, v0
	v_cmp_gt_i32_e64 s7, s12, v78
	v_ashrrev_i32_e32 v79, 31, v78
	s_and_b32 s12, s7, s8
	s_and_saveexec_b32 s8, s12
	s_cbranch_execz .LBB26_99
; %bb.95:
	v_cmp_ne_u32_e32 vcc_lo, 1, v123
	v_lshlrev_b64 v[80:81], 2, v[78:79]
	s_cbranch_vccnz .LBB26_97
; %bb.96:
	v_add_co_u32 v143, vcc_lo, v143, v80
	v_add_co_ci_u32_e64 v144, null, v144, v81, vcc_lo
	flat_load_dword v143, v[143:144]
	s_waitcnt vmcnt(0) lgkmcnt(0)
	v_mul_f32_e32 v143, s22, v143
	s_branch .LBB26_98
.LBB26_97:
	v_mov_b32_e32 v143, 0
.LBB26_98:
	v_add_f32_e32 v63, v3, v63
	v_add_f32_e32 v62, v2, v62
	;; [unrolled: 1-line block ×4, first 2 shown]
	v_min3_f32 v62, v62, v63, v140
	v_min_f32_e32 v63, v64, v65
	v_min3_f32 v64, v143, v63, v62
	v_add_co_u32 v62, vcc_lo, v141, v80
	v_add_co_ci_u32_e64 v63, null, v142, v81, vcc_lo
	flat_store_dword v[62:63], v64
.LBB26_99:
	s_or_b32 exec_lo, exec_lo, s8
	v_add_nc_u32_e32 v80, 32, v132
	v_mad_i64_i32 v[62:63], null, v80, s14, 0
	v_mad_i64_i32 v[64:65], null, v80, s9, 0
	v_cmp_gt_i32_e64 s8, s13, v80
	v_lshlrev_b64 v[62:63], 2, v[62:63]
	s_and_b32 s17, s0, s8
	v_lshlrev_b64 v[64:65], 2, v[64:65]
	v_add_co_u32 v80, vcc_lo, s10, v62
	v_add_co_ci_u32_e64 v81, null, s11, v63, vcc_lo
	v_add_co_u32 v64, vcc_lo, s15, v64
	v_add_co_ci_u32_e64 v65, null, s16, v65, vcc_lo
	s_and_saveexec_b32 s12, s17
	s_cbranch_execnz .LBB26_107
; %bb.100:
	s_or_b32 exec_lo, exec_lo, s12
	s_and_b32 s17, s1, s8
	s_and_saveexec_b32 s12, s17
	s_cbranch_execnz .LBB26_111
.LBB26_101:
	s_or_b32 exec_lo, exec_lo, s12
	s_and_b32 s17, s2, s8
	s_and_saveexec_b32 s12, s17
	s_cbranch_execnz .LBB26_115
.LBB26_102:
	s_or_b32 exec_lo, exec_lo, s12
	s_and_b32 s17, s3, s8
	s_and_saveexec_b32 s12, s17
	s_cbranch_execnz .LBB26_119
.LBB26_103:
	s_or_b32 exec_lo, exec_lo, s12
	s_and_b32 s17, s4, s8
	s_and_saveexec_b32 s12, s17
	s_cbranch_execnz .LBB26_123
.LBB26_104:
	s_or_b32 exec_lo, exec_lo, s12
	s_and_b32 s17, s5, s8
	s_and_saveexec_b32 s12, s17
	s_cbranch_execnz .LBB26_127
.LBB26_105:
	s_or_b32 exec_lo, exec_lo, s12
	s_and_b32 s17, s6, s8
	s_and_saveexec_b32 s12, s17
	s_cbranch_execnz .LBB26_131
.LBB26_106:
	s_or_b32 exec_lo, exec_lo, s12
	s_and_b32 s12, s7, s8
	s_and_saveexec_b32 s8, s12
	s_cbranch_execnz .LBB26_135
	s_branch .LBB26_139
.LBB26_107:
	v_cmp_ne_u32_e32 vcc_lo, 1, v123
	v_lshlrev_b64 v[62:63], 2, v[0:1]
	s_cbranch_vccnz .LBB26_109
; %bb.108:
	v_add_co_u32 v140, vcc_lo, v80, v62
	v_add_co_ci_u32_e64 v141, null, v81, v63, vcc_lo
	flat_load_dword v140, v[140:141]
	s_waitcnt vmcnt(0) lgkmcnt(0)
	v_mul_f32_e32 v140, s22, v140
	s_branch .LBB26_110
.LBB26_109:
	v_mov_b32_e32 v140, 0
.LBB26_110:
	v_add_f32_e32 v141, v35, v59
	v_add_f32_e32 v142, v34, v58
	;; [unrolled: 1-line block ×4, first 2 shown]
	v_add_co_u32 v62, vcc_lo, v64, v62
	v_min3_f32 v139, v142, v141, v139
	v_add_co_ci_u32_e64 v63, null, v65, v63, vcc_lo
	v_min_f32_e32 v141, v144, v143
	v_min3_f32 v139, v140, v141, v139
	flat_store_dword v[62:63], v139
	s_or_b32 exec_lo, exec_lo, s12
	s_and_b32 s17, s1, s8
	s_and_saveexec_b32 s12, s17
	s_cbranch_execz .LBB26_101
.LBB26_111:
	v_cmp_ne_u32_e32 vcc_lo, 1, v123
	v_lshlrev_b64 v[62:63], 2, v[66:67]
	s_cbranch_vccnz .LBB26_113
; %bb.112:
	v_add_co_u32 v139, vcc_lo, v80, v62
	v_add_co_ci_u32_e64 v140, null, v81, v63, vcc_lo
	flat_load_dword v139, v[139:140]
	s_waitcnt vmcnt(0) lgkmcnt(0)
	v_mul_f32_e32 v139, s22, v139
	s_branch .LBB26_114
.LBB26_113:
	v_mov_b32_e32 v139, 0
.LBB26_114:
	v_add_f32_e32 v140, v31, v59
	v_add_f32_e32 v141, v30, v58
	;; [unrolled: 1-line block ×4, first 2 shown]
	v_add_co_u32 v62, vcc_lo, v64, v62
	v_min3_f32 v138, v141, v140, v138
	v_add_co_ci_u32_e64 v63, null, v65, v63, vcc_lo
	v_min_f32_e32 v140, v143, v142
	v_min3_f32 v138, v139, v140, v138
	flat_store_dword v[62:63], v138
	s_or_b32 exec_lo, exec_lo, s12
	s_and_b32 s17, s2, s8
	s_and_saveexec_b32 s12, s17
	s_cbranch_execz .LBB26_102
.LBB26_115:
	v_cmp_ne_u32_e32 vcc_lo, 1, v123
	v_lshlrev_b64 v[62:63], 2, v[68:69]
	s_cbranch_vccnz .LBB26_117
; %bb.116:
	v_add_co_u32 v138, vcc_lo, v80, v62
	v_add_co_ci_u32_e64 v139, null, v81, v63, vcc_lo
	flat_load_dword v138, v[138:139]
	s_waitcnt vmcnt(0) lgkmcnt(0)
	v_mul_f32_e32 v138, s22, v138
	s_branch .LBB26_118
.LBB26_117:
	v_mov_b32_e32 v138, 0
.LBB26_118:
	v_add_f32_e32 v139, v27, v59
	v_add_f32_e32 v140, v26, v58
	;; [unrolled: 1-line block ×4, first 2 shown]
	v_add_co_u32 v62, vcc_lo, v64, v62
	v_min3_f32 v137, v140, v139, v137
	v_add_co_ci_u32_e64 v63, null, v65, v63, vcc_lo
	v_min_f32_e32 v139, v142, v141
	v_min3_f32 v137, v138, v139, v137
	flat_store_dword v[62:63], v137
	s_or_b32 exec_lo, exec_lo, s12
	s_and_b32 s17, s3, s8
	s_and_saveexec_b32 s12, s17
	s_cbranch_execz .LBB26_103
.LBB26_119:
	v_cmp_ne_u32_e32 vcc_lo, 1, v123
	v_lshlrev_b64 v[62:63], 2, v[70:71]
	s_cbranch_vccnz .LBB26_121
; %bb.120:
	v_add_co_u32 v137, vcc_lo, v80, v62
	v_add_co_ci_u32_e64 v138, null, v81, v63, vcc_lo
	flat_load_dword v137, v[137:138]
	s_waitcnt vmcnt(0) lgkmcnt(0)
	v_mul_f32_e32 v137, s22, v137
	s_branch .LBB26_122
.LBB26_121:
	v_mov_b32_e32 v137, 0
.LBB26_122:
	v_add_f32_e32 v138, v23, v59
	v_add_f32_e32 v139, v22, v58
	;; [unrolled: 1-line block ×4, first 2 shown]
	v_add_co_u32 v62, vcc_lo, v64, v62
	v_min3_f32 v136, v139, v138, v136
	v_add_co_ci_u32_e64 v63, null, v65, v63, vcc_lo
	v_min_f32_e32 v138, v141, v140
	v_min3_f32 v136, v137, v138, v136
	flat_store_dword v[62:63], v136
	s_or_b32 exec_lo, exec_lo, s12
	s_and_b32 s17, s4, s8
	s_and_saveexec_b32 s12, s17
	s_cbranch_execz .LBB26_104
.LBB26_123:
	v_cmp_ne_u32_e32 vcc_lo, 1, v123
	v_lshlrev_b64 v[62:63], 2, v[72:73]
	s_cbranch_vccnz .LBB26_125
; %bb.124:
	v_add_co_u32 v136, vcc_lo, v80, v62
	v_add_co_ci_u32_e64 v137, null, v81, v63, vcc_lo
	flat_load_dword v136, v[136:137]
	s_waitcnt vmcnt(0) lgkmcnt(0)
	v_mul_f32_e32 v136, s22, v136
	s_branch .LBB26_126
.LBB26_125:
	v_mov_b32_e32 v136, 0
.LBB26_126:
	v_add_f32_e32 v137, v19, v59
	v_add_f32_e32 v138, v18, v58
	;; [unrolled: 1-line block ×4, first 2 shown]
	v_add_co_u32 v62, vcc_lo, v64, v62
	v_min3_f32 v135, v138, v137, v135
	v_add_co_ci_u32_e64 v63, null, v65, v63, vcc_lo
	v_min_f32_e32 v137, v140, v139
	v_min3_f32 v135, v136, v137, v135
	flat_store_dword v[62:63], v135
	s_or_b32 exec_lo, exec_lo, s12
	s_and_b32 s17, s5, s8
	s_and_saveexec_b32 s12, s17
	s_cbranch_execz .LBB26_105
.LBB26_127:
	v_cmp_ne_u32_e32 vcc_lo, 1, v123
	v_lshlrev_b64 v[62:63], 2, v[74:75]
	s_cbranch_vccnz .LBB26_129
; %bb.128:
	v_add_co_u32 v135, vcc_lo, v80, v62
	v_add_co_ci_u32_e64 v136, null, v81, v63, vcc_lo
	flat_load_dword v135, v[135:136]
	s_waitcnt vmcnt(0) lgkmcnt(0)
	v_mul_f32_e32 v135, s22, v135
	s_branch .LBB26_130
.LBB26_129:
	v_mov_b32_e32 v135, 0
.LBB26_130:
	v_add_f32_e32 v136, v15, v59
	v_add_f32_e32 v137, v14, v58
	;; [unrolled: 1-line block ×4, first 2 shown]
	v_add_co_u32 v62, vcc_lo, v64, v62
	v_min3_f32 v134, v137, v136, v134
	v_add_co_ci_u32_e64 v63, null, v65, v63, vcc_lo
	v_min_f32_e32 v136, v139, v138
	v_min3_f32 v134, v135, v136, v134
	flat_store_dword v[62:63], v134
	s_or_b32 exec_lo, exec_lo, s12
	s_and_b32 s17, s6, s8
	s_and_saveexec_b32 s12, s17
	s_cbranch_execz .LBB26_106
.LBB26_131:
	v_cmp_ne_u32_e32 vcc_lo, 1, v123
	v_lshlrev_b64 v[62:63], 2, v[76:77]
	s_cbranch_vccnz .LBB26_133
; %bb.132:
	v_add_co_u32 v134, vcc_lo, v80, v62
	v_add_co_ci_u32_e64 v135, null, v81, v63, vcc_lo
	flat_load_dword v134, v[134:135]
	s_waitcnt vmcnt(0) lgkmcnt(0)
	v_mul_f32_e32 v134, s22, v134
	s_branch .LBB26_134
.LBB26_133:
	v_mov_b32_e32 v134, 0
.LBB26_134:
	v_add_f32_e32 v135, v11, v59
	v_add_f32_e32 v136, v10, v58
	;; [unrolled: 1-line block ×4, first 2 shown]
	v_add_co_u32 v62, vcc_lo, v64, v62
	v_min3_f32 v133, v136, v135, v133
	v_add_co_ci_u32_e64 v63, null, v65, v63, vcc_lo
	v_min_f32_e32 v135, v138, v137
	v_min3_f32 v133, v134, v135, v133
	flat_store_dword v[62:63], v133
	s_or_b32 exec_lo, exec_lo, s12
	s_and_b32 s12, s7, s8
	s_and_saveexec_b32 s8, s12
	s_cbranch_execz .LBB26_139
.LBB26_135:
	v_cmp_ne_u32_e32 vcc_lo, 1, v123
	v_lshlrev_b64 v[62:63], 2, v[78:79]
	s_cbranch_vccnz .LBB26_137
; %bb.136:
	v_add_co_u32 v80, vcc_lo, v80, v62
	v_add_co_ci_u32_e64 v81, null, v81, v63, vcc_lo
	flat_load_dword v80, v[80:81]
	s_waitcnt vmcnt(0) lgkmcnt(0)
	v_mul_f32_e32 v80, s22, v80
	s_branch .LBB26_138
.LBB26_137:
	v_mov_b32_e32 v80, 0
.LBB26_138:
	v_add_f32_e32 v59, v3, v59
	v_add_f32_e32 v58, v2, v58
	v_add_f32_e32 v61, v5, v61
	v_add_f32_e32 v60, v4, v60
	v_min3_f32 v58, v58, v59, v131
	v_min_f32_e32 v59, v60, v61
	v_min3_f32 v60, v80, v59, v58
	v_add_co_u32 v58, vcc_lo, v64, v62
	v_add_co_ci_u32_e64 v59, null, v65, v63, vcc_lo
	flat_store_dword v[58:59], v60
.LBB26_139:
	s_or_b32 exec_lo, exec_lo, s8
	v_add_nc_u32_e32 v62, 64, v132
	v_mad_i64_i32 v[58:59], null, v62, s14, 0
	v_mad_i64_i32 v[60:61], null, v62, s9, 0
	v_cmp_gt_i32_e64 s8, s13, v62
	v_lshlrev_b64 v[58:59], 2, v[58:59]
	s_and_b32 s17, s0, s8
	v_lshlrev_b64 v[60:61], 2, v[60:61]
	v_add_co_u32 v62, vcc_lo, s10, v58
	v_add_co_ci_u32_e64 v63, null, s11, v59, vcc_lo
	v_add_co_u32 v60, vcc_lo, s15, v60
	v_add_co_ci_u32_e64 v61, null, s16, v61, vcc_lo
	s_and_saveexec_b32 s12, s17
	s_cbranch_execnz .LBB26_147
; %bb.140:
	s_or_b32 exec_lo, exec_lo, s12
	s_and_b32 s17, s1, s8
	s_and_saveexec_b32 s12, s17
	s_cbranch_execnz .LBB26_151
.LBB26_141:
	s_or_b32 exec_lo, exec_lo, s12
	s_and_b32 s17, s2, s8
	s_and_saveexec_b32 s12, s17
	s_cbranch_execnz .LBB26_155
.LBB26_142:
	s_or_b32 exec_lo, exec_lo, s12
	s_and_b32 s17, s3, s8
	s_and_saveexec_b32 s12, s17
	s_cbranch_execnz .LBB26_159
.LBB26_143:
	s_or_b32 exec_lo, exec_lo, s12
	s_and_b32 s17, s4, s8
	s_and_saveexec_b32 s12, s17
	s_cbranch_execnz .LBB26_163
.LBB26_144:
	s_or_b32 exec_lo, exec_lo, s12
	s_and_b32 s17, s5, s8
	s_and_saveexec_b32 s12, s17
	s_cbranch_execnz .LBB26_167
.LBB26_145:
	s_or_b32 exec_lo, exec_lo, s12
	s_and_b32 s17, s6, s8
	s_and_saveexec_b32 s12, s17
	s_cbranch_execnz .LBB26_171
.LBB26_146:
	s_or_b32 exec_lo, exec_lo, s12
	s_and_b32 s12, s7, s8
	s_and_saveexec_b32 s8, s12
	s_cbranch_execnz .LBB26_175
	s_branch .LBB26_179
.LBB26_147:
	v_cmp_ne_u32_e32 vcc_lo, 1, v123
	v_lshlrev_b64 v[58:59], 2, v[0:1]
	s_cbranch_vccnz .LBB26_149
; %bb.148:
	v_add_co_u32 v64, vcc_lo, v62, v58
	v_add_co_ci_u32_e64 v65, null, v63, v59, vcc_lo
	flat_load_dword v64, v[64:65]
	s_waitcnt vmcnt(0) lgkmcnt(0)
	v_mul_f32_e32 v64, s22, v64
	s_branch .LBB26_150
.LBB26_149:
	v_mov_b32_e32 v64, 0
.LBB26_150:
	v_add_f32_e32 v65, v35, v55
	v_add_f32_e32 v80, v34, v54
	v_add_f32_e32 v81, v37, v57
	v_add_f32_e32 v131, v36, v56
	v_add_co_u32 v58, vcc_lo, v60, v58
	v_min3_f32 v65, v80, v65, v130
	v_add_co_ci_u32_e64 v59, null, v61, v59, vcc_lo
	v_min_f32_e32 v80, v131, v81
	v_min3_f32 v64, v64, v80, v65
	flat_store_dword v[58:59], v64
	s_or_b32 exec_lo, exec_lo, s12
	s_and_b32 s17, s1, s8
	s_and_saveexec_b32 s12, s17
	s_cbranch_execz .LBB26_141
.LBB26_151:
	v_cmp_ne_u32_e32 vcc_lo, 1, v123
	v_lshlrev_b64 v[58:59], 2, v[66:67]
	s_cbranch_vccnz .LBB26_153
; %bb.152:
	v_add_co_u32 v64, vcc_lo, v62, v58
	v_add_co_ci_u32_e64 v65, null, v63, v59, vcc_lo
	flat_load_dword v64, v[64:65]
	s_waitcnt vmcnt(0) lgkmcnt(0)
	v_mul_f32_e32 v64, s22, v64
	s_branch .LBB26_154
.LBB26_153:
	v_mov_b32_e32 v64, 0
.LBB26_154:
	v_add_f32_e32 v65, v31, v55
	v_add_f32_e32 v80, v30, v54
	;; [unrolled: 1-line block ×4, first 2 shown]
	v_add_co_u32 v58, vcc_lo, v60, v58
	v_min3_f32 v65, v80, v65, v129
	v_add_co_ci_u32_e64 v59, null, v61, v59, vcc_lo
	v_min_f32_e32 v80, v130, v81
	v_min3_f32 v64, v64, v80, v65
	flat_store_dword v[58:59], v64
	s_or_b32 exec_lo, exec_lo, s12
	s_and_b32 s17, s2, s8
	s_and_saveexec_b32 s12, s17
	s_cbranch_execz .LBB26_142
.LBB26_155:
	v_cmp_ne_u32_e32 vcc_lo, 1, v123
	v_lshlrev_b64 v[58:59], 2, v[68:69]
	s_cbranch_vccnz .LBB26_157
; %bb.156:
	v_add_co_u32 v64, vcc_lo, v62, v58
	v_add_co_ci_u32_e64 v65, null, v63, v59, vcc_lo
	flat_load_dword v64, v[64:65]
	s_waitcnt vmcnt(0) lgkmcnt(0)
	v_mul_f32_e32 v64, s22, v64
	s_branch .LBB26_158
.LBB26_157:
	v_mov_b32_e32 v64, 0
.LBB26_158:
	v_add_f32_e32 v65, v27, v55
	v_add_f32_e32 v80, v26, v54
	;; [unrolled: 1-line block ×4, first 2 shown]
	v_add_co_u32 v58, vcc_lo, v60, v58
	v_min3_f32 v65, v80, v65, v128
	v_add_co_ci_u32_e64 v59, null, v61, v59, vcc_lo
	v_min_f32_e32 v80, v129, v81
	v_min3_f32 v64, v64, v80, v65
	flat_store_dword v[58:59], v64
	s_or_b32 exec_lo, exec_lo, s12
	s_and_b32 s17, s3, s8
	s_and_saveexec_b32 s12, s17
	s_cbranch_execz .LBB26_143
.LBB26_159:
	v_cmp_ne_u32_e32 vcc_lo, 1, v123
	v_lshlrev_b64 v[58:59], 2, v[70:71]
	s_cbranch_vccnz .LBB26_161
; %bb.160:
	v_add_co_u32 v64, vcc_lo, v62, v58
	v_add_co_ci_u32_e64 v65, null, v63, v59, vcc_lo
	flat_load_dword v64, v[64:65]
	s_waitcnt vmcnt(0) lgkmcnt(0)
	v_mul_f32_e32 v64, s22, v64
	s_branch .LBB26_162
.LBB26_161:
	v_mov_b32_e32 v64, 0
.LBB26_162:
	v_add_f32_e32 v65, v23, v55
	v_add_f32_e32 v80, v22, v54
	;; [unrolled: 1-line block ×4, first 2 shown]
	v_add_co_u32 v58, vcc_lo, v60, v58
	v_min3_f32 v65, v80, v65, v127
	v_add_co_ci_u32_e64 v59, null, v61, v59, vcc_lo
	v_min_f32_e32 v80, v128, v81
	v_min3_f32 v64, v64, v80, v65
	flat_store_dword v[58:59], v64
	s_or_b32 exec_lo, exec_lo, s12
	s_and_b32 s17, s4, s8
	s_and_saveexec_b32 s12, s17
	s_cbranch_execz .LBB26_144
.LBB26_163:
	v_cmp_ne_u32_e32 vcc_lo, 1, v123
	v_lshlrev_b64 v[58:59], 2, v[72:73]
	s_cbranch_vccnz .LBB26_165
; %bb.164:
	v_add_co_u32 v64, vcc_lo, v62, v58
	v_add_co_ci_u32_e64 v65, null, v63, v59, vcc_lo
	flat_load_dword v64, v[64:65]
	s_waitcnt vmcnt(0) lgkmcnt(0)
	v_mul_f32_e32 v64, s22, v64
	s_branch .LBB26_166
.LBB26_165:
	v_mov_b32_e32 v64, 0
.LBB26_166:
	v_add_f32_e32 v65, v19, v55
	v_add_f32_e32 v80, v18, v54
	;; [unrolled: 1-line block ×4, first 2 shown]
	v_add_co_u32 v58, vcc_lo, v60, v58
	v_min3_f32 v65, v80, v65, v126
	v_add_co_ci_u32_e64 v59, null, v61, v59, vcc_lo
	v_min_f32_e32 v80, v127, v81
	v_min3_f32 v64, v64, v80, v65
	flat_store_dword v[58:59], v64
	s_or_b32 exec_lo, exec_lo, s12
	s_and_b32 s17, s5, s8
	s_and_saveexec_b32 s12, s17
	s_cbranch_execz .LBB26_145
.LBB26_167:
	v_cmp_ne_u32_e32 vcc_lo, 1, v123
	v_lshlrev_b64 v[58:59], 2, v[74:75]
	s_cbranch_vccnz .LBB26_169
; %bb.168:
	v_add_co_u32 v64, vcc_lo, v62, v58
	v_add_co_ci_u32_e64 v65, null, v63, v59, vcc_lo
	flat_load_dword v64, v[64:65]
	s_waitcnt vmcnt(0) lgkmcnt(0)
	v_mul_f32_e32 v64, s22, v64
	s_branch .LBB26_170
.LBB26_169:
	v_mov_b32_e32 v64, 0
.LBB26_170:
	v_add_f32_e32 v65, v15, v55
	v_add_f32_e32 v80, v14, v54
	;; [unrolled: 1-line block ×4, first 2 shown]
	v_add_co_u32 v58, vcc_lo, v60, v58
	v_min3_f32 v65, v80, v65, v125
	v_add_co_ci_u32_e64 v59, null, v61, v59, vcc_lo
	v_min_f32_e32 v80, v126, v81
	v_min3_f32 v64, v64, v80, v65
	flat_store_dword v[58:59], v64
	s_or_b32 exec_lo, exec_lo, s12
	s_and_b32 s17, s6, s8
	s_and_saveexec_b32 s12, s17
	s_cbranch_execz .LBB26_146
.LBB26_171:
	v_cmp_ne_u32_e32 vcc_lo, 1, v123
	v_lshlrev_b64 v[58:59], 2, v[76:77]
	s_cbranch_vccnz .LBB26_173
; %bb.172:
	v_add_co_u32 v64, vcc_lo, v62, v58
	v_add_co_ci_u32_e64 v65, null, v63, v59, vcc_lo
	flat_load_dword v64, v[64:65]
	s_waitcnt vmcnt(0) lgkmcnt(0)
	v_mul_f32_e32 v64, s22, v64
	s_branch .LBB26_174
.LBB26_173:
	v_mov_b32_e32 v64, 0
.LBB26_174:
	v_add_f32_e32 v65, v11, v55
	v_add_f32_e32 v80, v10, v54
	;; [unrolled: 1-line block ×4, first 2 shown]
	v_add_co_u32 v58, vcc_lo, v60, v58
	v_min3_f32 v65, v80, v65, v124
	v_add_co_ci_u32_e64 v59, null, v61, v59, vcc_lo
	v_min_f32_e32 v80, v125, v81
	v_min3_f32 v64, v64, v80, v65
	flat_store_dword v[58:59], v64
	s_or_b32 exec_lo, exec_lo, s12
	s_and_b32 s12, s7, s8
	s_and_saveexec_b32 s8, s12
	s_cbranch_execz .LBB26_179
.LBB26_175:
	v_cmp_ne_u32_e32 vcc_lo, 1, v123
	v_lshlrev_b64 v[58:59], 2, v[78:79]
	s_cbranch_vccnz .LBB26_177
; %bb.176:
	v_add_co_u32 v62, vcc_lo, v62, v58
	v_add_co_ci_u32_e64 v63, null, v63, v59, vcc_lo
	flat_load_dword v62, v[62:63]
	s_waitcnt vmcnt(0) lgkmcnt(0)
	v_mul_f32_e32 v62, s22, v62
	s_branch .LBB26_178
.LBB26_177:
	v_mov_b32_e32 v62, 0
.LBB26_178:
	v_add_f32_e32 v55, v3, v55
	v_add_f32_e32 v54, v2, v54
	;; [unrolled: 1-line block ×4, first 2 shown]
	v_min3_f32 v54, v54, v55, v121
	v_min_f32_e32 v55, v56, v57
	v_min3_f32 v56, v62, v55, v54
	v_add_co_u32 v54, vcc_lo, v60, v58
	v_add_co_ci_u32_e64 v55, null, v61, v59, vcc_lo
	flat_store_dword v[54:55], v56
.LBB26_179:
	s_or_b32 exec_lo, exec_lo, s8
	v_add_nc_u32_e32 v58, 0x60, v132
	v_mad_i64_i32 v[54:55], null, v58, s14, 0
	v_mad_i64_i32 v[56:57], null, v58, s9, 0
	v_cmp_gt_i32_e64 s8, s13, v58
	v_lshlrev_b64 v[54:55], 2, v[54:55]
	s_and_b32 s17, s0, s8
	v_lshlrev_b64 v[56:57], 2, v[56:57]
	v_add_co_u32 v58, vcc_lo, s10, v54
	v_add_co_ci_u32_e64 v59, null, s11, v55, vcc_lo
	v_add_co_u32 v56, vcc_lo, s15, v56
	v_add_co_ci_u32_e64 v57, null, s16, v57, vcc_lo
	s_and_saveexec_b32 s12, s17
	s_cbranch_execnz .LBB26_187
; %bb.180:
	s_or_b32 exec_lo, exec_lo, s12
	s_and_b32 s17, s1, s8
	s_and_saveexec_b32 s12, s17
	s_cbranch_execnz .LBB26_191
.LBB26_181:
	s_or_b32 exec_lo, exec_lo, s12
	s_and_b32 s17, s2, s8
	s_and_saveexec_b32 s12, s17
	s_cbranch_execnz .LBB26_195
.LBB26_182:
	s_or_b32 exec_lo, exec_lo, s12
	s_and_b32 s17, s3, s8
	s_and_saveexec_b32 s12, s17
	s_cbranch_execnz .LBB26_199
.LBB26_183:
	s_or_b32 exec_lo, exec_lo, s12
	s_and_b32 s17, s4, s8
	s_and_saveexec_b32 s12, s17
	s_cbranch_execnz .LBB26_203
.LBB26_184:
	s_or_b32 exec_lo, exec_lo, s12
	s_and_b32 s17, s5, s8
	s_and_saveexec_b32 s12, s17
	s_cbranch_execnz .LBB26_207
.LBB26_185:
	s_or_b32 exec_lo, exec_lo, s12
	s_and_b32 s17, s6, s8
	s_and_saveexec_b32 s12, s17
	s_cbranch_execnz .LBB26_211
.LBB26_186:
	s_or_b32 exec_lo, exec_lo, s12
	s_and_b32 s12, s7, s8
	s_and_saveexec_b32 s8, s12
	s_cbranch_execnz .LBB26_215
	s_branch .LBB26_219
.LBB26_187:
	v_cmp_ne_u32_e32 vcc_lo, 1, v123
	v_lshlrev_b64 v[54:55], 2, v[0:1]
	s_cbranch_vccnz .LBB26_189
; %bb.188:
	v_add_co_u32 v60, vcc_lo, v58, v54
	v_add_co_ci_u32_e64 v61, null, v59, v55, vcc_lo
	flat_load_dword v60, v[60:61]
	s_waitcnt vmcnt(0) lgkmcnt(0)
	v_mul_f32_e32 v60, s22, v60
	s_branch .LBB26_190
.LBB26_189:
	v_mov_b32_e32 v60, 0
.LBB26_190:
	v_add_f32_e32 v61, v35, v51
	v_add_f32_e32 v62, v34, v50
	;; [unrolled: 1-line block ×4, first 2 shown]
	v_add_co_u32 v54, vcc_lo, v56, v54
	v_min3_f32 v61, v62, v61, v122
	v_add_co_ci_u32_e64 v55, null, v57, v55, vcc_lo
	v_min_f32_e32 v62, v64, v63
	v_min3_f32 v60, v60, v62, v61
	flat_store_dword v[54:55], v60
	s_or_b32 exec_lo, exec_lo, s12
	s_and_b32 s17, s1, s8
	s_and_saveexec_b32 s12, s17
	s_cbranch_execz .LBB26_181
.LBB26_191:
	v_cmp_ne_u32_e32 vcc_lo, 1, v123
	v_lshlrev_b64 v[54:55], 2, v[66:67]
	s_cbranch_vccnz .LBB26_193
; %bb.192:
	v_add_co_u32 v60, vcc_lo, v58, v54
	v_add_co_ci_u32_e64 v61, null, v59, v55, vcc_lo
	flat_load_dword v60, v[60:61]
	s_waitcnt vmcnt(0) lgkmcnt(0)
	v_mul_f32_e32 v60, s22, v60
	s_branch .LBB26_194
.LBB26_193:
	v_mov_b32_e32 v60, 0
.LBB26_194:
	v_add_f32_e32 v61, v31, v51
	v_add_f32_e32 v62, v30, v50
	;; [unrolled: 1-line block ×4, first 2 shown]
	v_add_co_u32 v54, vcc_lo, v56, v54
	v_min3_f32 v61, v62, v61, v120
	v_add_co_ci_u32_e64 v55, null, v57, v55, vcc_lo
	v_min_f32_e32 v62, v64, v63
	v_min3_f32 v60, v60, v62, v61
	flat_store_dword v[54:55], v60
	s_or_b32 exec_lo, exec_lo, s12
	s_and_b32 s17, s2, s8
	s_and_saveexec_b32 s12, s17
	s_cbranch_execz .LBB26_182
.LBB26_195:
	v_cmp_ne_u32_e32 vcc_lo, 1, v123
	v_lshlrev_b64 v[54:55], 2, v[68:69]
	s_cbranch_vccnz .LBB26_197
; %bb.196:
	v_add_co_u32 v60, vcc_lo, v58, v54
	v_add_co_ci_u32_e64 v61, null, v59, v55, vcc_lo
	flat_load_dword v60, v[60:61]
	s_waitcnt vmcnt(0) lgkmcnt(0)
	v_mul_f32_e32 v60, s22, v60
	s_branch .LBB26_198
.LBB26_197:
	v_mov_b32_e32 v60, 0
.LBB26_198:
	v_add_f32_e32 v61, v27, v51
	v_add_f32_e32 v62, v26, v50
	;; [unrolled: 1-line block ×4, first 2 shown]
	v_add_co_u32 v54, vcc_lo, v56, v54
	v_min3_f32 v61, v62, v61, v119
	v_add_co_ci_u32_e64 v55, null, v57, v55, vcc_lo
	v_min_f32_e32 v62, v64, v63
	v_min3_f32 v60, v60, v62, v61
	flat_store_dword v[54:55], v60
	s_or_b32 exec_lo, exec_lo, s12
	s_and_b32 s17, s3, s8
	s_and_saveexec_b32 s12, s17
	s_cbranch_execz .LBB26_183
.LBB26_199:
	v_cmp_ne_u32_e32 vcc_lo, 1, v123
	v_lshlrev_b64 v[54:55], 2, v[70:71]
	s_cbranch_vccnz .LBB26_201
; %bb.200:
	v_add_co_u32 v60, vcc_lo, v58, v54
	v_add_co_ci_u32_e64 v61, null, v59, v55, vcc_lo
	flat_load_dword v60, v[60:61]
	s_waitcnt vmcnt(0) lgkmcnt(0)
	v_mul_f32_e32 v60, s22, v60
	s_branch .LBB26_202
.LBB26_201:
	v_mov_b32_e32 v60, 0
.LBB26_202:
	v_add_f32_e32 v61, v23, v51
	v_add_f32_e32 v62, v22, v50
	;; [unrolled: 1-line block ×4, first 2 shown]
	v_add_co_u32 v54, vcc_lo, v56, v54
	v_min3_f32 v61, v62, v61, v118
	v_add_co_ci_u32_e64 v55, null, v57, v55, vcc_lo
	v_min_f32_e32 v62, v64, v63
	v_min3_f32 v60, v60, v62, v61
	flat_store_dword v[54:55], v60
	s_or_b32 exec_lo, exec_lo, s12
	s_and_b32 s17, s4, s8
	s_and_saveexec_b32 s12, s17
	s_cbranch_execz .LBB26_184
.LBB26_203:
	v_cmp_ne_u32_e32 vcc_lo, 1, v123
	v_lshlrev_b64 v[54:55], 2, v[72:73]
	s_cbranch_vccnz .LBB26_205
; %bb.204:
	v_add_co_u32 v60, vcc_lo, v58, v54
	v_add_co_ci_u32_e64 v61, null, v59, v55, vcc_lo
	flat_load_dword v60, v[60:61]
	s_waitcnt vmcnt(0) lgkmcnt(0)
	v_mul_f32_e32 v60, s22, v60
	s_branch .LBB26_206
.LBB26_205:
	v_mov_b32_e32 v60, 0
.LBB26_206:
	v_add_f32_e32 v61, v19, v51
	v_add_f32_e32 v62, v18, v50
	;; [unrolled: 1-line block ×4, first 2 shown]
	v_add_co_u32 v54, vcc_lo, v56, v54
	v_min3_f32 v61, v62, v61, v117
	v_add_co_ci_u32_e64 v55, null, v57, v55, vcc_lo
	v_min_f32_e32 v62, v64, v63
	v_min3_f32 v60, v60, v62, v61
	flat_store_dword v[54:55], v60
	s_or_b32 exec_lo, exec_lo, s12
	s_and_b32 s17, s5, s8
	s_and_saveexec_b32 s12, s17
	s_cbranch_execz .LBB26_185
.LBB26_207:
	v_cmp_ne_u32_e32 vcc_lo, 1, v123
	v_lshlrev_b64 v[54:55], 2, v[74:75]
	s_cbranch_vccnz .LBB26_209
; %bb.208:
	v_add_co_u32 v60, vcc_lo, v58, v54
	v_add_co_ci_u32_e64 v61, null, v59, v55, vcc_lo
	flat_load_dword v60, v[60:61]
	s_waitcnt vmcnt(0) lgkmcnt(0)
	v_mul_f32_e32 v60, s22, v60
	s_branch .LBB26_210
.LBB26_209:
	v_mov_b32_e32 v60, 0
.LBB26_210:
	v_add_f32_e32 v61, v15, v51
	v_add_f32_e32 v62, v14, v50
	;; [unrolled: 1-line block ×4, first 2 shown]
	v_add_co_u32 v54, vcc_lo, v56, v54
	v_min3_f32 v61, v62, v61, v116
	v_add_co_ci_u32_e64 v55, null, v57, v55, vcc_lo
	v_min_f32_e32 v62, v64, v63
	v_min3_f32 v60, v60, v62, v61
	flat_store_dword v[54:55], v60
	s_or_b32 exec_lo, exec_lo, s12
	s_and_b32 s17, s6, s8
	s_and_saveexec_b32 s12, s17
	s_cbranch_execz .LBB26_186
.LBB26_211:
	v_cmp_ne_u32_e32 vcc_lo, 1, v123
	v_lshlrev_b64 v[54:55], 2, v[76:77]
	s_cbranch_vccnz .LBB26_213
; %bb.212:
	v_add_co_u32 v60, vcc_lo, v58, v54
	v_add_co_ci_u32_e64 v61, null, v59, v55, vcc_lo
	flat_load_dword v60, v[60:61]
	s_waitcnt vmcnt(0) lgkmcnt(0)
	v_mul_f32_e32 v60, s22, v60
	s_branch .LBB26_214
.LBB26_213:
	v_mov_b32_e32 v60, 0
.LBB26_214:
	v_add_f32_e32 v61, v11, v51
	v_add_f32_e32 v62, v10, v50
	;; [unrolled: 1-line block ×4, first 2 shown]
	v_add_co_u32 v54, vcc_lo, v56, v54
	v_min3_f32 v61, v62, v61, v115
	v_add_co_ci_u32_e64 v55, null, v57, v55, vcc_lo
	v_min_f32_e32 v62, v64, v63
	v_min3_f32 v60, v60, v62, v61
	flat_store_dword v[54:55], v60
	s_or_b32 exec_lo, exec_lo, s12
	s_and_b32 s12, s7, s8
	s_and_saveexec_b32 s8, s12
	s_cbranch_execz .LBB26_219
.LBB26_215:
	v_cmp_ne_u32_e32 vcc_lo, 1, v123
	v_lshlrev_b64 v[54:55], 2, v[78:79]
	s_cbranch_vccnz .LBB26_217
; %bb.216:
	v_add_co_u32 v58, vcc_lo, v58, v54
	v_add_co_ci_u32_e64 v59, null, v59, v55, vcc_lo
	flat_load_dword v58, v[58:59]
	s_waitcnt vmcnt(0) lgkmcnt(0)
	v_mul_f32_e32 v58, s22, v58
	s_branch .LBB26_218
.LBB26_217:
	v_mov_b32_e32 v58, 0
.LBB26_218:
	v_add_f32_e32 v51, v3, v51
	v_add_f32_e32 v50, v2, v50
	;; [unrolled: 1-line block ×4, first 2 shown]
	v_min3_f32 v50, v50, v51, v114
	v_min_f32_e32 v51, v52, v53
	v_min3_f32 v52, v58, v51, v50
	v_add_co_u32 v50, vcc_lo, v56, v54
	v_add_co_ci_u32_e64 v51, null, v57, v55, vcc_lo
	flat_store_dword v[50:51], v52
.LBB26_219:
	s_or_b32 exec_lo, exec_lo, s8
	v_add_nc_u32_e32 v54, 0x80, v132
	v_mad_i64_i32 v[50:51], null, v54, s14, 0
	v_mad_i64_i32 v[52:53], null, v54, s9, 0
	v_cmp_gt_i32_e64 s8, s13, v54
	v_lshlrev_b64 v[50:51], 2, v[50:51]
	s_and_b32 s17, s0, s8
	v_lshlrev_b64 v[52:53], 2, v[52:53]
	v_add_co_u32 v54, vcc_lo, s10, v50
	v_add_co_ci_u32_e64 v55, null, s11, v51, vcc_lo
	v_add_co_u32 v52, vcc_lo, s15, v52
	v_add_co_ci_u32_e64 v53, null, s16, v53, vcc_lo
	s_and_saveexec_b32 s12, s17
	s_cbranch_execnz .LBB26_227
; %bb.220:
	s_or_b32 exec_lo, exec_lo, s12
	s_and_b32 s17, s1, s8
	s_and_saveexec_b32 s12, s17
	s_cbranch_execnz .LBB26_231
.LBB26_221:
	s_or_b32 exec_lo, exec_lo, s12
	s_and_b32 s17, s2, s8
	s_and_saveexec_b32 s12, s17
	s_cbranch_execnz .LBB26_235
.LBB26_222:
	s_or_b32 exec_lo, exec_lo, s12
	s_and_b32 s17, s3, s8
	s_and_saveexec_b32 s12, s17
	s_cbranch_execnz .LBB26_239
.LBB26_223:
	s_or_b32 exec_lo, exec_lo, s12
	s_and_b32 s17, s4, s8
	s_and_saveexec_b32 s12, s17
	s_cbranch_execnz .LBB26_243
.LBB26_224:
	s_or_b32 exec_lo, exec_lo, s12
	s_and_b32 s17, s5, s8
	s_and_saveexec_b32 s12, s17
	s_cbranch_execnz .LBB26_247
.LBB26_225:
	s_or_b32 exec_lo, exec_lo, s12
	s_and_b32 s17, s6, s8
	s_and_saveexec_b32 s12, s17
	s_cbranch_execnz .LBB26_251
.LBB26_226:
	s_or_b32 exec_lo, exec_lo, s12
	s_and_b32 s12, s7, s8
	s_and_saveexec_b32 s8, s12
	s_cbranch_execnz .LBB26_255
	s_branch .LBB26_259
.LBB26_227:
	v_cmp_ne_u32_e32 vcc_lo, 1, v123
	v_lshlrev_b64 v[50:51], 2, v[0:1]
	s_cbranch_vccnz .LBB26_229
; %bb.228:
	v_add_co_u32 v56, vcc_lo, v54, v50
	v_add_co_ci_u32_e64 v57, null, v55, v51, vcc_lo
	flat_load_dword v56, v[56:57]
	s_waitcnt vmcnt(0) lgkmcnt(0)
	v_mul_f32_e32 v56, s22, v56
	s_branch .LBB26_230
.LBB26_229:
	v_mov_b32_e32 v56, 0
.LBB26_230:
	v_add_f32_e32 v57, v35, v47
	v_add_f32_e32 v58, v34, v46
	;; [unrolled: 1-line block ×4, first 2 shown]
	v_add_co_u32 v50, vcc_lo, v52, v50
	v_min3_f32 v57, v58, v57, v113
	v_add_co_ci_u32_e64 v51, null, v53, v51, vcc_lo
	v_min_f32_e32 v58, v60, v59
	v_min3_f32 v56, v56, v58, v57
	flat_store_dword v[50:51], v56
	s_or_b32 exec_lo, exec_lo, s12
	s_and_b32 s17, s1, s8
	s_and_saveexec_b32 s12, s17
	s_cbranch_execz .LBB26_221
.LBB26_231:
	v_cmp_ne_u32_e32 vcc_lo, 1, v123
	v_lshlrev_b64 v[50:51], 2, v[66:67]
	s_cbranch_vccnz .LBB26_233
; %bb.232:
	v_add_co_u32 v56, vcc_lo, v54, v50
	v_add_co_ci_u32_e64 v57, null, v55, v51, vcc_lo
	flat_load_dword v56, v[56:57]
	s_waitcnt vmcnt(0) lgkmcnt(0)
	v_mul_f32_e32 v56, s22, v56
	s_branch .LBB26_234
.LBB26_233:
	v_mov_b32_e32 v56, 0
.LBB26_234:
	v_add_f32_e32 v57, v31, v47
	v_add_f32_e32 v58, v30, v46
	;; [unrolled: 1-line block ×4, first 2 shown]
	v_add_co_u32 v50, vcc_lo, v52, v50
	v_min3_f32 v57, v58, v57, v112
	v_add_co_ci_u32_e64 v51, null, v53, v51, vcc_lo
	v_min_f32_e32 v58, v60, v59
	v_min3_f32 v56, v56, v58, v57
	flat_store_dword v[50:51], v56
	s_or_b32 exec_lo, exec_lo, s12
	s_and_b32 s17, s2, s8
	s_and_saveexec_b32 s12, s17
	s_cbranch_execz .LBB26_222
.LBB26_235:
	v_cmp_ne_u32_e32 vcc_lo, 1, v123
	v_lshlrev_b64 v[50:51], 2, v[68:69]
	s_cbranch_vccnz .LBB26_237
; %bb.236:
	v_add_co_u32 v56, vcc_lo, v54, v50
	v_add_co_ci_u32_e64 v57, null, v55, v51, vcc_lo
	flat_load_dword v56, v[56:57]
	s_waitcnt vmcnt(0) lgkmcnt(0)
	v_mul_f32_e32 v56, s22, v56
	s_branch .LBB26_238
.LBB26_237:
	v_mov_b32_e32 v56, 0
.LBB26_238:
	v_add_f32_e32 v57, v27, v47
	v_add_f32_e32 v58, v26, v46
	;; [unrolled: 1-line block ×4, first 2 shown]
	v_add_co_u32 v50, vcc_lo, v52, v50
	v_min3_f32 v57, v58, v57, v111
	v_add_co_ci_u32_e64 v51, null, v53, v51, vcc_lo
	v_min_f32_e32 v58, v60, v59
	v_min3_f32 v56, v56, v58, v57
	flat_store_dword v[50:51], v56
	s_or_b32 exec_lo, exec_lo, s12
	s_and_b32 s17, s3, s8
	s_and_saveexec_b32 s12, s17
	s_cbranch_execz .LBB26_223
.LBB26_239:
	v_cmp_ne_u32_e32 vcc_lo, 1, v123
	v_lshlrev_b64 v[50:51], 2, v[70:71]
	s_cbranch_vccnz .LBB26_241
; %bb.240:
	v_add_co_u32 v56, vcc_lo, v54, v50
	v_add_co_ci_u32_e64 v57, null, v55, v51, vcc_lo
	flat_load_dword v56, v[56:57]
	s_waitcnt vmcnt(0) lgkmcnt(0)
	v_mul_f32_e32 v56, s22, v56
	s_branch .LBB26_242
.LBB26_241:
	v_mov_b32_e32 v56, 0
.LBB26_242:
	v_add_f32_e32 v57, v23, v47
	v_add_f32_e32 v58, v22, v46
	;; [unrolled: 1-line block ×4, first 2 shown]
	v_add_co_u32 v50, vcc_lo, v52, v50
	v_min3_f32 v57, v58, v57, v110
	v_add_co_ci_u32_e64 v51, null, v53, v51, vcc_lo
	v_min_f32_e32 v58, v60, v59
	v_min3_f32 v56, v56, v58, v57
	flat_store_dword v[50:51], v56
	s_or_b32 exec_lo, exec_lo, s12
	s_and_b32 s17, s4, s8
	s_and_saveexec_b32 s12, s17
	s_cbranch_execz .LBB26_224
.LBB26_243:
	v_cmp_ne_u32_e32 vcc_lo, 1, v123
	v_lshlrev_b64 v[50:51], 2, v[72:73]
	s_cbranch_vccnz .LBB26_245
; %bb.244:
	v_add_co_u32 v56, vcc_lo, v54, v50
	v_add_co_ci_u32_e64 v57, null, v55, v51, vcc_lo
	flat_load_dword v56, v[56:57]
	s_waitcnt vmcnt(0) lgkmcnt(0)
	v_mul_f32_e32 v56, s22, v56
	s_branch .LBB26_246
.LBB26_245:
	v_mov_b32_e32 v56, 0
.LBB26_246:
	v_add_f32_e32 v57, v19, v47
	v_add_f32_e32 v58, v18, v46
	;; [unrolled: 1-line block ×4, first 2 shown]
	v_add_co_u32 v50, vcc_lo, v52, v50
	v_min3_f32 v57, v58, v57, v109
	v_add_co_ci_u32_e64 v51, null, v53, v51, vcc_lo
	v_min_f32_e32 v58, v60, v59
	v_min3_f32 v56, v56, v58, v57
	flat_store_dword v[50:51], v56
	s_or_b32 exec_lo, exec_lo, s12
	s_and_b32 s17, s5, s8
	s_and_saveexec_b32 s12, s17
	s_cbranch_execz .LBB26_225
.LBB26_247:
	v_cmp_ne_u32_e32 vcc_lo, 1, v123
	v_lshlrev_b64 v[50:51], 2, v[74:75]
	s_cbranch_vccnz .LBB26_249
; %bb.248:
	v_add_co_u32 v56, vcc_lo, v54, v50
	v_add_co_ci_u32_e64 v57, null, v55, v51, vcc_lo
	flat_load_dword v56, v[56:57]
	s_waitcnt vmcnt(0) lgkmcnt(0)
	v_mul_f32_e32 v56, s22, v56
	s_branch .LBB26_250
.LBB26_249:
	v_mov_b32_e32 v56, 0
.LBB26_250:
	v_add_f32_e32 v57, v15, v47
	v_add_f32_e32 v58, v14, v46
	;; [unrolled: 1-line block ×4, first 2 shown]
	v_add_co_u32 v50, vcc_lo, v52, v50
	v_min3_f32 v57, v58, v57, v108
	v_add_co_ci_u32_e64 v51, null, v53, v51, vcc_lo
	v_min_f32_e32 v58, v60, v59
	v_min3_f32 v56, v56, v58, v57
	flat_store_dword v[50:51], v56
	s_or_b32 exec_lo, exec_lo, s12
	s_and_b32 s17, s6, s8
	s_and_saveexec_b32 s12, s17
	s_cbranch_execz .LBB26_226
.LBB26_251:
	v_cmp_ne_u32_e32 vcc_lo, 1, v123
	v_lshlrev_b64 v[50:51], 2, v[76:77]
	s_cbranch_vccnz .LBB26_253
; %bb.252:
	v_add_co_u32 v56, vcc_lo, v54, v50
	v_add_co_ci_u32_e64 v57, null, v55, v51, vcc_lo
	flat_load_dword v56, v[56:57]
	s_waitcnt vmcnt(0) lgkmcnt(0)
	v_mul_f32_e32 v56, s22, v56
	s_branch .LBB26_254
.LBB26_253:
	v_mov_b32_e32 v56, 0
.LBB26_254:
	v_add_f32_e32 v57, v11, v47
	v_add_f32_e32 v58, v10, v46
	;; [unrolled: 1-line block ×4, first 2 shown]
	v_add_co_u32 v50, vcc_lo, v52, v50
	v_min3_f32 v57, v58, v57, v107
	v_add_co_ci_u32_e64 v51, null, v53, v51, vcc_lo
	v_min_f32_e32 v58, v60, v59
	v_min3_f32 v56, v56, v58, v57
	flat_store_dword v[50:51], v56
	s_or_b32 exec_lo, exec_lo, s12
	s_and_b32 s12, s7, s8
	s_and_saveexec_b32 s8, s12
	s_cbranch_execz .LBB26_259
.LBB26_255:
	v_cmp_ne_u32_e32 vcc_lo, 1, v123
	v_lshlrev_b64 v[50:51], 2, v[78:79]
	s_cbranch_vccnz .LBB26_257
; %bb.256:
	v_add_co_u32 v54, vcc_lo, v54, v50
	v_add_co_ci_u32_e64 v55, null, v55, v51, vcc_lo
	flat_load_dword v54, v[54:55]
	s_waitcnt vmcnt(0) lgkmcnt(0)
	v_mul_f32_e32 v54, s22, v54
	s_branch .LBB26_258
.LBB26_257:
	v_mov_b32_e32 v54, 0
.LBB26_258:
	v_add_f32_e32 v47, v3, v47
	v_add_f32_e32 v46, v2, v46
	;; [unrolled: 1-line block ×4, first 2 shown]
	v_min3_f32 v46, v46, v47, v106
	v_min_f32_e32 v47, v48, v49
	v_min3_f32 v48, v54, v47, v46
	v_add_co_u32 v46, vcc_lo, v52, v50
	v_add_co_ci_u32_e64 v47, null, v53, v51, vcc_lo
	flat_store_dword v[46:47], v48
.LBB26_259:
	s_or_b32 exec_lo, exec_lo, s8
	v_add_nc_u32_e32 v50, 0xa0, v132
	v_mad_i64_i32 v[46:47], null, v50, s14, 0
	v_mad_i64_i32 v[48:49], null, v50, s9, 0
	v_cmp_gt_i32_e64 s8, s13, v50
	v_lshlrev_b64 v[46:47], 2, v[46:47]
	s_and_b32 s17, s0, s8
	v_lshlrev_b64 v[48:49], 2, v[48:49]
	v_add_co_u32 v50, vcc_lo, s10, v46
	v_add_co_ci_u32_e64 v51, null, s11, v47, vcc_lo
	v_add_co_u32 v48, vcc_lo, s15, v48
	v_add_co_ci_u32_e64 v49, null, s16, v49, vcc_lo
	s_and_saveexec_b32 s12, s17
	s_cbranch_execnz .LBB26_267
; %bb.260:
	s_or_b32 exec_lo, exec_lo, s12
	s_and_b32 s17, s1, s8
	s_and_saveexec_b32 s12, s17
	s_cbranch_execnz .LBB26_271
.LBB26_261:
	s_or_b32 exec_lo, exec_lo, s12
	s_and_b32 s17, s2, s8
	s_and_saveexec_b32 s12, s17
	s_cbranch_execnz .LBB26_275
.LBB26_262:
	s_or_b32 exec_lo, exec_lo, s12
	s_and_b32 s17, s3, s8
	s_and_saveexec_b32 s12, s17
	s_cbranch_execnz .LBB26_279
.LBB26_263:
	s_or_b32 exec_lo, exec_lo, s12
	s_and_b32 s17, s4, s8
	s_and_saveexec_b32 s12, s17
	s_cbranch_execnz .LBB26_283
.LBB26_264:
	s_or_b32 exec_lo, exec_lo, s12
	s_and_b32 s17, s5, s8
	s_and_saveexec_b32 s12, s17
	s_cbranch_execnz .LBB26_287
.LBB26_265:
	s_or_b32 exec_lo, exec_lo, s12
	s_and_b32 s17, s6, s8
	s_and_saveexec_b32 s12, s17
	s_cbranch_execnz .LBB26_291
.LBB26_266:
	s_or_b32 exec_lo, exec_lo, s12
	s_and_b32 s12, s7, s8
	s_and_saveexec_b32 s8, s12
	s_cbranch_execnz .LBB26_295
	s_branch .LBB26_299
.LBB26_267:
	v_cmp_ne_u32_e32 vcc_lo, 1, v123
	v_lshlrev_b64 v[46:47], 2, v[0:1]
	s_cbranch_vccnz .LBB26_269
; %bb.268:
	v_add_co_u32 v52, vcc_lo, v50, v46
	v_add_co_ci_u32_e64 v53, null, v51, v47, vcc_lo
	flat_load_dword v52, v[52:53]
	s_waitcnt vmcnt(0) lgkmcnt(0)
	v_mul_f32_e32 v52, s22, v52
	s_branch .LBB26_270
.LBB26_269:
	v_mov_b32_e32 v52, 0
.LBB26_270:
	v_add_f32_e32 v53, v35, v43
	v_add_f32_e32 v54, v34, v42
	v_add_f32_e32 v55, v37, v45
	v_add_f32_e32 v56, v36, v44
	v_add_co_u32 v46, vcc_lo, v48, v46
	v_min3_f32 v53, v54, v53, v105
	v_add_co_ci_u32_e64 v47, null, v49, v47, vcc_lo
	v_min_f32_e32 v54, v56, v55
	v_min3_f32 v52, v52, v54, v53
	flat_store_dword v[46:47], v52
	s_or_b32 exec_lo, exec_lo, s12
	s_and_b32 s17, s1, s8
	s_and_saveexec_b32 s12, s17
	s_cbranch_execz .LBB26_261
.LBB26_271:
	v_cmp_ne_u32_e32 vcc_lo, 1, v123
	v_lshlrev_b64 v[46:47], 2, v[66:67]
	s_cbranch_vccnz .LBB26_273
; %bb.272:
	v_add_co_u32 v52, vcc_lo, v50, v46
	v_add_co_ci_u32_e64 v53, null, v51, v47, vcc_lo
	flat_load_dword v52, v[52:53]
	s_waitcnt vmcnt(0) lgkmcnt(0)
	v_mul_f32_e32 v52, s22, v52
	s_branch .LBB26_274
.LBB26_273:
	v_mov_b32_e32 v52, 0
.LBB26_274:
	v_add_f32_e32 v53, v31, v43
	v_add_f32_e32 v54, v30, v42
	;; [unrolled: 1-line block ×4, first 2 shown]
	v_add_co_u32 v46, vcc_lo, v48, v46
	v_min3_f32 v53, v54, v53, v104
	v_add_co_ci_u32_e64 v47, null, v49, v47, vcc_lo
	v_min_f32_e32 v54, v56, v55
	v_min3_f32 v52, v52, v54, v53
	flat_store_dword v[46:47], v52
	s_or_b32 exec_lo, exec_lo, s12
	s_and_b32 s17, s2, s8
	s_and_saveexec_b32 s12, s17
	s_cbranch_execz .LBB26_262
.LBB26_275:
	v_cmp_ne_u32_e32 vcc_lo, 1, v123
	v_lshlrev_b64 v[46:47], 2, v[68:69]
	s_cbranch_vccnz .LBB26_277
; %bb.276:
	v_add_co_u32 v52, vcc_lo, v50, v46
	v_add_co_ci_u32_e64 v53, null, v51, v47, vcc_lo
	flat_load_dword v52, v[52:53]
	s_waitcnt vmcnt(0) lgkmcnt(0)
	v_mul_f32_e32 v52, s22, v52
	s_branch .LBB26_278
.LBB26_277:
	v_mov_b32_e32 v52, 0
.LBB26_278:
	v_add_f32_e32 v53, v27, v43
	v_add_f32_e32 v54, v26, v42
	v_add_f32_e32 v55, v29, v45
	v_add_f32_e32 v56, v28, v44
	v_add_co_u32 v46, vcc_lo, v48, v46
	v_min3_f32 v53, v54, v53, v103
	v_add_co_ci_u32_e64 v47, null, v49, v47, vcc_lo
	v_min_f32_e32 v54, v56, v55
	v_min3_f32 v52, v52, v54, v53
	flat_store_dword v[46:47], v52
	s_or_b32 exec_lo, exec_lo, s12
	s_and_b32 s17, s3, s8
	s_and_saveexec_b32 s12, s17
	s_cbranch_execz .LBB26_263
.LBB26_279:
	v_cmp_ne_u32_e32 vcc_lo, 1, v123
	v_lshlrev_b64 v[46:47], 2, v[70:71]
	s_cbranch_vccnz .LBB26_281
; %bb.280:
	v_add_co_u32 v52, vcc_lo, v50, v46
	v_add_co_ci_u32_e64 v53, null, v51, v47, vcc_lo
	flat_load_dword v52, v[52:53]
	s_waitcnt vmcnt(0) lgkmcnt(0)
	v_mul_f32_e32 v52, s22, v52
	s_branch .LBB26_282
.LBB26_281:
	v_mov_b32_e32 v52, 0
.LBB26_282:
	v_add_f32_e32 v53, v23, v43
	v_add_f32_e32 v54, v22, v42
	;; [unrolled: 1-line block ×4, first 2 shown]
	v_add_co_u32 v46, vcc_lo, v48, v46
	v_min3_f32 v53, v54, v53, v102
	v_add_co_ci_u32_e64 v47, null, v49, v47, vcc_lo
	v_min_f32_e32 v54, v56, v55
	v_min3_f32 v52, v52, v54, v53
	flat_store_dword v[46:47], v52
	s_or_b32 exec_lo, exec_lo, s12
	s_and_b32 s17, s4, s8
	s_and_saveexec_b32 s12, s17
	s_cbranch_execz .LBB26_264
.LBB26_283:
	v_cmp_ne_u32_e32 vcc_lo, 1, v123
	v_lshlrev_b64 v[46:47], 2, v[72:73]
	s_cbranch_vccnz .LBB26_285
; %bb.284:
	v_add_co_u32 v52, vcc_lo, v50, v46
	v_add_co_ci_u32_e64 v53, null, v51, v47, vcc_lo
	flat_load_dword v52, v[52:53]
	s_waitcnt vmcnt(0) lgkmcnt(0)
	v_mul_f32_e32 v52, s22, v52
	s_branch .LBB26_286
.LBB26_285:
	v_mov_b32_e32 v52, 0
.LBB26_286:
	v_add_f32_e32 v53, v19, v43
	v_add_f32_e32 v54, v18, v42
	;; [unrolled: 1-line block ×4, first 2 shown]
	v_add_co_u32 v46, vcc_lo, v48, v46
	v_min3_f32 v53, v54, v53, v101
	v_add_co_ci_u32_e64 v47, null, v49, v47, vcc_lo
	v_min_f32_e32 v54, v56, v55
	v_min3_f32 v52, v52, v54, v53
	flat_store_dword v[46:47], v52
	s_or_b32 exec_lo, exec_lo, s12
	s_and_b32 s17, s5, s8
	s_and_saveexec_b32 s12, s17
	s_cbranch_execz .LBB26_265
.LBB26_287:
	v_cmp_ne_u32_e32 vcc_lo, 1, v123
	v_lshlrev_b64 v[46:47], 2, v[74:75]
	s_cbranch_vccnz .LBB26_289
; %bb.288:
	v_add_co_u32 v52, vcc_lo, v50, v46
	v_add_co_ci_u32_e64 v53, null, v51, v47, vcc_lo
	flat_load_dword v52, v[52:53]
	s_waitcnt vmcnt(0) lgkmcnt(0)
	v_mul_f32_e32 v52, s22, v52
	s_branch .LBB26_290
.LBB26_289:
	v_mov_b32_e32 v52, 0
.LBB26_290:
	v_add_f32_e32 v53, v15, v43
	v_add_f32_e32 v54, v14, v42
	;; [unrolled: 1-line block ×4, first 2 shown]
	v_add_co_u32 v46, vcc_lo, v48, v46
	v_min3_f32 v53, v54, v53, v100
	v_add_co_ci_u32_e64 v47, null, v49, v47, vcc_lo
	v_min_f32_e32 v54, v56, v55
	v_min3_f32 v52, v52, v54, v53
	flat_store_dword v[46:47], v52
	s_or_b32 exec_lo, exec_lo, s12
	s_and_b32 s17, s6, s8
	s_and_saveexec_b32 s12, s17
	s_cbranch_execz .LBB26_266
.LBB26_291:
	v_cmp_ne_u32_e32 vcc_lo, 1, v123
	v_lshlrev_b64 v[46:47], 2, v[76:77]
	s_cbranch_vccnz .LBB26_293
; %bb.292:
	v_add_co_u32 v52, vcc_lo, v50, v46
	v_add_co_ci_u32_e64 v53, null, v51, v47, vcc_lo
	flat_load_dword v52, v[52:53]
	s_waitcnt vmcnt(0) lgkmcnt(0)
	v_mul_f32_e32 v52, s22, v52
	s_branch .LBB26_294
.LBB26_293:
	v_mov_b32_e32 v52, 0
.LBB26_294:
	v_add_f32_e32 v53, v11, v43
	v_add_f32_e32 v54, v10, v42
	;; [unrolled: 1-line block ×4, first 2 shown]
	v_add_co_u32 v46, vcc_lo, v48, v46
	v_min3_f32 v53, v54, v53, v99
	v_add_co_ci_u32_e64 v47, null, v49, v47, vcc_lo
	v_min_f32_e32 v54, v56, v55
	v_min3_f32 v52, v52, v54, v53
	flat_store_dword v[46:47], v52
	s_or_b32 exec_lo, exec_lo, s12
	s_and_b32 s12, s7, s8
	s_and_saveexec_b32 s8, s12
	s_cbranch_execz .LBB26_299
.LBB26_295:
	v_cmp_ne_u32_e32 vcc_lo, 1, v123
	v_lshlrev_b64 v[46:47], 2, v[78:79]
	s_cbranch_vccnz .LBB26_297
; %bb.296:
	v_add_co_u32 v50, vcc_lo, v50, v46
	v_add_co_ci_u32_e64 v51, null, v51, v47, vcc_lo
	flat_load_dword v50, v[50:51]
	s_waitcnt vmcnt(0) lgkmcnt(0)
	v_mul_f32_e32 v50, s22, v50
	s_branch .LBB26_298
.LBB26_297:
	v_mov_b32_e32 v50, 0
.LBB26_298:
	v_add_f32_e32 v43, v3, v43
	v_add_f32_e32 v42, v2, v42
	;; [unrolled: 1-line block ×4, first 2 shown]
	v_min3_f32 v42, v42, v43, v98
	v_min_f32_e32 v43, v44, v45
	v_min3_f32 v44, v50, v43, v42
	v_add_co_u32 v42, vcc_lo, v48, v46
	v_add_co_ci_u32_e64 v43, null, v49, v47, vcc_lo
	flat_store_dword v[42:43], v44
.LBB26_299:
	s_or_b32 exec_lo, exec_lo, s8
	v_add_nc_u32_e32 v46, 0xc0, v132
	v_mad_i64_i32 v[42:43], null, v46, s14, 0
	v_mad_i64_i32 v[44:45], null, v46, s9, 0
	v_cmp_gt_i32_e64 s8, s13, v46
	v_lshlrev_b64 v[42:43], 2, v[42:43]
	s_and_b32 s17, s0, s8
	v_lshlrev_b64 v[44:45], 2, v[44:45]
	v_add_co_u32 v46, vcc_lo, s10, v42
	v_add_co_ci_u32_e64 v47, null, s11, v43, vcc_lo
	v_add_co_u32 v44, vcc_lo, s15, v44
	v_add_co_ci_u32_e64 v45, null, s16, v45, vcc_lo
	s_and_saveexec_b32 s12, s17
	s_cbranch_execnz .LBB26_307
; %bb.300:
	s_or_b32 exec_lo, exec_lo, s12
	s_and_b32 s17, s1, s8
	s_and_saveexec_b32 s12, s17
	s_cbranch_execnz .LBB26_311
.LBB26_301:
	s_or_b32 exec_lo, exec_lo, s12
	s_and_b32 s17, s2, s8
	s_and_saveexec_b32 s12, s17
	s_cbranch_execnz .LBB26_315
.LBB26_302:
	s_or_b32 exec_lo, exec_lo, s12
	s_and_b32 s17, s3, s8
	s_and_saveexec_b32 s12, s17
	s_cbranch_execnz .LBB26_319
.LBB26_303:
	s_or_b32 exec_lo, exec_lo, s12
	s_and_b32 s17, s4, s8
	s_and_saveexec_b32 s12, s17
	s_cbranch_execnz .LBB26_323
.LBB26_304:
	s_or_b32 exec_lo, exec_lo, s12
	s_and_b32 s17, s5, s8
	s_and_saveexec_b32 s12, s17
	s_cbranch_execnz .LBB26_327
.LBB26_305:
	s_or_b32 exec_lo, exec_lo, s12
	s_and_b32 s17, s6, s8
	s_and_saveexec_b32 s12, s17
	s_cbranch_execnz .LBB26_331
.LBB26_306:
	s_or_b32 exec_lo, exec_lo, s12
	s_and_b32 s12, s7, s8
	s_and_saveexec_b32 s8, s12
	s_cbranch_execnz .LBB26_335
	s_branch .LBB26_339
.LBB26_307:
	v_cmp_ne_u32_e32 vcc_lo, 1, v123
	v_lshlrev_b64 v[42:43], 2, v[0:1]
	s_cbranch_vccnz .LBB26_309
; %bb.308:
	v_add_co_u32 v48, vcc_lo, v46, v42
	v_add_co_ci_u32_e64 v49, null, v47, v43, vcc_lo
	flat_load_dword v48, v[48:49]
	s_waitcnt vmcnt(0) lgkmcnt(0)
	v_mul_f32_e32 v48, s22, v48
	s_branch .LBB26_310
.LBB26_309:
	v_mov_b32_e32 v48, 0
.LBB26_310:
	v_add_f32_e32 v49, v35, v39
	v_add_f32_e32 v50, v34, v38
	;; [unrolled: 1-line block ×4, first 2 shown]
	v_add_co_u32 v42, vcc_lo, v44, v42
	v_min3_f32 v49, v50, v49, v97
	v_add_co_ci_u32_e64 v43, null, v45, v43, vcc_lo
	v_min_f32_e32 v50, v52, v51
	v_min3_f32 v48, v48, v50, v49
	flat_store_dword v[42:43], v48
	s_or_b32 exec_lo, exec_lo, s12
	s_and_b32 s17, s1, s8
	s_and_saveexec_b32 s12, s17
	s_cbranch_execz .LBB26_301
.LBB26_311:
	v_cmp_ne_u32_e32 vcc_lo, 1, v123
	v_lshlrev_b64 v[42:43], 2, v[66:67]
	s_cbranch_vccnz .LBB26_313
; %bb.312:
	v_add_co_u32 v48, vcc_lo, v46, v42
	v_add_co_ci_u32_e64 v49, null, v47, v43, vcc_lo
	flat_load_dword v48, v[48:49]
	s_waitcnt vmcnt(0) lgkmcnt(0)
	v_mul_f32_e32 v48, s22, v48
	s_branch .LBB26_314
.LBB26_313:
	v_mov_b32_e32 v48, 0
.LBB26_314:
	v_add_f32_e32 v49, v31, v39
	v_add_f32_e32 v50, v30, v38
	;; [unrolled: 1-line block ×4, first 2 shown]
	v_add_co_u32 v42, vcc_lo, v44, v42
	v_min3_f32 v49, v50, v49, v96
	v_add_co_ci_u32_e64 v43, null, v45, v43, vcc_lo
	v_min_f32_e32 v50, v52, v51
	v_min3_f32 v48, v48, v50, v49
	flat_store_dword v[42:43], v48
	s_or_b32 exec_lo, exec_lo, s12
	s_and_b32 s17, s2, s8
	s_and_saveexec_b32 s12, s17
	s_cbranch_execz .LBB26_302
.LBB26_315:
	v_cmp_ne_u32_e32 vcc_lo, 1, v123
	v_lshlrev_b64 v[42:43], 2, v[68:69]
	s_cbranch_vccnz .LBB26_317
; %bb.316:
	v_add_co_u32 v48, vcc_lo, v46, v42
	v_add_co_ci_u32_e64 v49, null, v47, v43, vcc_lo
	flat_load_dword v48, v[48:49]
	s_waitcnt vmcnt(0) lgkmcnt(0)
	v_mul_f32_e32 v48, s22, v48
	s_branch .LBB26_318
.LBB26_317:
	v_mov_b32_e32 v48, 0
.LBB26_318:
	v_add_f32_e32 v49, v27, v39
	v_add_f32_e32 v50, v26, v38
	;; [unrolled: 1-line block ×4, first 2 shown]
	v_add_co_u32 v42, vcc_lo, v44, v42
	v_min3_f32 v49, v50, v49, v95
	v_add_co_ci_u32_e64 v43, null, v45, v43, vcc_lo
	v_min_f32_e32 v50, v52, v51
	v_min3_f32 v48, v48, v50, v49
	flat_store_dword v[42:43], v48
	s_or_b32 exec_lo, exec_lo, s12
	s_and_b32 s17, s3, s8
	s_and_saveexec_b32 s12, s17
	s_cbranch_execz .LBB26_303
.LBB26_319:
	v_cmp_ne_u32_e32 vcc_lo, 1, v123
	v_lshlrev_b64 v[42:43], 2, v[70:71]
	s_cbranch_vccnz .LBB26_321
; %bb.320:
	v_add_co_u32 v48, vcc_lo, v46, v42
	v_add_co_ci_u32_e64 v49, null, v47, v43, vcc_lo
	flat_load_dword v48, v[48:49]
	s_waitcnt vmcnt(0) lgkmcnt(0)
	v_mul_f32_e32 v48, s22, v48
	s_branch .LBB26_322
.LBB26_321:
	v_mov_b32_e32 v48, 0
.LBB26_322:
	v_add_f32_e32 v49, v23, v39
	v_add_f32_e32 v50, v22, v38
	;; [unrolled: 1-line block ×4, first 2 shown]
	v_add_co_u32 v42, vcc_lo, v44, v42
	v_min3_f32 v49, v50, v49, v94
	v_add_co_ci_u32_e64 v43, null, v45, v43, vcc_lo
	v_min_f32_e32 v50, v52, v51
	v_min3_f32 v48, v48, v50, v49
	flat_store_dword v[42:43], v48
	s_or_b32 exec_lo, exec_lo, s12
	s_and_b32 s17, s4, s8
	s_and_saveexec_b32 s12, s17
	s_cbranch_execz .LBB26_304
.LBB26_323:
	v_cmp_ne_u32_e32 vcc_lo, 1, v123
	v_lshlrev_b64 v[42:43], 2, v[72:73]
	s_cbranch_vccnz .LBB26_325
; %bb.324:
	v_add_co_u32 v48, vcc_lo, v46, v42
	v_add_co_ci_u32_e64 v49, null, v47, v43, vcc_lo
	flat_load_dword v48, v[48:49]
	s_waitcnt vmcnt(0) lgkmcnt(0)
	v_mul_f32_e32 v48, s22, v48
	s_branch .LBB26_326
.LBB26_325:
	v_mov_b32_e32 v48, 0
.LBB26_326:
	v_add_f32_e32 v49, v19, v39
	v_add_f32_e32 v50, v18, v38
	;; [unrolled: 1-line block ×4, first 2 shown]
	v_add_co_u32 v42, vcc_lo, v44, v42
	v_min3_f32 v49, v50, v49, v93
	v_add_co_ci_u32_e64 v43, null, v45, v43, vcc_lo
	v_min_f32_e32 v50, v52, v51
	v_min3_f32 v48, v48, v50, v49
	flat_store_dword v[42:43], v48
	s_or_b32 exec_lo, exec_lo, s12
	s_and_b32 s17, s5, s8
	s_and_saveexec_b32 s12, s17
	s_cbranch_execz .LBB26_305
.LBB26_327:
	v_cmp_ne_u32_e32 vcc_lo, 1, v123
	v_lshlrev_b64 v[42:43], 2, v[74:75]
	s_cbranch_vccnz .LBB26_329
; %bb.328:
	v_add_co_u32 v48, vcc_lo, v46, v42
	v_add_co_ci_u32_e64 v49, null, v47, v43, vcc_lo
	flat_load_dword v48, v[48:49]
	s_waitcnt vmcnt(0) lgkmcnt(0)
	v_mul_f32_e32 v48, s22, v48
	s_branch .LBB26_330
.LBB26_329:
	v_mov_b32_e32 v48, 0
.LBB26_330:
	v_add_f32_e32 v49, v15, v39
	v_add_f32_e32 v50, v14, v38
	;; [unrolled: 1-line block ×4, first 2 shown]
	v_add_co_u32 v42, vcc_lo, v44, v42
	v_min3_f32 v49, v50, v49, v91
	v_add_co_ci_u32_e64 v43, null, v45, v43, vcc_lo
	v_min_f32_e32 v50, v52, v51
	v_min3_f32 v48, v48, v50, v49
	flat_store_dword v[42:43], v48
	s_or_b32 exec_lo, exec_lo, s12
	s_and_b32 s17, s6, s8
	s_and_saveexec_b32 s12, s17
	s_cbranch_execz .LBB26_306
.LBB26_331:
	v_cmp_ne_u32_e32 vcc_lo, 1, v123
	v_lshlrev_b64 v[42:43], 2, v[76:77]
	s_cbranch_vccnz .LBB26_333
; %bb.332:
	v_add_co_u32 v48, vcc_lo, v46, v42
	v_add_co_ci_u32_e64 v49, null, v47, v43, vcc_lo
	flat_load_dword v48, v[48:49]
	s_waitcnt vmcnt(0) lgkmcnt(0)
	v_mul_f32_e32 v48, s22, v48
	s_branch .LBB26_334
.LBB26_333:
	v_mov_b32_e32 v48, 0
.LBB26_334:
	v_add_f32_e32 v49, v11, v39
	v_add_f32_e32 v50, v10, v38
	;; [unrolled: 1-line block ×4, first 2 shown]
	v_add_co_u32 v42, vcc_lo, v44, v42
	v_min3_f32 v49, v50, v49, v90
	v_add_co_ci_u32_e64 v43, null, v45, v43, vcc_lo
	v_min_f32_e32 v50, v52, v51
	v_min3_f32 v48, v48, v50, v49
	flat_store_dword v[42:43], v48
	s_or_b32 exec_lo, exec_lo, s12
	s_and_b32 s12, s7, s8
	s_and_saveexec_b32 s8, s12
	s_cbranch_execz .LBB26_339
.LBB26_335:
	v_cmp_ne_u32_e32 vcc_lo, 1, v123
	v_lshlrev_b64 v[42:43], 2, v[78:79]
	s_cbranch_vccnz .LBB26_337
; %bb.336:
	v_add_co_u32 v46, vcc_lo, v46, v42
	v_add_co_ci_u32_e64 v47, null, v47, v43, vcc_lo
	flat_load_dword v46, v[46:47]
	s_waitcnt vmcnt(0) lgkmcnt(0)
	v_mul_f32_e32 v46, s22, v46
	s_branch .LBB26_338
.LBB26_337:
	v_mov_b32_e32 v46, 0
.LBB26_338:
	v_add_f32_e32 v39, v3, v39
	v_add_f32_e32 v38, v2, v38
	;; [unrolled: 1-line block ×4, first 2 shown]
	v_min3_f32 v38, v38, v39, v89
	v_min_f32_e32 v39, v40, v41
	v_min3_f32 v40, v46, v39, v38
	v_add_co_u32 v38, vcc_lo, v44, v42
	v_add_co_ci_u32_e64 v39, null, v45, v43, vcc_lo
	flat_store_dword v[38:39], v40
.LBB26_339:
	s_or_b32 exec_lo, exec_lo, s8
	v_add_nc_u32_e32 v42, 0xe0, v132
	v_mad_i64_i32 v[38:39], null, v42, s14, 0
	v_mad_i64_i32 v[40:41], null, v42, s9, 0
	v_cmp_gt_i32_e64 s8, s13, v42
	v_lshlrev_b64 v[38:39], 2, v[38:39]
	s_and_b32 s9, s0, s8
	v_lshlrev_b64 v[42:43], 2, v[40:41]
	v_add_co_u32 v40, vcc_lo, s10, v38
	v_add_co_ci_u32_e64 v41, null, s11, v39, vcc_lo
	v_add_co_u32 v38, vcc_lo, s15, v42
	v_add_co_ci_u32_e64 v39, null, s16, v43, vcc_lo
	s_and_saveexec_b32 s0, s9
	s_cbranch_execnz .LBB26_348
; %bb.340:
	s_or_b32 exec_lo, exec_lo, s0
	s_and_b32 s1, s1, s8
	s_and_saveexec_b32 s0, s1
	s_cbranch_execnz .LBB26_352
.LBB26_341:
	s_or_b32 exec_lo, exec_lo, s0
	s_and_b32 s1, s2, s8
	s_and_saveexec_b32 s0, s1
	s_cbranch_execnz .LBB26_356
.LBB26_342:
	s_or_b32 exec_lo, exec_lo, s0
	s_and_b32 s1, s3, s8
	s_and_saveexec_b32 s0, s1
	s_cbranch_execnz .LBB26_360
.LBB26_343:
	s_or_b32 exec_lo, exec_lo, s0
	s_and_b32 s1, s4, s8
	s_and_saveexec_b32 s0, s1
	s_cbranch_execnz .LBB26_364
.LBB26_344:
	s_or_b32 exec_lo, exec_lo, s0
	s_and_b32 s1, s5, s8
	s_and_saveexec_b32 s0, s1
	s_cbranch_execnz .LBB26_368
.LBB26_345:
	s_or_b32 exec_lo, exec_lo, s0
	s_and_b32 s1, s6, s8
	s_and_saveexec_b32 s0, s1
	s_cbranch_execnz .LBB26_372
.LBB26_346:
	s_or_b32 exec_lo, exec_lo, s0
	s_and_b32 s0, s7, s8
	s_and_saveexec_b32 s1, s0
	s_cbranch_execnz .LBB26_376
.LBB26_347:
	s_endpgm
.LBB26_348:
	v_cmp_ne_u32_e32 vcc_lo, 1, v123
	v_lshlrev_b64 v[0:1], 2, v[0:1]
	s_cbranch_vccnz .LBB26_350
; %bb.349:
	v_add_co_u32 v42, vcc_lo, v40, v0
	v_add_co_ci_u32_e64 v43, null, v41, v1, vcc_lo
	flat_load_dword v42, v[42:43]
	s_waitcnt vmcnt(0) lgkmcnt(0)
	v_mul_f32_e32 v42, s22, v42
	s_branch .LBB26_351
.LBB26_350:
	v_mov_b32_e32 v42, 0
.LBB26_351:
	v_add_f32_e32 v35, v35, v7
	v_add_f32_e32 v34, v34, v6
	;; [unrolled: 1-line block ×4, first 2 shown]
	v_add_co_u32 v0, vcc_lo, v38, v0
	v_min3_f32 v34, v34, v35, v88
	v_add_co_ci_u32_e64 v1, null, v39, v1, vcc_lo
	v_min_f32_e32 v35, v36, v37
	v_min3_f32 v34, v42, v35, v34
	flat_store_dword v[0:1], v34
	s_or_b32 exec_lo, exec_lo, s0
	s_and_b32 s1, s1, s8
	s_and_saveexec_b32 s0, s1
	s_cbranch_execz .LBB26_341
.LBB26_352:
	v_cmp_ne_u32_e32 vcc_lo, 1, v123
	v_lshlrev_b64 v[0:1], 2, v[66:67]
	s_cbranch_vccnz .LBB26_354
; %bb.353:
	v_add_co_u32 v34, vcc_lo, v40, v0
	v_add_co_ci_u32_e64 v35, null, v41, v1, vcc_lo
	flat_load_dword v34, v[34:35]
	s_waitcnt vmcnt(0) lgkmcnt(0)
	v_mul_f32_e32 v34, s22, v34
	s_branch .LBB26_355
.LBB26_354:
	v_mov_b32_e32 v34, 0
.LBB26_355:
	v_add_f32_e32 v31, v31, v7
	v_add_f32_e32 v30, v30, v6
	;; [unrolled: 1-line block ×4, first 2 shown]
	v_add_co_u32 v0, vcc_lo, v38, v0
	v_min3_f32 v30, v30, v31, v87
	v_add_co_ci_u32_e64 v1, null, v39, v1, vcc_lo
	v_min_f32_e32 v31, v32, v33
	v_min3_f32 v30, v34, v31, v30
	flat_store_dword v[0:1], v30
	s_or_b32 exec_lo, exec_lo, s0
	s_and_b32 s1, s2, s8
	s_and_saveexec_b32 s0, s1
	s_cbranch_execz .LBB26_342
.LBB26_356:
	v_cmp_ne_u32_e32 vcc_lo, 1, v123
	v_lshlrev_b64 v[0:1], 2, v[68:69]
	s_cbranch_vccnz .LBB26_358
; %bb.357:
	v_add_co_u32 v30, vcc_lo, v40, v0
	v_add_co_ci_u32_e64 v31, null, v41, v1, vcc_lo
	flat_load_dword v30, v[30:31]
	s_waitcnt vmcnt(0) lgkmcnt(0)
	v_mul_f32_e32 v30, s22, v30
	s_branch .LBB26_359
.LBB26_358:
	v_mov_b32_e32 v30, 0
.LBB26_359:
	v_add_f32_e32 v27, v27, v7
	v_add_f32_e32 v26, v26, v6
	;; [unrolled: 1-line block ×4, first 2 shown]
	v_add_co_u32 v0, vcc_lo, v38, v0
	v_min3_f32 v26, v26, v27, v86
	v_add_co_ci_u32_e64 v1, null, v39, v1, vcc_lo
	v_min_f32_e32 v27, v28, v29
	v_min3_f32 v26, v30, v27, v26
	flat_store_dword v[0:1], v26
	s_or_b32 exec_lo, exec_lo, s0
	s_and_b32 s1, s3, s8
	s_and_saveexec_b32 s0, s1
	s_cbranch_execz .LBB26_343
.LBB26_360:
	v_cmp_ne_u32_e32 vcc_lo, 1, v123
	v_lshlrev_b64 v[0:1], 2, v[70:71]
	s_cbranch_vccnz .LBB26_362
; %bb.361:
	v_add_co_u32 v26, vcc_lo, v40, v0
	v_add_co_ci_u32_e64 v27, null, v41, v1, vcc_lo
	flat_load_dword v26, v[26:27]
	s_waitcnt vmcnt(0) lgkmcnt(0)
	v_mul_f32_e32 v26, s22, v26
	s_branch .LBB26_363
.LBB26_362:
	v_mov_b32_e32 v26, 0
.LBB26_363:
	v_add_f32_e32 v23, v23, v7
	v_add_f32_e32 v22, v22, v6
	;; [unrolled: 1-line block ×4, first 2 shown]
	v_add_co_u32 v0, vcc_lo, v38, v0
	v_min3_f32 v22, v22, v23, v85
	v_add_co_ci_u32_e64 v1, null, v39, v1, vcc_lo
	v_min_f32_e32 v23, v24, v25
	v_min3_f32 v22, v26, v23, v22
	flat_store_dword v[0:1], v22
	s_or_b32 exec_lo, exec_lo, s0
	s_and_b32 s1, s4, s8
	s_and_saveexec_b32 s0, s1
	s_cbranch_execz .LBB26_344
.LBB26_364:
	v_cmp_ne_u32_e32 vcc_lo, 1, v123
	v_lshlrev_b64 v[0:1], 2, v[72:73]
	s_cbranch_vccnz .LBB26_366
; %bb.365:
	v_add_co_u32 v22, vcc_lo, v40, v0
	v_add_co_ci_u32_e64 v23, null, v41, v1, vcc_lo
	flat_load_dword v22, v[22:23]
	s_waitcnt vmcnt(0) lgkmcnt(0)
	v_mul_f32_e32 v22, s22, v22
	s_branch .LBB26_367
.LBB26_366:
	v_mov_b32_e32 v22, 0
.LBB26_367:
	v_add_f32_e32 v19, v19, v7
	v_add_f32_e32 v18, v18, v6
	v_add_f32_e32 v21, v21, v9
	v_add_f32_e32 v20, v20, v8
	v_add_co_u32 v0, vcc_lo, v38, v0
	v_min3_f32 v18, v18, v19, v84
	v_add_co_ci_u32_e64 v1, null, v39, v1, vcc_lo
	v_min_f32_e32 v19, v20, v21
	v_min3_f32 v18, v22, v19, v18
	flat_store_dword v[0:1], v18
	s_or_b32 exec_lo, exec_lo, s0
	s_and_b32 s1, s5, s8
	s_and_saveexec_b32 s0, s1
	s_cbranch_execz .LBB26_345
.LBB26_368:
	v_cmp_ne_u32_e32 vcc_lo, 1, v123
	v_lshlrev_b64 v[0:1], 2, v[74:75]
	s_cbranch_vccnz .LBB26_370
; %bb.369:
	v_add_co_u32 v18, vcc_lo, v40, v0
	v_add_co_ci_u32_e64 v19, null, v41, v1, vcc_lo
	flat_load_dword v18, v[18:19]
	s_waitcnt vmcnt(0) lgkmcnt(0)
	v_mul_f32_e32 v18, s22, v18
	s_branch .LBB26_371
.LBB26_370:
	v_mov_b32_e32 v18, 0
.LBB26_371:
	v_add_f32_e32 v15, v15, v7
	v_add_f32_e32 v14, v14, v6
	;; [unrolled: 1-line block ×4, first 2 shown]
	v_add_co_u32 v0, vcc_lo, v38, v0
	v_min3_f32 v14, v14, v15, v83
	v_add_co_ci_u32_e64 v1, null, v39, v1, vcc_lo
	v_min_f32_e32 v15, v16, v17
	v_min3_f32 v14, v18, v15, v14
	flat_store_dword v[0:1], v14
	s_or_b32 exec_lo, exec_lo, s0
	s_and_b32 s1, s6, s8
	s_and_saveexec_b32 s0, s1
	s_cbranch_execz .LBB26_346
.LBB26_372:
	v_cmp_ne_u32_e32 vcc_lo, 1, v123
	v_lshlrev_b64 v[0:1], 2, v[76:77]
	s_cbranch_vccnz .LBB26_374
; %bb.373:
	v_add_co_u32 v14, vcc_lo, v40, v0
	v_add_co_ci_u32_e64 v15, null, v41, v1, vcc_lo
	flat_load_dword v14, v[14:15]
	s_waitcnt vmcnt(0) lgkmcnt(0)
	v_mul_f32_e32 v14, s22, v14
	s_branch .LBB26_375
.LBB26_374:
	v_mov_b32_e32 v14, 0
.LBB26_375:
	v_add_f32_e32 v11, v11, v7
	v_add_f32_e32 v10, v10, v6
	;; [unrolled: 1-line block ×4, first 2 shown]
	v_add_co_u32 v0, vcc_lo, v38, v0
	v_min3_f32 v10, v10, v11, v82
	v_add_co_ci_u32_e64 v1, null, v39, v1, vcc_lo
	v_min_f32_e32 v11, v12, v13
	v_min3_f32 v10, v14, v11, v10
	flat_store_dword v[0:1], v10
	s_or_b32 exec_lo, exec_lo, s0
	s_and_b32 s0, s7, s8
	s_and_saveexec_b32 s1, s0
	s_cbranch_execz .LBB26_347
.LBB26_376:
	v_cmp_ne_u32_e32 vcc_lo, 1, v123
	v_lshlrev_b64 v[0:1], 2, v[78:79]
	s_cbranch_vccnz .LBB26_378
; %bb.377:
	v_add_co_u32 v10, vcc_lo, v40, v0
	v_add_co_ci_u32_e64 v11, null, v41, v1, vcc_lo
	flat_load_dword v10, v[10:11]
	s_waitcnt vmcnt(0) lgkmcnt(0)
	v_mul_f32_e32 v10, s22, v10
	s_branch .LBB26_379
.LBB26_378:
	v_mov_b32_e32 v10, 0
.LBB26_379:
	v_add_f32_e32 v3, v3, v7
	v_add_f32_e32 v2, v2, v6
	v_add_f32_e32 v5, v5, v9
	v_add_f32_e32 v4, v4, v8
	v_add_co_u32 v0, vcc_lo, v38, v0
	v_min3_f32 v2, v2, v3, v92
	v_add_co_ci_u32_e64 v1, null, v39, v1, vcc_lo
	v_min_f32_e32 v3, v4, v5
	v_min3_f32 v2, v10, v3, v2
	flat_store_dword v[0:1], v2
	s_endpgm
	.section	.rodata,"a",@progbits
	.p2align	6, 0x0
	.amdhsa_kernel _ZN12_GLOBAL__N_120geam_min_plus_kernelIf15HIP_vector_typeIfLj2EEfLi8ELi32ELi64ELi256ELi4ELi4ELi64ELi64ELi4ELc84ELc84ELb0ELb1ELb1EfKPKfKPfEEviiiT16_PT17_ilSA_ilS8_SA_ilPT18_ili26rocblas_geam_ex_operation_
		.amdhsa_group_segment_fixed_size 10240
		.amdhsa_private_segment_fixed_size 0
		.amdhsa_kernarg_size 128
		.amdhsa_user_sgpr_count 6
		.amdhsa_user_sgpr_private_segment_buffer 1
		.amdhsa_user_sgpr_dispatch_ptr 0
		.amdhsa_user_sgpr_queue_ptr 0
		.amdhsa_user_sgpr_kernarg_segment_ptr 1
		.amdhsa_user_sgpr_dispatch_id 0
		.amdhsa_user_sgpr_flat_scratch_init 0
		.amdhsa_user_sgpr_private_segment_size 0
		.amdhsa_wavefront_size32 1
		.amdhsa_uses_dynamic_stack 0
		.amdhsa_system_sgpr_private_segment_wavefront_offset 0
		.amdhsa_system_sgpr_workgroup_id_x 1
		.amdhsa_system_sgpr_workgroup_id_y 0
		.amdhsa_system_sgpr_workgroup_id_z 1
		.amdhsa_system_sgpr_workgroup_info 0
		.amdhsa_system_vgpr_workitem_id 1
		.amdhsa_next_free_vgpr 158
		.amdhsa_next_free_sgpr 29
		.amdhsa_reserve_vcc 1
		.amdhsa_reserve_flat_scratch 0
		.amdhsa_float_round_mode_32 0
		.amdhsa_float_round_mode_16_64 0
		.amdhsa_float_denorm_mode_32 3
		.amdhsa_float_denorm_mode_16_64 3
		.amdhsa_dx10_clamp 1
		.amdhsa_ieee_mode 1
		.amdhsa_fp16_overflow 0
		.amdhsa_workgroup_processor_mode 1
		.amdhsa_memory_ordered 1
		.amdhsa_forward_progress 1
		.amdhsa_shared_vgpr_count 0
		.amdhsa_exception_fp_ieee_invalid_op 0
		.amdhsa_exception_fp_denorm_src 0
		.amdhsa_exception_fp_ieee_div_zero 0
		.amdhsa_exception_fp_ieee_overflow 0
		.amdhsa_exception_fp_ieee_underflow 0
		.amdhsa_exception_fp_ieee_inexact 0
		.amdhsa_exception_int_div_zero 0
	.end_amdhsa_kernel
	.section	.text._ZN12_GLOBAL__N_120geam_min_plus_kernelIf15HIP_vector_typeIfLj2EEfLi8ELi32ELi64ELi256ELi4ELi4ELi64ELi64ELi4ELc84ELc84ELb0ELb1ELb1EfKPKfKPfEEviiiT16_PT17_ilSA_ilS8_SA_ilPT18_ili26rocblas_geam_ex_operation_,"axG",@progbits,_ZN12_GLOBAL__N_120geam_min_plus_kernelIf15HIP_vector_typeIfLj2EEfLi8ELi32ELi64ELi256ELi4ELi4ELi64ELi64ELi4ELc84ELc84ELb0ELb1ELb1EfKPKfKPfEEviiiT16_PT17_ilSA_ilS8_SA_ilPT18_ili26rocblas_geam_ex_operation_,comdat
.Lfunc_end26:
	.size	_ZN12_GLOBAL__N_120geam_min_plus_kernelIf15HIP_vector_typeIfLj2EEfLi8ELi32ELi64ELi256ELi4ELi4ELi64ELi64ELi4ELc84ELc84ELb0ELb1ELb1EfKPKfKPfEEviiiT16_PT17_ilSA_ilS8_SA_ilPT18_ili26rocblas_geam_ex_operation_, .Lfunc_end26-_ZN12_GLOBAL__N_120geam_min_plus_kernelIf15HIP_vector_typeIfLj2EEfLi8ELi32ELi64ELi256ELi4ELi4ELi64ELi64ELi4ELc84ELc84ELb0ELb1ELb1EfKPKfKPfEEviiiT16_PT17_ilSA_ilS8_SA_ilPT18_ili26rocblas_geam_ex_operation_
                                        ; -- End function
	.set _ZN12_GLOBAL__N_120geam_min_plus_kernelIf15HIP_vector_typeIfLj2EEfLi8ELi32ELi64ELi256ELi4ELi4ELi64ELi64ELi4ELc84ELc84ELb0ELb1ELb1EfKPKfKPfEEviiiT16_PT17_ilSA_ilS8_SA_ilPT18_ili26rocblas_geam_ex_operation_.num_vgpr, 158
	.set _ZN12_GLOBAL__N_120geam_min_plus_kernelIf15HIP_vector_typeIfLj2EEfLi8ELi32ELi64ELi256ELi4ELi4ELi64ELi64ELi4ELc84ELc84ELb0ELb1ELb1EfKPKfKPfEEviiiT16_PT17_ilSA_ilS8_SA_ilPT18_ili26rocblas_geam_ex_operation_.num_agpr, 0
	.set _ZN12_GLOBAL__N_120geam_min_plus_kernelIf15HIP_vector_typeIfLj2EEfLi8ELi32ELi64ELi256ELi4ELi4ELi64ELi64ELi4ELc84ELc84ELb0ELb1ELb1EfKPKfKPfEEviiiT16_PT17_ilSA_ilS8_SA_ilPT18_ili26rocblas_geam_ex_operation_.numbered_sgpr, 29
	.set _ZN12_GLOBAL__N_120geam_min_plus_kernelIf15HIP_vector_typeIfLj2EEfLi8ELi32ELi64ELi256ELi4ELi4ELi64ELi64ELi4ELc84ELc84ELb0ELb1ELb1EfKPKfKPfEEviiiT16_PT17_ilSA_ilS8_SA_ilPT18_ili26rocblas_geam_ex_operation_.num_named_barrier, 0
	.set _ZN12_GLOBAL__N_120geam_min_plus_kernelIf15HIP_vector_typeIfLj2EEfLi8ELi32ELi64ELi256ELi4ELi4ELi64ELi64ELi4ELc84ELc84ELb0ELb1ELb1EfKPKfKPfEEviiiT16_PT17_ilSA_ilS8_SA_ilPT18_ili26rocblas_geam_ex_operation_.private_seg_size, 0
	.set _ZN12_GLOBAL__N_120geam_min_plus_kernelIf15HIP_vector_typeIfLj2EEfLi8ELi32ELi64ELi256ELi4ELi4ELi64ELi64ELi4ELc84ELc84ELb0ELb1ELb1EfKPKfKPfEEviiiT16_PT17_ilSA_ilS8_SA_ilPT18_ili26rocblas_geam_ex_operation_.uses_vcc, 1
	.set _ZN12_GLOBAL__N_120geam_min_plus_kernelIf15HIP_vector_typeIfLj2EEfLi8ELi32ELi64ELi256ELi4ELi4ELi64ELi64ELi4ELc84ELc84ELb0ELb1ELb1EfKPKfKPfEEviiiT16_PT17_ilSA_ilS8_SA_ilPT18_ili26rocblas_geam_ex_operation_.uses_flat_scratch, 0
	.set _ZN12_GLOBAL__N_120geam_min_plus_kernelIf15HIP_vector_typeIfLj2EEfLi8ELi32ELi64ELi256ELi4ELi4ELi64ELi64ELi4ELc84ELc84ELb0ELb1ELb1EfKPKfKPfEEviiiT16_PT17_ilSA_ilS8_SA_ilPT18_ili26rocblas_geam_ex_operation_.has_dyn_sized_stack, 0
	.set _ZN12_GLOBAL__N_120geam_min_plus_kernelIf15HIP_vector_typeIfLj2EEfLi8ELi32ELi64ELi256ELi4ELi4ELi64ELi64ELi4ELc84ELc84ELb0ELb1ELb1EfKPKfKPfEEviiiT16_PT17_ilSA_ilS8_SA_ilPT18_ili26rocblas_geam_ex_operation_.has_recursion, 0
	.set _ZN12_GLOBAL__N_120geam_min_plus_kernelIf15HIP_vector_typeIfLj2EEfLi8ELi32ELi64ELi256ELi4ELi4ELi64ELi64ELi4ELc84ELc84ELb0ELb1ELb1EfKPKfKPfEEviiiT16_PT17_ilSA_ilS8_SA_ilPT18_ili26rocblas_geam_ex_operation_.has_indirect_call, 0
	.section	.AMDGPU.csdata,"",@progbits
; Kernel info:
; codeLenInByte = 19644
; TotalNumSgprs: 31
; NumVgprs: 158
; ScratchSize: 0
; MemoryBound: 0
; FloatMode: 240
; IeeeMode: 1
; LDSByteSize: 10240 bytes/workgroup (compile time only)
; SGPRBlocks: 0
; VGPRBlocks: 19
; NumSGPRsForWavesPerEU: 31
; NumVGPRsForWavesPerEU: 158
; Occupancy: 6
; WaveLimiterHint : 1
; COMPUTE_PGM_RSRC2:SCRATCH_EN: 0
; COMPUTE_PGM_RSRC2:USER_SGPR: 6
; COMPUTE_PGM_RSRC2:TRAP_HANDLER: 0
; COMPUTE_PGM_RSRC2:TGID_X_EN: 1
; COMPUTE_PGM_RSRC2:TGID_Y_EN: 0
; COMPUTE_PGM_RSRC2:TGID_Z_EN: 1
; COMPUTE_PGM_RSRC2:TIDIG_COMP_CNT: 1
	.section	.text._ZN12_GLOBAL__N_120geam_min_plus_kernelIf15HIP_vector_typeIfLj2EES2_Li8ELi32ELi64ELi128ELi4ELi64ELi4ELi4ELi64ELc78ELc78ELb0ELb0ELb0EPKfKS4_KPfEEviiiT16_PT17_ilSA_ilS8_SA_ilPT18_ili26rocblas_geam_ex_operation_,"axG",@progbits,_ZN12_GLOBAL__N_120geam_min_plus_kernelIf15HIP_vector_typeIfLj2EES2_Li8ELi32ELi64ELi128ELi4ELi64ELi4ELi4ELi64ELc78ELc78ELb0ELb0ELb0EPKfKS4_KPfEEviiiT16_PT17_ilSA_ilS8_SA_ilPT18_ili26rocblas_geam_ex_operation_,comdat
	.globl	_ZN12_GLOBAL__N_120geam_min_plus_kernelIf15HIP_vector_typeIfLj2EES2_Li8ELi32ELi64ELi128ELi4ELi64ELi4ELi4ELi64ELc78ELc78ELb0ELb0ELb0EPKfKS4_KPfEEviiiT16_PT17_ilSA_ilS8_SA_ilPT18_ili26rocblas_geam_ex_operation_ ; -- Begin function _ZN12_GLOBAL__N_120geam_min_plus_kernelIf15HIP_vector_typeIfLj2EES2_Li8ELi32ELi64ELi128ELi4ELi64ELi4ELi4ELi64ELc78ELc78ELb0ELb0ELb0EPKfKS4_KPfEEviiiT16_PT17_ilSA_ilS8_SA_ilPT18_ili26rocblas_geam_ex_operation_
	.p2align	8
	.type	_ZN12_GLOBAL__N_120geam_min_plus_kernelIf15HIP_vector_typeIfLj2EES2_Li8ELi32ELi64ELi128ELi4ELi64ELi4ELi4ELi64ELc78ELc78ELb0ELb0ELb0EPKfKS4_KPfEEviiiT16_PT17_ilSA_ilS8_SA_ilPT18_ili26rocblas_geam_ex_operation_,@function
_ZN12_GLOBAL__N_120geam_min_plus_kernelIf15HIP_vector_typeIfLj2EES2_Li8ELi32ELi64ELi128ELi4ELi64ELi4ELi4ELi64ELc78ELc78ELb0ELb0ELb0EPKfKS4_KPfEEviiiT16_PT17_ilSA_ilS8_SA_ilPT18_ili26rocblas_geam_ex_operation_: ; @_ZN12_GLOBAL__N_120geam_min_plus_kernelIf15HIP_vector_typeIfLj2EES2_Li8ELi32ELi64ELi128ELi4ELi64ELi4ELi4ELi64ELc78ELc78ELb0ELb0ELb0EPKfKS4_KPfEEviiiT16_PT17_ilSA_ilS8_SA_ilPT18_ili26rocblas_geam_ex_operation_
; %bb.0:
	s_clause 0x1
	s_load_dwordx4 s[0:3], s[4:5], 0x10
	s_load_dwordx4 s[8:11], s[4:5], 0x28
	s_mov_b32 s18, s7
	s_mov_b32 s19, 0
	s_lshl_b64 s[16:17], s[18:19], 2
	s_waitcnt lgkmcnt(0)
	s_add_u32 s0, s0, s16
	s_addc_u32 s1, s1, s17
	s_load_dword s24, s[0:1], 0x0
	s_clause 0x1
	s_load_dwordx4 s[12:15], s[4:5], 0x40
	s_load_dwordx2 s[20:21], s[4:5], 0x50
	s_waitcnt lgkmcnt(0)
	v_cmp_eq_f32_e64 s1, s24, 0
	s_add_u32 s22, s14, s16
	v_cmp_neq_f32_e64 s0, s24, 0
	s_addc_u32 s23, s15, s17
	s_mov_b64 s[14:15], 0
	s_and_b32 s1, exec_lo, s1
	s_mov_b64 s[16:17], 0
	s_mov_b32 vcc_lo, s1
	s_cbranch_vccnz .LBB27_2
; %bb.1:
	s_lshl_b64 s[16:17], s[18:19], 3
	s_add_u32 s2, s2, s16
	s_addc_u32 s3, s3, s17
	s_lshl_b64 s[8:9], s[8:9], 2
	s_load_dwordx2 s[2:3], s[2:3], 0x0
	s_waitcnt lgkmcnt(0)
	s_add_u32 s16, s2, s8
	s_addc_u32 s17, s3, s9
.LBB27_2:
	s_load_dword s3, s[22:23], 0x0
	v_cndmask_b32_e64 v2, 0, 1, s0
	s_andn2_b32 vcc_lo, exec_lo, s0
	v_cmp_ne_u32_e64 s2, 1, v2
	s_cbranch_vccnz .LBB27_4
; %bb.3:
	s_lshl_b64 s[8:9], s[18:19], 3
	s_add_u32 s8, s10, s8
	s_addc_u32 s9, s11, s9
	s_lshl_b64 s[10:11], s[12:13], 2
	s_load_dwordx2 s[8:9], s[8:9], 0x0
	s_waitcnt lgkmcnt(0)
	s_add_u32 s14, s8, s10
	s_addc_u32 s15, s9, s11
.LBB27_4:
	s_load_dwordx4 s[8:11], s[4:5], 0x60
	s_waitcnt lgkmcnt(0)
	v_cmp_eq_f32_e64 s0, s3, 0
	s_and_b32 s0, exec_lo, s0
	s_mov_b32 vcc_lo, s0
	s_cbranch_vccnz .LBB27_6
; %bb.5:
	s_lshl_b64 s[12:13], s[18:19], 3
	s_add_u32 s12, s20, s12
	s_addc_u32 s13, s21, s13
	s_lshl_b64 s[8:9], s[8:9], 2
	s_load_dwordx2 s[12:13], s[12:13], 0x0
	s_waitcnt lgkmcnt(0)
	s_add_u32 s8, s12, s8
	s_addc_u32 s9, s13, s9
	s_branch .LBB27_7
.LBB27_6:
	s_mov_b64 s[8:9], 0
.LBB27_7:
	s_clause 0x2
	s_load_dword s20, s[4:5], 0x20
	s_load_dword s7, s[4:5], 0x0
	;; [unrolled: 1-line block ×3, first 2 shown]
	s_lshl_b64 s[12:13], s[18:19], 3
	v_lshl_add_u32 v3, v1, 3, v0
	v_and_b32_e32 v12, 3, v0
	v_mov_b32_e32 v8, 0
	v_mov_b32_e32 v10, 0
	;; [unrolled: 1-line block ×3, first 2 shown]
	v_lshrrev_b32_e32 v6, 2, v3
	v_and_b32_e32 v9, 63, v3
	v_lshrrev_b32_e32 v13, 6, v3
	v_lshlrev_b32_e32 v7, 2, v12
	v_mov_b32_e32 v14, 0
	s_waitcnt lgkmcnt(0)
	s_ashr_i32 s18, s20, 31
	s_add_u32 s10, s10, s12
	s_addc_u32 s11, s11, s13
	s_add_i32 s7, s7, -1
	s_ashr_i32 s12, s7, 31
	s_lshr_b32 s12, s12, 26
	s_add_i32 s7, s7, s12
	s_ashr_i32 s7, s7, 6
	s_add_i32 s12, s7, 1
	s_not_b32 s7, s7
	v_cvt_f32_u32_e32 v2, s12
	v_rcp_iflag_f32_e32 v2, v2
	v_mul_f32_e32 v2, 0x4f7ffffe, v2
	v_cvt_u32_f32_e32 v2, v2
	v_readfirstlane_b32 s13, v2
	s_mul_i32 s7, s7, s13
	s_mul_hi_u32 s7, s13, s7
	s_add_i32 s13, s13, s7
	s_mul_hi_u32 s7, s6, s13
	s_mul_i32 s13, s7, s12
	s_add_i32 s19, s7, 1
	s_sub_i32 s13, s6, s13
	s_sub_i32 s22, s13, s12
	s_cmp_ge_u32 s13, s12
	s_cselect_b32 s7, s19, s7
	s_cselect_b32 s13, s22, s13
	s_add_i32 s19, s7, 1
	s_cmp_ge_u32 s13, s12
	s_cselect_b32 s7, s19, s7
	s_and_b32 vcc_lo, exec_lo, s2
	s_mul_i32 s12, s7, s12
	s_lshl_b32 s13, s7, 7
	s_sub_i32 s6, s6, s12
	v_add_nc_u32_e32 v4, s13, v6
	s_lshl_b32 s12, s6, 6
	v_or_b32_e32 v2, s12, v9
	v_add_nc_u32_e32 v5, 64, v4
	v_ashrrev_i32_e32 v3, 31, v2
	s_cbranch_vccnz .LBB27_9
; %bb.8:
	v_mad_i64_i32 v[10:11], null, s20, v13, 0
	v_mad_i64_i32 v[14:15], null, v4, s21, 0
	v_lshlrev_b64 v[16:17], 2, v[2:3]
	v_mad_i64_i32 v[18:19], null, v5, s21, 0
	v_lshlrev_b64 v[10:11], 2, v[10:11]
	v_add_co_u32 v20, vcc_lo, s16, v10
	v_add_co_ci_u32_e64 v21, null, s17, v11, vcc_lo
	v_lshlrev_b64 v[10:11], 2, v[14:15]
	v_add_co_u32 v14, vcc_lo, v20, v16
	v_add_co_u32 v20, s6, s14, v7
	v_add_co_ci_u32_e64 v15, null, v21, v17, vcc_lo
	v_lshlrev_b64 v[16:17], 2, v[18:19]
	v_add_co_ci_u32_e64 v21, null, s15, 0, s6
	v_add_co_u32 v10, vcc_lo, v20, v10
	v_add_co_ci_u32_e64 v11, null, v21, v11, vcc_lo
	v_add_co_u32 v16, vcc_lo, v20, v16
	v_add_co_ci_u32_e64 v17, null, v21, v17, vcc_lo
	flat_load_dword v10, v[10:11]
	flat_load_dword v11, v[14:15]
	;; [unrolled: 1-line block ×3, first 2 shown]
	s_waitcnt vmcnt(2) lgkmcnt(2)
	v_mul_f32_e32 v14, s24, v10
	s_waitcnt vmcnt(1) lgkmcnt(1)
	v_mul_f32_e32 v10, s24, v11
	;; [unrolled: 2-line block ×3, first 2 shown]
.LBB27_9:
	s_load_dwordx2 s[6:7], s[10:11], 0x0
	v_add_nc_u32_e32 v76, 4, v13
	v_mov_b32_e32 v82, 0
	v_mov_b32_e32 v81, 0
	s_and_b32 vcc_lo, exec_lo, s2
	s_cbranch_vccnz .LBB27_11
; %bb.10:
	v_mad_i64_i32 v[15:16], null, s20, v76, 0
	v_mad_i64_i32 v[17:18], null, v4, s21, 0
	v_lshlrev_b64 v[19:20], 2, v[2:3]
	v_mad_i64_i32 v[21:22], null, v5, s21, 0
	v_lshlrev_b64 v[15:16], 2, v[15:16]
	v_add_co_u32 v8, vcc_lo, s16, v15
	v_add_co_ci_u32_e64 v23, null, s17, v16, vcc_lo
	v_lshlrev_b64 v[15:16], 2, v[17:18]
	v_add_co_u32 v17, vcc_lo, v8, v19
	v_add_co_u32 v8, s2, s14, v7
	v_add_co_ci_u32_e64 v18, null, v23, v20, vcc_lo
	v_lshlrev_b64 v[19:20], 2, v[21:22]
	v_add_co_ci_u32_e64 v23, null, s15, 0, s2
	v_add_co_u32 v15, vcc_lo, v8, v15
	v_add_co_ci_u32_e64 v16, null, v23, v16, vcc_lo
	v_add_co_u32 v19, vcc_lo, v8, v19
	v_add_co_ci_u32_e64 v20, null, v23, v20, vcc_lo
	flat_load_dword v8, v[15:16] offset:16
	flat_load_dword v15, v[17:18]
	flat_load_dword v16, v[19:20] offset:16
	s_waitcnt vmcnt(2) lgkmcnt(0)
	v_mul_f32_e32 v81, s24, v8
	s_waitcnt vmcnt(1)
	v_mul_f32_e32 v8, s24, v15
	s_waitcnt vmcnt(0)
	v_mul_f32_e32 v82, s24, v16
.LBB27_11:
	v_lshlrev_b32_e32 v9, 4, v9
	v_lshlrev_b32_e32 v15, 4, v6
	v_mov_b32_e32 v74, 0
	v_cmp_neq_f32_e64 s2, s3, 0
	v_lshl_or_b32 v78, v0, 4, 0x1000
	v_lshl_add_u32 v9, v13, 2, v9
	v_lshl_or_b32 v77, v12, 2, v15
	v_lshlrev_b32_e32 v80, 4, v1
	v_mov_b32_e32 v75, v74
	v_mov_b32_e32 v72, v74
	v_or_b32_e32 v79, 0x1000, v9
	ds_write_b32 v9, v10 offset:4096
	ds_write2st64_b32 v77, v14, v11 offset1:4
	v_mov_b32_e32 v73, v74
	v_mov_b32_e32 v70, v74
	;; [unrolled: 1-line block ×61, first 2 shown]
	s_mov_b32 s11, 0
	s_mov_b32 s10, -1
	s_waitcnt lgkmcnt(0)
	s_barrier
	buffer_gl0_inv
.LBB27_12:                              ; =>This Inner Loop Header: Depth=1
	s_lshl_b32 s11, s11, 2
	v_cndmask_b32_e64 v83, 0, 1, s10
	v_add_nc_u32_e32 v95, s11, v78
	v_add_nc_u32_e32 v103, s11, v80
	s_mov_b32 s10, 0
	s_mov_b32 s11, 2
	v_cmp_ne_u32_e32 vcc_lo, 1, v83
	ds_read2_b64 v[83:86], v95 offset1:16
	ds_read2_b64 v[87:90], v95 offset0:32 offset1:48
	ds_read2_b64 v[91:94], v95 offset0:64 offset1:80
	;; [unrolled: 1-line block ×3, first 2 shown]
	ds_read2st64_b64 v[99:102], v103 offset1:1
	ds_read2st64_b64 v[103:106], v103 offset0:2 offset1:3
	s_and_b32 vcc_lo, exec_lo, vcc_lo
	s_waitcnt lgkmcnt(5)
	v_max_f32_e32 v83, v83, v83
	v_max_f32_e32 v84, v84, v84
	v_max_f32_e32 v85, v85, v85
	v_max_f32_e32 v86, v86, v86
	s_waitcnt lgkmcnt(4)
	v_max_f32_e32 v87, v87, v87
	v_max_f32_e32 v88, v88, v88
	v_max_f32_e32 v89, v89, v89
	v_max_f32_e32 v90, v90, v90
	;; [unrolled: 5-line block ×6, first 2 shown]
	v_min_f32_e32 v107, v83, v99
	v_min_f32_e32 v108, v85, v99
	;; [unrolled: 1-line block ×64, first 2 shown]
	v_add_f32_e32 v75, v105, v75
	v_add_f32_e32 v74, v107, v74
	;; [unrolled: 1-line block ×64, first 2 shown]
	s_cbranch_vccz .LBB27_12
; %bb.13:
	s_load_dword s10, s[4:5], 0x8
	v_lshl_or_b32 v6, v6, 4, v7
	ds_write_b32 v9, v8 offset:5120
	ds_write2st64_b32 v6, v81, v82 offset0:8 offset1:12
	v_lshl_add_u32 v81, v0, 4, 0x1400
	v_lshl_add_u32 v82, v1, 4, 0x800
	s_waitcnt lgkmcnt(0)
	s_barrier
	buffer_gl0_inv
	s_cmp_lt_i32 s10, 9
	s_cbranch_scc1 .LBB27_28
; %bb.14:
	v_lshlrev_b64 v[2:3], 2, v[2:3]
	v_mad_i64_i32 v[7:8], null, v4, s21, 0
	v_mad_i64_i32 v[4:5], null, v5, s21, 0
	v_add_nc_u32_e32 v83, 0x1400, v9
	v_add_co_u32 v85, vcc_lo, s16, v2
	v_add_co_ci_u32_e64 v86, null, s17, v3, vcc_lo
	v_lshlrev_b64 v[2:3], 2, v[7:8]
	v_lshlrev_b64 v[4:5], 2, v[4:5]
	v_add_nc_u32_e32 v84, 0x800, v6
	v_mov_b32_e32 v7, 0
	s_add_i32 s10, s10, -8
	s_mov_b32 s11, 8
	s_mov_b32 s16, 0
.LBB27_15:                              ; =>This Loop Header: Depth=1
                                        ;     Child Loop BB27_20 Depth 2
                                        ;     Child Loop BB27_26 Depth 2
	s_mov_b32 s17, -1
	s_mov_b32 vcc_lo, s1
                                        ; implicit-def: $vgpr8_vgpr9
	s_cbranch_vccz .LBB27_17
; %bb.16:                               ;   in Loop: Header=BB27_15 Depth=1
	v_mov_b32_e32 v8, v7
	s_mov_b32 s17, 0
.LBB27_17:                              ;   in Loop: Header=BB27_15 Depth=1
	v_mov_b32_e32 v6, 0
	v_mov_b32_e32 v9, 0
	s_andn2_b32 vcc_lo, exec_lo, s17
	s_cbranch_vccnz .LBB27_19
; %bb.18:                               ;   in Loop: Header=BB27_15 Depth=1
	v_add_nc_u32_e32 v87, s11, v13
	v_or_b32_e32 v6, s11, v12
	v_mad_u64_u32 v[8:9], null, v87, s20, 0
	v_mad_u64_u32 v[87:88], null, v87, s18, v[9:10]
	v_lshlrev_b64 v[88:89], 2, v[6:7]
	v_add_co_u32 v6, vcc_lo, s14, v88
	v_mov_b32_e32 v9, v87
	v_add_co_ci_u32_e64 v90, null, s15, v89, vcc_lo
	v_add_co_u32 v87, vcc_lo, v6, v2
	v_lshlrev_b64 v[8:9], 2, v[8:9]
	v_add_co_ci_u32_e64 v88, null, v90, v3, vcc_lo
	v_add_co_u32 v8, vcc_lo, v85, v8
	v_add_co_ci_u32_e64 v9, null, v86, v9, vcc_lo
	v_add_co_u32 v89, vcc_lo, v6, v4
	v_add_co_ci_u32_e64 v90, null, v90, v5, vcc_lo
	flat_load_dword v6, v[87:88]
	flat_load_dword v9, v[8:9]
	;; [unrolled: 1-line block ×3, first 2 shown]
	s_waitcnt vmcnt(2) lgkmcnt(2)
	v_mul_f32_e32 v8, s24, v6
	s_waitcnt vmcnt(1) lgkmcnt(1)
	v_mul_f32_e32 v6, s24, v9
	;; [unrolled: 2-line block ×3, first 2 shown]
.LBB27_19:                              ;   in Loop: Header=BB27_15 Depth=1
	s_mov_b32 s19, 0
	s_mov_b32 s17, -1
.LBB27_20:                              ;   Parent Loop BB27_15 Depth=1
                                        ; =>  This Inner Loop Header: Depth=2
	s_lshl_b32 s19, s19, 2
	v_cndmask_b32_e64 v87, 0, 1, s17
	v_add_nc_u32_e32 v107, s19, v82
	v_add_nc_u32_e32 v103, s19, v81
	s_mov_b32 s17, 0
	s_mov_b32 s19, 2
	v_cmp_ne_u32_e32 vcc_lo, 1, v87
	ds_read2st64_b64 v[87:90], v107 offset1:1
	ds_read2_b64 v[91:94], v103 offset1:16
	ds_read2_b64 v[95:98], v103 offset0:32 offset1:48
	ds_read2_b64 v[99:102], v103 offset0:64 offset1:80
	;; [unrolled: 1-line block ×3, first 2 shown]
	ds_read2st64_b64 v[107:110], v107 offset0:2 offset1:3
	s_and_b32 vcc_lo, exec_lo, vcc_lo
	s_waitcnt lgkmcnt(5)
	v_max_f32_e32 v87, v87, v87
	s_waitcnt lgkmcnt(4)
	v_max_f32_e32 v91, v91, v91
	v_max_f32_e32 v88, v88, v88
	;; [unrolled: 1-line block ×5, first 2 shown]
	s_waitcnt lgkmcnt(3)
	v_max_f32_e32 v95, v95, v95
	v_max_f32_e32 v96, v96, v96
	v_max_f32_e32 v97, v97, v97
	v_max_f32_e32 v98, v98, v98
	s_waitcnt lgkmcnt(2)
	v_max_f32_e32 v99, v99, v99
	v_max_f32_e32 v100, v100, v100
	v_max_f32_e32 v101, v101, v101
	v_max_f32_e32 v102, v102, v102
	;; [unrolled: 5-line block ×3, first 2 shown]
	v_max_f32_e32 v89, v89, v89
	v_max_f32_e32 v90, v90, v90
	s_waitcnt lgkmcnt(0)
	v_max_f32_e32 v107, v107, v107
	v_max_f32_e32 v108, v108, v108
	;; [unrolled: 1-line block ×4, first 2 shown]
	v_min_f32_e32 v111, v91, v87
	v_min_f32_e32 v112, v92, v88
	;; [unrolled: 1-line block ×64, first 2 shown]
	v_add_f32_e32 v75, v112, v75
	v_add_f32_e32 v74, v111, v74
	;; [unrolled: 1-line block ×64, first 2 shown]
	s_cbranch_vccz .LBB27_20
; %bb.21:                               ;   in Loop: Header=BB27_15 Depth=1
	s_mov_b32 s17, -1
	s_mov_b32 vcc_lo, s1
	ds_write_b32 v79, v6
	ds_write2st64_b32 v77, v8, v9 offset1:4
	s_waitcnt lgkmcnt(0)
	s_barrier
	buffer_gl0_inv
                                        ; implicit-def: $vgpr8_vgpr9
	s_cbranch_vccz .LBB27_23
; %bb.22:                               ;   in Loop: Header=BB27_15 Depth=1
	v_mov_b32_e32 v8, v7
	s_mov_b32 s17, 0
.LBB27_23:                              ;   in Loop: Header=BB27_15 Depth=1
	v_mov_b32_e32 v6, 0
	v_mov_b32_e32 v9, 0
	s_andn2_b32 vcc_lo, exec_lo, s17
	s_cbranch_vccnz .LBB27_25
; %bb.24:                               ;   in Loop: Header=BB27_15 Depth=1
	v_add_nc_u32_e32 v87, s11, v76
	v_or_b32_e32 v6, s11, v12
	v_mad_u64_u32 v[8:9], null, v87, s20, 0
	v_mad_u64_u32 v[87:88], null, v87, s18, v[9:10]
	v_lshlrev_b64 v[88:89], 2, v[6:7]
	v_add_co_u32 v6, vcc_lo, s14, v88
	v_mov_b32_e32 v9, v87
	v_add_co_ci_u32_e64 v90, null, s15, v89, vcc_lo
	v_add_co_u32 v87, vcc_lo, v6, v2
	v_lshlrev_b64 v[8:9], 2, v[8:9]
	v_add_co_ci_u32_e64 v88, null, v90, v3, vcc_lo
	v_add_co_u32 v8, vcc_lo, v85, v8
	v_add_co_ci_u32_e64 v9, null, v86, v9, vcc_lo
	v_add_co_u32 v89, vcc_lo, v6, v4
	v_add_co_ci_u32_e64 v90, null, v90, v5, vcc_lo
	flat_load_dword v6, v[87:88] offset:16
	flat_load_dword v9, v[8:9]
	flat_load_dword v87, v[89:90] offset:16
	s_waitcnt vmcnt(2) lgkmcnt(2)
	v_mul_f32_e32 v8, s24, v6
	s_waitcnt vmcnt(1) lgkmcnt(1)
	v_mul_f32_e32 v6, s24, v9
	;; [unrolled: 2-line block ×3, first 2 shown]
.LBB27_25:                              ;   in Loop: Header=BB27_15 Depth=1
	s_mov_b32 s19, 0
	s_mov_b32 s17, -1
.LBB27_26:                              ;   Parent Loop BB27_15 Depth=1
                                        ; =>  This Inner Loop Header: Depth=2
	s_lshl_b32 s19, s19, 2
	v_cndmask_b32_e64 v87, 0, 1, s17
	v_add_nc_u32_e32 v107, s19, v80
	v_add_nc_u32_e32 v103, s19, v78
	s_mov_b32 s17, 0
	s_mov_b32 s19, 2
	v_cmp_ne_u32_e32 vcc_lo, 1, v87
	ds_read2st64_b64 v[87:90], v107 offset1:1
	ds_read2_b64 v[91:94], v103 offset1:16
	ds_read2_b64 v[95:98], v103 offset0:32 offset1:48
	ds_read2_b64 v[99:102], v103 offset0:64 offset1:80
	;; [unrolled: 1-line block ×3, first 2 shown]
	ds_read2st64_b64 v[107:110], v107 offset0:2 offset1:3
	s_and_b32 vcc_lo, exec_lo, vcc_lo
	s_waitcnt lgkmcnt(5)
	v_max_f32_e32 v87, v87, v87
	s_waitcnt lgkmcnt(4)
	v_max_f32_e32 v91, v91, v91
	v_max_f32_e32 v88, v88, v88
	;; [unrolled: 1-line block ×5, first 2 shown]
	s_waitcnt lgkmcnt(3)
	v_max_f32_e32 v95, v95, v95
	v_max_f32_e32 v96, v96, v96
	v_max_f32_e32 v97, v97, v97
	v_max_f32_e32 v98, v98, v98
	s_waitcnt lgkmcnt(2)
	v_max_f32_e32 v99, v99, v99
	v_max_f32_e32 v100, v100, v100
	v_max_f32_e32 v101, v101, v101
	v_max_f32_e32 v102, v102, v102
	;; [unrolled: 5-line block ×3, first 2 shown]
	v_max_f32_e32 v89, v89, v89
	v_max_f32_e32 v90, v90, v90
	s_waitcnt lgkmcnt(0)
	v_max_f32_e32 v107, v107, v107
	v_max_f32_e32 v108, v108, v108
	v_max_f32_e32 v109, v109, v109
	v_max_f32_e32 v110, v110, v110
	v_min_f32_e32 v111, v91, v87
	v_min_f32_e32 v112, v92, v88
	;; [unrolled: 1-line block ×64, first 2 shown]
	v_add_f32_e32 v75, v112, v75
	v_add_f32_e32 v74, v111, v74
	;; [unrolled: 1-line block ×64, first 2 shown]
	s_cbranch_vccz .LBB27_26
; %bb.27:                               ;   in Loop: Header=BB27_15 Depth=1
	s_add_i32 s16, s16, 8
	s_add_i32 s11, s11, 8
	s_cmp_ge_i32 s16, s10
	ds_write_b32 v83, v6
	ds_write2st64_b32 v84, v8, v9 offset1:4
	s_waitcnt lgkmcnt(0)
	s_barrier
	buffer_gl0_inv
	s_cbranch_scc0 .LBB27_15
.LBB27_28:
	s_mov_b32 s10, 0
	s_mov_b32 s1, -1
.LBB27_29:                              ; =>This Inner Loop Header: Depth=1
	s_lshl_b32 s10, s10, 2
	v_cndmask_b32_e64 v2, 0, 1, s1
	v_add_nc_u32_e32 v12, s10, v82
	v_add_nc_u32_e32 v13, s10, v81
	s_mov_b32 s1, 0
	s_mov_b32 s10, 2
	v_cmp_ne_u32_e32 vcc_lo, 1, v2
	ds_read2st64_b64 v[2:5], v12 offset1:1
	ds_read2_b64 v[6:9], v13 offset1:16
	ds_read2_b64 v[76:79], v13 offset0:32 offset1:48
	ds_read2_b64 v[83:86], v13 offset0:64 offset1:80
	;; [unrolled: 1-line block ×3, first 2 shown]
	ds_read2st64_b64 v[91:94], v12 offset0:2 offset1:3
	s_and_b32 vcc_lo, exec_lo, vcc_lo
	s_waitcnt lgkmcnt(5)
	v_max_f32_e32 v2, v2, v2
	s_waitcnt lgkmcnt(4)
	v_max_f32_e32 v6, v6, v6
	v_max_f32_e32 v3, v3, v3
	;; [unrolled: 1-line block ×5, first 2 shown]
	s_waitcnt lgkmcnt(3)
	v_max_f32_e32 v12, v76, v76
	v_max_f32_e32 v13, v77, v77
	v_max_f32_e32 v76, v78, v78
	v_max_f32_e32 v77, v79, v79
	s_waitcnt lgkmcnt(2)
	v_max_f32_e32 v78, v83, v83
	v_max_f32_e32 v79, v84, v84
	v_max_f32_e32 v80, v85, v85
	v_max_f32_e32 v83, v86, v86
	s_waitcnt lgkmcnt(1)
	v_max_f32_e32 v84, v87, v87
	v_max_f32_e32 v85, v88, v88
	v_max_f32_e32 v86, v89, v89
	v_max_f32_e32 v87, v90, v90
	v_max_f32_e32 v4, v4, v4
	v_max_f32_e32 v5, v5, v5
	s_waitcnt lgkmcnt(0)
	v_max_f32_e32 v88, v91, v91
	v_max_f32_e32 v89, v92, v92
	;; [unrolled: 1-line block ×4, first 2 shown]
	v_min_f32_e32 v92, v6, v2
	v_min_f32_e32 v93, v7, v3
	v_min_f32_e32 v94, v8, v2
	v_min_f32_e32 v95, v9, v3
	v_min_f32_e32 v96, v12, v2
	v_min_f32_e32 v97, v13, v3
	v_min_f32_e32 v98, v76, v2
	v_min_f32_e32 v99, v77, v3
	v_min_f32_e32 v100, v78, v2
	v_min_f32_e32 v101, v79, v3
	v_min_f32_e32 v102, v80, v2
	v_min_f32_e32 v103, v83, v3
	v_min_f32_e32 v104, v84, v2
	v_min_f32_e32 v105, v85, v3
	v_min_f32_e32 v2, v86, v2
	v_min_f32_e32 v3, v87, v3
	v_min_f32_e32 v106, v6, v4
	v_min_f32_e32 v107, v7, v5
	v_min_f32_e32 v108, v8, v4
	v_min_f32_e32 v109, v9, v5
	v_min_f32_e32 v110, v12, v4
	v_min_f32_e32 v111, v13, v5
	v_min_f32_e32 v112, v76, v4
	v_min_f32_e32 v113, v77, v5
	v_min_f32_e32 v114, v78, v4
	v_min_f32_e32 v115, v79, v5
	v_min_f32_e32 v116, v80, v4
	v_min_f32_e32 v117, v83, v5
	v_min_f32_e32 v118, v84, v4
	v_min_f32_e32 v119, v85, v5
	v_min_f32_e32 v4, v86, v4
	v_min_f32_e32 v5, v87, v5
	v_min_f32_e32 v120, v6, v88
	v_min_f32_e32 v121, v7, v89
	v_min_f32_e32 v122, v8, v88
	v_min_f32_e32 v123, v9, v89
	v_min_f32_e32 v124, v12, v88
	v_min_f32_e32 v125, v13, v89
	v_min_f32_e32 v126, v76, v88
	v_min_f32_e32 v127, v77, v89
	v_min_f32_e32 v128, v78, v88
	v_min_f32_e32 v129, v79, v89
	v_min_f32_e32 v130, v80, v88
	v_min_f32_e32 v131, v83, v89
	v_min_f32_e32 v132, v84, v88
	v_min_f32_e32 v133, v85, v89
	v_min_f32_e32 v88, v86, v88
	v_min_f32_e32 v89, v87, v89
	v_min_f32_e32 v6, v6, v90
	v_min_f32_e32 v7, v7, v91
	v_min_f32_e32 v8, v8, v90
	v_min_f32_e32 v9, v9, v91
	v_min_f32_e32 v12, v12, v90
	v_min_f32_e32 v13, v13, v91
	v_min_f32_e32 v76, v76, v90
	v_min_f32_e32 v77, v77, v91
	v_min_f32_e32 v78, v78, v90
	v_min_f32_e32 v79, v79, v91
	v_min_f32_e32 v80, v80, v90
	v_min_f32_e32 v83, v83, v91
	v_min_f32_e32 v84, v84, v90
	v_min_f32_e32 v85, v85, v91
	v_min_f32_e32 v86, v86, v90
	v_min_f32_e32 v87, v87, v91
	v_add_f32_e32 v75, v93, v75
	v_add_f32_e32 v74, v92, v74
	;; [unrolled: 1-line block ×64, first 2 shown]
	s_cbranch_vccz .LBB27_29
; %bb.30:
	s_load_dword s10, s[4:5], 0x58
	v_add_nc_u32_e32 v76, s13, v1
	v_add_nc_u32_e32 v12, s12, v0
	v_cndmask_b32_e64 v0, 0, 1, s2
	v_mov_b32_e32 v4, 0
	v_ashrrev_i32_e32 v13, 31, v12
	v_cmp_ne_u32_e64 s1, 1, v0
	s_waitcnt lgkmcnt(0)
	v_mad_i64_i32 v[1:2], null, v76, s10, 0
	v_lshlrev_b64 v[2:3], 2, v[1:2]
	v_lshlrev_b64 v[0:1], 2, v[12:13]
	v_add_co_u32 v77, vcc_lo, s8, v2
	v_add_co_ci_u32_e64 v78, null, s9, v3, vcc_lo
	v_mov_b32_e32 v2, 0
	s_andn2_b32 vcc_lo, exec_lo, s2
	s_cbranch_vccnz .LBB27_32
; %bb.31:
	v_add_co_u32 v2, vcc_lo, v77, v0
	v_add_co_ci_u32_e64 v3, null, v78, v1, vcc_lo
	flat_load_dword v2, v[2:3]
	s_waitcnt vmcnt(0) lgkmcnt(0)
	v_mul_f32_e32 v2, s3, v2
.LBB27_32:
	s_clause 0x1
	s_load_dword s2, s[4:5], 0x70
	s_load_dwordx2 s[4:5], s[4:5], 0x78
	v_add_nc_u32_e32 v7, 8, v12
	v_add_f32_e32 v3, v74, v75
	v_ashrrev_i32_e32 v8, 31, v7
	v_add_f32_e32 v9, v3, v2
	v_lshlrev_b64 v[2:3], 2, v[7:8]
	s_waitcnt lgkmcnt(0)
	v_mad_i64_i32 v[5:6], null, v76, s2, 0
	s_lshl_b64 s[4:5], s[4:5], 2
	s_add_u32 s4, s6, s4
	s_addc_u32 s5, s7, s5
	v_lshlrev_b64 v[5:6], 2, v[5:6]
	v_add_co_u32 v74, vcc_lo, s4, v5
	v_add_co_ci_u32_e64 v75, null, s5, v6, vcc_lo
	v_add_co_u32 v5, vcc_lo, v74, v0
	v_add_co_ci_u32_e64 v6, null, v75, v1, vcc_lo
	s_and_b32 vcc_lo, exec_lo, s1
	flat_store_dword v[5:6], v9
	s_cbranch_vccnz .LBB27_34
; %bb.33:
	v_add_co_u32 v4, vcc_lo, v77, v2
	v_add_co_ci_u32_e64 v5, null, v78, v3, vcc_lo
	flat_load_dword v4, v[4:5]
	s_waitcnt vmcnt(0) lgkmcnt(0)
	v_mul_f32_e32 v4, s3, v4
.LBB27_34:
	v_add_nc_u32_e32 v5, 16, v12
	v_add_f32_e32 v7, v72, v73
	v_add_co_u32 v72, vcc_lo, v74, v2
	v_add_co_ci_u32_e64 v73, null, v75, v3, vcc_lo
	v_ashrrev_i32_e32 v6, 31, v5
	v_add_f32_e32 v7, v7, v4
	v_mov_b32_e32 v8, 0
	s_and_b32 vcc_lo, exec_lo, s1
	v_lshlrev_b64 v[4:5], 2, v[5:6]
	v_mov_b32_e32 v6, 0
	flat_store_dword v[72:73], v7
	s_cbranch_vccnz .LBB27_36
; %bb.35:
	v_add_co_u32 v6, vcc_lo, v77, v4
	v_add_co_ci_u32_e64 v7, null, v78, v5, vcc_lo
	flat_load_dword v6, v[6:7]
	s_waitcnt vmcnt(0) lgkmcnt(0)
	v_mul_f32_e32 v6, s3, v6
.LBB27_36:
	v_add_nc_u32_e32 v72, 24, v12
	v_add_f32_e32 v7, v70, v71
	v_add_co_u32 v70, vcc_lo, v74, v4
	v_add_co_ci_u32_e64 v71, null, v75, v5, vcc_lo
	v_ashrrev_i32_e32 v73, 31, v72
	v_add_f32_e32 v9, v7, v6
	s_and_b32 vcc_lo, exec_lo, s1
	v_lshlrev_b64 v[6:7], 2, v[72:73]
	flat_store_dword v[70:71], v9
	s_cbranch_vccnz .LBB27_38
; %bb.37:
	v_add_co_u32 v8, vcc_lo, v77, v6
	v_add_co_ci_u32_e64 v9, null, v78, v7, vcc_lo
	flat_load_dword v8, v[8:9]
	s_waitcnt vmcnt(0) lgkmcnt(0)
	v_mul_f32_e32 v8, s3, v8
.LBB27_38:
	v_add_nc_u32_e32 v9, 32, v12
	v_add_f32_e32 v11, v10, v11
	v_add_co_u32 v70, vcc_lo, v74, v6
	v_add_co_ci_u32_e64 v71, null, v75, v7, vcc_lo
	v_ashrrev_i32_e32 v10, 31, v9
	v_add_f32_e32 v13, v11, v8
	v_mov_b32_e32 v8, 0
	s_and_b32 vcc_lo, exec_lo, s1
	v_lshlrev_b64 v[10:11], 2, v[9:10]
	v_mov_b32_e32 v9, 0
	flat_store_dword v[70:71], v13
	s_cbranch_vccnz .LBB27_40
; %bb.39:
	v_add_co_u32 v70, vcc_lo, v77, v10
	v_add_co_ci_u32_e64 v71, null, v78, v11, vcc_lo
	flat_load_dword v9, v[70:71]
	s_waitcnt vmcnt(0) lgkmcnt(0)
	v_mul_f32_e32 v9, s3, v9
.LBB27_40:
	v_add_nc_u32_e32 v13, 40, v12
	v_add_f32_e32 v15, v14, v15
	v_add_co_u32 v70, vcc_lo, v74, v10
	v_add_co_ci_u32_e64 v71, null, v75, v11, vcc_lo
	v_ashrrev_i32_e32 v14, 31, v13
	v_add_f32_e32 v9, v15, v9
	s_and_b32 vcc_lo, exec_lo, s1
	v_lshlrev_b64 v[14:15], 2, v[13:14]
	flat_store_dword v[70:71], v9
	s_cbranch_vccnz .LBB27_42
; %bb.41:
	v_add_co_u32 v8, vcc_lo, v77, v14
	v_add_co_ci_u32_e64 v9, null, v78, v15, vcc_lo
	flat_load_dword v8, v[8:9]
	s_waitcnt vmcnt(0) lgkmcnt(0)
	v_mul_f32_e32 v8, s3, v8
.LBB27_42:
	v_add_nc_u32_e32 v70, 48, v12
	v_add_f32_e32 v9, v68, v69
	v_add_co_u32 v72, vcc_lo, v74, v14
	v_add_co_ci_u32_e64 v73, null, v75, v15, vcc_lo
	v_ashrrev_i32_e32 v71, 31, v70
	v_add_f32_e32 v69, v9, v8
	v_mov_b32_e32 v68, 0
	v_mov_b32_e32 v13, 0
	s_and_b32 vcc_lo, exec_lo, s1
	v_lshlrev_b64 v[8:9], 2, v[70:71]
	flat_store_dword v[72:73], v69
	s_cbranch_vccnz .LBB27_44
; %bb.43:
	v_add_co_u32 v69, vcc_lo, v77, v8
	v_add_co_ci_u32_e64 v70, null, v78, v9, vcc_lo
	flat_load_dword v13, v[69:70]
	s_waitcnt vmcnt(0) lgkmcnt(0)
	v_mul_f32_e32 v13, s3, v13
.LBB27_44:
	v_add_nc_u32_e32 v69, 56, v12
	v_add_f32_e32 v12, v66, v67
	v_add_co_u32 v66, vcc_lo, v74, v8
	v_add_co_ci_u32_e64 v67, null, v75, v9, vcc_lo
	v_ashrrev_i32_e32 v70, 31, v69
	v_add_f32_e32 v71, v12, v13
	s_and_b32 vcc_lo, exec_lo, s1
	v_lshlrev_b64 v[12:13], 2, v[69:70]
	flat_store_dword v[66:67], v71
	s_cbranch_vccnz .LBB27_46
; %bb.45:
	v_add_co_u32 v66, vcc_lo, v77, v12
	v_add_co_ci_u32_e64 v67, null, v78, v13, vcc_lo
	flat_load_dword v66, v[66:67]
	s_waitcnt vmcnt(0) lgkmcnt(0)
	v_mul_f32_e32 v68, s3, v66
.LBB27_46:
	v_add_nc_u32_e32 v67, 32, v76
	v_add_f32_e32 v71, v64, v65
	v_mov_b32_e32 v66, 0
	v_mad_i64_i32 v[69:70], null, v67, s10, 0
	v_add_f32_e32 v71, v71, v68
	v_mov_b32_e32 v68, 0
	v_lshlrev_b64 v[64:65], 2, v[69:70]
	v_add_co_u32 v69, vcc_lo, v74, v12
	v_add_co_ci_u32_e64 v70, null, v75, v13, vcc_lo
	v_add_co_u32 v64, vcc_lo, s8, v64
	v_add_co_ci_u32_e64 v65, null, s9, v65, vcc_lo
	s_and_b32 vcc_lo, exec_lo, s1
	flat_store_dword v[69:70], v71
	s_cbranch_vccnz .LBB27_48
; %bb.47:
	v_add_co_u32 v68, vcc_lo, v64, v0
	v_add_co_ci_u32_e64 v69, null, v65, v1, vcc_lo
	flat_load_dword v68, v[68:69]
	s_waitcnt vmcnt(0) lgkmcnt(0)
	v_mul_f32_e32 v68, s3, v68
.LBB27_48:
	v_mad_i64_i32 v[69:70], null, v67, s2, 0
	v_add_f32_e32 v67, v62, v63
	v_lshlrev_b64 v[69:70], 2, v[69:70]
	v_add_co_u32 v62, vcc_lo, s4, v69
	v_add_co_ci_u32_e64 v63, null, s5, v70, vcc_lo
	v_add_f32_e32 v69, v67, v68
	v_add_co_u32 v67, vcc_lo, v62, v0
	v_add_co_ci_u32_e64 v68, null, v63, v1, vcc_lo
	s_and_b32 vcc_lo, exec_lo, s1
	flat_store_dword v[67:68], v69
	s_cbranch_vccnz .LBB27_50
; %bb.49:
	v_add_co_u32 v66, vcc_lo, v64, v2
	v_add_co_ci_u32_e64 v67, null, v65, v3, vcc_lo
	flat_load_dword v66, v[66:67]
	s_waitcnt vmcnt(0) lgkmcnt(0)
	v_mul_f32_e32 v66, s3, v66
.LBB27_50:
	v_add_f32_e32 v60, v60, v61
	v_add_co_u32 v67, vcc_lo, v62, v2
	v_add_co_ci_u32_e64 v68, null, v63, v3, vcc_lo
	v_add_f32_e32 v66, v60, v66
	v_mov_b32_e32 v60, 0
	v_mov_b32_e32 v61, 0
	s_and_b32 vcc_lo, exec_lo, s1
	flat_store_dword v[67:68], v66
	s_cbranch_vccnz .LBB27_52
; %bb.51:
	v_add_co_u32 v66, vcc_lo, v64, v4
	v_add_co_ci_u32_e64 v67, null, v65, v5, vcc_lo
	flat_load_dword v61, v[66:67]
	s_waitcnt vmcnt(0) lgkmcnt(0)
	v_mul_f32_e32 v61, s3, v61
.LBB27_52:
	v_add_f32_e32 v58, v58, v59
	v_add_f32_e32 v61, v58, v61
	v_add_co_u32 v58, vcc_lo, v62, v4
	v_add_co_ci_u32_e64 v59, null, v63, v5, vcc_lo
	s_and_b32 vcc_lo, exec_lo, s1
	flat_store_dword v[58:59], v61
	s_cbranch_vccnz .LBB27_54
; %bb.53:
	v_add_co_u32 v58, vcc_lo, v64, v6
	v_add_co_ci_u32_e64 v59, null, v65, v7, vcc_lo
	flat_load_dword v58, v[58:59]
	s_waitcnt vmcnt(0) lgkmcnt(0)
	v_mul_f32_e32 v60, s3, v58
.LBB27_54:
	v_add_f32_e32 v56, v56, v57
	v_add_co_u32 v58, vcc_lo, v62, v6
	v_add_co_ci_u32_e64 v59, null, v63, v7, vcc_lo
	v_add_f32_e32 v60, v56, v60
	v_mov_b32_e32 v56, 0
	v_mov_b32_e32 v57, 0
	s_and_b32 vcc_lo, exec_lo, s1
	flat_store_dword v[58:59], v60
	s_cbranch_vccnz .LBB27_56
; %bb.55:
	v_add_co_u32 v57, vcc_lo, v64, v10
	v_add_co_ci_u32_e64 v58, null, v65, v11, vcc_lo
	flat_load_dword v57, v[57:58]
	s_waitcnt vmcnt(0) lgkmcnt(0)
	v_mul_f32_e32 v57, s3, v57
.LBB27_56:
	v_add_f32_e32 v54, v54, v55
	;; [unrolled: 30-line block ×3, first 2 shown]
	v_add_f32_e32 v53, v50, v53
	v_add_co_u32 v50, vcc_lo, v62, v8
	v_add_co_ci_u32_e64 v51, null, v63, v9, vcc_lo
	s_and_b32 vcc_lo, exec_lo, s1
	flat_store_dword v[50:51], v53
	s_cbranch_vccnz .LBB27_62
; %bb.61:
	v_add_co_u32 v50, vcc_lo, v64, v12
	v_add_co_ci_u32_e64 v51, null, v65, v13, vcc_lo
	flat_load_dword v50, v[50:51]
	s_waitcnt vmcnt(0) lgkmcnt(0)
	v_mul_f32_e32 v52, s3, v50
.LBB27_62:
	v_add_nc_u32_e32 v51, 64, v76
	v_add_f32_e32 v55, v48, v49
	v_mov_b32_e32 v50, 0
	v_mad_i64_i32 v[53:54], null, v51, s10, 0
	v_add_f32_e32 v55, v55, v52
	v_mov_b32_e32 v52, 0
	v_lshlrev_b64 v[48:49], 2, v[53:54]
	v_add_co_u32 v53, vcc_lo, v62, v12
	v_add_co_ci_u32_e64 v54, null, v63, v13, vcc_lo
	v_add_co_u32 v48, vcc_lo, s8, v48
	v_add_co_ci_u32_e64 v49, null, s9, v49, vcc_lo
	s_and_b32 vcc_lo, exec_lo, s1
	flat_store_dword v[53:54], v55
	s_cbranch_vccnz .LBB27_64
; %bb.63:
	v_add_co_u32 v52, vcc_lo, v48, v0
	v_add_co_ci_u32_e64 v53, null, v49, v1, vcc_lo
	flat_load_dword v52, v[52:53]
	s_waitcnt vmcnt(0) lgkmcnt(0)
	v_mul_f32_e32 v52, s3, v52
.LBB27_64:
	v_mad_i64_i32 v[53:54], null, v51, s2, 0
	v_add_f32_e32 v51, v46, v47
	v_lshlrev_b64 v[53:54], 2, v[53:54]
	v_add_co_u32 v46, vcc_lo, s4, v53
	v_add_co_ci_u32_e64 v47, null, s5, v54, vcc_lo
	v_add_f32_e32 v53, v51, v52
	v_add_co_u32 v51, vcc_lo, v46, v0
	v_add_co_ci_u32_e64 v52, null, v47, v1, vcc_lo
	s_and_b32 vcc_lo, exec_lo, s1
	flat_store_dword v[51:52], v53
	s_cbranch_vccnz .LBB27_66
; %bb.65:
	v_add_co_u32 v50, vcc_lo, v48, v2
	v_add_co_ci_u32_e64 v51, null, v49, v3, vcc_lo
	flat_load_dword v50, v[50:51]
	s_waitcnt vmcnt(0) lgkmcnt(0)
	v_mul_f32_e32 v50, s3, v50
.LBB27_66:
	v_add_f32_e32 v44, v44, v45
	v_add_co_u32 v51, vcc_lo, v46, v2
	v_add_co_ci_u32_e64 v52, null, v47, v3, vcc_lo
	v_add_f32_e32 v50, v44, v50
	v_mov_b32_e32 v44, 0
	v_mov_b32_e32 v45, 0
	s_and_b32 vcc_lo, exec_lo, s1
	flat_store_dword v[51:52], v50
	s_cbranch_vccnz .LBB27_68
; %bb.67:
	v_add_co_u32 v50, vcc_lo, v48, v4
	v_add_co_ci_u32_e64 v51, null, v49, v5, vcc_lo
	flat_load_dword v45, v[50:51]
	s_waitcnt vmcnt(0) lgkmcnt(0)
	v_mul_f32_e32 v45, s3, v45
.LBB27_68:
	v_add_f32_e32 v42, v42, v43
	v_add_f32_e32 v45, v42, v45
	v_add_co_u32 v42, vcc_lo, v46, v4
	v_add_co_ci_u32_e64 v43, null, v47, v5, vcc_lo
	s_and_b32 vcc_lo, exec_lo, s1
	flat_store_dword v[42:43], v45
	s_cbranch_vccnz .LBB27_70
; %bb.69:
	v_add_co_u32 v42, vcc_lo, v48, v6
	v_add_co_ci_u32_e64 v43, null, v49, v7, vcc_lo
	flat_load_dword v42, v[42:43]
	s_waitcnt vmcnt(0) lgkmcnt(0)
	v_mul_f32_e32 v44, s3, v42
.LBB27_70:
	v_add_f32_e32 v40, v40, v41
	v_add_co_u32 v42, vcc_lo, v46, v6
	v_add_co_ci_u32_e64 v43, null, v47, v7, vcc_lo
	v_add_f32_e32 v44, v40, v44
	v_mov_b32_e32 v40, 0
	v_mov_b32_e32 v41, 0
	s_and_b32 vcc_lo, exec_lo, s1
	flat_store_dword v[42:43], v44
	s_cbranch_vccnz .LBB27_72
; %bb.71:
	v_add_co_u32 v41, vcc_lo, v48, v10
	v_add_co_ci_u32_e64 v42, null, v49, v11, vcc_lo
	flat_load_dword v41, v[41:42]
	s_waitcnt vmcnt(0) lgkmcnt(0)
	v_mul_f32_e32 v41, s3, v41
.LBB27_72:
	v_add_f32_e32 v38, v38, v39
	;; [unrolled: 30-line block ×3, first 2 shown]
	v_add_f32_e32 v37, v34, v37
	v_add_co_u32 v34, vcc_lo, v46, v8
	v_add_co_ci_u32_e64 v35, null, v47, v9, vcc_lo
	s_and_b32 vcc_lo, exec_lo, s1
	flat_store_dword v[34:35], v37
	s_cbranch_vccnz .LBB27_78
; %bb.77:
	v_add_co_u32 v34, vcc_lo, v48, v12
	v_add_co_ci_u32_e64 v35, null, v49, v13, vcc_lo
	flat_load_dword v34, v[34:35]
	s_waitcnt vmcnt(0) lgkmcnt(0)
	v_mul_f32_e32 v36, s3, v34
.LBB27_78:
	v_add_nc_u32_e32 v35, 0x60, v76
	v_add_f32_e32 v39, v32, v33
	v_mov_b32_e32 v34, 0
	v_mad_i64_i32 v[37:38], null, v35, s10, 0
	v_add_f32_e32 v39, v39, v36
	v_mov_b32_e32 v36, 0
	v_lshlrev_b64 v[32:33], 2, v[37:38]
	v_add_co_u32 v37, vcc_lo, v46, v12
	v_add_co_ci_u32_e64 v38, null, v47, v13, vcc_lo
	v_add_co_u32 v32, vcc_lo, s8, v32
	v_add_co_ci_u32_e64 v33, null, s9, v33, vcc_lo
	s_and_b32 vcc_lo, exec_lo, s1
	flat_store_dword v[37:38], v39
	s_cbranch_vccnz .LBB27_80
; %bb.79:
	v_add_co_u32 v36, vcc_lo, v32, v0
	v_add_co_ci_u32_e64 v37, null, v33, v1, vcc_lo
	flat_load_dword v36, v[36:37]
	s_waitcnt vmcnt(0) lgkmcnt(0)
	v_mul_f32_e32 v36, s3, v36
.LBB27_80:
	v_mad_i64_i32 v[37:38], null, v35, s2, 0
	v_add_f32_e32 v35, v30, v31
	v_add_f32_e32 v35, v35, v36
	v_lshlrev_b64 v[37:38], 2, v[37:38]
	v_add_co_u32 v30, vcc_lo, s4, v37
	v_add_co_ci_u32_e64 v31, null, s5, v38, vcc_lo
	v_add_co_u32 v0, vcc_lo, v30, v0
	v_add_co_ci_u32_e64 v1, null, v31, v1, vcc_lo
	s_and_b32 vcc_lo, exec_lo, s1
	flat_store_dword v[0:1], v35
	s_cbranch_vccnz .LBB27_82
; %bb.81:
	v_add_co_u32 v0, vcc_lo, v32, v2
	v_add_co_ci_u32_e64 v1, null, v33, v3, vcc_lo
	flat_load_dword v0, v[0:1]
	s_waitcnt vmcnt(0) lgkmcnt(0)
	v_mul_f32_e32 v34, s3, v0
.LBB27_82:
	v_add_f32_e32 v0, v28, v29
	v_add_co_u32 v2, vcc_lo, v30, v2
	v_add_co_ci_u32_e64 v3, null, v31, v3, vcc_lo
	v_add_f32_e32 v28, v0, v34
	v_mov_b32_e32 v0, 0
	v_mov_b32_e32 v1, 0
	s_and_b32 vcc_lo, exec_lo, s1
	flat_store_dword v[2:3], v28
	s_cbranch_vccnz .LBB27_84
; %bb.83:
	v_add_co_u32 v1, vcc_lo, v32, v4
	v_add_co_ci_u32_e64 v2, null, v33, v5, vcc_lo
	flat_load_dword v1, v[1:2]
	s_waitcnt vmcnt(0) lgkmcnt(0)
	v_mul_f32_e32 v1, s3, v1
.LBB27_84:
	v_add_f32_e32 v2, v26, v27
	v_add_f32_e32 v3, v2, v1
	v_add_co_u32 v1, vcc_lo, v30, v4
	v_add_co_ci_u32_e64 v2, null, v31, v5, vcc_lo
	s_and_b32 vcc_lo, exec_lo, s1
	flat_store_dword v[1:2], v3
	s_cbranch_vccnz .LBB27_86
; %bb.85:
	v_add_co_u32 v0, vcc_lo, v32, v6
	v_add_co_ci_u32_e64 v1, null, v33, v7, vcc_lo
	flat_load_dword v0, v[0:1]
	s_waitcnt vmcnt(0) lgkmcnt(0)
	v_mul_f32_e32 v0, s3, v0
.LBB27_86:
	v_add_f32_e32 v1, v24, v25
	v_add_co_u32 v2, vcc_lo, v30, v6
	v_add_co_ci_u32_e64 v3, null, v31, v7, vcc_lo
	v_add_f32_e32 v4, v1, v0
	v_mov_b32_e32 v0, 0
	v_mov_b32_e32 v1, 0
	s_and_b32 vcc_lo, exec_lo, s1
	flat_store_dword v[2:3], v4
	s_cbranch_vccnz .LBB27_88
; %bb.87:
	v_add_co_u32 v1, vcc_lo, v32, v10
	v_add_co_ci_u32_e64 v2, null, v33, v11, vcc_lo
	flat_load_dword v1, v[1:2]
	s_waitcnt vmcnt(0) lgkmcnt(0)
	v_mul_f32_e32 v1, s3, v1
.LBB27_88:
	v_add_f32_e32 v2, v22, v23
	v_add_f32_e32 v3, v2, v1
	v_add_co_u32 v1, vcc_lo, v30, v10
	v_add_co_ci_u32_e64 v2, null, v31, v11, vcc_lo
	s_and_b32 vcc_lo, exec_lo, s1
	flat_store_dword v[1:2], v3
	s_cbranch_vccnz .LBB27_90
; %bb.89:
	v_add_co_u32 v0, vcc_lo, v32, v14
	v_add_co_ci_u32_e64 v1, null, v33, v15, vcc_lo
	flat_load_dword v0, v[0:1]
	s_waitcnt vmcnt(0) lgkmcnt(0)
	v_mul_f32_e32 v0, s3, v0
.LBB27_90:
	v_add_f32_e32 v3, v20, v21
	v_add_co_u32 v1, vcc_lo, v30, v14
	v_add_co_ci_u32_e64 v2, null, v31, v15, vcc_lo
	v_add_f32_e32 v3, v3, v0
	v_add_f32_e32 v0, v18, v19
	s_mov_b32 s1, -1
	s_mov_b32 vcc_lo, s0
	flat_store_dword v[1:2], v3
	s_cbranch_vccz .LBB27_92
; %bb.91:
	v_add_co_u32 v1, vcc_lo, v30, v8
	v_add_f32_e32 v3, 0, v0
	v_add_co_ci_u32_e64 v2, null, v31, v9, vcc_lo
	s_mov_b32 s1, 0
	flat_store_dword v[1:2], v3
.LBB27_92:
	v_mov_b32_e32 v1, 0
	s_andn2_b32 vcc_lo, exec_lo, s1
	s_cbranch_vccnz .LBB27_94
; %bb.93:
	v_add_co_u32 v1, vcc_lo, v32, v8
	v_add_co_ci_u32_e64 v2, null, v33, v9, vcc_lo
	flat_load_dword v3, v[1:2]
	v_add_co_u32 v1, vcc_lo, v30, v8
	v_add_co_ci_u32_e64 v2, null, v31, v9, vcc_lo
	s_waitcnt vmcnt(0) lgkmcnt(0)
	v_fmac_f32_e32 v0, s3, v3
	v_add_co_u32 v3, vcc_lo, v32, v12
	v_add_co_ci_u32_e64 v4, null, v33, v13, vcc_lo
	flat_store_dword v[1:2], v0
	flat_load_dword v0, v[3:4]
	s_waitcnt vmcnt(0) lgkmcnt(0)
	v_mul_f32_e32 v1, s3, v0
.LBB27_94:
	v_add_f32_e32 v0, v16, v17
	v_add_f32_e32 v2, v0, v1
	v_add_co_u32 v0, vcc_lo, v30, v12
	v_add_co_ci_u32_e64 v1, null, v31, v13, vcc_lo
	flat_store_dword v[0:1], v2
	s_endpgm
	.section	.rodata,"a",@progbits
	.p2align	6, 0x0
	.amdhsa_kernel _ZN12_GLOBAL__N_120geam_min_plus_kernelIf15HIP_vector_typeIfLj2EES2_Li8ELi32ELi64ELi128ELi4ELi64ELi4ELi4ELi64ELc78ELc78ELb0ELb0ELb0EPKfKS4_KPfEEviiiT16_PT17_ilSA_ilS8_SA_ilPT18_ili26rocblas_geam_ex_operation_
		.amdhsa_group_segment_fixed_size 6144
		.amdhsa_private_segment_fixed_size 0
		.amdhsa_kernarg_size 136
		.amdhsa_user_sgpr_count 6
		.amdhsa_user_sgpr_private_segment_buffer 1
		.amdhsa_user_sgpr_dispatch_ptr 0
		.amdhsa_user_sgpr_queue_ptr 0
		.amdhsa_user_sgpr_kernarg_segment_ptr 1
		.amdhsa_user_sgpr_dispatch_id 0
		.amdhsa_user_sgpr_flat_scratch_init 0
		.amdhsa_user_sgpr_private_segment_size 0
		.amdhsa_wavefront_size32 1
		.amdhsa_uses_dynamic_stack 0
		.amdhsa_system_sgpr_private_segment_wavefront_offset 0
		.amdhsa_system_sgpr_workgroup_id_x 1
		.amdhsa_system_sgpr_workgroup_id_y 0
		.amdhsa_system_sgpr_workgroup_id_z 1
		.amdhsa_system_sgpr_workgroup_info 0
		.amdhsa_system_vgpr_workitem_id 1
		.amdhsa_next_free_vgpr 153
		.amdhsa_next_free_sgpr 25
		.amdhsa_reserve_vcc 1
		.amdhsa_reserve_flat_scratch 0
		.amdhsa_float_round_mode_32 0
		.amdhsa_float_round_mode_16_64 0
		.amdhsa_float_denorm_mode_32 3
		.amdhsa_float_denorm_mode_16_64 3
		.amdhsa_dx10_clamp 1
		.amdhsa_ieee_mode 1
		.amdhsa_fp16_overflow 0
		.amdhsa_workgroup_processor_mode 1
		.amdhsa_memory_ordered 1
		.amdhsa_forward_progress 1
		.amdhsa_shared_vgpr_count 0
		.amdhsa_exception_fp_ieee_invalid_op 0
		.amdhsa_exception_fp_denorm_src 0
		.amdhsa_exception_fp_ieee_div_zero 0
		.amdhsa_exception_fp_ieee_overflow 0
		.amdhsa_exception_fp_ieee_underflow 0
		.amdhsa_exception_fp_ieee_inexact 0
		.amdhsa_exception_int_div_zero 0
	.end_amdhsa_kernel
	.section	.text._ZN12_GLOBAL__N_120geam_min_plus_kernelIf15HIP_vector_typeIfLj2EES2_Li8ELi32ELi64ELi128ELi4ELi64ELi4ELi4ELi64ELc78ELc78ELb0ELb0ELb0EPKfKS4_KPfEEviiiT16_PT17_ilSA_ilS8_SA_ilPT18_ili26rocblas_geam_ex_operation_,"axG",@progbits,_ZN12_GLOBAL__N_120geam_min_plus_kernelIf15HIP_vector_typeIfLj2EES2_Li8ELi32ELi64ELi128ELi4ELi64ELi4ELi4ELi64ELc78ELc78ELb0ELb0ELb0EPKfKS4_KPfEEviiiT16_PT17_ilSA_ilS8_SA_ilPT18_ili26rocblas_geam_ex_operation_,comdat
.Lfunc_end27:
	.size	_ZN12_GLOBAL__N_120geam_min_plus_kernelIf15HIP_vector_typeIfLj2EES2_Li8ELi32ELi64ELi128ELi4ELi64ELi4ELi4ELi64ELc78ELc78ELb0ELb0ELb0EPKfKS4_KPfEEviiiT16_PT17_ilSA_ilS8_SA_ilPT18_ili26rocblas_geam_ex_operation_, .Lfunc_end27-_ZN12_GLOBAL__N_120geam_min_plus_kernelIf15HIP_vector_typeIfLj2EES2_Li8ELi32ELi64ELi128ELi4ELi64ELi4ELi4ELi64ELc78ELc78ELb0ELb0ELb0EPKfKS4_KPfEEviiiT16_PT17_ilSA_ilS8_SA_ilPT18_ili26rocblas_geam_ex_operation_
                                        ; -- End function
	.set _ZN12_GLOBAL__N_120geam_min_plus_kernelIf15HIP_vector_typeIfLj2EES2_Li8ELi32ELi64ELi128ELi4ELi64ELi4ELi4ELi64ELc78ELc78ELb0ELb0ELb0EPKfKS4_KPfEEviiiT16_PT17_ilSA_ilS8_SA_ilPT18_ili26rocblas_geam_ex_operation_.num_vgpr, 153
	.set _ZN12_GLOBAL__N_120geam_min_plus_kernelIf15HIP_vector_typeIfLj2EES2_Li8ELi32ELi64ELi128ELi4ELi64ELi4ELi4ELi64ELc78ELc78ELb0ELb0ELb0EPKfKS4_KPfEEviiiT16_PT17_ilSA_ilS8_SA_ilPT18_ili26rocblas_geam_ex_operation_.num_agpr, 0
	.set _ZN12_GLOBAL__N_120geam_min_plus_kernelIf15HIP_vector_typeIfLj2EES2_Li8ELi32ELi64ELi128ELi4ELi64ELi4ELi4ELi64ELc78ELc78ELb0ELb0ELb0EPKfKS4_KPfEEviiiT16_PT17_ilSA_ilS8_SA_ilPT18_ili26rocblas_geam_ex_operation_.numbered_sgpr, 25
	.set _ZN12_GLOBAL__N_120geam_min_plus_kernelIf15HIP_vector_typeIfLj2EES2_Li8ELi32ELi64ELi128ELi4ELi64ELi4ELi4ELi64ELc78ELc78ELb0ELb0ELb0EPKfKS4_KPfEEviiiT16_PT17_ilSA_ilS8_SA_ilPT18_ili26rocblas_geam_ex_operation_.num_named_barrier, 0
	.set _ZN12_GLOBAL__N_120geam_min_plus_kernelIf15HIP_vector_typeIfLj2EES2_Li8ELi32ELi64ELi128ELi4ELi64ELi4ELi4ELi64ELc78ELc78ELb0ELb0ELb0EPKfKS4_KPfEEviiiT16_PT17_ilSA_ilS8_SA_ilPT18_ili26rocblas_geam_ex_operation_.private_seg_size, 0
	.set _ZN12_GLOBAL__N_120geam_min_plus_kernelIf15HIP_vector_typeIfLj2EES2_Li8ELi32ELi64ELi128ELi4ELi64ELi4ELi4ELi64ELc78ELc78ELb0ELb0ELb0EPKfKS4_KPfEEviiiT16_PT17_ilSA_ilS8_SA_ilPT18_ili26rocblas_geam_ex_operation_.uses_vcc, 1
	.set _ZN12_GLOBAL__N_120geam_min_plus_kernelIf15HIP_vector_typeIfLj2EES2_Li8ELi32ELi64ELi128ELi4ELi64ELi4ELi4ELi64ELc78ELc78ELb0ELb0ELb0EPKfKS4_KPfEEviiiT16_PT17_ilSA_ilS8_SA_ilPT18_ili26rocblas_geam_ex_operation_.uses_flat_scratch, 0
	.set _ZN12_GLOBAL__N_120geam_min_plus_kernelIf15HIP_vector_typeIfLj2EES2_Li8ELi32ELi64ELi128ELi4ELi64ELi4ELi4ELi64ELc78ELc78ELb0ELb0ELb0EPKfKS4_KPfEEviiiT16_PT17_ilSA_ilS8_SA_ilPT18_ili26rocblas_geam_ex_operation_.has_dyn_sized_stack, 0
	.set _ZN12_GLOBAL__N_120geam_min_plus_kernelIf15HIP_vector_typeIfLj2EES2_Li8ELi32ELi64ELi128ELi4ELi64ELi4ELi4ELi64ELc78ELc78ELb0ELb0ELb0EPKfKS4_KPfEEviiiT16_PT17_ilSA_ilS8_SA_ilPT18_ili26rocblas_geam_ex_operation_.has_recursion, 0
	.set _ZN12_GLOBAL__N_120geam_min_plus_kernelIf15HIP_vector_typeIfLj2EES2_Li8ELi32ELi64ELi128ELi4ELi64ELi4ELi4ELi64ELc78ELc78ELb0ELb0ELb0EPKfKS4_KPfEEviiiT16_PT17_ilSA_ilS8_SA_ilPT18_ili26rocblas_geam_ex_operation_.has_indirect_call, 0
	.section	.AMDGPU.csdata,"",@progbits
; Kernel info:
; codeLenInByte = 7756
; TotalNumSgprs: 27
; NumVgprs: 153
; ScratchSize: 0
; MemoryBound: 0
; FloatMode: 240
; IeeeMode: 1
; LDSByteSize: 6144 bytes/workgroup (compile time only)
; SGPRBlocks: 0
; VGPRBlocks: 19
; NumSGPRsForWavesPerEU: 27
; NumVGPRsForWavesPerEU: 153
; Occupancy: 6
; WaveLimiterHint : 1
; COMPUTE_PGM_RSRC2:SCRATCH_EN: 0
; COMPUTE_PGM_RSRC2:USER_SGPR: 6
; COMPUTE_PGM_RSRC2:TRAP_HANDLER: 0
; COMPUTE_PGM_RSRC2:TGID_X_EN: 1
; COMPUTE_PGM_RSRC2:TGID_Y_EN: 0
; COMPUTE_PGM_RSRC2:TGID_Z_EN: 1
; COMPUTE_PGM_RSRC2:TIDIG_COMP_CNT: 1
	.section	.text._ZN12_GLOBAL__N_120geam_min_plus_kernelIf15HIP_vector_typeIfLj2EES2_Li8ELi32ELi64ELi128ELi4ELi64ELi4ELi4ELi64ELc78ELc78ELb1ELb0ELb0EfKPKfKPfEEviiiT16_PT17_ilSA_ilS8_SA_ilPT18_ili26rocblas_geam_ex_operation_,"axG",@progbits,_ZN12_GLOBAL__N_120geam_min_plus_kernelIf15HIP_vector_typeIfLj2EES2_Li8ELi32ELi64ELi128ELi4ELi64ELi4ELi4ELi64ELc78ELc78ELb1ELb0ELb0EfKPKfKPfEEviiiT16_PT17_ilSA_ilS8_SA_ilPT18_ili26rocblas_geam_ex_operation_,comdat
	.globl	_ZN12_GLOBAL__N_120geam_min_plus_kernelIf15HIP_vector_typeIfLj2EES2_Li8ELi32ELi64ELi128ELi4ELi64ELi4ELi4ELi64ELc78ELc78ELb1ELb0ELb0EfKPKfKPfEEviiiT16_PT17_ilSA_ilS8_SA_ilPT18_ili26rocblas_geam_ex_operation_ ; -- Begin function _ZN12_GLOBAL__N_120geam_min_plus_kernelIf15HIP_vector_typeIfLj2EES2_Li8ELi32ELi64ELi128ELi4ELi64ELi4ELi4ELi64ELc78ELc78ELb1ELb0ELb0EfKPKfKPfEEviiiT16_PT17_ilSA_ilS8_SA_ilPT18_ili26rocblas_geam_ex_operation_
	.p2align	8
	.type	_ZN12_GLOBAL__N_120geam_min_plus_kernelIf15HIP_vector_typeIfLj2EES2_Li8ELi32ELi64ELi128ELi4ELi64ELi4ELi4ELi64ELc78ELc78ELb1ELb0ELb0EfKPKfKPfEEviiiT16_PT17_ilSA_ilS8_SA_ilPT18_ili26rocblas_geam_ex_operation_,@function
_ZN12_GLOBAL__N_120geam_min_plus_kernelIf15HIP_vector_typeIfLj2EES2_Li8ELi32ELi64ELi128ELi4ELi64ELi4ELi4ELi64ELc78ELc78ELb1ELb0ELb0EfKPKfKPfEEviiiT16_PT17_ilSA_ilS8_SA_ilPT18_ili26rocblas_geam_ex_operation_: ; @_ZN12_GLOBAL__N_120geam_min_plus_kernelIf15HIP_vector_typeIfLj2EES2_Li8ELi32ELi64ELi128ELi4ELi64ELi4ELi4ELi64ELc78ELc78ELb1ELb0ELb0EfKPKfKPfEEviiiT16_PT17_ilSA_ilS8_SA_ilPT18_ili26rocblas_geam_ex_operation_
; %bb.0:
	s_clause 0x1
	s_load_dwordx2 s[16:17], s[4:5], 0x8
	s_load_dwordx4 s[0:3], s[4:5], 0x20
	s_mov_b32 s8, s7
	s_mov_b32 s9, 0
	s_waitcnt lgkmcnt(0)
	v_cmp_eq_f32_e64 s7, s17, 0
	s_and_b32 vcc_lo, exec_lo, s7
	s_cbranch_vccnz .LBB28_3
; %bb.1:
	s_load_dwordx2 s[10:11], s[4:5], 0x10
	s_lshl_b64 s[12:13], s[8:9], 3
	s_waitcnt lgkmcnt(0)
	s_add_u32 s10, s10, s12
	s_addc_u32 s11, s11, s13
	s_lshl_b64 s[0:1], s[0:1], 2
	s_load_dwordx2 s[10:11], s[10:11], 0x0
	s_waitcnt lgkmcnt(0)
	s_add_u32 s18, s10, s0
	s_addc_u32 s19, s11, s1
	s_andn2_b32 vcc_lo, exec_lo, s7
	s_cbranch_vccnz .LBB28_4
.LBB28_2:
	s_mov_b32 s21, 0
	s_mov_b32 s20, s8
	;; [unrolled: 1-line block ×3, first 2 shown]
	s_mov_b64 s[12:13], 0
	s_andn2_b32 vcc_lo, exec_lo, s0
	s_mov_b64 s[14:15], 0
	s_cbranch_vccz .LBB28_5
	s_branch .LBB28_6
.LBB28_3:
	s_mov_b64 s[18:19], 0
	s_andn2_b32 vcc_lo, exec_lo, s7
	s_cbranch_vccz .LBB28_2
.LBB28_4:
	s_mov_b64 s[20:21], s[8:9]
	s_mov_b64 s[12:13], 0
	;; [unrolled: 1-line block ×3, first 2 shown]
.LBB28_5:
	s_lshl_b64 s[0:1], s[8:9], 3
	s_load_dwordx2 s[8:9], s[4:5], 0x38
	s_add_u32 s0, s2, s0
	s_addc_u32 s1, s3, s1
	s_load_dwordx2 s[0:1], s[0:1], 0x0
	s_waitcnt lgkmcnt(0)
	s_lshl_b64 s[2:3], s[8:9], 2
	s_add_u32 s14, s0, s2
	s_addc_u32 s15, s1, s3
.LBB28_6:
	s_clause 0x1
	s_load_dword s7, s[4:5], 0x40
	s_load_dwordx4 s[8:11], s[4:5], 0x58
	s_mov_b32 s22, 0
	s_waitcnt lgkmcnt(0)
	v_cmp_eq_f32_e64 s0, s7, 0
	s_and_b32 s0, exec_lo, s0
	s_mov_b32 vcc_lo, s0
	s_cbranch_vccnz .LBB28_8
; %bb.7:
	s_load_dwordx2 s[2:3], s[4:5], 0x48
	s_lshl_b64 s[12:13], s[20:21], 3
	s_waitcnt lgkmcnt(0)
	s_add_u32 s2, s2, s12
	s_addc_u32 s3, s3, s13
	s_lshl_b64 s[8:9], s[8:9], 2
	s_load_dwordx2 s[2:3], s[2:3], 0x0
	s_waitcnt lgkmcnt(0)
	s_add_u32 s12, s2, s8
	s_addc_u32 s13, s3, s9
.LBB28_8:
	s_clause 0x2
	s_load_dword s9, s[4:5], 0x18
	s_load_dword s23, s[4:5], 0x30
	;; [unrolled: 1-line block ×3, first 2 shown]
	s_lshl_b64 s[2:3], s[20:21], 3
	v_and_b32_e32 v12, 3, v0
	v_lshl_add_u32 v3, v1, 3, v0
	v_mov_b32_e32 v76, 0
	v_lshl_or_b32 v79, v0, 4, 0x1000
	v_lshlrev_b32_e32 v80, 4, v1
	v_lshlrev_b32_e32 v81, 2, v12
	v_lshrrev_b32_e32 v13, 6, v3
	v_lshrrev_b32_e32 v82, 2, v3
	v_and_b32_e32 v18, 63, v3
	v_mov_b32_e32 v77, v76
	v_mov_b32_e32 v74, v76
	v_add_nc_u32_e32 v78, 4, v13
	v_mov_b32_e32 v75, v76
	v_mov_b32_e32 v72, v76
	;; [unrolled: 1-line block ×4, first 2 shown]
	s_waitcnt lgkmcnt(0)
	s_ashr_i32 s17, s9, 31
	s_add_u32 s2, s10, s2
	s_addc_u32 s3, s11, s3
	s_add_i32 s1, s1, -1
	v_mad_i64_i32 v[4:5], null, s9, v78, 0
	s_ashr_i32 s8, s1, 31
	v_mov_b32_e32 v71, v76
	s_lshr_b32 s8, s8, 26
	v_mov_b32_e32 v68, v76
	s_add_i32 s1, s1, s8
	v_mov_b32_e32 v69, v76
	s_ashr_i32 s1, s1, 6
	v_lshlrev_b64 v[4:5], 2, v[4:5]
	s_add_i32 s8, s1, 1
	s_not_b32 s1, s1
	v_cvt_f32_u32_e32 v2, s8
	v_mov_b32_e32 v66, v76
	v_mov_b32_e32 v67, v76
	;; [unrolled: 1-line block ×4, first 2 shown]
	v_rcp_iflag_f32_e32 v2, v2
	v_mov_b32_e32 v62, v76
	v_mov_b32_e32 v63, v76
	;; [unrolled: 1-line block ×9, first 2 shown]
	v_mul_f32_e32 v2, 0x4f7ffffe, v2
	v_mov_b32_e32 v55, v76
	v_mov_b32_e32 v52, v76
	;; [unrolled: 1-line block ×4, first 2 shown]
	v_cvt_u32_f32_e32 v2, v2
	v_mov_b32_e32 v51, v76
	v_mov_b32_e32 v48, v76
	;; [unrolled: 1-line block ×4, first 2 shown]
	v_readfirstlane_b32 s10, v2
	v_mad_i64_i32 v[2:3], null, s9, v13, 0
	v_mov_b32_e32 v47, v76
	v_mov_b32_e32 v44, v76
	s_mul_i32 s1, s1, s10
	v_mov_b32_e32 v45, v76
	s_mul_hi_u32 s1, s10, s1
	v_mov_b32_e32 v42, v76
	s_add_i32 s10, s10, s1
	v_lshlrev_b64 v[2:3], 2, v[2:3]
	s_mul_hi_u32 s1, s6, s10
	v_add_co_u32 v14, s10, s14, v81
	v_add_co_ci_u32_e64 v15, null, s15, 0, s10
	s_mul_i32 s10, s1, s8
	s_add_i32 s11, s1, 1
	s_sub_i32 s10, s6, s10
	v_add_co_u32 v16, vcc_lo, s18, v2
	s_sub_i32 s20, s10, s8
	s_cmp_ge_u32 s10, s8
	v_add_co_ci_u32_e64 v17, null, s19, v3, vcc_lo
	s_cselect_b32 s1, s11, s1
	s_cselect_b32 s10, s20, s10
	s_add_i32 s11, s1, 1
	s_cmp_ge_u32 s10, s8
	v_add_co_u32 v19, vcc_lo, s18, v4
	s_cselect_b32 s1, s11, s1
	v_add_co_ci_u32_e64 v20, null, s19, v5, vcc_lo
	s_mul_i32 s10, s1, s8
	s_lshl_b32 s8, s1, 7
	s_sub_i32 s1, s6, s10
	v_add_nc_u32_e32 v7, s8, v82
	s_lshl_b32 s1, s1, 6
	v_cmp_neq_f32_e64 s6, s7, 0
	v_or_b32_e32 v6, s1, v18
	v_mov_b32_e32 v43, v76
	v_mad_i64_i32 v[8:9], null, v7, s23, 0
	v_add_nc_u32_e32 v7, 64, v7
	v_mov_b32_e32 v40, v76
	v_mov_b32_e32 v41, v76
	;; [unrolled: 1-line block ×4, first 2 shown]
	v_mad_i64_i32 v[10:11], null, v7, s23, 0
	v_ashrrev_i32_e32 v7, 31, v6
	v_lshlrev_b64 v[2:3], 2, v[8:9]
	v_mov_b32_e32 v36, v76
	v_mov_b32_e32 v37, v76
	;; [unrolled: 1-line block ×3, first 2 shown]
	v_lshlrev_b64 v[6:7], 2, v[6:7]
	v_lshlrev_b64 v[4:5], 2, v[10:11]
	v_add_co_u32 v10, vcc_lo, v14, v2
	v_add_co_ci_u32_e64 v11, null, v15, v3, vcc_lo
	v_add_co_u32 v8, vcc_lo, v16, v6
	v_add_co_ci_u32_e64 v9, null, v17, v7, vcc_lo
	;; [unrolled: 2-line block ×4, first 2 shown]
	flat_load_dword v85, v[8:9]
	s_clause 0x1
	flat_load_dword v86, v[10:11]
	flat_load_dword v87, v[14:15]
	;; [unrolled: 1-line block ×3, first 2 shown]
	s_clause 0x1
	flat_load_dword v9, v[14:15] offset:16
	flat_load_dword v10, v[10:11] offset:16
	s_load_dwordx2 s[2:3], s[2:3], 0x0
	v_lshlrev_b32_e32 v11, 4, v18
	v_mov_b32_e32 v14, v76
	v_mov_b32_e32 v15, v76
	;; [unrolled: 1-line block ×4, first 2 shown]
	v_lshl_add_u32 v11, v13, 2, v11
	v_mov_b32_e32 v33, v76
	v_mov_b32_e32 v30, v76
	;; [unrolled: 1-line block ×15, first 2 shown]
	v_lshl_or_b32 v83, v82, 4, v81
	v_mov_b32_e32 v16, v76
	v_mov_b32_e32 v17, v76
	v_or_b32_e32 v84, 0x1000, v11
	s_mov_b32 s10, -1
	s_waitcnt vmcnt(5) lgkmcnt(0)
	ds_write_b32 v11, v85 offset:4096
	s_waitcnt vmcnt(3)
	ds_write2st64_b32 v83, v86, v87 offset1:4
	s_waitcnt vmcnt(0) lgkmcnt(0)
	s_barrier
	buffer_gl0_inv
.LBB28_9:                               ; =>This Inner Loop Header: Depth=1
	s_lshl_b32 s11, s22, 2
	v_cndmask_b32_e64 v81, 0, 1, s10
	v_add_nc_u32_e32 v82, s11, v79
	v_add_nc_u32_e32 v105, s11, v80
	s_mov_b32 s10, 0
	s_mov_b32 s22, 2
	v_cmp_ne_u32_e32 vcc_lo, 1, v81
	ds_read2_b64 v[85:88], v82 offset1:16
	ds_read2_b64 v[89:92], v82 offset0:32 offset1:48
	ds_read2_b64 v[93:96], v82 offset0:64 offset1:80
	;; [unrolled: 1-line block ×3, first 2 shown]
	ds_read2st64_b64 v[101:104], v105 offset1:1
	ds_read2st64_b64 v[105:108], v105 offset0:2 offset1:3
	s_and_b32 vcc_lo, exec_lo, vcc_lo
	s_waitcnt lgkmcnt(5)
	v_max_f32_e32 v81, v85, v85
	v_max_f32_e32 v82, v86, v86
	v_max_f32_e32 v85, v87, v87
	v_max_f32_e32 v86, v88, v88
	s_waitcnt lgkmcnt(4)
	v_max_f32_e32 v87, v89, v89
	v_max_f32_e32 v88, v90, v90
	v_max_f32_e32 v89, v91, v91
	v_max_f32_e32 v90, v92, v92
	;; [unrolled: 5-line block ×6, first 2 shown]
	v_min_f32_e32 v107, v81, v99
	v_min_f32_e32 v108, v85, v99
	;; [unrolled: 1-line block ×64, first 2 shown]
	v_add_f32_e32 v77, v105, v77
	v_add_f32_e32 v76, v107, v76
	;; [unrolled: 1-line block ×64, first 2 shown]
	s_cbranch_vccz .LBB28_9
; %bb.10:
	v_lshl_add_u32 v81, v0, 4, 0x1400
	v_lshl_add_u32 v82, v1, 4, 0x800
	s_cmp_lt_i32 s16, 9
	ds_write_b32 v11, v8 offset:5120
	ds_write2st64_b32 v83, v10, v9 offset0:8 offset1:12
	s_waitcnt lgkmcnt(0)
	s_barrier
	buffer_gl0_inv
	s_cbranch_scc1 .LBB28_17
; %bb.11:
	v_add_co_u32 v87, vcc_lo, s18, v6
	v_add_nc_u32_e32 v85, 0x1400, v11
	v_add_nc_u32_e32 v86, 0x800, v83
	v_add_co_ci_u32_e64 v88, null, s19, v7, vcc_lo
	v_mov_b32_e32 v7, 0
	s_add_i32 s10, s16, -8
	s_mov_b32 s11, 8
	s_mov_b32 s16, 0
.LBB28_12:                              ; =>This Loop Header: Depth=1
                                        ;     Child Loop BB28_13 Depth 2
                                        ;     Child Loop BB28_15 Depth 2
	v_add_nc_u32_e32 v10, s11, v13
	v_or_b32_e32 v6, s11, v12
	s_mov_b32 s18, -1
	s_mov_b32 s19, 0
	v_mad_u64_u32 v[8:9], null, v10, s9, 0
	v_mad_u64_u32 v[9:10], null, v10, s17, v[9:10]
	v_lshlrev_b64 v[10:11], 2, v[6:7]
	v_add_co_u32 v6, vcc_lo, s14, v10
	v_add_co_ci_u32_e64 v91, null, s15, v11, vcc_lo
	v_lshlrev_b64 v[10:11], 2, v[8:9]
	v_add_co_u32 v8, vcc_lo, v6, v2
	v_add_co_ci_u32_e64 v9, null, v91, v3, vcc_lo
	v_add_co_u32 v89, vcc_lo, v87, v10
	v_add_co_ci_u32_e64 v90, null, v88, v11, vcc_lo
	;; [unrolled: 2-line block ×3, first 2 shown]
	flat_load_dword v89, v[89:90]
	s_clause 0x1
	flat_load_dword v6, v[8:9]
	flat_load_dword v90, v[10:11]
.LBB28_13:                              ;   Parent Loop BB28_12 Depth=1
                                        ; =>  This Inner Loop Header: Depth=2
	s_lshl_b32 s19, s19, 2
	v_cndmask_b32_e64 v91, 0, 1, s18
	v_add_nc_u32_e32 v111, s19, v82
	v_add_nc_u32_e32 v107, s19, v81
	s_mov_b32 s18, 0
	s_mov_b32 s19, 2
	v_cmp_ne_u32_e32 vcc_lo, 1, v91
	ds_read2st64_b64 v[91:94], v111 offset1:1
	ds_read2_b64 v[95:98], v107 offset1:16
	ds_read2_b64 v[99:102], v107 offset0:32 offset1:48
	ds_read2_b64 v[103:106], v107 offset0:64 offset1:80
	ds_read2_b64 v[107:110], v107 offset0:96 offset1:112
	ds_read2st64_b64 v[111:114], v111 offset0:2 offset1:3
	s_and_b32 vcc_lo, exec_lo, vcc_lo
	s_waitcnt lgkmcnt(5)
	v_max_f32_e32 v91, v91, v91
	s_waitcnt lgkmcnt(4)
	v_max_f32_e32 v95, v95, v95
	v_max_f32_e32 v92, v92, v92
	;; [unrolled: 1-line block ×5, first 2 shown]
	s_waitcnt lgkmcnt(3)
	v_max_f32_e32 v99, v99, v99
	v_max_f32_e32 v100, v100, v100
	v_max_f32_e32 v101, v101, v101
	v_max_f32_e32 v102, v102, v102
	s_waitcnt lgkmcnt(2)
	v_max_f32_e32 v103, v103, v103
	v_max_f32_e32 v104, v104, v104
	v_max_f32_e32 v105, v105, v105
	v_max_f32_e32 v106, v106, v106
	;; [unrolled: 5-line block ×3, first 2 shown]
	v_max_f32_e32 v93, v93, v93
	v_max_f32_e32 v94, v94, v94
	s_waitcnt lgkmcnt(0)
	v_max_f32_e32 v111, v111, v111
	v_max_f32_e32 v112, v112, v112
	v_max_f32_e32 v113, v113, v113
	v_max_f32_e32 v114, v114, v114
	v_min_f32_e32 v115, v95, v91
	v_min_f32_e32 v116, v96, v92
	;; [unrolled: 1-line block ×64, first 2 shown]
	v_add_f32_e32 v77, v116, v77
	v_add_f32_e32 v76, v115, v76
	;; [unrolled: 1-line block ×64, first 2 shown]
	s_cbranch_vccz .LBB28_13
; %bb.14:                               ;   in Loop: Header=BB28_12 Depth=1
	v_add_nc_u32_e32 v93, s11, v78
	s_waitcnt vmcnt(2)
	ds_write_b32 v84, v89
	s_waitcnt vmcnt(0)
	ds_write2st64_b32 v83, v6, v90 offset1:4
	s_waitcnt lgkmcnt(0)
	s_barrier
	v_mad_u64_u32 v[91:92], null, v93, s9, 0
	buffer_gl0_inv
	s_mov_b32 s19, 0
	s_mov_b32 s18, -1
	v_mad_u64_u32 v[92:93], null, v93, s17, v[92:93]
	v_lshlrev_b64 v[91:92], 2, v[91:92]
	v_add_co_u32 v91, vcc_lo, v87, v91
	v_add_co_ci_u32_e64 v92, null, v88, v92, vcc_lo
	flat_load_dword v6, v[91:92]
	s_clause 0x1
	flat_load_dword v8, v[8:9] offset:16
	flat_load_dword v9, v[10:11] offset:16
.LBB28_15:                              ;   Parent Loop BB28_12 Depth=1
                                        ; =>  This Inner Loop Header: Depth=2
	s_lshl_b32 s19, s19, 2
	v_cndmask_b32_e64 v10, 0, 1, s18
	v_add_nc_u32_e32 v11, s19, v80
	v_add_nc_u32_e32 v105, s19, v79
	s_mov_b32 s18, 0
	s_mov_b32 s19, 2
	v_cmp_ne_u32_e32 vcc_lo, 1, v10
	ds_read2st64_b64 v[89:92], v11 offset1:1
	ds_read2_b64 v[93:96], v105 offset1:16
	ds_read2_b64 v[97:100], v105 offset0:32 offset1:48
	ds_read2_b64 v[101:104], v105 offset0:64 offset1:80
	;; [unrolled: 1-line block ×3, first 2 shown]
	ds_read2st64_b64 v[109:112], v11 offset0:2 offset1:3
	s_and_b32 vcc_lo, exec_lo, vcc_lo
	s_waitcnt lgkmcnt(5)
	v_max_f32_e32 v10, v89, v89
	s_waitcnt lgkmcnt(4)
	v_max_f32_e32 v11, v93, v93
	v_max_f32_e32 v89, v90, v90
	;; [unrolled: 1-line block ×5, first 2 shown]
	s_waitcnt lgkmcnt(3)
	v_max_f32_e32 v95, v97, v97
	v_max_f32_e32 v96, v98, v98
	v_max_f32_e32 v97, v99, v99
	v_max_f32_e32 v98, v100, v100
	s_waitcnt lgkmcnt(2)
	v_max_f32_e32 v99, v101, v101
	v_max_f32_e32 v100, v102, v102
	v_max_f32_e32 v101, v103, v103
	v_max_f32_e32 v102, v104, v104
	;; [unrolled: 5-line block ×3, first 2 shown]
	v_max_f32_e32 v91, v91, v91
	v_max_f32_e32 v92, v92, v92
	s_waitcnt lgkmcnt(0)
	v_max_f32_e32 v107, v109, v109
	v_max_f32_e32 v108, v110, v110
	;; [unrolled: 1-line block ×4, first 2 shown]
	v_min_f32_e32 v111, v11, v10
	v_min_f32_e32 v112, v90, v89
	;; [unrolled: 1-line block ×64, first 2 shown]
	v_add_f32_e32 v77, v112, v77
	v_add_f32_e32 v76, v111, v76
	;; [unrolled: 1-line block ×64, first 2 shown]
	s_cbranch_vccz .LBB28_15
; %bb.16:                               ;   in Loop: Header=BB28_12 Depth=1
	s_add_i32 s16, s16, 8
	s_add_i32 s11, s11, 8
	s_cmp_ge_i32 s16, s10
	s_waitcnt vmcnt(2)
	ds_write_b32 v85, v6
	s_waitcnt vmcnt(0)
	ds_write2st64_b32 v86, v8, v9 offset1:4
	s_waitcnt lgkmcnt(0)
	s_barrier
	buffer_gl0_inv
	s_cbranch_scc0 .LBB28_12
.LBB28_17:
	s_mov_b32 s10, 0
	s_mov_b32 s9, -1
.LBB28_18:                              ; =>This Inner Loop Header: Depth=1
	s_lshl_b32 s10, s10, 2
	v_cndmask_b32_e64 v2, 0, 1, s9
	v_add_nc_u32_e32 v78, s10, v82
	v_add_nc_u32_e32 v79, s10, v81
	s_mov_b32 s9, 0
	s_mov_b32 s10, 2
	v_cmp_ne_u32_e32 vcc_lo, 1, v2
	ds_read2st64_b64 v[2:5], v78 offset1:1
	ds_read2_b64 v[6:9], v79 offset1:16
	ds_read2_b64 v[10:13], v79 offset0:32 offset1:48
	ds_read2_b64 v[83:86], v79 offset0:64 offset1:80
	;; [unrolled: 1-line block ×3, first 2 shown]
	ds_read2st64_b64 v[91:94], v78 offset0:2 offset1:3
	s_and_b32 vcc_lo, exec_lo, vcc_lo
	s_waitcnt lgkmcnt(5)
	v_max_f32_e32 v2, v2, v2
	s_waitcnt lgkmcnt(4)
	v_max_f32_e32 v6, v6, v6
	v_max_f32_e32 v3, v3, v3
	;; [unrolled: 1-line block ×5, first 2 shown]
	s_waitcnt lgkmcnt(3)
	v_max_f32_e32 v10, v10, v10
	v_max_f32_e32 v11, v11, v11
	v_max_f32_e32 v12, v12, v12
	v_max_f32_e32 v13, v13, v13
	s_waitcnt lgkmcnt(2)
	v_max_f32_e32 v78, v83, v83
	v_max_f32_e32 v79, v84, v84
	v_max_f32_e32 v80, v85, v85
	v_max_f32_e32 v83, v86, v86
	;; [unrolled: 5-line block ×3, first 2 shown]
	v_max_f32_e32 v4, v4, v4
	v_max_f32_e32 v5, v5, v5
	s_waitcnt lgkmcnt(0)
	v_max_f32_e32 v88, v91, v91
	v_max_f32_e32 v89, v92, v92
	;; [unrolled: 1-line block ×4, first 2 shown]
	v_min_f32_e32 v92, v6, v2
	v_min_f32_e32 v93, v7, v3
	;; [unrolled: 1-line block ×64, first 2 shown]
	v_add_f32_e32 v77, v93, v77
	v_add_f32_e32 v76, v92, v76
	;; [unrolled: 1-line block ×64, first 2 shown]
	s_cbranch_vccz .LBB28_18
; %bb.19:
	s_load_dword s9, s[4:5], 0x50
	v_add_nc_u32_e32 v78, s8, v1
	v_add_nc_u32_e32 v12, s1, v0
	v_cndmask_b32_e64 v0, 0, 1, s6
	v_mov_b32_e32 v4, 0
	v_ashrrev_i32_e32 v13, 31, v12
	v_cmp_ne_u32_e64 s1, 1, v0
	s_waitcnt lgkmcnt(0)
	v_mad_i64_i32 v[1:2], null, v78, s9, 0
	v_lshlrev_b64 v[2:3], 2, v[1:2]
	v_lshlrev_b64 v[0:1], 2, v[12:13]
	v_add_co_u32 v79, vcc_lo, s12, v2
	v_add_co_ci_u32_e64 v80, null, s13, v3, vcc_lo
	v_mov_b32_e32 v2, 0
	s_andn2_b32 vcc_lo, exec_lo, s6
	s_cbranch_vccnz .LBB28_21
; %bb.20:
	v_add_co_u32 v2, vcc_lo, v79, v0
	v_add_co_ci_u32_e64 v3, null, v80, v1, vcc_lo
	flat_load_dword v2, v[2:3]
	s_waitcnt vmcnt(0) lgkmcnt(0)
	v_mul_f32_e32 v2, s7, v2
.LBB28_21:
	s_clause 0x1
	s_load_dword s6, s[4:5], 0x68
	s_load_dwordx2 s[4:5], s[4:5], 0x70
	v_add_nc_u32_e32 v7, 8, v12
	v_add_f32_e32 v3, v76, v77
	v_ashrrev_i32_e32 v8, 31, v7
	v_add_f32_e32 v9, v3, v2
	v_lshlrev_b64 v[2:3], 2, v[7:8]
	s_waitcnt lgkmcnt(0)
	v_mad_i64_i32 v[5:6], null, v78, s6, 0
	s_lshl_b64 s[4:5], s[4:5], 2
	s_add_u32 s2, s2, s4
	s_addc_u32 s3, s3, s5
	v_lshlrev_b64 v[5:6], 2, v[5:6]
	v_add_co_u32 v76, vcc_lo, s2, v5
	v_add_co_ci_u32_e64 v77, null, s3, v6, vcc_lo
	v_add_co_u32 v5, vcc_lo, v76, v0
	v_add_co_ci_u32_e64 v6, null, v77, v1, vcc_lo
	s_and_b32 vcc_lo, exec_lo, s1
	flat_store_dword v[5:6], v9
	s_cbranch_vccnz .LBB28_23
; %bb.22:
	v_add_co_u32 v4, vcc_lo, v79, v2
	v_add_co_ci_u32_e64 v5, null, v80, v3, vcc_lo
	flat_load_dword v4, v[4:5]
	s_waitcnt vmcnt(0) lgkmcnt(0)
	v_mul_f32_e32 v4, s7, v4
.LBB28_23:
	v_add_nc_u32_e32 v5, 16, v12
	v_add_f32_e32 v7, v74, v75
	v_add_co_u32 v9, vcc_lo, v76, v2
	v_add_co_ci_u32_e64 v10, null, v77, v3, vcc_lo
	v_ashrrev_i32_e32 v6, 31, v5
	v_add_f32_e32 v7, v7, v4
	v_mov_b32_e32 v8, 0
	s_and_b32 vcc_lo, exec_lo, s1
	v_lshlrev_b64 v[4:5], 2, v[5:6]
	v_mov_b32_e32 v6, 0
	flat_store_dword v[9:10], v7
	s_cbranch_vccnz .LBB28_25
; %bb.24:
	v_add_co_u32 v6, vcc_lo, v79, v4
	v_add_co_ci_u32_e64 v7, null, v80, v5, vcc_lo
	flat_load_dword v6, v[6:7]
	s_waitcnt vmcnt(0) lgkmcnt(0)
	v_mul_f32_e32 v6, s7, v6
.LBB28_25:
	v_add_nc_u32_e32 v9, 24, v12
	v_add_f32_e32 v7, v72, v73
	v_add_co_u32 v72, vcc_lo, v76, v4
	v_add_co_ci_u32_e64 v73, null, v77, v5, vcc_lo
	v_ashrrev_i32_e32 v10, 31, v9
	v_add_f32_e32 v11, v7, v6
	s_and_b32 vcc_lo, exec_lo, s1
	v_lshlrev_b64 v[6:7], 2, v[9:10]
	flat_store_dword v[72:73], v11
	s_cbranch_vccnz .LBB28_27
; %bb.26:
	v_add_co_u32 v8, vcc_lo, v79, v6
	v_add_co_ci_u32_e64 v9, null, v80, v7, vcc_lo
	flat_load_dword v8, v[8:9]
	s_waitcnt vmcnt(0) lgkmcnt(0)
	v_mul_f32_e32 v8, s7, v8
.LBB28_27:
	v_add_nc_u32_e32 v9, 32, v12
	v_add_f32_e32 v11, v70, v71
	v_add_co_u32 v70, vcc_lo, v76, v6
	v_add_co_ci_u32_e64 v71, null, v77, v7, vcc_lo
	v_ashrrev_i32_e32 v10, 31, v9
	v_add_f32_e32 v13, v11, v8
	v_mov_b32_e32 v8, 0
	s_and_b32 vcc_lo, exec_lo, s1
	v_lshlrev_b64 v[10:11], 2, v[9:10]
	v_mov_b32_e32 v9, 0
	flat_store_dword v[70:71], v13
	s_cbranch_vccnz .LBB28_29
; %bb.28:
	v_add_co_u32 v70, vcc_lo, v79, v10
	v_add_co_ci_u32_e64 v71, null, v80, v11, vcc_lo
	flat_load_dword v9, v[70:71]
	s_waitcnt vmcnt(0) lgkmcnt(0)
	v_mul_f32_e32 v9, s7, v9
.LBB28_29:
	v_add_nc_u32_e32 v13, 40, v12
	v_add_f32_e32 v15, v14, v15
	v_add_co_u32 v70, vcc_lo, v76, v10
	v_add_co_ci_u32_e64 v71, null, v77, v11, vcc_lo
	v_ashrrev_i32_e32 v14, 31, v13
	v_add_f32_e32 v9, v15, v9
	s_and_b32 vcc_lo, exec_lo, s1
	v_lshlrev_b64 v[14:15], 2, v[13:14]
	flat_store_dword v[70:71], v9
	s_cbranch_vccnz .LBB28_31
; %bb.30:
	v_add_co_u32 v8, vcc_lo, v79, v14
	v_add_co_ci_u32_e64 v9, null, v80, v15, vcc_lo
	flat_load_dword v8, v[8:9]
	s_waitcnt vmcnt(0) lgkmcnt(0)
	v_mul_f32_e32 v8, s7, v8
.LBB28_31:
	v_add_nc_u32_e32 v70, 48, v12
	v_add_f32_e32 v9, v68, v69
	v_add_co_u32 v72, vcc_lo, v76, v14
	v_add_co_ci_u32_e64 v73, null, v77, v15, vcc_lo
	v_ashrrev_i32_e32 v71, 31, v70
	v_add_f32_e32 v69, v9, v8
	v_mov_b32_e32 v68, 0
	v_mov_b32_e32 v13, 0
	s_and_b32 vcc_lo, exec_lo, s1
	v_lshlrev_b64 v[8:9], 2, v[70:71]
	flat_store_dword v[72:73], v69
	s_cbranch_vccnz .LBB28_33
; %bb.32:
	v_add_co_u32 v69, vcc_lo, v79, v8
	v_add_co_ci_u32_e64 v70, null, v80, v9, vcc_lo
	flat_load_dword v13, v[69:70]
	s_waitcnt vmcnt(0) lgkmcnt(0)
	v_mul_f32_e32 v13, s7, v13
.LBB28_33:
	v_add_nc_u32_e32 v69, 56, v12
	v_add_f32_e32 v12, v66, v67
	v_add_co_u32 v66, vcc_lo, v76, v8
	v_add_co_ci_u32_e64 v67, null, v77, v9, vcc_lo
	v_ashrrev_i32_e32 v70, 31, v69
	v_add_f32_e32 v71, v12, v13
	s_and_b32 vcc_lo, exec_lo, s1
	v_lshlrev_b64 v[12:13], 2, v[69:70]
	flat_store_dword v[66:67], v71
	s_cbranch_vccnz .LBB28_35
; %bb.34:
	v_add_co_u32 v66, vcc_lo, v79, v12
	v_add_co_ci_u32_e64 v67, null, v80, v13, vcc_lo
	flat_load_dword v66, v[66:67]
	s_waitcnt vmcnt(0) lgkmcnt(0)
	v_mul_f32_e32 v68, s7, v66
.LBB28_35:
	v_add_nc_u32_e32 v67, 32, v78
	v_add_f32_e32 v71, v64, v65
	v_mov_b32_e32 v66, 0
	v_mad_i64_i32 v[69:70], null, v67, s9, 0
	v_add_f32_e32 v71, v71, v68
	v_mov_b32_e32 v68, 0
	v_lshlrev_b64 v[64:65], 2, v[69:70]
	v_add_co_u32 v69, vcc_lo, v76, v12
	v_add_co_ci_u32_e64 v70, null, v77, v13, vcc_lo
	v_add_co_u32 v64, vcc_lo, s12, v64
	v_add_co_ci_u32_e64 v65, null, s13, v65, vcc_lo
	s_and_b32 vcc_lo, exec_lo, s1
	flat_store_dword v[69:70], v71
	s_cbranch_vccnz .LBB28_37
; %bb.36:
	v_add_co_u32 v68, vcc_lo, v64, v0
	v_add_co_ci_u32_e64 v69, null, v65, v1, vcc_lo
	flat_load_dword v68, v[68:69]
	s_waitcnt vmcnt(0) lgkmcnt(0)
	v_mul_f32_e32 v68, s7, v68
.LBB28_37:
	v_mad_i64_i32 v[69:70], null, v67, s6, 0
	v_add_f32_e32 v67, v62, v63
	v_lshlrev_b64 v[69:70], 2, v[69:70]
	v_add_co_u32 v62, vcc_lo, s2, v69
	v_add_co_ci_u32_e64 v63, null, s3, v70, vcc_lo
	v_add_f32_e32 v69, v67, v68
	v_add_co_u32 v67, vcc_lo, v62, v0
	v_add_co_ci_u32_e64 v68, null, v63, v1, vcc_lo
	s_and_b32 vcc_lo, exec_lo, s1
	flat_store_dword v[67:68], v69
	s_cbranch_vccnz .LBB28_39
; %bb.38:
	v_add_co_u32 v66, vcc_lo, v64, v2
	v_add_co_ci_u32_e64 v67, null, v65, v3, vcc_lo
	flat_load_dword v66, v[66:67]
	s_waitcnt vmcnt(0) lgkmcnt(0)
	v_mul_f32_e32 v66, s7, v66
.LBB28_39:
	v_add_f32_e32 v60, v60, v61
	v_add_co_u32 v67, vcc_lo, v62, v2
	v_add_co_ci_u32_e64 v68, null, v63, v3, vcc_lo
	v_add_f32_e32 v66, v60, v66
	v_mov_b32_e32 v60, 0
	v_mov_b32_e32 v61, 0
	s_and_b32 vcc_lo, exec_lo, s1
	flat_store_dword v[67:68], v66
	s_cbranch_vccnz .LBB28_41
; %bb.40:
	v_add_co_u32 v66, vcc_lo, v64, v4
	v_add_co_ci_u32_e64 v67, null, v65, v5, vcc_lo
	flat_load_dword v61, v[66:67]
	s_waitcnt vmcnt(0) lgkmcnt(0)
	v_mul_f32_e32 v61, s7, v61
.LBB28_41:
	v_add_f32_e32 v58, v58, v59
	v_add_f32_e32 v61, v58, v61
	v_add_co_u32 v58, vcc_lo, v62, v4
	v_add_co_ci_u32_e64 v59, null, v63, v5, vcc_lo
	s_and_b32 vcc_lo, exec_lo, s1
	flat_store_dword v[58:59], v61
	s_cbranch_vccnz .LBB28_43
; %bb.42:
	v_add_co_u32 v58, vcc_lo, v64, v6
	v_add_co_ci_u32_e64 v59, null, v65, v7, vcc_lo
	flat_load_dword v58, v[58:59]
	s_waitcnt vmcnt(0) lgkmcnt(0)
	v_mul_f32_e32 v60, s7, v58
.LBB28_43:
	v_add_f32_e32 v56, v56, v57
	v_add_co_u32 v58, vcc_lo, v62, v6
	v_add_co_ci_u32_e64 v59, null, v63, v7, vcc_lo
	v_add_f32_e32 v60, v56, v60
	v_mov_b32_e32 v56, 0
	v_mov_b32_e32 v57, 0
	s_and_b32 vcc_lo, exec_lo, s1
	flat_store_dword v[58:59], v60
	s_cbranch_vccnz .LBB28_45
; %bb.44:
	v_add_co_u32 v57, vcc_lo, v64, v10
	v_add_co_ci_u32_e64 v58, null, v65, v11, vcc_lo
	flat_load_dword v57, v[57:58]
	s_waitcnt vmcnt(0) lgkmcnt(0)
	v_mul_f32_e32 v57, s7, v57
.LBB28_45:
	v_add_f32_e32 v54, v54, v55
	;; [unrolled: 30-line block ×3, first 2 shown]
	v_add_f32_e32 v53, v50, v53
	v_add_co_u32 v50, vcc_lo, v62, v8
	v_add_co_ci_u32_e64 v51, null, v63, v9, vcc_lo
	s_and_b32 vcc_lo, exec_lo, s1
	flat_store_dword v[50:51], v53
	s_cbranch_vccnz .LBB28_51
; %bb.50:
	v_add_co_u32 v50, vcc_lo, v64, v12
	v_add_co_ci_u32_e64 v51, null, v65, v13, vcc_lo
	flat_load_dword v50, v[50:51]
	s_waitcnt vmcnt(0) lgkmcnt(0)
	v_mul_f32_e32 v52, s7, v50
.LBB28_51:
	v_add_nc_u32_e32 v51, 64, v78
	v_add_f32_e32 v55, v48, v49
	v_mov_b32_e32 v50, 0
	v_mad_i64_i32 v[53:54], null, v51, s9, 0
	v_add_f32_e32 v55, v55, v52
	v_mov_b32_e32 v52, 0
	v_lshlrev_b64 v[48:49], 2, v[53:54]
	v_add_co_u32 v53, vcc_lo, v62, v12
	v_add_co_ci_u32_e64 v54, null, v63, v13, vcc_lo
	v_add_co_u32 v48, vcc_lo, s12, v48
	v_add_co_ci_u32_e64 v49, null, s13, v49, vcc_lo
	s_and_b32 vcc_lo, exec_lo, s1
	flat_store_dword v[53:54], v55
	s_cbranch_vccnz .LBB28_53
; %bb.52:
	v_add_co_u32 v52, vcc_lo, v48, v0
	v_add_co_ci_u32_e64 v53, null, v49, v1, vcc_lo
	flat_load_dword v52, v[52:53]
	s_waitcnt vmcnt(0) lgkmcnt(0)
	v_mul_f32_e32 v52, s7, v52
.LBB28_53:
	v_mad_i64_i32 v[53:54], null, v51, s6, 0
	v_add_f32_e32 v51, v46, v47
	v_lshlrev_b64 v[53:54], 2, v[53:54]
	v_add_co_u32 v46, vcc_lo, s2, v53
	v_add_co_ci_u32_e64 v47, null, s3, v54, vcc_lo
	v_add_f32_e32 v53, v51, v52
	v_add_co_u32 v51, vcc_lo, v46, v0
	v_add_co_ci_u32_e64 v52, null, v47, v1, vcc_lo
	s_and_b32 vcc_lo, exec_lo, s1
	flat_store_dword v[51:52], v53
	s_cbranch_vccnz .LBB28_55
; %bb.54:
	v_add_co_u32 v50, vcc_lo, v48, v2
	v_add_co_ci_u32_e64 v51, null, v49, v3, vcc_lo
	flat_load_dword v50, v[50:51]
	s_waitcnt vmcnt(0) lgkmcnt(0)
	v_mul_f32_e32 v50, s7, v50
.LBB28_55:
	v_add_f32_e32 v44, v44, v45
	v_add_co_u32 v51, vcc_lo, v46, v2
	v_add_co_ci_u32_e64 v52, null, v47, v3, vcc_lo
	v_add_f32_e32 v50, v44, v50
	v_mov_b32_e32 v44, 0
	v_mov_b32_e32 v45, 0
	s_and_b32 vcc_lo, exec_lo, s1
	flat_store_dword v[51:52], v50
	s_cbranch_vccnz .LBB28_57
; %bb.56:
	v_add_co_u32 v50, vcc_lo, v48, v4
	v_add_co_ci_u32_e64 v51, null, v49, v5, vcc_lo
	flat_load_dword v45, v[50:51]
	s_waitcnt vmcnt(0) lgkmcnt(0)
	v_mul_f32_e32 v45, s7, v45
.LBB28_57:
	v_add_f32_e32 v42, v42, v43
	v_add_f32_e32 v45, v42, v45
	v_add_co_u32 v42, vcc_lo, v46, v4
	v_add_co_ci_u32_e64 v43, null, v47, v5, vcc_lo
	s_and_b32 vcc_lo, exec_lo, s1
	flat_store_dword v[42:43], v45
	s_cbranch_vccnz .LBB28_59
; %bb.58:
	v_add_co_u32 v42, vcc_lo, v48, v6
	v_add_co_ci_u32_e64 v43, null, v49, v7, vcc_lo
	flat_load_dword v42, v[42:43]
	s_waitcnt vmcnt(0) lgkmcnt(0)
	v_mul_f32_e32 v44, s7, v42
.LBB28_59:
	v_add_f32_e32 v40, v40, v41
	v_add_co_u32 v42, vcc_lo, v46, v6
	v_add_co_ci_u32_e64 v43, null, v47, v7, vcc_lo
	v_add_f32_e32 v44, v40, v44
	v_mov_b32_e32 v40, 0
	v_mov_b32_e32 v41, 0
	s_and_b32 vcc_lo, exec_lo, s1
	flat_store_dword v[42:43], v44
	s_cbranch_vccnz .LBB28_61
; %bb.60:
	v_add_co_u32 v41, vcc_lo, v48, v10
	v_add_co_ci_u32_e64 v42, null, v49, v11, vcc_lo
	flat_load_dword v41, v[41:42]
	s_waitcnt vmcnt(0) lgkmcnt(0)
	v_mul_f32_e32 v41, s7, v41
.LBB28_61:
	v_add_f32_e32 v38, v38, v39
	;; [unrolled: 30-line block ×3, first 2 shown]
	v_add_f32_e32 v37, v34, v37
	v_add_co_u32 v34, vcc_lo, v46, v8
	v_add_co_ci_u32_e64 v35, null, v47, v9, vcc_lo
	s_and_b32 vcc_lo, exec_lo, s1
	flat_store_dword v[34:35], v37
	s_cbranch_vccnz .LBB28_67
; %bb.66:
	v_add_co_u32 v34, vcc_lo, v48, v12
	v_add_co_ci_u32_e64 v35, null, v49, v13, vcc_lo
	flat_load_dword v34, v[34:35]
	s_waitcnt vmcnt(0) lgkmcnt(0)
	v_mul_f32_e32 v36, s7, v34
.LBB28_67:
	v_add_nc_u32_e32 v35, 0x60, v78
	v_add_f32_e32 v39, v32, v33
	v_mov_b32_e32 v34, 0
	v_mad_i64_i32 v[37:38], null, v35, s9, 0
	v_add_f32_e32 v39, v39, v36
	v_mov_b32_e32 v36, 0
	v_lshlrev_b64 v[32:33], 2, v[37:38]
	v_add_co_u32 v37, vcc_lo, v46, v12
	v_add_co_ci_u32_e64 v38, null, v47, v13, vcc_lo
	v_add_co_u32 v32, vcc_lo, s12, v32
	v_add_co_ci_u32_e64 v33, null, s13, v33, vcc_lo
	s_and_b32 vcc_lo, exec_lo, s1
	flat_store_dword v[37:38], v39
	s_cbranch_vccnz .LBB28_69
; %bb.68:
	v_add_co_u32 v36, vcc_lo, v32, v0
	v_add_co_ci_u32_e64 v37, null, v33, v1, vcc_lo
	flat_load_dword v36, v[36:37]
	s_waitcnt vmcnt(0) lgkmcnt(0)
	v_mul_f32_e32 v36, s7, v36
.LBB28_69:
	v_mad_i64_i32 v[37:38], null, v35, s6, 0
	v_add_f32_e32 v35, v30, v31
	v_add_f32_e32 v35, v35, v36
	v_lshlrev_b64 v[37:38], 2, v[37:38]
	v_add_co_u32 v30, vcc_lo, s2, v37
	v_add_co_ci_u32_e64 v31, null, s3, v38, vcc_lo
	v_add_co_u32 v0, vcc_lo, v30, v0
	v_add_co_ci_u32_e64 v1, null, v31, v1, vcc_lo
	s_and_b32 vcc_lo, exec_lo, s1
	flat_store_dword v[0:1], v35
	s_cbranch_vccnz .LBB28_71
; %bb.70:
	v_add_co_u32 v0, vcc_lo, v32, v2
	v_add_co_ci_u32_e64 v1, null, v33, v3, vcc_lo
	flat_load_dword v0, v[0:1]
	s_waitcnt vmcnt(0) lgkmcnt(0)
	v_mul_f32_e32 v34, s7, v0
.LBB28_71:
	v_add_f32_e32 v0, v28, v29
	v_add_co_u32 v2, vcc_lo, v30, v2
	v_add_co_ci_u32_e64 v3, null, v31, v3, vcc_lo
	v_add_f32_e32 v28, v0, v34
	v_mov_b32_e32 v0, 0
	v_mov_b32_e32 v1, 0
	s_and_b32 vcc_lo, exec_lo, s1
	flat_store_dword v[2:3], v28
	s_cbranch_vccnz .LBB28_73
; %bb.72:
	v_add_co_u32 v1, vcc_lo, v32, v4
	v_add_co_ci_u32_e64 v2, null, v33, v5, vcc_lo
	flat_load_dword v1, v[1:2]
	s_waitcnt vmcnt(0) lgkmcnt(0)
	v_mul_f32_e32 v1, s7, v1
.LBB28_73:
	v_add_f32_e32 v2, v26, v27
	v_add_f32_e32 v3, v2, v1
	v_add_co_u32 v1, vcc_lo, v30, v4
	v_add_co_ci_u32_e64 v2, null, v31, v5, vcc_lo
	s_and_b32 vcc_lo, exec_lo, s1
	flat_store_dword v[1:2], v3
	s_cbranch_vccnz .LBB28_75
; %bb.74:
	v_add_co_u32 v0, vcc_lo, v32, v6
	v_add_co_ci_u32_e64 v1, null, v33, v7, vcc_lo
	flat_load_dword v0, v[0:1]
	s_waitcnt vmcnt(0) lgkmcnt(0)
	v_mul_f32_e32 v0, s7, v0
.LBB28_75:
	v_add_f32_e32 v1, v24, v25
	v_add_co_u32 v2, vcc_lo, v30, v6
	v_add_co_ci_u32_e64 v3, null, v31, v7, vcc_lo
	v_add_f32_e32 v4, v1, v0
	v_mov_b32_e32 v0, 0
	v_mov_b32_e32 v1, 0
	s_and_b32 vcc_lo, exec_lo, s1
	flat_store_dword v[2:3], v4
	s_cbranch_vccnz .LBB28_77
; %bb.76:
	v_add_co_u32 v1, vcc_lo, v32, v10
	v_add_co_ci_u32_e64 v2, null, v33, v11, vcc_lo
	flat_load_dword v1, v[1:2]
	s_waitcnt vmcnt(0) lgkmcnt(0)
	v_mul_f32_e32 v1, s7, v1
.LBB28_77:
	v_add_f32_e32 v2, v22, v23
	v_add_f32_e32 v3, v2, v1
	v_add_co_u32 v1, vcc_lo, v30, v10
	v_add_co_ci_u32_e64 v2, null, v31, v11, vcc_lo
	s_and_b32 vcc_lo, exec_lo, s1
	flat_store_dword v[1:2], v3
	s_cbranch_vccnz .LBB28_79
; %bb.78:
	v_add_co_u32 v0, vcc_lo, v32, v14
	v_add_co_ci_u32_e64 v1, null, v33, v15, vcc_lo
	flat_load_dword v0, v[0:1]
	s_waitcnt vmcnt(0) lgkmcnt(0)
	v_mul_f32_e32 v0, s7, v0
.LBB28_79:
	v_add_f32_e32 v3, v20, v21
	v_add_co_u32 v1, vcc_lo, v30, v14
	v_add_co_ci_u32_e64 v2, null, v31, v15, vcc_lo
	v_add_f32_e32 v3, v3, v0
	v_add_f32_e32 v0, v18, v19
	s_mov_b32 s1, -1
	s_mov_b32 vcc_lo, s0
	flat_store_dword v[1:2], v3
	s_cbranch_vccz .LBB28_81
; %bb.80:
	v_add_co_u32 v1, vcc_lo, v30, v8
	v_add_f32_e32 v3, 0, v0
	v_add_co_ci_u32_e64 v2, null, v31, v9, vcc_lo
	s_mov_b32 s1, 0
	flat_store_dword v[1:2], v3
.LBB28_81:
	v_mov_b32_e32 v1, 0
	s_andn2_b32 vcc_lo, exec_lo, s1
	s_cbranch_vccnz .LBB28_83
; %bb.82:
	v_add_co_u32 v1, vcc_lo, v32, v8
	v_add_co_ci_u32_e64 v2, null, v33, v9, vcc_lo
	flat_load_dword v3, v[1:2]
	v_add_co_u32 v1, vcc_lo, v30, v8
	v_add_co_ci_u32_e64 v2, null, v31, v9, vcc_lo
	s_waitcnt vmcnt(0) lgkmcnt(0)
	v_fmac_f32_e32 v0, s7, v3
	v_add_co_u32 v3, vcc_lo, v32, v12
	v_add_co_ci_u32_e64 v4, null, v33, v13, vcc_lo
	flat_store_dword v[1:2], v0
	flat_load_dword v0, v[3:4]
	s_waitcnt vmcnt(0) lgkmcnt(0)
	v_mul_f32_e32 v1, s7, v0
.LBB28_83:
	v_add_f32_e32 v0, v16, v17
	v_add_f32_e32 v2, v0, v1
	v_add_co_u32 v0, vcc_lo, v30, v12
	v_add_co_ci_u32_e64 v1, null, v31, v13, vcc_lo
	flat_store_dword v[0:1], v2
	s_endpgm
	.section	.rodata,"a",@progbits
	.p2align	6, 0x0
	.amdhsa_kernel _ZN12_GLOBAL__N_120geam_min_plus_kernelIf15HIP_vector_typeIfLj2EES2_Li8ELi32ELi64ELi128ELi4ELi64ELi4ELi4ELi64ELc78ELc78ELb1ELb0ELb0EfKPKfKPfEEviiiT16_PT17_ilSA_ilS8_SA_ilPT18_ili26rocblas_geam_ex_operation_
		.amdhsa_group_segment_fixed_size 6144
		.amdhsa_private_segment_fixed_size 0
		.amdhsa_kernarg_size 128
		.amdhsa_user_sgpr_count 6
		.amdhsa_user_sgpr_private_segment_buffer 1
		.amdhsa_user_sgpr_dispatch_ptr 0
		.amdhsa_user_sgpr_queue_ptr 0
		.amdhsa_user_sgpr_kernarg_segment_ptr 1
		.amdhsa_user_sgpr_dispatch_id 0
		.amdhsa_user_sgpr_flat_scratch_init 0
		.amdhsa_user_sgpr_private_segment_size 0
		.amdhsa_wavefront_size32 1
		.amdhsa_uses_dynamic_stack 0
		.amdhsa_system_sgpr_private_segment_wavefront_offset 0
		.amdhsa_system_sgpr_workgroup_id_x 1
		.amdhsa_system_sgpr_workgroup_id_y 0
		.amdhsa_system_sgpr_workgroup_id_z 1
		.amdhsa_system_sgpr_workgroup_info 0
		.amdhsa_system_vgpr_workitem_id 1
		.amdhsa_next_free_vgpr 157
		.amdhsa_next_free_sgpr 24
		.amdhsa_reserve_vcc 1
		.amdhsa_reserve_flat_scratch 1
		.amdhsa_float_round_mode_32 0
		.amdhsa_float_round_mode_16_64 0
		.amdhsa_float_denorm_mode_32 3
		.amdhsa_float_denorm_mode_16_64 3
		.amdhsa_dx10_clamp 1
		.amdhsa_ieee_mode 1
		.amdhsa_fp16_overflow 0
		.amdhsa_workgroup_processor_mode 1
		.amdhsa_memory_ordered 1
		.amdhsa_forward_progress 1
		.amdhsa_shared_vgpr_count 0
		.amdhsa_exception_fp_ieee_invalid_op 0
		.amdhsa_exception_fp_denorm_src 0
		.amdhsa_exception_fp_ieee_div_zero 0
		.amdhsa_exception_fp_ieee_overflow 0
		.amdhsa_exception_fp_ieee_underflow 0
		.amdhsa_exception_fp_ieee_inexact 0
		.amdhsa_exception_int_div_zero 0
	.end_amdhsa_kernel
	.section	.text._ZN12_GLOBAL__N_120geam_min_plus_kernelIf15HIP_vector_typeIfLj2EES2_Li8ELi32ELi64ELi128ELi4ELi64ELi4ELi4ELi64ELc78ELc78ELb1ELb0ELb0EfKPKfKPfEEviiiT16_PT17_ilSA_ilS8_SA_ilPT18_ili26rocblas_geam_ex_operation_,"axG",@progbits,_ZN12_GLOBAL__N_120geam_min_plus_kernelIf15HIP_vector_typeIfLj2EES2_Li8ELi32ELi64ELi128ELi4ELi64ELi4ELi4ELi64ELc78ELc78ELb1ELb0ELb0EfKPKfKPfEEviiiT16_PT17_ilSA_ilS8_SA_ilPT18_ili26rocblas_geam_ex_operation_,comdat
.Lfunc_end28:
	.size	_ZN12_GLOBAL__N_120geam_min_plus_kernelIf15HIP_vector_typeIfLj2EES2_Li8ELi32ELi64ELi128ELi4ELi64ELi4ELi4ELi64ELc78ELc78ELb1ELb0ELb0EfKPKfKPfEEviiiT16_PT17_ilSA_ilS8_SA_ilPT18_ili26rocblas_geam_ex_operation_, .Lfunc_end28-_ZN12_GLOBAL__N_120geam_min_plus_kernelIf15HIP_vector_typeIfLj2EES2_Li8ELi32ELi64ELi128ELi4ELi64ELi4ELi4ELi64ELc78ELc78ELb1ELb0ELb0EfKPKfKPfEEviiiT16_PT17_ilSA_ilS8_SA_ilPT18_ili26rocblas_geam_ex_operation_
                                        ; -- End function
	.set _ZN12_GLOBAL__N_120geam_min_plus_kernelIf15HIP_vector_typeIfLj2EES2_Li8ELi32ELi64ELi128ELi4ELi64ELi4ELi4ELi64ELc78ELc78ELb1ELb0ELb0EfKPKfKPfEEviiiT16_PT17_ilSA_ilS8_SA_ilPT18_ili26rocblas_geam_ex_operation_.num_vgpr, 157
	.set _ZN12_GLOBAL__N_120geam_min_plus_kernelIf15HIP_vector_typeIfLj2EES2_Li8ELi32ELi64ELi128ELi4ELi64ELi4ELi4ELi64ELc78ELc78ELb1ELb0ELb0EfKPKfKPfEEviiiT16_PT17_ilSA_ilS8_SA_ilPT18_ili26rocblas_geam_ex_operation_.num_agpr, 0
	.set _ZN12_GLOBAL__N_120geam_min_plus_kernelIf15HIP_vector_typeIfLj2EES2_Li8ELi32ELi64ELi128ELi4ELi64ELi4ELi4ELi64ELc78ELc78ELb1ELb0ELb0EfKPKfKPfEEviiiT16_PT17_ilSA_ilS8_SA_ilPT18_ili26rocblas_geam_ex_operation_.numbered_sgpr, 24
	.set _ZN12_GLOBAL__N_120geam_min_plus_kernelIf15HIP_vector_typeIfLj2EES2_Li8ELi32ELi64ELi128ELi4ELi64ELi4ELi4ELi64ELc78ELc78ELb1ELb0ELb0EfKPKfKPfEEviiiT16_PT17_ilSA_ilS8_SA_ilPT18_ili26rocblas_geam_ex_operation_.num_named_barrier, 0
	.set _ZN12_GLOBAL__N_120geam_min_plus_kernelIf15HIP_vector_typeIfLj2EES2_Li8ELi32ELi64ELi128ELi4ELi64ELi4ELi4ELi64ELc78ELc78ELb1ELb0ELb0EfKPKfKPfEEviiiT16_PT17_ilSA_ilS8_SA_ilPT18_ili26rocblas_geam_ex_operation_.private_seg_size, 0
	.set _ZN12_GLOBAL__N_120geam_min_plus_kernelIf15HIP_vector_typeIfLj2EES2_Li8ELi32ELi64ELi128ELi4ELi64ELi4ELi4ELi64ELc78ELc78ELb1ELb0ELb0EfKPKfKPfEEviiiT16_PT17_ilSA_ilS8_SA_ilPT18_ili26rocblas_geam_ex_operation_.uses_vcc, 1
	.set _ZN12_GLOBAL__N_120geam_min_plus_kernelIf15HIP_vector_typeIfLj2EES2_Li8ELi32ELi64ELi128ELi4ELi64ELi4ELi4ELi64ELc78ELc78ELb1ELb0ELb0EfKPKfKPfEEviiiT16_PT17_ilSA_ilS8_SA_ilPT18_ili26rocblas_geam_ex_operation_.uses_flat_scratch, 1
	.set _ZN12_GLOBAL__N_120geam_min_plus_kernelIf15HIP_vector_typeIfLj2EES2_Li8ELi32ELi64ELi128ELi4ELi64ELi4ELi4ELi64ELc78ELc78ELb1ELb0ELb0EfKPKfKPfEEviiiT16_PT17_ilSA_ilS8_SA_ilPT18_ili26rocblas_geam_ex_operation_.has_dyn_sized_stack, 0
	.set _ZN12_GLOBAL__N_120geam_min_plus_kernelIf15HIP_vector_typeIfLj2EES2_Li8ELi32ELi64ELi128ELi4ELi64ELi4ELi4ELi64ELc78ELc78ELb1ELb0ELb0EfKPKfKPfEEviiiT16_PT17_ilSA_ilS8_SA_ilPT18_ili26rocblas_geam_ex_operation_.has_recursion, 0
	.set _ZN12_GLOBAL__N_120geam_min_plus_kernelIf15HIP_vector_typeIfLj2EES2_Li8ELi32ELi64ELi128ELi4ELi64ELi4ELi4ELi64ELc78ELc78ELb1ELb0ELb0EfKPKfKPfEEviiiT16_PT17_ilSA_ilS8_SA_ilPT18_ili26rocblas_geam_ex_operation_.has_indirect_call, 0
	.section	.AMDGPU.csdata,"",@progbits
; Kernel info:
; codeLenInByte = 7368
; TotalNumSgprs: 26
; NumVgprs: 157
; ScratchSize: 0
; MemoryBound: 0
; FloatMode: 240
; IeeeMode: 1
; LDSByteSize: 6144 bytes/workgroup (compile time only)
; SGPRBlocks: 0
; VGPRBlocks: 19
; NumSGPRsForWavesPerEU: 26
; NumVGPRsForWavesPerEU: 157
; Occupancy: 6
; WaveLimiterHint : 1
; COMPUTE_PGM_RSRC2:SCRATCH_EN: 0
; COMPUTE_PGM_RSRC2:USER_SGPR: 6
; COMPUTE_PGM_RSRC2:TRAP_HANDLER: 0
; COMPUTE_PGM_RSRC2:TGID_X_EN: 1
; COMPUTE_PGM_RSRC2:TGID_Y_EN: 0
; COMPUTE_PGM_RSRC2:TGID_Z_EN: 1
; COMPUTE_PGM_RSRC2:TIDIG_COMP_CNT: 1
	.section	.text._ZN12_GLOBAL__N_120geam_min_plus_kernelIf15HIP_vector_typeIfLj2EES2_Li8ELi32ELi64ELi128ELi4ELi64ELi4ELi4ELi64ELc78ELc78ELb0ELb0ELb0EfKPKfKPfEEviiiT16_PT17_ilSA_ilS8_SA_ilPT18_ili26rocblas_geam_ex_operation_,"axG",@progbits,_ZN12_GLOBAL__N_120geam_min_plus_kernelIf15HIP_vector_typeIfLj2EES2_Li8ELi32ELi64ELi128ELi4ELi64ELi4ELi4ELi64ELc78ELc78ELb0ELb0ELb0EfKPKfKPfEEviiiT16_PT17_ilSA_ilS8_SA_ilPT18_ili26rocblas_geam_ex_operation_,comdat
	.globl	_ZN12_GLOBAL__N_120geam_min_plus_kernelIf15HIP_vector_typeIfLj2EES2_Li8ELi32ELi64ELi128ELi4ELi64ELi4ELi4ELi64ELc78ELc78ELb0ELb0ELb0EfKPKfKPfEEviiiT16_PT17_ilSA_ilS8_SA_ilPT18_ili26rocblas_geam_ex_operation_ ; -- Begin function _ZN12_GLOBAL__N_120geam_min_plus_kernelIf15HIP_vector_typeIfLj2EES2_Li8ELi32ELi64ELi128ELi4ELi64ELi4ELi4ELi64ELc78ELc78ELb0ELb0ELb0EfKPKfKPfEEviiiT16_PT17_ilSA_ilS8_SA_ilPT18_ili26rocblas_geam_ex_operation_
	.p2align	8
	.type	_ZN12_GLOBAL__N_120geam_min_plus_kernelIf15HIP_vector_typeIfLj2EES2_Li8ELi32ELi64ELi128ELi4ELi64ELi4ELi4ELi64ELc78ELc78ELb0ELb0ELb0EfKPKfKPfEEviiiT16_PT17_ilSA_ilS8_SA_ilPT18_ili26rocblas_geam_ex_operation_,@function
_ZN12_GLOBAL__N_120geam_min_plus_kernelIf15HIP_vector_typeIfLj2EES2_Li8ELi32ELi64ELi128ELi4ELi64ELi4ELi4ELi64ELc78ELc78ELb0ELb0ELb0EfKPKfKPfEEviiiT16_PT17_ilSA_ilS8_SA_ilPT18_ili26rocblas_geam_ex_operation_: ; @_ZN12_GLOBAL__N_120geam_min_plus_kernelIf15HIP_vector_typeIfLj2EES2_Li8ELi32ELi64ELi128ELi4ELi64ELi4ELi4ELi64ELc78ELc78ELb0ELb0ELb0EfKPKfKPfEEviiiT16_PT17_ilSA_ilS8_SA_ilPT18_ili26rocblas_geam_ex_operation_
; %bb.0:
	s_clause 0x1
	s_load_dwordx2 s[14:15], s[4:5], 0x8
	s_load_dwordx4 s[8:11], s[4:5], 0x20
	s_mov_b32 s20, s7
	s_mov_b32 s21, 0
	s_waitcnt lgkmcnt(0)
	v_cmp_eq_f32_e64 s0, s15, 0
	s_and_b32 s1, exec_lo, s0
	s_mov_b32 vcc_lo, s1
	s_cbranch_vccnz .LBB29_3
; %bb.1:
	s_load_dwordx2 s[2:3], s[4:5], 0x10
	s_lshl_b64 s[12:13], s[20:21], 3
	s_waitcnt lgkmcnt(0)
	s_add_u32 s2, s2, s12
	s_addc_u32 s3, s3, s13
	s_lshl_b64 s[8:9], s[8:9], 2
	s_load_dwordx2 s[2:3], s[2:3], 0x0
	s_waitcnt lgkmcnt(0)
	s_add_u32 s18, s2, s8
	s_addc_u32 s19, s3, s9
	s_andn2_b32 vcc_lo, exec_lo, s0
	s_cbranch_vccnz .LBB29_4
.LBB29_2:
	s_mov_b32 s3, 0
	s_mov_b32 s2, s20
	;; [unrolled: 1-line block ×3, first 2 shown]
	s_mov_b64 s[12:13], 0
	s_andn2_b32 vcc_lo, exec_lo, s0
	s_mov_b64 s[16:17], 0
	s_cbranch_vccz .LBB29_5
	s_branch .LBB29_6
.LBB29_3:
	s_mov_b64 s[18:19], 0
	s_andn2_b32 vcc_lo, exec_lo, s0
	s_cbranch_vccz .LBB29_2
.LBB29_4:
	s_mov_b64 s[2:3], s[20:21]
	s_mov_b64 s[12:13], 0
	;; [unrolled: 1-line block ×3, first 2 shown]
.LBB29_5:
	s_lshl_b64 s[8:9], s[20:21], 3
	s_load_dwordx2 s[16:17], s[4:5], 0x38
	s_add_u32 s8, s10, s8
	s_addc_u32 s9, s11, s9
	s_load_dwordx2 s[8:9], s[8:9], 0x0
	s_waitcnt lgkmcnt(0)
	s_lshl_b64 s[10:11], s[16:17], 2
	s_add_u32 s16, s8, s10
	s_addc_u32 s17, s9, s11
.LBB29_6:
	s_clause 0x1
	s_load_dword s20, s[4:5], 0x40
	s_load_dwordx4 s[8:11], s[4:5], 0x58
	v_cmp_neq_f32_e64 s7, s15, 0
	s_waitcnt lgkmcnt(0)
	v_cmp_eq_f32_e64 s0, s20, 0
	s_and_b32 s0, exec_lo, s0
	s_mov_b32 vcc_lo, s0
	s_cbranch_vccnz .LBB29_8
; %bb.7:
	s_load_dwordx2 s[12:13], s[4:5], 0x48
	s_lshl_b64 s[22:23], s[2:3], 3
	s_waitcnt lgkmcnt(0)
	s_add_u32 s12, s12, s22
	s_addc_u32 s13, s13, s23
	s_lshl_b64 s[8:9], s[8:9], 2
	s_load_dwordx2 s[12:13], s[12:13], 0x0
	s_waitcnt lgkmcnt(0)
	s_add_u32 s12, s12, s8
	s_addc_u32 s13, s13, s9
.LBB29_8:
	s_clause 0x2
	s_load_dword s21, s[4:5], 0x18
	s_load_dword s24, s[4:5], 0x0
	;; [unrolled: 1-line block ×3, first 2 shown]
	s_lshl_b64 s[2:3], s[2:3], 3
	v_lshl_add_u32 v3, v1, 3, v0
	v_and_b32_e32 v12, 3, v0
	v_cndmask_b32_e64 v5, 0, 1, s7
	v_mov_b32_e32 v8, 0
	v_mov_b32_e32 v11, 0
	v_lshrrev_b32_e32 v6, 2, v3
	v_and_b32_e32 v10, 63, v3
	v_mov_b32_e32 v14, 0
	v_lshrrev_b32_e32 v13, 6, v3
	v_lshlrev_b32_e32 v7, 2, v12
	v_mov_b32_e32 v15, 0
	s_waitcnt lgkmcnt(0)
	s_ashr_i32 s22, s21, 31
	s_add_u32 s8, s10, s2
	s_addc_u32 s9, s11, s3
	s_add_i32 s2, s24, -1
	s_ashr_i32 s3, s2, 31
	s_lshr_b32 s3, s3, 26
	s_add_i32 s2, s2, s3
	s_ashr_i32 s2, s2, 6
	s_add_i32 s3, s2, 1
	s_not_b32 s2, s2
	v_cvt_f32_u32_e32 v2, s3
	v_rcp_iflag_f32_e32 v2, v2
	v_mul_f32_e32 v2, 0x4f7ffffe, v2
	v_cvt_u32_f32_e32 v2, v2
	v_readfirstlane_b32 s10, v2
	s_mul_i32 s2, s2, s10
	s_mul_hi_u32 s2, s10, s2
	s_add_i32 s10, s10, s2
	s_mul_hi_u32 s2, s6, s10
	s_mul_i32 s10, s2, s3
	s_add_i32 s11, s2, 1
	s_sub_i32 s10, s6, s10
	s_sub_i32 s24, s10, s3
	s_cmp_ge_u32 s10, s3
	s_cselect_b32 s2, s11, s2
	s_cselect_b32 s10, s24, s10
	s_add_i32 s11, s2, 1
	s_cmp_ge_u32 s10, s3
	s_cselect_b32 s2, s11, s2
	s_andn2_b32 vcc_lo, exec_lo, s7
	s_mul_i32 s3, s2, s3
	s_lshl_b32 s10, s2, 7
	s_sub_i32 s3, s6, s3
	v_add_nc_u32_e32 v4, s10, v6
	s_lshl_b32 s3, s3, 6
	v_cmp_ne_u32_e64 s2, 1, v5
	v_or_b32_e32 v2, s3, v10
	v_add_nc_u32_e32 v5, 64, v4
	v_ashrrev_i32_e32 v3, 31, v2
	s_cbranch_vccnz .LBB29_10
; %bb.9:
	v_mad_i64_i32 v[14:15], null, s21, v13, 0
	v_mad_i64_i32 v[16:17], null, v4, s23, 0
	v_lshlrev_b64 v[18:19], 2, v[2:3]
	v_mad_i64_i32 v[20:21], null, v5, s23, 0
	v_lshlrev_b64 v[14:15], 2, v[14:15]
	v_add_co_u32 v9, vcc_lo, s18, v14
	v_add_co_ci_u32_e64 v11, null, s19, v15, vcc_lo
	v_lshlrev_b64 v[14:15], 2, v[16:17]
	v_add_co_u32 v16, vcc_lo, v9, v18
	v_add_co_u32 v9, s6, s16, v7
	v_add_co_ci_u32_e64 v17, null, v11, v19, vcc_lo
	v_lshlrev_b64 v[18:19], 2, v[20:21]
	v_add_co_ci_u32_e64 v11, null, s17, 0, s6
	v_add_co_u32 v14, vcc_lo, v9, v14
	v_add_co_ci_u32_e64 v15, null, v11, v15, vcc_lo
	v_add_co_u32 v18, vcc_lo, v9, v18
	v_add_co_ci_u32_e64 v19, null, v11, v19, vcc_lo
	flat_load_dword v9, v[14:15]
	flat_load_dword v11, v[16:17]
	;; [unrolled: 1-line block ×3, first 2 shown]
	s_waitcnt vmcnt(2) lgkmcnt(2)
	v_mul_f32_e32 v15, s15, v9
	s_waitcnt vmcnt(1) lgkmcnt(1)
	v_mul_f32_e32 v11, s15, v11
	;; [unrolled: 2-line block ×3, first 2 shown]
.LBB29_10:
	s_load_dwordx2 s[6:7], s[8:9], 0x0
	v_add_nc_u32_e32 v76, 4, v13
	v_mov_b32_e32 v83, 0
	v_mov_b32_e32 v9, 0
	s_and_b32 vcc_lo, exec_lo, s2
	s_cbranch_vccnz .LBB29_12
; %bb.11:
	v_mad_i64_i32 v[8:9], null, s21, v76, 0
	v_mad_i64_i32 v[16:17], null, v4, s23, 0
	v_lshlrev_b64 v[18:19], 2, v[2:3]
	v_mad_i64_i32 v[20:21], null, v5, s23, 0
	v_lshlrev_b64 v[8:9], 2, v[8:9]
	v_add_co_u32 v22, vcc_lo, s18, v8
	v_add_co_ci_u32_e64 v23, null, s19, v9, vcc_lo
	v_lshlrev_b64 v[8:9], 2, v[16:17]
	v_add_co_u32 v16, vcc_lo, v22, v18
	v_add_co_u32 v22, s2, s16, v7
	v_add_co_ci_u32_e64 v17, null, v23, v19, vcc_lo
	v_lshlrev_b64 v[18:19], 2, v[20:21]
	v_add_co_ci_u32_e64 v23, null, s17, 0, s2
	v_add_co_u32 v8, vcc_lo, v22, v8
	v_add_co_ci_u32_e64 v9, null, v23, v9, vcc_lo
	v_add_co_u32 v18, vcc_lo, v22, v18
	v_add_co_ci_u32_e64 v19, null, v23, v19, vcc_lo
	flat_load_dword v8, v[8:9] offset:16
	flat_load_dword v16, v[16:17]
	flat_load_dword v17, v[18:19] offset:16
	s_waitcnt vmcnt(2) lgkmcnt(0)
	v_mul_f32_e32 v9, s15, v8
	s_waitcnt vmcnt(1)
	v_mul_f32_e32 v8, s15, v16
	s_waitcnt vmcnt(0)
	v_mul_f32_e32 v83, s15, v17
.LBB29_12:
	v_lshlrev_b32_e32 v10, 4, v10
	v_lshlrev_b32_e32 v16, 4, v6
	v_mov_b32_e32 v74, 0
	v_cmp_neq_f32_e64 s2, s20, 0
	v_lshl_or_b32 v78, v0, 4, 0x1000
	v_lshl_add_u32 v84, v13, 2, v10
	v_lshl_or_b32 v77, v12, 2, v16
	v_lshlrev_b32_e32 v80, 4, v1
	v_mov_b32_e32 v75, v74
	v_mov_b32_e32 v72, v74
	v_or_b32_e32 v79, 0x1000, v84
	ds_write_b32 v84, v11 offset:4096
	ds_write2st64_b32 v77, v15, v14 offset1:4
	v_mov_b32_e32 v73, v74
	v_mov_b32_e32 v70, v74
	;; [unrolled: 1-line block ×61, first 2 shown]
	s_mov_b32 s9, 0
	s_mov_b32 s8, -1
	s_waitcnt lgkmcnt(0)
	s_barrier
	buffer_gl0_inv
.LBB29_13:                              ; =>This Inner Loop Header: Depth=1
	s_lshl_b32 s9, s9, 2
	v_cndmask_b32_e64 v81, 0, 1, s8
	v_add_nc_u32_e32 v82, s9, v78
	v_add_nc_u32_e32 v105, s9, v80
	s_mov_b32 s8, 0
	s_mov_b32 s9, 2
	v_cmp_ne_u32_e32 vcc_lo, 1, v81
	ds_read2_b64 v[85:88], v82 offset1:16
	ds_read2_b64 v[89:92], v82 offset0:32 offset1:48
	ds_read2_b64 v[93:96], v82 offset0:64 offset1:80
	;; [unrolled: 1-line block ×3, first 2 shown]
	ds_read2st64_b64 v[101:104], v105 offset1:1
	ds_read2st64_b64 v[105:108], v105 offset0:2 offset1:3
	s_and_b32 vcc_lo, exec_lo, vcc_lo
	s_waitcnt lgkmcnt(5)
	v_max_f32_e32 v81, v85, v85
	v_max_f32_e32 v82, v86, v86
	v_max_f32_e32 v85, v87, v87
	v_max_f32_e32 v86, v88, v88
	s_waitcnt lgkmcnt(4)
	v_max_f32_e32 v87, v89, v89
	v_max_f32_e32 v88, v90, v90
	v_max_f32_e32 v89, v91, v91
	v_max_f32_e32 v90, v92, v92
	;; [unrolled: 5-line block ×6, first 2 shown]
	v_min_f32_e32 v107, v81, v99
	v_min_f32_e32 v108, v85, v99
	;; [unrolled: 1-line block ×64, first 2 shown]
	v_add_f32_e32 v75, v105, v75
	v_add_f32_e32 v74, v107, v74
	;; [unrolled: 1-line block ×64, first 2 shown]
	s_cbranch_vccz .LBB29_13
; %bb.14:
	v_lshl_or_b32 v6, v6, 4, v7
	v_lshl_add_u32 v81, v0, 4, 0x1400
	v_lshl_add_u32 v82, v1, 4, 0x800
	s_cmp_lt_i32 s14, 9
	ds_write_b32 v84, v8 offset:5120
	ds_write2st64_b32 v6, v9, v83 offset0:8 offset1:12
	s_waitcnt lgkmcnt(0)
	s_barrier
	buffer_gl0_inv
	s_cbranch_scc1 .LBB29_29
; %bb.15:
	v_lshlrev_b64 v[2:3], 2, v[2:3]
	v_mad_i64_i32 v[7:8], null, v4, s23, 0
	v_mad_i64_i32 v[4:5], null, v5, s23, 0
	v_add_nc_u32_e32 v83, 0x1400, v84
	v_add_co_u32 v85, vcc_lo, s18, v2
	v_add_co_ci_u32_e64 v86, null, s19, v3, vcc_lo
	v_lshlrev_b64 v[2:3], 2, v[7:8]
	v_lshlrev_b64 v[4:5], 2, v[4:5]
	v_add_nc_u32_e32 v84, 0x800, v6
	v_mov_b32_e32 v7, 0
	s_add_i32 s8, s14, -8
	s_mov_b32 s9, 8
	s_mov_b32 s11, 0
.LBB29_16:                              ; =>This Loop Header: Depth=1
                                        ;     Child Loop BB29_21 Depth 2
                                        ;     Child Loop BB29_27 Depth 2
	s_mov_b32 s14, -1
	s_mov_b32 vcc_lo, s1
                                        ; implicit-def: $vgpr8_vgpr9
	s_cbranch_vccz .LBB29_18
; %bb.17:                               ;   in Loop: Header=BB29_16 Depth=1
	v_mov_b32_e32 v8, v7
	s_mov_b32 s14, 0
.LBB29_18:                              ;   in Loop: Header=BB29_16 Depth=1
	v_mov_b32_e32 v6, 0
	v_mov_b32_e32 v9, 0
	s_andn2_b32 vcc_lo, exec_lo, s14
	s_cbranch_vccnz .LBB29_20
; %bb.19:                               ;   in Loop: Header=BB29_16 Depth=1
	v_add_nc_u32_e32 v87, s9, v13
	v_or_b32_e32 v6, s9, v12
	v_mad_u64_u32 v[8:9], null, v87, s21, 0
	v_mad_u64_u32 v[87:88], null, v87, s22, v[9:10]
	v_lshlrev_b64 v[88:89], 2, v[6:7]
	v_add_co_u32 v6, vcc_lo, s16, v88
	v_mov_b32_e32 v9, v87
	v_add_co_ci_u32_e64 v90, null, s17, v89, vcc_lo
	v_add_co_u32 v87, vcc_lo, v6, v2
	v_lshlrev_b64 v[8:9], 2, v[8:9]
	v_add_co_ci_u32_e64 v88, null, v90, v3, vcc_lo
	v_add_co_u32 v8, vcc_lo, v85, v8
	v_add_co_ci_u32_e64 v9, null, v86, v9, vcc_lo
	v_add_co_u32 v89, vcc_lo, v6, v4
	v_add_co_ci_u32_e64 v90, null, v90, v5, vcc_lo
	flat_load_dword v6, v[87:88]
	flat_load_dword v9, v[8:9]
	;; [unrolled: 1-line block ×3, first 2 shown]
	s_waitcnt vmcnt(2) lgkmcnt(2)
	v_mul_f32_e32 v8, s15, v6
	s_waitcnt vmcnt(1) lgkmcnt(1)
	v_mul_f32_e32 v6, s15, v9
	;; [unrolled: 2-line block ×3, first 2 shown]
.LBB29_20:                              ;   in Loop: Header=BB29_16 Depth=1
	s_mov_b32 s18, 0
	s_mov_b32 s14, -1
.LBB29_21:                              ;   Parent Loop BB29_16 Depth=1
                                        ; =>  This Inner Loop Header: Depth=2
	s_lshl_b32 s18, s18, 2
	v_cndmask_b32_e64 v87, 0, 1, s14
	v_add_nc_u32_e32 v107, s18, v82
	v_add_nc_u32_e32 v103, s18, v81
	s_mov_b32 s14, 0
	s_mov_b32 s18, 2
	v_cmp_ne_u32_e32 vcc_lo, 1, v87
	ds_read2st64_b64 v[87:90], v107 offset1:1
	ds_read2_b64 v[91:94], v103 offset1:16
	ds_read2_b64 v[95:98], v103 offset0:32 offset1:48
	ds_read2_b64 v[99:102], v103 offset0:64 offset1:80
	;; [unrolled: 1-line block ×3, first 2 shown]
	ds_read2st64_b64 v[107:110], v107 offset0:2 offset1:3
	s_and_b32 vcc_lo, exec_lo, vcc_lo
	s_waitcnt lgkmcnt(5)
	v_max_f32_e32 v87, v87, v87
	s_waitcnt lgkmcnt(4)
	v_max_f32_e32 v91, v91, v91
	v_max_f32_e32 v88, v88, v88
	;; [unrolled: 1-line block ×5, first 2 shown]
	s_waitcnt lgkmcnt(3)
	v_max_f32_e32 v95, v95, v95
	v_max_f32_e32 v96, v96, v96
	v_max_f32_e32 v97, v97, v97
	v_max_f32_e32 v98, v98, v98
	s_waitcnt lgkmcnt(2)
	v_max_f32_e32 v99, v99, v99
	v_max_f32_e32 v100, v100, v100
	v_max_f32_e32 v101, v101, v101
	v_max_f32_e32 v102, v102, v102
	;; [unrolled: 5-line block ×3, first 2 shown]
	v_max_f32_e32 v89, v89, v89
	v_max_f32_e32 v90, v90, v90
	s_waitcnt lgkmcnt(0)
	v_max_f32_e32 v107, v107, v107
	v_max_f32_e32 v108, v108, v108
	;; [unrolled: 1-line block ×4, first 2 shown]
	v_min_f32_e32 v111, v91, v87
	v_min_f32_e32 v112, v92, v88
	;; [unrolled: 1-line block ×64, first 2 shown]
	v_add_f32_e32 v75, v112, v75
	v_add_f32_e32 v74, v111, v74
	;; [unrolled: 1-line block ×64, first 2 shown]
	s_cbranch_vccz .LBB29_21
; %bb.22:                               ;   in Loop: Header=BB29_16 Depth=1
	s_mov_b32 s14, -1
	s_mov_b32 vcc_lo, s1
	ds_write_b32 v79, v6
	ds_write2st64_b32 v77, v8, v9 offset1:4
	s_waitcnt lgkmcnt(0)
	s_barrier
	buffer_gl0_inv
                                        ; implicit-def: $vgpr8_vgpr9
	s_cbranch_vccz .LBB29_24
; %bb.23:                               ;   in Loop: Header=BB29_16 Depth=1
	v_mov_b32_e32 v8, v7
	s_mov_b32 s14, 0
.LBB29_24:                              ;   in Loop: Header=BB29_16 Depth=1
	v_mov_b32_e32 v6, 0
	v_mov_b32_e32 v9, 0
	s_andn2_b32 vcc_lo, exec_lo, s14
	s_cbranch_vccnz .LBB29_26
; %bb.25:                               ;   in Loop: Header=BB29_16 Depth=1
	v_add_nc_u32_e32 v87, s9, v76
	v_or_b32_e32 v6, s9, v12
	v_mad_u64_u32 v[8:9], null, v87, s21, 0
	v_mad_u64_u32 v[87:88], null, v87, s22, v[9:10]
	v_lshlrev_b64 v[88:89], 2, v[6:7]
	v_add_co_u32 v6, vcc_lo, s16, v88
	v_mov_b32_e32 v9, v87
	v_add_co_ci_u32_e64 v90, null, s17, v89, vcc_lo
	v_add_co_u32 v87, vcc_lo, v6, v2
	v_lshlrev_b64 v[8:9], 2, v[8:9]
	v_add_co_ci_u32_e64 v88, null, v90, v3, vcc_lo
	v_add_co_u32 v8, vcc_lo, v85, v8
	v_add_co_ci_u32_e64 v9, null, v86, v9, vcc_lo
	v_add_co_u32 v89, vcc_lo, v6, v4
	v_add_co_ci_u32_e64 v90, null, v90, v5, vcc_lo
	flat_load_dword v6, v[87:88] offset:16
	flat_load_dword v9, v[8:9]
	flat_load_dword v87, v[89:90] offset:16
	s_waitcnt vmcnt(2) lgkmcnt(2)
	v_mul_f32_e32 v8, s15, v6
	s_waitcnt vmcnt(1) lgkmcnt(1)
	v_mul_f32_e32 v6, s15, v9
	;; [unrolled: 2-line block ×3, first 2 shown]
.LBB29_26:                              ;   in Loop: Header=BB29_16 Depth=1
	s_mov_b32 s18, 0
	s_mov_b32 s14, -1
.LBB29_27:                              ;   Parent Loop BB29_16 Depth=1
                                        ; =>  This Inner Loop Header: Depth=2
	s_lshl_b32 s18, s18, 2
	v_cndmask_b32_e64 v87, 0, 1, s14
	v_add_nc_u32_e32 v107, s18, v80
	v_add_nc_u32_e32 v103, s18, v78
	s_mov_b32 s14, 0
	s_mov_b32 s18, 2
	v_cmp_ne_u32_e32 vcc_lo, 1, v87
	ds_read2st64_b64 v[87:90], v107 offset1:1
	ds_read2_b64 v[91:94], v103 offset1:16
	ds_read2_b64 v[95:98], v103 offset0:32 offset1:48
	ds_read2_b64 v[99:102], v103 offset0:64 offset1:80
	;; [unrolled: 1-line block ×3, first 2 shown]
	ds_read2st64_b64 v[107:110], v107 offset0:2 offset1:3
	s_and_b32 vcc_lo, exec_lo, vcc_lo
	s_waitcnt lgkmcnt(5)
	v_max_f32_e32 v87, v87, v87
	s_waitcnt lgkmcnt(4)
	v_max_f32_e32 v91, v91, v91
	v_max_f32_e32 v88, v88, v88
	;; [unrolled: 1-line block ×5, first 2 shown]
	s_waitcnt lgkmcnt(3)
	v_max_f32_e32 v95, v95, v95
	v_max_f32_e32 v96, v96, v96
	v_max_f32_e32 v97, v97, v97
	v_max_f32_e32 v98, v98, v98
	s_waitcnt lgkmcnt(2)
	v_max_f32_e32 v99, v99, v99
	v_max_f32_e32 v100, v100, v100
	v_max_f32_e32 v101, v101, v101
	v_max_f32_e32 v102, v102, v102
	;; [unrolled: 5-line block ×3, first 2 shown]
	v_max_f32_e32 v89, v89, v89
	v_max_f32_e32 v90, v90, v90
	s_waitcnt lgkmcnt(0)
	v_max_f32_e32 v107, v107, v107
	v_max_f32_e32 v108, v108, v108
	v_max_f32_e32 v109, v109, v109
	v_max_f32_e32 v110, v110, v110
	v_min_f32_e32 v111, v91, v87
	v_min_f32_e32 v112, v92, v88
	v_min_f32_e32 v113, v93, v87
	v_min_f32_e32 v114, v94, v88
	v_min_f32_e32 v115, v95, v87
	v_min_f32_e32 v116, v96, v88
	v_min_f32_e32 v117, v97, v87
	v_min_f32_e32 v118, v98, v88
	v_min_f32_e32 v119, v99, v87
	v_min_f32_e32 v120, v100, v88
	v_min_f32_e32 v121, v101, v87
	v_min_f32_e32 v122, v102, v88
	v_min_f32_e32 v123, v103, v87
	v_min_f32_e32 v124, v104, v88
	v_min_f32_e32 v87, v105, v87
	v_min_f32_e32 v88, v106, v88
	v_min_f32_e32 v125, v91, v89
	v_min_f32_e32 v126, v92, v90
	v_min_f32_e32 v127, v93, v89
	v_min_f32_e32 v128, v94, v90
	v_min_f32_e32 v129, v95, v89
	v_min_f32_e32 v130, v96, v90
	v_min_f32_e32 v131, v97, v89
	v_min_f32_e32 v132, v98, v90
	v_min_f32_e32 v133, v99, v89
	v_min_f32_e32 v134, v100, v90
	v_min_f32_e32 v135, v101, v89
	v_min_f32_e32 v136, v102, v90
	v_min_f32_e32 v137, v103, v89
	v_min_f32_e32 v138, v104, v90
	v_min_f32_e32 v89, v105, v89
	v_min_f32_e32 v90, v106, v90
	v_min_f32_e32 v139, v91, v107
	v_min_f32_e32 v140, v92, v108
	v_min_f32_e32 v141, v93, v107
	v_min_f32_e32 v142, v94, v108
	v_min_f32_e32 v143, v95, v107
	v_min_f32_e32 v144, v96, v108
	v_min_f32_e32 v145, v97, v107
	v_min_f32_e32 v146, v98, v108
	v_min_f32_e32 v147, v99, v107
	v_min_f32_e32 v148, v100, v108
	v_min_f32_e32 v149, v101, v107
	v_min_f32_e32 v150, v102, v108
	v_min_f32_e32 v151, v103, v107
	v_min_f32_e32 v152, v104, v108
	v_min_f32_e32 v107, v105, v107
	v_min_f32_e32 v108, v106, v108
	v_min_f32_e32 v91, v91, v109
	v_min_f32_e32 v92, v92, v110
	v_min_f32_e32 v93, v93, v109
	v_min_f32_e32 v94, v94, v110
	v_min_f32_e32 v95, v95, v109
	v_min_f32_e32 v96, v96, v110
	v_min_f32_e32 v97, v97, v109
	v_min_f32_e32 v98, v98, v110
	v_min_f32_e32 v99, v99, v109
	v_min_f32_e32 v100, v100, v110
	v_min_f32_e32 v101, v101, v109
	v_min_f32_e32 v102, v102, v110
	v_min_f32_e32 v103, v103, v109
	v_min_f32_e32 v104, v104, v110
	v_min_f32_e32 v105, v105, v109
	v_min_f32_e32 v106, v106, v110
	v_add_f32_e32 v75, v112, v75
	v_add_f32_e32 v74, v111, v74
	;; [unrolled: 1-line block ×64, first 2 shown]
	s_cbranch_vccz .LBB29_27
; %bb.28:                               ;   in Loop: Header=BB29_16 Depth=1
	s_add_i32 s11, s11, 8
	s_add_i32 s9, s9, 8
	s_cmp_ge_i32 s11, s8
	ds_write_b32 v83, v6
	ds_write2st64_b32 v84, v8, v9 offset1:4
	s_waitcnt lgkmcnt(0)
	s_barrier
	buffer_gl0_inv
	s_cbranch_scc0 .LBB29_16
.LBB29_29:
	s_mov_b32 s8, 0
	s_mov_b32 s1, -1
.LBB29_30:                              ; =>This Inner Loop Header: Depth=1
	s_lshl_b32 s8, s8, 2
	v_cndmask_b32_e64 v2, 0, 1, s1
	v_add_nc_u32_e32 v12, s8, v82
	v_add_nc_u32_e32 v13, s8, v81
	s_mov_b32 s1, 0
	s_mov_b32 s8, 2
	v_cmp_ne_u32_e32 vcc_lo, 1, v2
	ds_read2st64_b64 v[2:5], v12 offset1:1
	ds_read2_b64 v[6:9], v13 offset1:16
	ds_read2_b64 v[76:79], v13 offset0:32 offset1:48
	ds_read2_b64 v[83:86], v13 offset0:64 offset1:80
	;; [unrolled: 1-line block ×3, first 2 shown]
	ds_read2st64_b64 v[91:94], v12 offset0:2 offset1:3
	s_and_b32 vcc_lo, exec_lo, vcc_lo
	s_waitcnt lgkmcnt(5)
	v_max_f32_e32 v2, v2, v2
	s_waitcnt lgkmcnt(4)
	v_max_f32_e32 v6, v6, v6
	v_max_f32_e32 v3, v3, v3
	;; [unrolled: 1-line block ×5, first 2 shown]
	s_waitcnt lgkmcnt(3)
	v_max_f32_e32 v12, v76, v76
	v_max_f32_e32 v13, v77, v77
	v_max_f32_e32 v76, v78, v78
	v_max_f32_e32 v77, v79, v79
	s_waitcnt lgkmcnt(2)
	v_max_f32_e32 v78, v83, v83
	v_max_f32_e32 v79, v84, v84
	v_max_f32_e32 v80, v85, v85
	v_max_f32_e32 v83, v86, v86
	;; [unrolled: 5-line block ×3, first 2 shown]
	v_max_f32_e32 v4, v4, v4
	v_max_f32_e32 v5, v5, v5
	s_waitcnt lgkmcnt(0)
	v_max_f32_e32 v88, v91, v91
	v_max_f32_e32 v89, v92, v92
	;; [unrolled: 1-line block ×4, first 2 shown]
	v_min_f32_e32 v92, v6, v2
	v_min_f32_e32 v93, v7, v3
	;; [unrolled: 1-line block ×64, first 2 shown]
	v_add_f32_e32 v75, v93, v75
	v_add_f32_e32 v74, v92, v74
	v_add_f32_e32 v73, v95, v73
	v_add_f32_e32 v72, v94, v72
	v_add_f32_e32 v71, v97, v71
	v_add_f32_e32 v70, v96, v70
	v_add_f32_e32 v11, v99, v11
	v_add_f32_e32 v10, v98, v10
	v_add_f32_e32 v15, v101, v15
	v_add_f32_e32 v14, v100, v14
	v_add_f32_e32 v69, v103, v69
	v_add_f32_e32 v68, v102, v68
	v_add_f32_e32 v67, v105, v67
	v_add_f32_e32 v66, v104, v66
	v_add_f32_e32 v65, v3, v65
	v_add_f32_e32 v64, v2, v64
	v_add_f32_e32 v63, v107, v63
	v_add_f32_e32 v62, v106, v62
	v_add_f32_e32 v61, v109, v61
	v_add_f32_e32 v60, v108, v60
	v_add_f32_e32 v59, v111, v59
	v_add_f32_e32 v58, v110, v58
	v_add_f32_e32 v57, v113, v57
	v_add_f32_e32 v56, v112, v56
	v_add_f32_e32 v55, v115, v55
	v_add_f32_e32 v54, v114, v54
	v_add_f32_e32 v53, v117, v53
	v_add_f32_e32 v52, v116, v52
	v_add_f32_e32 v51, v119, v51
	v_add_f32_e32 v50, v118, v50
	v_add_f32_e32 v49, v5, v49
	v_add_f32_e32 v48, v4, v48
	v_add_f32_e32 v47, v121, v47
	v_add_f32_e32 v46, v120, v46
	v_add_f32_e32 v45, v123, v45
	v_add_f32_e32 v44, v122, v44
	v_add_f32_e32 v43, v125, v43
	v_add_f32_e32 v42, v124, v42
	v_add_f32_e32 v41, v127, v41
	v_add_f32_e32 v40, v126, v40
	v_add_f32_e32 v39, v129, v39
	v_add_f32_e32 v38, v128, v38
	v_add_f32_e32 v37, v131, v37
	v_add_f32_e32 v36, v130, v36
	v_add_f32_e32 v35, v133, v35
	v_add_f32_e32 v34, v132, v34
	v_add_f32_e32 v33, v89, v33
	v_add_f32_e32 v32, v88, v32
	v_add_f32_e32 v31, v7, v31
	v_add_f32_e32 v30, v6, v30
	v_add_f32_e32 v29, v9, v29
	v_add_f32_e32 v28, v8, v28
	v_add_f32_e32 v27, v13, v27
	v_add_f32_e32 v26, v12, v26
	v_add_f32_e32 v25, v77, v25
	v_add_f32_e32 v24, v76, v24
	v_add_f32_e32 v23, v79, v23
	v_add_f32_e32 v22, v78, v22
	v_add_f32_e32 v21, v83, v21
	v_add_f32_e32 v20, v80, v20
	v_add_f32_e32 v19, v85, v19
	v_add_f32_e32 v18, v84, v18
	v_add_f32_e32 v17, v87, v17
	v_add_f32_e32 v16, v86, v16
	s_cbranch_vccz .LBB29_30
; %bb.31:
	s_load_dword s8, s[4:5], 0x50
	v_add_nc_u32_e32 v76, s10, v1
	v_add_nc_u32_e32 v12, s3, v0
	v_cndmask_b32_e64 v0, 0, 1, s2
	v_mov_b32_e32 v4, 0
	v_ashrrev_i32_e32 v13, 31, v12
	v_cmp_ne_u32_e64 s1, 1, v0
	s_waitcnt lgkmcnt(0)
	v_mad_i64_i32 v[1:2], null, v76, s8, 0
	v_lshlrev_b64 v[2:3], 2, v[1:2]
	v_lshlrev_b64 v[0:1], 2, v[12:13]
	v_add_co_u32 v77, vcc_lo, s12, v2
	v_add_co_ci_u32_e64 v78, null, s13, v3, vcc_lo
	v_mov_b32_e32 v2, 0
	s_andn2_b32 vcc_lo, exec_lo, s2
	s_cbranch_vccnz .LBB29_33
; %bb.32:
	v_add_co_u32 v2, vcc_lo, v77, v0
	v_add_co_ci_u32_e64 v3, null, v78, v1, vcc_lo
	flat_load_dword v2, v[2:3]
	s_waitcnt vmcnt(0) lgkmcnt(0)
	v_mul_f32_e32 v2, s20, v2
.LBB29_33:
	s_clause 0x1
	s_load_dword s2, s[4:5], 0x68
	s_load_dwordx2 s[4:5], s[4:5], 0x70
	v_add_nc_u32_e32 v7, 8, v12
	v_add_f32_e32 v3, v74, v75
	v_ashrrev_i32_e32 v8, 31, v7
	v_add_f32_e32 v9, v3, v2
	v_lshlrev_b64 v[2:3], 2, v[7:8]
	s_waitcnt lgkmcnt(0)
	v_mad_i64_i32 v[5:6], null, v76, s2, 0
	s_lshl_b64 s[4:5], s[4:5], 2
	s_add_u32 s3, s6, s4
	s_addc_u32 s4, s7, s5
	v_lshlrev_b64 v[5:6], 2, v[5:6]
	v_add_co_u32 v74, vcc_lo, s3, v5
	v_add_co_ci_u32_e64 v75, null, s4, v6, vcc_lo
	v_add_co_u32 v5, vcc_lo, v74, v0
	v_add_co_ci_u32_e64 v6, null, v75, v1, vcc_lo
	s_and_b32 vcc_lo, exec_lo, s1
	flat_store_dword v[5:6], v9
	s_cbranch_vccnz .LBB29_35
; %bb.34:
	v_add_co_u32 v4, vcc_lo, v77, v2
	v_add_co_ci_u32_e64 v5, null, v78, v3, vcc_lo
	flat_load_dword v4, v[4:5]
	s_waitcnt vmcnt(0) lgkmcnt(0)
	v_mul_f32_e32 v4, s20, v4
.LBB29_35:
	v_add_nc_u32_e32 v5, 16, v12
	v_add_f32_e32 v7, v72, v73
	v_add_co_u32 v72, vcc_lo, v74, v2
	v_add_co_ci_u32_e64 v73, null, v75, v3, vcc_lo
	v_ashrrev_i32_e32 v6, 31, v5
	v_add_f32_e32 v7, v7, v4
	v_mov_b32_e32 v8, 0
	s_and_b32 vcc_lo, exec_lo, s1
	v_lshlrev_b64 v[4:5], 2, v[5:6]
	v_mov_b32_e32 v6, 0
	flat_store_dword v[72:73], v7
	s_cbranch_vccnz .LBB29_37
; %bb.36:
	v_add_co_u32 v6, vcc_lo, v77, v4
	v_add_co_ci_u32_e64 v7, null, v78, v5, vcc_lo
	flat_load_dword v6, v[6:7]
	s_waitcnt vmcnt(0) lgkmcnt(0)
	v_mul_f32_e32 v6, s20, v6
.LBB29_37:
	v_add_nc_u32_e32 v72, 24, v12
	v_add_f32_e32 v7, v70, v71
	v_add_co_u32 v70, vcc_lo, v74, v4
	v_add_co_ci_u32_e64 v71, null, v75, v5, vcc_lo
	v_ashrrev_i32_e32 v73, 31, v72
	v_add_f32_e32 v9, v7, v6
	s_and_b32 vcc_lo, exec_lo, s1
	v_lshlrev_b64 v[6:7], 2, v[72:73]
	flat_store_dword v[70:71], v9
	s_cbranch_vccnz .LBB29_39
; %bb.38:
	v_add_co_u32 v8, vcc_lo, v77, v6
	v_add_co_ci_u32_e64 v9, null, v78, v7, vcc_lo
	flat_load_dword v8, v[8:9]
	s_waitcnt vmcnt(0) lgkmcnt(0)
	v_mul_f32_e32 v8, s20, v8
.LBB29_39:
	v_add_nc_u32_e32 v9, 32, v12
	v_add_f32_e32 v11, v10, v11
	v_add_co_u32 v70, vcc_lo, v74, v6
	v_add_co_ci_u32_e64 v71, null, v75, v7, vcc_lo
	v_ashrrev_i32_e32 v10, 31, v9
	v_add_f32_e32 v13, v11, v8
	v_mov_b32_e32 v8, 0
	s_and_b32 vcc_lo, exec_lo, s1
	v_lshlrev_b64 v[10:11], 2, v[9:10]
	v_mov_b32_e32 v9, 0
	flat_store_dword v[70:71], v13
	s_cbranch_vccnz .LBB29_41
; %bb.40:
	v_add_co_u32 v70, vcc_lo, v77, v10
	v_add_co_ci_u32_e64 v71, null, v78, v11, vcc_lo
	flat_load_dword v9, v[70:71]
	s_waitcnt vmcnt(0) lgkmcnt(0)
	v_mul_f32_e32 v9, s20, v9
.LBB29_41:
	v_add_nc_u32_e32 v13, 40, v12
	v_add_f32_e32 v15, v14, v15
	v_add_co_u32 v70, vcc_lo, v74, v10
	v_add_co_ci_u32_e64 v71, null, v75, v11, vcc_lo
	v_ashrrev_i32_e32 v14, 31, v13
	v_add_f32_e32 v9, v15, v9
	s_and_b32 vcc_lo, exec_lo, s1
	v_lshlrev_b64 v[14:15], 2, v[13:14]
	flat_store_dword v[70:71], v9
	s_cbranch_vccnz .LBB29_43
; %bb.42:
	v_add_co_u32 v8, vcc_lo, v77, v14
	v_add_co_ci_u32_e64 v9, null, v78, v15, vcc_lo
	flat_load_dword v8, v[8:9]
	s_waitcnt vmcnt(0) lgkmcnt(0)
	v_mul_f32_e32 v8, s20, v8
.LBB29_43:
	v_add_nc_u32_e32 v70, 48, v12
	v_add_f32_e32 v9, v68, v69
	v_add_co_u32 v72, vcc_lo, v74, v14
	v_add_co_ci_u32_e64 v73, null, v75, v15, vcc_lo
	v_ashrrev_i32_e32 v71, 31, v70
	v_add_f32_e32 v69, v9, v8
	v_mov_b32_e32 v68, 0
	v_mov_b32_e32 v13, 0
	s_and_b32 vcc_lo, exec_lo, s1
	v_lshlrev_b64 v[8:9], 2, v[70:71]
	flat_store_dword v[72:73], v69
	s_cbranch_vccnz .LBB29_45
; %bb.44:
	v_add_co_u32 v69, vcc_lo, v77, v8
	v_add_co_ci_u32_e64 v70, null, v78, v9, vcc_lo
	flat_load_dword v13, v[69:70]
	s_waitcnt vmcnt(0) lgkmcnt(0)
	v_mul_f32_e32 v13, s20, v13
.LBB29_45:
	v_add_nc_u32_e32 v69, 56, v12
	v_add_f32_e32 v12, v66, v67
	v_add_co_u32 v66, vcc_lo, v74, v8
	v_add_co_ci_u32_e64 v67, null, v75, v9, vcc_lo
	v_ashrrev_i32_e32 v70, 31, v69
	v_add_f32_e32 v71, v12, v13
	s_and_b32 vcc_lo, exec_lo, s1
	v_lshlrev_b64 v[12:13], 2, v[69:70]
	flat_store_dword v[66:67], v71
	s_cbranch_vccnz .LBB29_47
; %bb.46:
	v_add_co_u32 v66, vcc_lo, v77, v12
	v_add_co_ci_u32_e64 v67, null, v78, v13, vcc_lo
	flat_load_dword v66, v[66:67]
	s_waitcnt vmcnt(0) lgkmcnt(0)
	v_mul_f32_e32 v68, s20, v66
.LBB29_47:
	v_add_nc_u32_e32 v67, 32, v76
	v_add_f32_e32 v71, v64, v65
	v_mov_b32_e32 v66, 0
	v_mad_i64_i32 v[69:70], null, v67, s8, 0
	v_add_f32_e32 v71, v71, v68
	v_mov_b32_e32 v68, 0
	v_lshlrev_b64 v[64:65], 2, v[69:70]
	v_add_co_u32 v69, vcc_lo, v74, v12
	v_add_co_ci_u32_e64 v70, null, v75, v13, vcc_lo
	v_add_co_u32 v64, vcc_lo, s12, v64
	v_add_co_ci_u32_e64 v65, null, s13, v65, vcc_lo
	s_and_b32 vcc_lo, exec_lo, s1
	flat_store_dword v[69:70], v71
	s_cbranch_vccnz .LBB29_49
; %bb.48:
	v_add_co_u32 v68, vcc_lo, v64, v0
	v_add_co_ci_u32_e64 v69, null, v65, v1, vcc_lo
	flat_load_dword v68, v[68:69]
	s_waitcnt vmcnt(0) lgkmcnt(0)
	v_mul_f32_e32 v68, s20, v68
.LBB29_49:
	v_mad_i64_i32 v[69:70], null, v67, s2, 0
	v_add_f32_e32 v67, v62, v63
	v_lshlrev_b64 v[69:70], 2, v[69:70]
	v_add_co_u32 v62, vcc_lo, s3, v69
	v_add_co_ci_u32_e64 v63, null, s4, v70, vcc_lo
	v_add_f32_e32 v69, v67, v68
	v_add_co_u32 v67, vcc_lo, v62, v0
	v_add_co_ci_u32_e64 v68, null, v63, v1, vcc_lo
	s_and_b32 vcc_lo, exec_lo, s1
	flat_store_dword v[67:68], v69
	s_cbranch_vccnz .LBB29_51
; %bb.50:
	v_add_co_u32 v66, vcc_lo, v64, v2
	v_add_co_ci_u32_e64 v67, null, v65, v3, vcc_lo
	flat_load_dword v66, v[66:67]
	s_waitcnt vmcnt(0) lgkmcnt(0)
	v_mul_f32_e32 v66, s20, v66
.LBB29_51:
	v_add_f32_e32 v60, v60, v61
	v_add_co_u32 v67, vcc_lo, v62, v2
	v_add_co_ci_u32_e64 v68, null, v63, v3, vcc_lo
	v_add_f32_e32 v66, v60, v66
	v_mov_b32_e32 v60, 0
	v_mov_b32_e32 v61, 0
	s_and_b32 vcc_lo, exec_lo, s1
	flat_store_dword v[67:68], v66
	s_cbranch_vccnz .LBB29_53
; %bb.52:
	v_add_co_u32 v66, vcc_lo, v64, v4
	v_add_co_ci_u32_e64 v67, null, v65, v5, vcc_lo
	flat_load_dword v61, v[66:67]
	s_waitcnt vmcnt(0) lgkmcnt(0)
	v_mul_f32_e32 v61, s20, v61
.LBB29_53:
	v_add_f32_e32 v58, v58, v59
	v_add_f32_e32 v61, v58, v61
	v_add_co_u32 v58, vcc_lo, v62, v4
	v_add_co_ci_u32_e64 v59, null, v63, v5, vcc_lo
	s_and_b32 vcc_lo, exec_lo, s1
	flat_store_dword v[58:59], v61
	s_cbranch_vccnz .LBB29_55
; %bb.54:
	v_add_co_u32 v58, vcc_lo, v64, v6
	v_add_co_ci_u32_e64 v59, null, v65, v7, vcc_lo
	flat_load_dword v58, v[58:59]
	s_waitcnt vmcnt(0) lgkmcnt(0)
	v_mul_f32_e32 v60, s20, v58
.LBB29_55:
	v_add_f32_e32 v56, v56, v57
	v_add_co_u32 v58, vcc_lo, v62, v6
	v_add_co_ci_u32_e64 v59, null, v63, v7, vcc_lo
	v_add_f32_e32 v60, v56, v60
	v_mov_b32_e32 v56, 0
	v_mov_b32_e32 v57, 0
	s_and_b32 vcc_lo, exec_lo, s1
	flat_store_dword v[58:59], v60
	s_cbranch_vccnz .LBB29_57
; %bb.56:
	v_add_co_u32 v57, vcc_lo, v64, v10
	v_add_co_ci_u32_e64 v58, null, v65, v11, vcc_lo
	flat_load_dword v57, v[57:58]
	s_waitcnt vmcnt(0) lgkmcnt(0)
	v_mul_f32_e32 v57, s20, v57
.LBB29_57:
	v_add_f32_e32 v54, v54, v55
	;; [unrolled: 30-line block ×3, first 2 shown]
	v_add_f32_e32 v53, v50, v53
	v_add_co_u32 v50, vcc_lo, v62, v8
	v_add_co_ci_u32_e64 v51, null, v63, v9, vcc_lo
	s_and_b32 vcc_lo, exec_lo, s1
	flat_store_dword v[50:51], v53
	s_cbranch_vccnz .LBB29_63
; %bb.62:
	v_add_co_u32 v50, vcc_lo, v64, v12
	v_add_co_ci_u32_e64 v51, null, v65, v13, vcc_lo
	flat_load_dword v50, v[50:51]
	s_waitcnt vmcnt(0) lgkmcnt(0)
	v_mul_f32_e32 v52, s20, v50
.LBB29_63:
	v_add_nc_u32_e32 v51, 64, v76
	v_add_f32_e32 v55, v48, v49
	v_mov_b32_e32 v50, 0
	v_mad_i64_i32 v[53:54], null, v51, s8, 0
	v_add_f32_e32 v55, v55, v52
	v_mov_b32_e32 v52, 0
	v_lshlrev_b64 v[48:49], 2, v[53:54]
	v_add_co_u32 v53, vcc_lo, v62, v12
	v_add_co_ci_u32_e64 v54, null, v63, v13, vcc_lo
	v_add_co_u32 v48, vcc_lo, s12, v48
	v_add_co_ci_u32_e64 v49, null, s13, v49, vcc_lo
	s_and_b32 vcc_lo, exec_lo, s1
	flat_store_dword v[53:54], v55
	s_cbranch_vccnz .LBB29_65
; %bb.64:
	v_add_co_u32 v52, vcc_lo, v48, v0
	v_add_co_ci_u32_e64 v53, null, v49, v1, vcc_lo
	flat_load_dword v52, v[52:53]
	s_waitcnt vmcnt(0) lgkmcnt(0)
	v_mul_f32_e32 v52, s20, v52
.LBB29_65:
	v_mad_i64_i32 v[53:54], null, v51, s2, 0
	v_add_f32_e32 v51, v46, v47
	v_lshlrev_b64 v[53:54], 2, v[53:54]
	v_add_co_u32 v46, vcc_lo, s3, v53
	v_add_co_ci_u32_e64 v47, null, s4, v54, vcc_lo
	v_add_f32_e32 v53, v51, v52
	v_add_co_u32 v51, vcc_lo, v46, v0
	v_add_co_ci_u32_e64 v52, null, v47, v1, vcc_lo
	s_and_b32 vcc_lo, exec_lo, s1
	flat_store_dword v[51:52], v53
	s_cbranch_vccnz .LBB29_67
; %bb.66:
	v_add_co_u32 v50, vcc_lo, v48, v2
	v_add_co_ci_u32_e64 v51, null, v49, v3, vcc_lo
	flat_load_dword v50, v[50:51]
	s_waitcnt vmcnt(0) lgkmcnt(0)
	v_mul_f32_e32 v50, s20, v50
.LBB29_67:
	v_add_f32_e32 v44, v44, v45
	v_add_co_u32 v51, vcc_lo, v46, v2
	v_add_co_ci_u32_e64 v52, null, v47, v3, vcc_lo
	v_add_f32_e32 v50, v44, v50
	v_mov_b32_e32 v44, 0
	v_mov_b32_e32 v45, 0
	s_and_b32 vcc_lo, exec_lo, s1
	flat_store_dword v[51:52], v50
	s_cbranch_vccnz .LBB29_69
; %bb.68:
	v_add_co_u32 v50, vcc_lo, v48, v4
	v_add_co_ci_u32_e64 v51, null, v49, v5, vcc_lo
	flat_load_dword v45, v[50:51]
	s_waitcnt vmcnt(0) lgkmcnt(0)
	v_mul_f32_e32 v45, s20, v45
.LBB29_69:
	v_add_f32_e32 v42, v42, v43
	v_add_f32_e32 v45, v42, v45
	v_add_co_u32 v42, vcc_lo, v46, v4
	v_add_co_ci_u32_e64 v43, null, v47, v5, vcc_lo
	s_and_b32 vcc_lo, exec_lo, s1
	flat_store_dword v[42:43], v45
	s_cbranch_vccnz .LBB29_71
; %bb.70:
	v_add_co_u32 v42, vcc_lo, v48, v6
	v_add_co_ci_u32_e64 v43, null, v49, v7, vcc_lo
	flat_load_dword v42, v[42:43]
	s_waitcnt vmcnt(0) lgkmcnt(0)
	v_mul_f32_e32 v44, s20, v42
.LBB29_71:
	v_add_f32_e32 v40, v40, v41
	v_add_co_u32 v42, vcc_lo, v46, v6
	v_add_co_ci_u32_e64 v43, null, v47, v7, vcc_lo
	v_add_f32_e32 v44, v40, v44
	v_mov_b32_e32 v40, 0
	v_mov_b32_e32 v41, 0
	s_and_b32 vcc_lo, exec_lo, s1
	flat_store_dword v[42:43], v44
	s_cbranch_vccnz .LBB29_73
; %bb.72:
	v_add_co_u32 v41, vcc_lo, v48, v10
	v_add_co_ci_u32_e64 v42, null, v49, v11, vcc_lo
	flat_load_dword v41, v[41:42]
	s_waitcnt vmcnt(0) lgkmcnt(0)
	v_mul_f32_e32 v41, s20, v41
.LBB29_73:
	v_add_f32_e32 v38, v38, v39
	;; [unrolled: 30-line block ×3, first 2 shown]
	v_add_f32_e32 v37, v34, v37
	v_add_co_u32 v34, vcc_lo, v46, v8
	v_add_co_ci_u32_e64 v35, null, v47, v9, vcc_lo
	s_and_b32 vcc_lo, exec_lo, s1
	flat_store_dword v[34:35], v37
	s_cbranch_vccnz .LBB29_79
; %bb.78:
	v_add_co_u32 v34, vcc_lo, v48, v12
	v_add_co_ci_u32_e64 v35, null, v49, v13, vcc_lo
	flat_load_dword v34, v[34:35]
	s_waitcnt vmcnt(0) lgkmcnt(0)
	v_mul_f32_e32 v36, s20, v34
.LBB29_79:
	v_add_nc_u32_e32 v35, 0x60, v76
	v_add_f32_e32 v39, v32, v33
	v_mov_b32_e32 v34, 0
	v_mad_i64_i32 v[37:38], null, v35, s8, 0
	v_add_f32_e32 v39, v39, v36
	v_mov_b32_e32 v36, 0
	v_lshlrev_b64 v[32:33], 2, v[37:38]
	v_add_co_u32 v37, vcc_lo, v46, v12
	v_add_co_ci_u32_e64 v38, null, v47, v13, vcc_lo
	v_add_co_u32 v32, vcc_lo, s12, v32
	v_add_co_ci_u32_e64 v33, null, s13, v33, vcc_lo
	s_and_b32 vcc_lo, exec_lo, s1
	flat_store_dword v[37:38], v39
	s_cbranch_vccnz .LBB29_81
; %bb.80:
	v_add_co_u32 v36, vcc_lo, v32, v0
	v_add_co_ci_u32_e64 v37, null, v33, v1, vcc_lo
	flat_load_dword v36, v[36:37]
	s_waitcnt vmcnt(0) lgkmcnt(0)
	v_mul_f32_e32 v36, s20, v36
.LBB29_81:
	v_mad_i64_i32 v[37:38], null, v35, s2, 0
	v_add_f32_e32 v35, v30, v31
	v_add_f32_e32 v35, v35, v36
	v_lshlrev_b64 v[37:38], 2, v[37:38]
	v_add_co_u32 v30, vcc_lo, s3, v37
	v_add_co_ci_u32_e64 v31, null, s4, v38, vcc_lo
	v_add_co_u32 v0, vcc_lo, v30, v0
	v_add_co_ci_u32_e64 v1, null, v31, v1, vcc_lo
	s_and_b32 vcc_lo, exec_lo, s1
	flat_store_dword v[0:1], v35
	s_cbranch_vccnz .LBB29_83
; %bb.82:
	v_add_co_u32 v0, vcc_lo, v32, v2
	v_add_co_ci_u32_e64 v1, null, v33, v3, vcc_lo
	flat_load_dword v0, v[0:1]
	s_waitcnt vmcnt(0) lgkmcnt(0)
	v_mul_f32_e32 v34, s20, v0
.LBB29_83:
	v_add_f32_e32 v0, v28, v29
	v_add_co_u32 v2, vcc_lo, v30, v2
	v_add_co_ci_u32_e64 v3, null, v31, v3, vcc_lo
	v_add_f32_e32 v28, v0, v34
	v_mov_b32_e32 v0, 0
	v_mov_b32_e32 v1, 0
	s_and_b32 vcc_lo, exec_lo, s1
	flat_store_dword v[2:3], v28
	s_cbranch_vccnz .LBB29_85
; %bb.84:
	v_add_co_u32 v1, vcc_lo, v32, v4
	v_add_co_ci_u32_e64 v2, null, v33, v5, vcc_lo
	flat_load_dword v1, v[1:2]
	s_waitcnt vmcnt(0) lgkmcnt(0)
	v_mul_f32_e32 v1, s20, v1
.LBB29_85:
	v_add_f32_e32 v2, v26, v27
	v_add_f32_e32 v3, v2, v1
	v_add_co_u32 v1, vcc_lo, v30, v4
	v_add_co_ci_u32_e64 v2, null, v31, v5, vcc_lo
	s_and_b32 vcc_lo, exec_lo, s1
	flat_store_dword v[1:2], v3
	s_cbranch_vccnz .LBB29_87
; %bb.86:
	v_add_co_u32 v0, vcc_lo, v32, v6
	v_add_co_ci_u32_e64 v1, null, v33, v7, vcc_lo
	flat_load_dword v0, v[0:1]
	s_waitcnt vmcnt(0) lgkmcnt(0)
	v_mul_f32_e32 v0, s20, v0
.LBB29_87:
	v_add_f32_e32 v1, v24, v25
	v_add_co_u32 v2, vcc_lo, v30, v6
	v_add_co_ci_u32_e64 v3, null, v31, v7, vcc_lo
	v_add_f32_e32 v4, v1, v0
	v_mov_b32_e32 v0, 0
	v_mov_b32_e32 v1, 0
	s_and_b32 vcc_lo, exec_lo, s1
	flat_store_dword v[2:3], v4
	s_cbranch_vccnz .LBB29_89
; %bb.88:
	v_add_co_u32 v1, vcc_lo, v32, v10
	v_add_co_ci_u32_e64 v2, null, v33, v11, vcc_lo
	flat_load_dword v1, v[1:2]
	s_waitcnt vmcnt(0) lgkmcnt(0)
	v_mul_f32_e32 v1, s20, v1
.LBB29_89:
	v_add_f32_e32 v2, v22, v23
	v_add_f32_e32 v3, v2, v1
	v_add_co_u32 v1, vcc_lo, v30, v10
	v_add_co_ci_u32_e64 v2, null, v31, v11, vcc_lo
	s_and_b32 vcc_lo, exec_lo, s1
	flat_store_dword v[1:2], v3
	s_cbranch_vccnz .LBB29_91
; %bb.90:
	v_add_co_u32 v0, vcc_lo, v32, v14
	v_add_co_ci_u32_e64 v1, null, v33, v15, vcc_lo
	flat_load_dword v0, v[0:1]
	s_waitcnt vmcnt(0) lgkmcnt(0)
	v_mul_f32_e32 v0, s20, v0
.LBB29_91:
	v_add_f32_e32 v3, v20, v21
	v_add_co_u32 v1, vcc_lo, v30, v14
	v_add_co_ci_u32_e64 v2, null, v31, v15, vcc_lo
	v_add_f32_e32 v3, v3, v0
	v_add_f32_e32 v0, v18, v19
	s_mov_b32 s1, -1
	s_mov_b32 vcc_lo, s0
	flat_store_dword v[1:2], v3
	s_cbranch_vccz .LBB29_93
; %bb.92:
	v_add_co_u32 v1, vcc_lo, v30, v8
	v_add_f32_e32 v3, 0, v0
	v_add_co_ci_u32_e64 v2, null, v31, v9, vcc_lo
	s_mov_b32 s1, 0
	flat_store_dword v[1:2], v3
.LBB29_93:
	v_mov_b32_e32 v1, 0
	s_andn2_b32 vcc_lo, exec_lo, s1
	s_cbranch_vccnz .LBB29_95
; %bb.94:
	v_add_co_u32 v1, vcc_lo, v32, v8
	v_add_co_ci_u32_e64 v2, null, v33, v9, vcc_lo
	flat_load_dword v3, v[1:2]
	v_add_co_u32 v1, vcc_lo, v30, v8
	v_add_co_ci_u32_e64 v2, null, v31, v9, vcc_lo
	s_waitcnt vmcnt(0) lgkmcnt(0)
	v_fmac_f32_e32 v0, s20, v3
	v_add_co_u32 v3, vcc_lo, v32, v12
	v_add_co_ci_u32_e64 v4, null, v33, v13, vcc_lo
	flat_store_dword v[1:2], v0
	flat_load_dword v0, v[3:4]
	s_waitcnt vmcnt(0) lgkmcnt(0)
	v_mul_f32_e32 v1, s20, v0
.LBB29_95:
	v_add_f32_e32 v0, v16, v17
	v_add_f32_e32 v2, v0, v1
	v_add_co_u32 v0, vcc_lo, v30, v12
	v_add_co_ci_u32_e64 v1, null, v31, v13, vcc_lo
	flat_store_dword v[0:1], v2
	s_endpgm
	.section	.rodata,"a",@progbits
	.p2align	6, 0x0
	.amdhsa_kernel _ZN12_GLOBAL__N_120geam_min_plus_kernelIf15HIP_vector_typeIfLj2EES2_Li8ELi32ELi64ELi128ELi4ELi64ELi4ELi4ELi64ELc78ELc78ELb0ELb0ELb0EfKPKfKPfEEviiiT16_PT17_ilSA_ilS8_SA_ilPT18_ili26rocblas_geam_ex_operation_
		.amdhsa_group_segment_fixed_size 6144
		.amdhsa_private_segment_fixed_size 0
		.amdhsa_kernarg_size 128
		.amdhsa_user_sgpr_count 6
		.amdhsa_user_sgpr_private_segment_buffer 1
		.amdhsa_user_sgpr_dispatch_ptr 0
		.amdhsa_user_sgpr_queue_ptr 0
		.amdhsa_user_sgpr_kernarg_segment_ptr 1
		.amdhsa_user_sgpr_dispatch_id 0
		.amdhsa_user_sgpr_flat_scratch_init 0
		.amdhsa_user_sgpr_private_segment_size 0
		.amdhsa_wavefront_size32 1
		.amdhsa_uses_dynamic_stack 0
		.amdhsa_system_sgpr_private_segment_wavefront_offset 0
		.amdhsa_system_sgpr_workgroup_id_x 1
		.amdhsa_system_sgpr_workgroup_id_y 0
		.amdhsa_system_sgpr_workgroup_id_z 1
		.amdhsa_system_sgpr_workgroup_info 0
		.amdhsa_system_vgpr_workitem_id 1
		.amdhsa_next_free_vgpr 153
		.amdhsa_next_free_sgpr 25
		.amdhsa_reserve_vcc 1
		.amdhsa_reserve_flat_scratch 0
		.amdhsa_float_round_mode_32 0
		.amdhsa_float_round_mode_16_64 0
		.amdhsa_float_denorm_mode_32 3
		.amdhsa_float_denorm_mode_16_64 3
		.amdhsa_dx10_clamp 1
		.amdhsa_ieee_mode 1
		.amdhsa_fp16_overflow 0
		.amdhsa_workgroup_processor_mode 1
		.amdhsa_memory_ordered 1
		.amdhsa_forward_progress 1
		.amdhsa_shared_vgpr_count 0
		.amdhsa_exception_fp_ieee_invalid_op 0
		.amdhsa_exception_fp_denorm_src 0
		.amdhsa_exception_fp_ieee_div_zero 0
		.amdhsa_exception_fp_ieee_overflow 0
		.amdhsa_exception_fp_ieee_underflow 0
		.amdhsa_exception_fp_ieee_inexact 0
		.amdhsa_exception_int_div_zero 0
	.end_amdhsa_kernel
	.section	.text._ZN12_GLOBAL__N_120geam_min_plus_kernelIf15HIP_vector_typeIfLj2EES2_Li8ELi32ELi64ELi128ELi4ELi64ELi4ELi4ELi64ELc78ELc78ELb0ELb0ELb0EfKPKfKPfEEviiiT16_PT17_ilSA_ilS8_SA_ilPT18_ili26rocblas_geam_ex_operation_,"axG",@progbits,_ZN12_GLOBAL__N_120geam_min_plus_kernelIf15HIP_vector_typeIfLj2EES2_Li8ELi32ELi64ELi128ELi4ELi64ELi4ELi4ELi64ELc78ELc78ELb0ELb0ELb0EfKPKfKPfEEviiiT16_PT17_ilSA_ilS8_SA_ilPT18_ili26rocblas_geam_ex_operation_,comdat
.Lfunc_end29:
	.size	_ZN12_GLOBAL__N_120geam_min_plus_kernelIf15HIP_vector_typeIfLj2EES2_Li8ELi32ELi64ELi128ELi4ELi64ELi4ELi4ELi64ELc78ELc78ELb0ELb0ELb0EfKPKfKPfEEviiiT16_PT17_ilSA_ilS8_SA_ilPT18_ili26rocblas_geam_ex_operation_, .Lfunc_end29-_ZN12_GLOBAL__N_120geam_min_plus_kernelIf15HIP_vector_typeIfLj2EES2_Li8ELi32ELi64ELi128ELi4ELi64ELi4ELi4ELi64ELc78ELc78ELb0ELb0ELb0EfKPKfKPfEEviiiT16_PT17_ilSA_ilS8_SA_ilPT18_ili26rocblas_geam_ex_operation_
                                        ; -- End function
	.set _ZN12_GLOBAL__N_120geam_min_plus_kernelIf15HIP_vector_typeIfLj2EES2_Li8ELi32ELi64ELi128ELi4ELi64ELi4ELi4ELi64ELc78ELc78ELb0ELb0ELb0EfKPKfKPfEEviiiT16_PT17_ilSA_ilS8_SA_ilPT18_ili26rocblas_geam_ex_operation_.num_vgpr, 153
	.set _ZN12_GLOBAL__N_120geam_min_plus_kernelIf15HIP_vector_typeIfLj2EES2_Li8ELi32ELi64ELi128ELi4ELi64ELi4ELi4ELi64ELc78ELc78ELb0ELb0ELb0EfKPKfKPfEEviiiT16_PT17_ilSA_ilS8_SA_ilPT18_ili26rocblas_geam_ex_operation_.num_agpr, 0
	.set _ZN12_GLOBAL__N_120geam_min_plus_kernelIf15HIP_vector_typeIfLj2EES2_Li8ELi32ELi64ELi128ELi4ELi64ELi4ELi4ELi64ELc78ELc78ELb0ELb0ELb0EfKPKfKPfEEviiiT16_PT17_ilSA_ilS8_SA_ilPT18_ili26rocblas_geam_ex_operation_.numbered_sgpr, 25
	.set _ZN12_GLOBAL__N_120geam_min_plus_kernelIf15HIP_vector_typeIfLj2EES2_Li8ELi32ELi64ELi128ELi4ELi64ELi4ELi4ELi64ELc78ELc78ELb0ELb0ELb0EfKPKfKPfEEviiiT16_PT17_ilSA_ilS8_SA_ilPT18_ili26rocblas_geam_ex_operation_.num_named_barrier, 0
	.set _ZN12_GLOBAL__N_120geam_min_plus_kernelIf15HIP_vector_typeIfLj2EES2_Li8ELi32ELi64ELi128ELi4ELi64ELi4ELi4ELi64ELc78ELc78ELb0ELb0ELb0EfKPKfKPfEEviiiT16_PT17_ilSA_ilS8_SA_ilPT18_ili26rocblas_geam_ex_operation_.private_seg_size, 0
	.set _ZN12_GLOBAL__N_120geam_min_plus_kernelIf15HIP_vector_typeIfLj2EES2_Li8ELi32ELi64ELi128ELi4ELi64ELi4ELi4ELi64ELc78ELc78ELb0ELb0ELb0EfKPKfKPfEEviiiT16_PT17_ilSA_ilS8_SA_ilPT18_ili26rocblas_geam_ex_operation_.uses_vcc, 1
	.set _ZN12_GLOBAL__N_120geam_min_plus_kernelIf15HIP_vector_typeIfLj2EES2_Li8ELi32ELi64ELi128ELi4ELi64ELi4ELi4ELi64ELc78ELc78ELb0ELb0ELb0EfKPKfKPfEEviiiT16_PT17_ilSA_ilS8_SA_ilPT18_ili26rocblas_geam_ex_operation_.uses_flat_scratch, 0
	.set _ZN12_GLOBAL__N_120geam_min_plus_kernelIf15HIP_vector_typeIfLj2EES2_Li8ELi32ELi64ELi128ELi4ELi64ELi4ELi4ELi64ELc78ELc78ELb0ELb0ELb0EfKPKfKPfEEviiiT16_PT17_ilSA_ilS8_SA_ilPT18_ili26rocblas_geam_ex_operation_.has_dyn_sized_stack, 0
	.set _ZN12_GLOBAL__N_120geam_min_plus_kernelIf15HIP_vector_typeIfLj2EES2_Li8ELi32ELi64ELi128ELi4ELi64ELi4ELi4ELi64ELc78ELc78ELb0ELb0ELb0EfKPKfKPfEEviiiT16_PT17_ilSA_ilS8_SA_ilPT18_ili26rocblas_geam_ex_operation_.has_recursion, 0
	.set _ZN12_GLOBAL__N_120geam_min_plus_kernelIf15HIP_vector_typeIfLj2EES2_Li8ELi32ELi64ELi128ELi4ELi64ELi4ELi4ELi64ELc78ELc78ELb0ELb0ELb0EfKPKfKPfEEviiiT16_PT17_ilSA_ilS8_SA_ilPT18_ili26rocblas_geam_ex_operation_.has_indirect_call, 0
	.section	.AMDGPU.csdata,"",@progbits
; Kernel info:
; codeLenInByte = 7772
; TotalNumSgprs: 27
; NumVgprs: 153
; ScratchSize: 0
; MemoryBound: 0
; FloatMode: 240
; IeeeMode: 1
; LDSByteSize: 6144 bytes/workgroup (compile time only)
; SGPRBlocks: 0
; VGPRBlocks: 19
; NumSGPRsForWavesPerEU: 27
; NumVGPRsForWavesPerEU: 153
; Occupancy: 6
; WaveLimiterHint : 1
; COMPUTE_PGM_RSRC2:SCRATCH_EN: 0
; COMPUTE_PGM_RSRC2:USER_SGPR: 6
; COMPUTE_PGM_RSRC2:TRAP_HANDLER: 0
; COMPUTE_PGM_RSRC2:TGID_X_EN: 1
; COMPUTE_PGM_RSRC2:TGID_Y_EN: 0
; COMPUTE_PGM_RSRC2:TGID_Z_EN: 1
; COMPUTE_PGM_RSRC2:TIDIG_COMP_CNT: 1
	.section	.text._ZN12_GLOBAL__N_120geam_min_plus_kernelIf15HIP_vector_typeIfLj2EES2_Li8ELi32ELi64ELi128ELi4ELi64ELi4ELi4ELi64ELc78ELc78ELb0ELb1ELb0EPKfKS4_KPfEEviiiT16_PT17_ilSA_ilS8_SA_ilPT18_ili26rocblas_geam_ex_operation_,"axG",@progbits,_ZN12_GLOBAL__N_120geam_min_plus_kernelIf15HIP_vector_typeIfLj2EES2_Li8ELi32ELi64ELi128ELi4ELi64ELi4ELi4ELi64ELc78ELc78ELb0ELb1ELb0EPKfKS4_KPfEEviiiT16_PT17_ilSA_ilS8_SA_ilPT18_ili26rocblas_geam_ex_operation_,comdat
	.globl	_ZN12_GLOBAL__N_120geam_min_plus_kernelIf15HIP_vector_typeIfLj2EES2_Li8ELi32ELi64ELi128ELi4ELi64ELi4ELi4ELi64ELc78ELc78ELb0ELb1ELb0EPKfKS4_KPfEEviiiT16_PT17_ilSA_ilS8_SA_ilPT18_ili26rocblas_geam_ex_operation_ ; -- Begin function _ZN12_GLOBAL__N_120geam_min_plus_kernelIf15HIP_vector_typeIfLj2EES2_Li8ELi32ELi64ELi128ELi4ELi64ELi4ELi4ELi64ELc78ELc78ELb0ELb1ELb0EPKfKS4_KPfEEviiiT16_PT17_ilSA_ilS8_SA_ilPT18_ili26rocblas_geam_ex_operation_
	.p2align	8
	.type	_ZN12_GLOBAL__N_120geam_min_plus_kernelIf15HIP_vector_typeIfLj2EES2_Li8ELi32ELi64ELi128ELi4ELi64ELi4ELi4ELi64ELc78ELc78ELb0ELb1ELb0EPKfKS4_KPfEEviiiT16_PT17_ilSA_ilS8_SA_ilPT18_ili26rocblas_geam_ex_operation_,@function
_ZN12_GLOBAL__N_120geam_min_plus_kernelIf15HIP_vector_typeIfLj2EES2_Li8ELi32ELi64ELi128ELi4ELi64ELi4ELi4ELi64ELc78ELc78ELb0ELb1ELb0EPKfKS4_KPfEEviiiT16_PT17_ilSA_ilS8_SA_ilPT18_ili26rocblas_geam_ex_operation_: ; @_ZN12_GLOBAL__N_120geam_min_plus_kernelIf15HIP_vector_typeIfLj2EES2_Li8ELi32ELi64ELi128ELi4ELi64ELi4ELi4ELi64ELc78ELc78ELb0ELb1ELb0EPKfKS4_KPfEEviiiT16_PT17_ilSA_ilS8_SA_ilPT18_ili26rocblas_geam_ex_operation_
; %bb.0:
	s_clause 0x1
	s_load_dwordx4 s[12:15], s[4:5], 0x10
	s_load_dwordx4 s[0:3], s[4:5], 0x28
	s_mov_b32 s20, s7
	s_mov_b32 s21, 0
	s_mov_b64 s[18:19], 0
	s_lshl_b64 s[16:17], s[20:21], 2
	s_waitcnt lgkmcnt(0)
	s_add_u32 s8, s12, s16
	s_addc_u32 s9, s13, s17
	s_load_dword s23, s[8:9], 0x0
	s_clause 0x1
	s_load_dwordx4 s[8:11], s[4:5], 0x40
	s_load_dwordx2 s[12:13], s[4:5], 0x50
	s_waitcnt lgkmcnt(0)
	v_cmp_eq_f32_e64 s7, s23, 0
	v_cmp_neq_f32_e64 s24, s23, 0
	s_add_u32 s10, s10, s16
	s_addc_u32 s11, s11, s17
	s_mov_b64 s[16:17], 0
	s_and_b32 vcc_lo, exec_lo, s7
	s_cbranch_vccnz .LBB30_2
; %bb.1:
	s_lshl_b64 s[18:19], s[20:21], 3
	s_add_u32 s14, s14, s18
	s_addc_u32 s15, s15, s19
	s_lshl_b64 s[0:1], s[0:1], 2
	s_load_dwordx2 s[14:15], s[14:15], 0x0
	s_waitcnt lgkmcnt(0)
	s_add_u32 s18, s14, s0
	s_addc_u32 s19, s15, s1
.LBB30_2:
	s_load_dword s22, s[10:11], 0x0
	s_andn2_b32 vcc_lo, exec_lo, s24
	s_cbranch_vccnz .LBB30_4
; %bb.3:
	s_lshl_b64 s[0:1], s[20:21], 3
	s_add_u32 s0, s2, s0
	s_addc_u32 s1, s3, s1
	s_lshl_b64 s[2:3], s[8:9], 2
	s_load_dwordx2 s[0:1], s[0:1], 0x0
	s_waitcnt lgkmcnt(0)
	s_add_u32 s16, s0, s2
	s_addc_u32 s17, s1, s3
.LBB30_4:
	s_load_dwordx4 s[0:3], s[4:5], 0x60
	s_waitcnt lgkmcnt(0)
	v_cmp_eq_f32_e64 s8, s22, 0
	v_cmp_neq_f32_e64 s7, s22, 0
	s_and_b32 vcc_lo, exec_lo, s8
	s_cbranch_vccnz .LBB30_6
; %bb.5:
	s_lshl_b64 s[8:9], s[20:21], 3
	s_add_u32 s8, s12, s8
	s_addc_u32 s9, s13, s9
	s_lshl_b64 s[0:1], s[0:1], 2
	s_load_dwordx2 s[8:9], s[8:9], 0x0
	s_waitcnt lgkmcnt(0)
	s_add_u32 s10, s8, s0
	s_addc_u32 s11, s9, s1
	s_branch .LBB30_7
.LBB30_6:
	s_mov_b64 s[10:11], 0
.LBB30_7:
	s_clause 0x1
	s_load_dword s25, s[4:5], 0x20
	s_load_dwordx4 s[12:15], s[4:5], 0x0
	s_lshl_b64 s[0:1], s[20:21], 3
	v_lshl_add_u32 v4, v1, 3, v0
	v_mov_b32_e32 v6, 0
	v_mov_b32_e32 v8, 0
	v_and_b32_e32 v7, 63, v4
	v_lshrrev_b32_e32 v70, 6, v4
	s_waitcnt lgkmcnt(0)
	s_ashr_i32 s20, s25, 31
	s_add_u32 s8, s2, s0
	s_addc_u32 s9, s3, s1
	s_add_i32 s0, s12, -1
	v_cmp_gt_i32_e32 vcc_lo, s14, v70
	s_ashr_i32 s1, s0, 31
	s_lshr_b32 s1, s1, 26
	s_add_i32 s0, s0, s1
	s_ashr_i32 s0, s0, 6
	s_add_i32 s2, s0, 1
	s_not_b32 s0, s0
	v_cvt_f32_u32_e32 v2, s2
	v_rcp_iflag_f32_e32 v2, v2
	v_mul_f32_e32 v2, 0x4f7ffffe, v2
	v_cvt_u32_f32_e32 v2, v2
	v_readfirstlane_b32 s1, v2
	s_mul_i32 s0, s0, s1
	s_mul_hi_u32 s0, s1, s0
	s_add_i32 s1, s1, s0
	s_mul_hi_u32 s0, s6, s1
	s_mul_i32 s1, s0, s2
	s_add_i32 s3, s0, 1
	s_sub_i32 s1, s6, s1
	s_sub_i32 s15, s1, s2
	s_cmp_ge_u32 s1, s2
	s_cselect_b32 s0, s3, s0
	s_cselect_b32 s1, s15, s1
	s_add_i32 s3, s0, 1
	s_cmp_ge_u32 s1, s2
	s_cselect_b32 s1, s3, s0
	s_mul_i32 s0, s1, s2
	s_sub_i32 s0, s6, s0
	s_lshl_b32 s6, s0, 6
	v_or_b32_e32 v2, s6, v7
	v_cmp_gt_i32_e64 s0, s12, v2
	v_ashrrev_i32_e32 v3, 31, v2
	s_and_b32 s2, vcc_lo, s0
	s_and_b32 s3, s24, s2
	s_and_saveexec_b32 s2, s3
	s_cbranch_execz .LBB30_9
; %bb.8:
	v_mad_i64_i32 v[8:9], null, s25, v70, 0
	v_lshlrev_b64 v[10:11], 2, v[2:3]
	v_lshlrev_b64 v[8:9], 2, v[8:9]
	v_add_co_u32 v5, vcc_lo, s18, v8
	v_add_co_ci_u32_e64 v9, null, s19, v9, vcc_lo
	v_add_co_u32 v8, vcc_lo, v5, v10
	v_add_co_ci_u32_e64 v9, null, v9, v11, vcc_lo
	flat_load_dword v5, v[8:9]
	s_waitcnt vmcnt(0) lgkmcnt(0)
	v_mul_f32_e32 v8, s23, v5
.LBB30_9:
	s_or_b32 exec_lo, exec_lo, s2
	v_and_b32_e32 v71, 3, v0
	s_add_i32 s21, s14, -1
	s_load_dword s28, s[4:5], 0x38
	v_lshrrev_b32_e32 v5, 2, v4
	s_lshl_b32 s15, s1, 7
	v_min_i32_e32 v9, s21, v71
	v_cmp_le_i32_e32 vcc_lo, s14, v71
	s_xor_b32 s3, s24, -1
	v_add_nc_u32_e32 v4, s15, v5
	v_ashrrev_i32_e32 v10, 31, v9
	v_cmp_le_i32_e64 s1, s13, v4
	v_lshlrev_b64 v[10:11], 2, v[9:10]
	s_or_b32 s26, s1, s3
	s_nor_b32 s1, vcc_lo, s26
	v_add_co_u32 v10, s2, s16, v10
	v_add_co_ci_u32_e64 v11, null, s17, v11, s2
	s_and_saveexec_b32 s2, s1
	s_cbranch_execz .LBB30_11
; %bb.10:
	s_waitcnt lgkmcnt(0)
	v_mad_i64_i32 v[12:13], null, v4, s28, 0
	v_lshlrev_b64 v[12:13], 2, v[12:13]
	v_add_co_u32 v12, s1, v10, v12
	v_add_co_ci_u32_e64 v13, null, v11, v13, s1
	flat_load_dword v6, v[12:13]
	s_waitcnt vmcnt(0) lgkmcnt(0)
	v_mul_f32_e32 v6, s23, v6
.LBB30_11:
	s_or_b32 exec_lo, exec_lo, s2
	v_add_nc_u32_e32 v78, 64, v4
	v_mov_b32_e32 v76, 0
	v_mov_b32_e32 v9, 0
	v_cmp_le_i32_e64 s1, s13, v78
	s_or_b32 s27, s1, s3
	s_nor_b32 s2, vcc_lo, s27
	s_and_saveexec_b32 s1, s2
	s_cbranch_execz .LBB30_13
; %bb.12:
	s_waitcnt lgkmcnt(0)
	v_mad_i64_i32 v[12:13], null, v78, s28, 0
	v_lshlrev_b64 v[12:13], 2, v[12:13]
	v_add_co_u32 v9, vcc_lo, v10, v12
	v_add_co_ci_u32_e64 v10, null, v11, v13, vcc_lo
	flat_load_dword v9, v[9:10]
	s_waitcnt vmcnt(0) lgkmcnt(0)
	v_mul_f32_e32 v9, s23, v9
.LBB30_13:
	s_or_b32 exec_lo, exec_lo, s1
	v_add_nc_u32_e32 v10, 4, v70
	v_cmp_gt_i32_e32 vcc_lo, s14, v10
	s_and_b32 s1, s0, vcc_lo
	s_and_b32 s2, s24, s1
	s_and_saveexec_b32 s1, s2
	s_cbranch_execz .LBB30_15
; %bb.14:
	v_mad_u64_u32 v[11:12], null, s25, v10, 0
	v_mad_u64_u32 v[12:13], null, s20, v10, v[12:13]
	v_lshlrev_b64 v[10:11], 2, v[11:12]
	v_lshlrev_b64 v[12:13], 2, v[2:3]
	v_add_co_u32 v10, vcc_lo, s18, v10
	v_add_co_ci_u32_e64 v11, null, s19, v11, vcc_lo
	v_add_co_u32 v10, vcc_lo, v10, v12
	v_add_co_ci_u32_e64 v11, null, v11, v13, vcc_lo
	flat_load_dword v10, v[10:11]
	s_waitcnt vmcnt(0) lgkmcnt(0)
	v_mul_f32_e32 v76, s23, v10
.LBB30_15:
	s_or_b32 exec_lo, exec_lo, s1
	v_or_b32_e32 v12, 4, v71
	v_mov_b32_e32 v79, 0
	v_mov_b32_e32 v80, 0
	v_min_i32_e32 v10, s21, v12
	v_cmp_le_i32_e32 vcc_lo, s14, v12
	v_ashrrev_i32_e32 v11, 31, v10
	v_lshlrev_b64 v[10:11], 2, v[10:11]
	v_add_co_u32 v10, s1, s16, v10
	v_add_co_ci_u32_e64 v11, null, s17, v11, s1
	s_nor_b32 s1, vcc_lo, s26
	s_and_saveexec_b32 s2, s1
	s_cbranch_execz .LBB30_17
; %bb.16:
	s_waitcnt lgkmcnt(0)
	v_mad_i64_i32 v[12:13], null, v4, s28, 0
	v_lshlrev_b64 v[12:13], 2, v[12:13]
	v_add_co_u32 v12, s1, v10, v12
	v_add_co_ci_u32_e64 v13, null, v11, v13, s1
	flat_load_dword v12, v[12:13]
	s_waitcnt vmcnt(0) lgkmcnt(0)
	v_mul_f32_e32 v80, s23, v12
.LBB30_17:
	s_or_b32 exec_lo, exec_lo, s2
	s_load_dwordx2 s[2:3], s[8:9], 0x0
	s_nor_b32 s8, vcc_lo, s27
	s_and_saveexec_b32 s1, s8
	s_cbranch_execz .LBB30_19
; %bb.18:
	s_waitcnt lgkmcnt(0)
	v_mad_i64_i32 v[12:13], null, v78, s28, 0
	v_lshlrev_b64 v[12:13], 2, v[12:13]
	v_add_co_u32 v10, vcc_lo, v10, v12
	v_add_co_ci_u32_e64 v11, null, v11, v13, vcc_lo
	flat_load_dword v10, v[10:11]
	s_waitcnt vmcnt(0) lgkmcnt(0)
	v_mul_f32_e32 v79, s23, v10
.LBB30_19:
	s_or_b32 exec_lo, exec_lo, s1
	v_lshlrev_b32_e32 v7, 4, v7
	v_lshlrev_b32_e32 v10, 4, v5
	v_mov_b32_e32 v68, 0
	v_lshl_or_b32 v73, v0, 4, 0x1000
	v_lshlrev_b32_e32 v74, 4, v1
	v_lshl_add_u32 v81, v70, 2, v7
	v_lshl_or_b32 v72, v71, 2, v10
	v_mov_b32_e32 v69, v68
	v_mov_b32_e32 v7, v68
	;; [unrolled: 1-line block ×3, first 2 shown]
	v_or_b32_e32 v75, 0x1000, v81
	ds_write_b32 v81, v8 offset:4096
	ds_write2st64_b32 v72, v6, v9 offset1:4
	v_mov_b32_e32 v6, v68
	v_mov_b32_e32 v8, v68
	;; [unrolled: 1-line block ×60, first 2 shown]
	s_mov_b32 s8, 0
	s_mov_b32 s1, -1
	s_waitcnt lgkmcnt(0)
	s_barrier
	buffer_gl0_inv
.LBB30_20:                              ; =>This Inner Loop Header: Depth=1
	s_lshl_b32 s8, s8, 2
	v_cndmask_b32_e64 v77, 0, 1, s1
	v_add_nc_u32_e32 v94, s8, v73
	v_add_nc_u32_e32 v102, s8, v74
	s_mov_b32 s1, 0
	s_mov_b32 s8, 2
	v_cmp_ne_u32_e32 vcc_lo, 1, v77
	ds_read2_b64 v[82:85], v94 offset1:16
	ds_read2_b64 v[86:89], v94 offset0:32 offset1:48
	ds_read2_b64 v[90:93], v94 offset0:64 offset1:80
	;; [unrolled: 1-line block ×3, first 2 shown]
	ds_read2st64_b64 v[98:101], v102 offset1:1
	ds_read2st64_b64 v[102:105], v102 offset0:2 offset1:3
	s_and_b32 vcc_lo, exec_lo, vcc_lo
	s_waitcnt lgkmcnt(5)
	v_max_f32_e32 v77, v82, v82
	v_max_f32_e32 v82, v83, v83
	v_max_f32_e32 v83, v84, v84
	v_max_f32_e32 v84, v85, v85
	s_waitcnt lgkmcnt(4)
	v_max_f32_e32 v85, v86, v86
	v_max_f32_e32 v86, v87, v87
	v_max_f32_e32 v87, v88, v88
	v_max_f32_e32 v88, v89, v89
	;; [unrolled: 5-line block ×6, first 2 shown]
	v_min_f32_e32 v105, v77, v97
	v_min_f32_e32 v106, v83, v97
	v_min_f32_e32 v107, v85, v97
	v_min_f32_e32 v108, v87, v97
	v_min_f32_e32 v109, v89, v97
	v_min_f32_e32 v110, v91, v97
	v_min_f32_e32 v111, v93, v97
	v_min_f32_e32 v97, v95, v97
	v_min_f32_e32 v112, v77, v99
	v_min_f32_e32 v113, v83, v99
	v_min_f32_e32 v114, v85, v99
	v_min_f32_e32 v115, v87, v99
	v_min_f32_e32 v116, v89, v99
	v_min_f32_e32 v117, v91, v99
	v_min_f32_e32 v118, v93, v99
	v_min_f32_e32 v99, v95, v99
	v_min_f32_e32 v119, v77, v101
	v_min_f32_e32 v120, v83, v101
	v_min_f32_e32 v121, v85, v101
	v_min_f32_e32 v122, v87, v101
	v_min_f32_e32 v123, v89, v101
	v_min_f32_e32 v124, v91, v101
	v_min_f32_e32 v125, v93, v101
	v_min_f32_e32 v101, v95, v101
	v_min_f32_e32 v77, v77, v103
	v_min_f32_e32 v83, v83, v103
	v_min_f32_e32 v85, v85, v103
	v_min_f32_e32 v87, v87, v103
	v_min_f32_e32 v89, v89, v103
	v_min_f32_e32 v91, v91, v103
	v_min_f32_e32 v93, v93, v103
	v_min_f32_e32 v95, v95, v103
	v_min_f32_e32 v103, v82, v98
	v_min_f32_e32 v126, v84, v98
	v_min_f32_e32 v127, v86, v98
	v_min_f32_e32 v128, v88, v98
	v_min_f32_e32 v129, v90, v98
	v_min_f32_e32 v130, v92, v98
	v_min_f32_e32 v131, v94, v98
	v_min_f32_e32 v98, v96, v98
	v_min_f32_e32 v132, v82, v100
	v_min_f32_e32 v133, v84, v100
	v_min_f32_e32 v134, v86, v100
	v_min_f32_e32 v135, v88, v100
	v_min_f32_e32 v136, v90, v100
	v_min_f32_e32 v137, v92, v100
	v_min_f32_e32 v138, v94, v100
	v_min_f32_e32 v100, v96, v100
	v_min_f32_e32 v139, v82, v102
	v_min_f32_e32 v140, v84, v102
	v_min_f32_e32 v141, v86, v102
	v_min_f32_e32 v142, v88, v102
	v_min_f32_e32 v143, v90, v102
	v_min_f32_e32 v144, v92, v102
	v_min_f32_e32 v145, v94, v102
	v_min_f32_e32 v102, v96, v102
	v_min_f32_e32 v82, v82, v104
	v_min_f32_e32 v84, v84, v104
	v_min_f32_e32 v86, v86, v104
	v_min_f32_e32 v88, v88, v104
	v_min_f32_e32 v90, v90, v104
	v_min_f32_e32 v92, v92, v104
	v_min_f32_e32 v94, v94, v104
	v_min_f32_e32 v96, v96, v104
	v_add_f32_e32 v69, v69, v103
	v_add_f32_e32 v68, v68, v105
	;; [unrolled: 1-line block ×64, first 2 shown]
	s_cbranch_vccz .LBB30_20
; %bb.21:
	v_lshlrev_b32_e32 v77, 2, v71
	ds_write_b32 v81, v76 offset:5120
	v_lshl_add_u32 v76, v0, 4, 0x1400
	s_cmp_lt_i32 s14, 9
	v_lshl_or_b32 v5, v5, 4, v77
	v_lshl_add_u32 v77, v1, 4, 0x800
	ds_write2st64_b32 v5, v80, v79 offset0:8 offset1:12
	s_waitcnt lgkmcnt(0)
	s_barrier
	buffer_gl0_inv
	s_cbranch_scc1 .LBB30_40
; %bb.22:
	v_mad_i64_i32 v[82:83], null, v4, s28, 0
	v_mad_i64_i32 v[84:85], null, v78, s28, 0
	v_lshlrev_b64 v[86:87], 2, v[2:3]
	v_add_nc_u32_e32 v79, 0x800, v5
	v_add_nc_u32_e32 v78, 0x1400, v81
	s_add_i32 s8, s14, -8
	v_lshlrev_b64 v[2:3], 2, v[82:83]
	s_mov_b32 s9, 8
	v_add_co_u32 v80, vcc_lo, s18, v86
	v_lshlrev_b64 v[4:5], 2, v[84:85]
	v_add_co_ci_u32_e64 v81, null, s19, v87, vcc_lo
	s_mov_b32 s18, 0
.LBB30_23:                              ; =>This Loop Header: Depth=1
                                        ;     Child Loop BB30_30 Depth 2
                                        ;     Child Loop BB30_38 Depth 2
	v_add_nc_u32_e32 v82, s9, v70
	v_mov_b32_e32 v83, 0
	v_mov_b32_e32 v84, 0
	v_cmp_gt_i32_e32 vcc_lo, s14, v82
	s_and_b32 s1, s0, vcc_lo
	s_and_b32 s19, s24, s1
	s_and_saveexec_b32 s1, s19
	s_cbranch_execz .LBB30_25
; %bb.24:                               ;   in Loop: Header=BB30_23 Depth=1
	v_mad_u64_u32 v[84:85], null, v82, s25, 0
	v_mad_u64_u32 v[85:86], null, v82, s20, v[85:86]
	v_lshlrev_b64 v[84:85], 2, v[84:85]
	v_add_co_u32 v84, vcc_lo, v80, v84
	v_add_co_ci_u32_e64 v85, null, v81, v85, vcc_lo
	flat_load_dword v82, v[84:85]
	s_waitcnt vmcnt(0) lgkmcnt(0)
	v_mul_f32_e32 v84, s23, v82
.LBB30_25:                              ;   in Loop: Header=BB30_23 Depth=1
	s_or_b32 exec_lo, exec_lo, s1
	v_or_b32_e32 v82, s9, v71
	v_min_i32_e32 v85, s21, v82
	v_cmp_le_i32_e32 vcc_lo, s14, v82
	v_ashrrev_i32_e32 v86, 31, v85
	v_lshlrev_b64 v[86:87], 2, v[85:86]
	v_add_co_u32 v86, s1, s16, v86
	v_add_co_ci_u32_e64 v87, null, s17, v87, s1
	s_nor_b32 s1, s26, vcc_lo
	s_and_saveexec_b32 s19, s1
	s_cbranch_execz .LBB30_27
; %bb.26:                               ;   in Loop: Header=BB30_23 Depth=1
	v_add_co_u32 v88, s1, v86, v2
	v_add_co_ci_u32_e64 v89, null, v87, v3, s1
	flat_load_dword v83, v[88:89]
	s_waitcnt vmcnt(0) lgkmcnt(0)
	v_mul_f32_e32 v83, s23, v83
.LBB30_27:                              ;   in Loop: Header=BB30_23 Depth=1
	s_or_b32 exec_lo, exec_lo, s19
	v_mov_b32_e32 v85, 0
	s_nor_b32 s19, s27, vcc_lo
	s_and_saveexec_b32 s1, s19
	s_cbranch_execz .LBB30_29
; %bb.28:                               ;   in Loop: Header=BB30_23 Depth=1
	v_add_co_u32 v85, vcc_lo, v86, v4
	v_add_co_ci_u32_e64 v86, null, v87, v5, vcc_lo
	flat_load_dword v85, v[85:86]
	s_waitcnt vmcnt(0) lgkmcnt(0)
	v_mul_f32_e32 v85, s23, v85
.LBB30_29:                              ;   in Loop: Header=BB30_23 Depth=1
	s_or_b32 exec_lo, exec_lo, s1
	s_mov_b32 s19, 0
	s_mov_b32 s1, -1
.LBB30_30:                              ;   Parent Loop BB30_23 Depth=1
                                        ; =>  This Inner Loop Header: Depth=2
	s_lshl_b32 s19, s19, 2
	v_cndmask_b32_e64 v86, 0, 1, s1
	v_add_nc_u32_e32 v106, s19, v77
	v_add_nc_u32_e32 v102, s19, v76
	s_mov_b32 s1, 0
	s_mov_b32 s19, 2
	v_cmp_ne_u32_e32 vcc_lo, 1, v86
	ds_read2st64_b64 v[86:89], v106 offset1:1
	ds_read2_b64 v[90:93], v102 offset1:16
	ds_read2_b64 v[94:97], v102 offset0:32 offset1:48
	ds_read2_b64 v[98:101], v102 offset0:64 offset1:80
	;; [unrolled: 1-line block ×3, first 2 shown]
	ds_read2st64_b64 v[106:109], v106 offset0:2 offset1:3
	s_and_b32 vcc_lo, exec_lo, vcc_lo
	s_waitcnt lgkmcnt(5)
	v_max_f32_e32 v86, v86, v86
	s_waitcnt lgkmcnt(4)
	v_max_f32_e32 v90, v90, v90
	v_max_f32_e32 v87, v87, v87
	;; [unrolled: 1-line block ×5, first 2 shown]
	s_waitcnt lgkmcnt(3)
	v_max_f32_e32 v94, v94, v94
	v_max_f32_e32 v95, v95, v95
	v_max_f32_e32 v96, v96, v96
	v_max_f32_e32 v97, v97, v97
	s_waitcnt lgkmcnt(2)
	v_max_f32_e32 v98, v98, v98
	v_max_f32_e32 v99, v99, v99
	v_max_f32_e32 v100, v100, v100
	v_max_f32_e32 v101, v101, v101
	;; [unrolled: 5-line block ×3, first 2 shown]
	v_max_f32_e32 v88, v88, v88
	v_max_f32_e32 v89, v89, v89
	s_waitcnt lgkmcnt(0)
	v_max_f32_e32 v106, v106, v106
	v_max_f32_e32 v107, v107, v107
	;; [unrolled: 1-line block ×4, first 2 shown]
	v_min_f32_e32 v110, v90, v86
	v_min_f32_e32 v111, v91, v87
	;; [unrolled: 1-line block ×64, first 2 shown]
	v_add_f32_e32 v69, v69, v111
	v_add_f32_e32 v68, v68, v110
	;; [unrolled: 1-line block ×64, first 2 shown]
	s_cbranch_vccz .LBB30_30
; %bb.31:                               ;   in Loop: Header=BB30_23 Depth=1
	v_add3_u32 v86, v70, s9, 4
	ds_write_b32 v75, v84
	ds_write2st64_b32 v72, v83, v85 offset1:4
	v_mov_b32_e32 v83, 0
	v_mov_b32_e32 v84, 0
	v_cmp_gt_i32_e32 vcc_lo, s14, v86
	s_waitcnt lgkmcnt(0)
	s_barrier
	buffer_gl0_inv
	s_and_b32 s1, s0, vcc_lo
	s_and_b32 s19, s24, s1
	s_and_saveexec_b32 s1, s19
	s_cbranch_execz .LBB30_33
; %bb.32:                               ;   in Loop: Header=BB30_23 Depth=1
	v_mad_u64_u32 v[84:85], null, v86, s25, 0
	v_mad_u64_u32 v[85:86], null, v86, s20, v[85:86]
	v_lshlrev_b64 v[84:85], 2, v[84:85]
	v_add_co_u32 v84, vcc_lo, v80, v84
	v_add_co_ci_u32_e64 v85, null, v81, v85, vcc_lo
	flat_load_dword v84, v[84:85]
	s_waitcnt vmcnt(0) lgkmcnt(0)
	v_mul_f32_e32 v84, s23, v84
.LBB30_33:                              ;   in Loop: Header=BB30_23 Depth=1
	s_or_b32 exec_lo, exec_lo, s1
	v_or_b32_e32 v82, 4, v82
	v_min_i32_e32 v85, s21, v82
	v_cmp_le_i32_e32 vcc_lo, s14, v82
	v_ashrrev_i32_e32 v86, 31, v85
	v_lshlrev_b64 v[85:86], 2, v[85:86]
	v_add_co_u32 v85, s1, s16, v85
	v_add_co_ci_u32_e64 v86, null, s17, v86, s1
	s_nor_b32 s1, s26, vcc_lo
	s_and_saveexec_b32 s19, s1
	s_cbranch_execz .LBB30_35
; %bb.34:                               ;   in Loop: Header=BB30_23 Depth=1
	v_add_co_u32 v82, s1, v85, v2
	v_add_co_ci_u32_e64 v83, null, v86, v3, s1
	flat_load_dword v82, v[82:83]
	s_waitcnt vmcnt(0) lgkmcnt(0)
	v_mul_f32_e32 v83, s23, v82
.LBB30_35:                              ;   in Loop: Header=BB30_23 Depth=1
	s_or_b32 exec_lo, exec_lo, s19
	v_mov_b32_e32 v82, 0
	s_nor_b32 s19, s27, vcc_lo
	s_and_saveexec_b32 s1, s19
	s_cbranch_execz .LBB30_37
; %bb.36:                               ;   in Loop: Header=BB30_23 Depth=1
	v_add_co_u32 v85, vcc_lo, v85, v4
	v_add_co_ci_u32_e64 v86, null, v86, v5, vcc_lo
	flat_load_dword v82, v[85:86]
	s_waitcnt vmcnt(0) lgkmcnt(0)
	v_mul_f32_e32 v82, s23, v82
.LBB30_37:                              ;   in Loop: Header=BB30_23 Depth=1
	s_or_b32 exec_lo, exec_lo, s1
	s_mov_b32 s19, 0
	s_mov_b32 s1, -1
.LBB30_38:                              ;   Parent Loop BB30_23 Depth=1
                                        ; =>  This Inner Loop Header: Depth=2
	s_lshl_b32 s19, s19, 2
	v_cndmask_b32_e64 v85, 0, 1, s1
	v_add_nc_u32_e32 v105, s19, v74
	v_add_nc_u32_e32 v101, s19, v73
	s_mov_b32 s1, 0
	s_mov_b32 s19, 2
	v_cmp_ne_u32_e32 vcc_lo, 1, v85
	ds_read2st64_b64 v[85:88], v105 offset1:1
	ds_read2_b64 v[89:92], v101 offset1:16
	ds_read2_b64 v[93:96], v101 offset0:32 offset1:48
	ds_read2_b64 v[97:100], v101 offset0:64 offset1:80
	;; [unrolled: 1-line block ×3, first 2 shown]
	ds_read2st64_b64 v[105:108], v105 offset0:2 offset1:3
	s_and_b32 vcc_lo, exec_lo, vcc_lo
	s_waitcnt lgkmcnt(5)
	v_max_f32_e32 v85, v85, v85
	s_waitcnt lgkmcnt(4)
	v_max_f32_e32 v89, v89, v89
	v_max_f32_e32 v86, v86, v86
	;; [unrolled: 1-line block ×5, first 2 shown]
	s_waitcnt lgkmcnt(3)
	v_max_f32_e32 v93, v93, v93
	v_max_f32_e32 v94, v94, v94
	v_max_f32_e32 v95, v95, v95
	v_max_f32_e32 v96, v96, v96
	s_waitcnt lgkmcnt(2)
	v_max_f32_e32 v97, v97, v97
	v_max_f32_e32 v98, v98, v98
	v_max_f32_e32 v99, v99, v99
	v_max_f32_e32 v100, v100, v100
	;; [unrolled: 5-line block ×3, first 2 shown]
	v_max_f32_e32 v87, v87, v87
	v_max_f32_e32 v88, v88, v88
	s_waitcnt lgkmcnt(0)
	v_max_f32_e32 v105, v105, v105
	v_max_f32_e32 v106, v106, v106
	;; [unrolled: 1-line block ×4, first 2 shown]
	v_min_f32_e32 v109, v89, v85
	v_min_f32_e32 v110, v90, v86
	;; [unrolled: 1-line block ×64, first 2 shown]
	v_add_f32_e32 v69, v69, v110
	v_add_f32_e32 v68, v68, v109
	;; [unrolled: 1-line block ×64, first 2 shown]
	s_cbranch_vccz .LBB30_38
; %bb.39:                               ;   in Loop: Header=BB30_23 Depth=1
	s_add_i32 s18, s18, 8
	s_add_i32 s9, s9, 8
	s_cmp_ge_i32 s18, s8
	ds_write_b32 v78, v84
	ds_write2st64_b32 v79, v83, v82 offset1:4
	s_waitcnt lgkmcnt(0)
	s_barrier
	buffer_gl0_inv
	s_cbranch_scc0 .LBB30_23
.LBB30_40:
	s_mov_b32 s0, -1
.LBB30_41:                              ; =>This Inner Loop Header: Depth=1
	s_lshl_b32 s1, s1, 2
	v_cndmask_b32_e64 v2, 0, 1, s0
	v_add_nc_u32_e32 v74, s1, v77
	v_add_nc_u32_e32 v75, s1, v76
	s_mov_b32 s0, 0
	s_mov_b32 s1, 2
	v_cmp_ne_u32_e32 vcc_lo, 1, v2
	ds_read2st64_b64 v[2:5], v74 offset1:1
	ds_read2_b64 v[70:73], v75 offset1:16
	ds_read2_b64 v[78:81], v75 offset0:32 offset1:48
	ds_read2_b64 v[82:85], v75 offset0:64 offset1:80
	ds_read2_b64 v[86:89], v75 offset0:96 offset1:112
	ds_read2st64_b64 v[90:93], v74 offset0:2 offset1:3
	s_and_b32 vcc_lo, exec_lo, vcc_lo
	s_waitcnt lgkmcnt(5)
	v_max_f32_e32 v2, v2, v2
	s_waitcnt lgkmcnt(4)
	v_max_f32_e32 v70, v70, v70
	v_max_f32_e32 v3, v3, v3
	;; [unrolled: 1-line block ×5, first 2 shown]
	s_waitcnt lgkmcnt(3)
	v_max_f32_e32 v74, v78, v78
	v_max_f32_e32 v75, v79, v79
	v_max_f32_e32 v78, v80, v80
	v_max_f32_e32 v79, v81, v81
	s_waitcnt lgkmcnt(2)
	v_max_f32_e32 v80, v82, v82
	v_max_f32_e32 v81, v83, v83
	v_max_f32_e32 v82, v84, v84
	v_max_f32_e32 v83, v85, v85
	;; [unrolled: 5-line block ×3, first 2 shown]
	v_max_f32_e32 v4, v4, v4
	v_max_f32_e32 v5, v5, v5
	s_waitcnt lgkmcnt(0)
	v_max_f32_e32 v88, v90, v90
	v_max_f32_e32 v89, v91, v91
	;; [unrolled: 1-line block ×4, first 2 shown]
	v_min_f32_e32 v92, v70, v2
	v_min_f32_e32 v93, v71, v3
	;; [unrolled: 1-line block ×64, first 2 shown]
	v_add_f32_e32 v69, v69, v93
	v_add_f32_e32 v68, v68, v92
	;; [unrolled: 1-line block ×64, first 2 shown]
	s_cbranch_vccz .LBB30_41
; %bb.42:
	s_clause 0x2
	s_load_dword s14, s[4:5], 0x58
	s_load_dword s9, s[4:5], 0x70
	s_load_dwordx2 s[4:5], s[4:5], 0x78
	v_add_nc_u32_e32 v71, s15, v1
	v_add_nc_u32_e32 v0, s6, v0
	v_cndmask_b32_e64 v70, 0, 1, s7
	v_cmp_gt_i32_e64 s8, s13, v71
	v_cmp_gt_i32_e64 s0, s12, v0
	s_waitcnt lgkmcnt(0)
	v_mad_i64_i32 v[1:2], null, v71, s14, 0
	v_mad_i64_i32 v[3:4], null, v71, s9, 0
	s_lshl_b64 s[4:5], s[4:5], 2
	s_add_u32 s15, s2, s4
	s_addc_u32 s16, s3, s5
	v_lshlrev_b64 v[72:73], 2, v[1:2]
	v_ashrrev_i32_e32 v1, 31, v0
	v_lshlrev_b64 v[2:3], 2, v[3:4]
	s_and_b32 s2, s0, s8
	v_add_co_u32 v74, vcc_lo, s10, v72
	v_add_co_ci_u32_e64 v75, null, s11, v73, vcc_lo
	v_add_co_u32 v72, vcc_lo, s15, v2
	v_add_co_ci_u32_e64 v73, null, s16, v3, vcc_lo
	s_and_saveexec_b32 s1, s2
	s_cbranch_execz .LBB30_47
; %bb.43:
	v_lshlrev_b64 v[2:3], 2, v[0:1]
	s_andn2_b32 vcc_lo, exec_lo, s7
	s_cbranch_vccnz .LBB30_45
; %bb.44:
	v_add_co_u32 v4, vcc_lo, v74, v2
	v_add_co_ci_u32_e64 v5, null, v75, v3, vcc_lo
	flat_load_dword v4, v[4:5]
	s_waitcnt vmcnt(0) lgkmcnt(0)
	v_mul_f32_e32 v4, s22, v4
	s_branch .LBB30_46
.LBB30_45:
	v_mov_b32_e32 v4, 0
.LBB30_46:
	v_add_f32_e32 v5, v68, v69
	v_add_co_u32 v2, vcc_lo, v72, v2
	v_add_co_ci_u32_e64 v3, null, v73, v3, vcc_lo
	v_add_f32_e32 v4, v5, v4
	flat_store_dword v[2:3], v4
.LBB30_47:
	s_or_b32 exec_lo, exec_lo, s1
	v_add_nc_u32_e32 v2, 8, v0
	v_cmp_gt_i32_e64 s1, s12, v2
	v_ashrrev_i32_e32 v3, 31, v2
	s_and_b32 s3, s1, s8
	s_and_saveexec_b32 s2, s3
	s_cbranch_execz .LBB30_52
; %bb.48:
	v_cmp_ne_u32_e32 vcc_lo, 1, v70
	v_lshlrev_b64 v[4:5], 2, v[2:3]
	s_cbranch_vccnz .LBB30_50
; %bb.49:
	v_add_co_u32 v68, vcc_lo, v74, v4
	v_add_co_ci_u32_e64 v69, null, v75, v5, vcc_lo
	flat_load_dword v68, v[68:69]
	s_waitcnt vmcnt(0) lgkmcnt(0)
	v_mul_f32_e32 v68, s22, v68
	s_branch .LBB30_51
.LBB30_50:
	v_mov_b32_e32 v68, 0
.LBB30_51:
	v_add_f32_e32 v6, v6, v7
	v_add_co_u32 v4, vcc_lo, v72, v4
	v_add_co_ci_u32_e64 v5, null, v73, v5, vcc_lo
	v_add_f32_e32 v6, v6, v68
	flat_store_dword v[4:5], v6
.LBB30_52:
	s_or_b32 exec_lo, exec_lo, s2
	v_add_nc_u32_e32 v4, 16, v0
	v_cmp_gt_i32_e64 s2, s12, v4
	v_ashrrev_i32_e32 v5, 31, v4
	s_and_b32 s4, s2, s8
	s_and_saveexec_b32 s3, s4
	s_cbranch_execz .LBB30_57
; %bb.53:
	v_cmp_ne_u32_e32 vcc_lo, 1, v70
	v_lshlrev_b64 v[6:7], 2, v[4:5]
	s_cbranch_vccnz .LBB30_55
; %bb.54:
	v_add_co_u32 v68, vcc_lo, v74, v6
	v_add_co_ci_u32_e64 v69, null, v75, v7, vcc_lo
	flat_load_dword v68, v[68:69]
	s_waitcnt vmcnt(0) lgkmcnt(0)
	v_mul_f32_e32 v68, s22, v68
	s_branch .LBB30_56
.LBB30_55:
	v_mov_b32_e32 v68, 0
.LBB30_56:
	v_add_f32_e32 v8, v8, v9
	v_add_co_u32 v6, vcc_lo, v72, v6
	v_add_co_ci_u32_e64 v7, null, v73, v7, vcc_lo
	v_add_f32_e32 v8, v8, v68
	flat_store_dword v[6:7], v8
.LBB30_57:
	;; [unrolled: 27-line block ×7, first 2 shown]
	s_or_b32 exec_lo, exec_lo, s8
	v_add_nc_u32_e32 v68, 32, v71
	v_mad_i64_i32 v[16:17], null, v68, s14, 0
	v_mad_i64_i32 v[66:67], null, v68, s9, 0
	v_cmp_gt_i32_e64 s8, s13, v68
	v_lshlrev_b64 v[16:17], 2, v[16:17]
	s_and_b32 s17, s0, s8
	v_lshlrev_b64 v[66:67], 2, v[66:67]
	v_add_co_u32 v68, vcc_lo, s10, v16
	v_add_co_ci_u32_e64 v69, null, s11, v17, vcc_lo
	v_add_co_u32 v66, vcc_lo, s15, v66
	v_add_co_ci_u32_e64 v67, null, s16, v67, vcc_lo
	s_and_saveexec_b32 s12, s17
	s_cbranch_execnz .LBB30_90
; %bb.83:
	s_or_b32 exec_lo, exec_lo, s12
	s_and_b32 s17, s1, s8
	s_and_saveexec_b32 s12, s17
	s_cbranch_execnz .LBB30_94
.LBB30_84:
	s_or_b32 exec_lo, exec_lo, s12
	s_and_b32 s17, s2, s8
	s_and_saveexec_b32 s12, s17
	s_cbranch_execnz .LBB30_98
.LBB30_85:
	s_or_b32 exec_lo, exec_lo, s12
	s_and_b32 s17, s3, s8
	s_and_saveexec_b32 s12, s17
	s_cbranch_execnz .LBB30_102
.LBB30_86:
	s_or_b32 exec_lo, exec_lo, s12
	s_and_b32 s17, s4, s8
	s_and_saveexec_b32 s12, s17
	s_cbranch_execnz .LBB30_106
.LBB30_87:
	s_or_b32 exec_lo, exec_lo, s12
	s_and_b32 s17, s5, s8
	s_and_saveexec_b32 s12, s17
	s_cbranch_execnz .LBB30_110
.LBB30_88:
	s_or_b32 exec_lo, exec_lo, s12
	s_and_b32 s17, s6, s8
	s_and_saveexec_b32 s12, s17
	s_cbranch_execnz .LBB30_114
.LBB30_89:
	s_or_b32 exec_lo, exec_lo, s12
	s_and_b32 s12, s7, s8
	s_and_saveexec_b32 s8, s12
	s_cbranch_execnz .LBB30_118
	s_branch .LBB30_122
.LBB30_90:
	v_cmp_ne_u32_e32 vcc_lo, 1, v70
	v_lshlrev_b64 v[16:17], 2, v[0:1]
	s_cbranch_vccnz .LBB30_92
; %bb.91:
	v_add_co_u32 v72, vcc_lo, v68, v16
	v_add_co_ci_u32_e64 v73, null, v69, v17, vcc_lo
	flat_load_dword v72, v[72:73]
	s_waitcnt vmcnt(0) lgkmcnt(0)
	v_mul_f32_e32 v72, s22, v72
	s_branch .LBB30_93
.LBB30_92:
	v_mov_b32_e32 v72, 0
.LBB30_93:
	v_add_f32_e32 v64, v64, v65
	v_add_co_u32 v16, vcc_lo, v66, v16
	v_add_co_ci_u32_e64 v17, null, v67, v17, vcc_lo
	v_add_f32_e32 v64, v64, v72
	flat_store_dword v[16:17], v64
	s_or_b32 exec_lo, exec_lo, s12
	s_and_b32 s17, s1, s8
	s_and_saveexec_b32 s12, s17
	s_cbranch_execz .LBB30_84
.LBB30_94:
	v_cmp_ne_u32_e32 vcc_lo, 1, v70
	v_lshlrev_b64 v[16:17], 2, v[2:3]
	s_cbranch_vccnz .LBB30_96
; %bb.95:
	v_add_co_u32 v64, vcc_lo, v68, v16
	v_add_co_ci_u32_e64 v65, null, v69, v17, vcc_lo
	flat_load_dword v64, v[64:65]
	s_waitcnt vmcnt(0) lgkmcnt(0)
	v_mul_f32_e32 v64, s22, v64
	s_branch .LBB30_97
.LBB30_96:
	v_mov_b32_e32 v64, 0
.LBB30_97:
	v_add_f32_e32 v62, v62, v63
	v_add_co_u32 v16, vcc_lo, v66, v16
	v_add_co_ci_u32_e64 v17, null, v67, v17, vcc_lo
	v_add_f32_e32 v62, v62, v64
	flat_store_dword v[16:17], v62
	s_or_b32 exec_lo, exec_lo, s12
	s_and_b32 s17, s2, s8
	s_and_saveexec_b32 s12, s17
	s_cbranch_execz .LBB30_85
.LBB30_98:
	v_cmp_ne_u32_e32 vcc_lo, 1, v70
	v_lshlrev_b64 v[16:17], 2, v[4:5]
	s_cbranch_vccnz .LBB30_100
; %bb.99:
	v_add_co_u32 v62, vcc_lo, v68, v16
	v_add_co_ci_u32_e64 v63, null, v69, v17, vcc_lo
	flat_load_dword v62, v[62:63]
	s_waitcnt vmcnt(0) lgkmcnt(0)
	v_mul_f32_e32 v62, s22, v62
	s_branch .LBB30_101
.LBB30_100:
	v_mov_b32_e32 v62, 0
.LBB30_101:
	v_add_f32_e32 v60, v60, v61
	v_add_co_u32 v16, vcc_lo, v66, v16
	v_add_co_ci_u32_e64 v17, null, v67, v17, vcc_lo
	v_add_f32_e32 v60, v60, v62
	flat_store_dword v[16:17], v60
	s_or_b32 exec_lo, exec_lo, s12
	s_and_b32 s17, s3, s8
	s_and_saveexec_b32 s12, s17
	s_cbranch_execz .LBB30_86
.LBB30_102:
	v_cmp_ne_u32_e32 vcc_lo, 1, v70
	v_lshlrev_b64 v[16:17], 2, v[6:7]
	s_cbranch_vccnz .LBB30_104
; %bb.103:
	v_add_co_u32 v60, vcc_lo, v68, v16
	v_add_co_ci_u32_e64 v61, null, v69, v17, vcc_lo
	flat_load_dword v60, v[60:61]
	s_waitcnt vmcnt(0) lgkmcnt(0)
	v_mul_f32_e32 v60, s22, v60
	s_branch .LBB30_105
.LBB30_104:
	v_mov_b32_e32 v60, 0
.LBB30_105:
	v_add_f32_e32 v58, v58, v59
	v_add_co_u32 v16, vcc_lo, v66, v16
	v_add_co_ci_u32_e64 v17, null, v67, v17, vcc_lo
	v_add_f32_e32 v58, v58, v60
	flat_store_dword v[16:17], v58
	s_or_b32 exec_lo, exec_lo, s12
	s_and_b32 s17, s4, s8
	s_and_saveexec_b32 s12, s17
	s_cbranch_execz .LBB30_87
.LBB30_106:
	v_cmp_ne_u32_e32 vcc_lo, 1, v70
	v_lshlrev_b64 v[16:17], 2, v[8:9]
	s_cbranch_vccnz .LBB30_108
; %bb.107:
	v_add_co_u32 v58, vcc_lo, v68, v16
	v_add_co_ci_u32_e64 v59, null, v69, v17, vcc_lo
	flat_load_dword v58, v[58:59]
	s_waitcnt vmcnt(0) lgkmcnt(0)
	v_mul_f32_e32 v58, s22, v58
	s_branch .LBB30_109
.LBB30_108:
	v_mov_b32_e32 v58, 0
.LBB30_109:
	v_add_f32_e32 v56, v56, v57
	v_add_co_u32 v16, vcc_lo, v66, v16
	v_add_co_ci_u32_e64 v17, null, v67, v17, vcc_lo
	v_add_f32_e32 v56, v56, v58
	flat_store_dword v[16:17], v56
	s_or_b32 exec_lo, exec_lo, s12
	s_and_b32 s17, s5, s8
	s_and_saveexec_b32 s12, s17
	s_cbranch_execz .LBB30_88
.LBB30_110:
	v_cmp_ne_u32_e32 vcc_lo, 1, v70
	v_lshlrev_b64 v[16:17], 2, v[10:11]
	s_cbranch_vccnz .LBB30_112
; %bb.111:
	v_add_co_u32 v56, vcc_lo, v68, v16
	v_add_co_ci_u32_e64 v57, null, v69, v17, vcc_lo
	flat_load_dword v56, v[56:57]
	s_waitcnt vmcnt(0) lgkmcnt(0)
	v_mul_f32_e32 v56, s22, v56
	s_branch .LBB30_113
.LBB30_112:
	v_mov_b32_e32 v56, 0
.LBB30_113:
	v_add_f32_e32 v54, v54, v55
	v_add_co_u32 v16, vcc_lo, v66, v16
	v_add_co_ci_u32_e64 v17, null, v67, v17, vcc_lo
	v_add_f32_e32 v54, v54, v56
	flat_store_dword v[16:17], v54
	s_or_b32 exec_lo, exec_lo, s12
	s_and_b32 s17, s6, s8
	s_and_saveexec_b32 s12, s17
	s_cbranch_execz .LBB30_89
.LBB30_114:
	v_cmp_ne_u32_e32 vcc_lo, 1, v70
	v_lshlrev_b64 v[16:17], 2, v[12:13]
	s_cbranch_vccnz .LBB30_116
; %bb.115:
	v_add_co_u32 v54, vcc_lo, v68, v16
	v_add_co_ci_u32_e64 v55, null, v69, v17, vcc_lo
	flat_load_dword v54, v[54:55]
	s_waitcnt vmcnt(0) lgkmcnt(0)
	v_mul_f32_e32 v54, s22, v54
	s_branch .LBB30_117
.LBB30_116:
	v_mov_b32_e32 v54, 0
.LBB30_117:
	v_add_f32_e32 v52, v52, v53
	v_add_co_u32 v16, vcc_lo, v66, v16
	v_add_co_ci_u32_e64 v17, null, v67, v17, vcc_lo
	v_add_f32_e32 v52, v52, v54
	flat_store_dword v[16:17], v52
	s_or_b32 exec_lo, exec_lo, s12
	s_and_b32 s12, s7, s8
	s_and_saveexec_b32 s8, s12
	s_cbranch_execz .LBB30_122
.LBB30_118:
	v_cmp_ne_u32_e32 vcc_lo, 1, v70
	v_lshlrev_b64 v[16:17], 2, v[14:15]
	s_cbranch_vccnz .LBB30_120
; %bb.119:
	v_add_co_u32 v52, vcc_lo, v68, v16
	v_add_co_ci_u32_e64 v53, null, v69, v17, vcc_lo
	flat_load_dword v52, v[52:53]
	s_waitcnt vmcnt(0) lgkmcnt(0)
	v_mul_f32_e32 v52, s22, v52
	s_branch .LBB30_121
.LBB30_120:
	v_mov_b32_e32 v52, 0
.LBB30_121:
	v_add_f32_e32 v50, v50, v51
	v_add_co_u32 v16, vcc_lo, v66, v16
	v_add_co_ci_u32_e64 v17, null, v67, v17, vcc_lo
	v_add_f32_e32 v50, v50, v52
	flat_store_dword v[16:17], v50
.LBB30_122:
	s_or_b32 exec_lo, exec_lo, s8
	v_add_nc_u32_e32 v52, 64, v71
	v_mad_i64_i32 v[16:17], null, v52, s14, 0
	v_mad_i64_i32 v[50:51], null, v52, s9, 0
	v_cmp_gt_i32_e64 s8, s13, v52
	v_lshlrev_b64 v[16:17], 2, v[16:17]
	s_and_b32 s17, s0, s8
	v_lshlrev_b64 v[50:51], 2, v[50:51]
	v_add_co_u32 v52, vcc_lo, s10, v16
	v_add_co_ci_u32_e64 v53, null, s11, v17, vcc_lo
	v_add_co_u32 v50, vcc_lo, s15, v50
	v_add_co_ci_u32_e64 v51, null, s16, v51, vcc_lo
	s_and_saveexec_b32 s12, s17
	s_cbranch_execnz .LBB30_130
; %bb.123:
	s_or_b32 exec_lo, exec_lo, s12
	s_and_b32 s17, s1, s8
	s_and_saveexec_b32 s12, s17
	s_cbranch_execnz .LBB30_134
.LBB30_124:
	s_or_b32 exec_lo, exec_lo, s12
	s_and_b32 s17, s2, s8
	s_and_saveexec_b32 s12, s17
	s_cbranch_execnz .LBB30_138
.LBB30_125:
	s_or_b32 exec_lo, exec_lo, s12
	s_and_b32 s17, s3, s8
	s_and_saveexec_b32 s12, s17
	s_cbranch_execnz .LBB30_142
.LBB30_126:
	s_or_b32 exec_lo, exec_lo, s12
	s_and_b32 s17, s4, s8
	s_and_saveexec_b32 s12, s17
	s_cbranch_execnz .LBB30_146
.LBB30_127:
	s_or_b32 exec_lo, exec_lo, s12
	s_and_b32 s17, s5, s8
	s_and_saveexec_b32 s12, s17
	s_cbranch_execnz .LBB30_150
.LBB30_128:
	s_or_b32 exec_lo, exec_lo, s12
	s_and_b32 s17, s6, s8
	s_and_saveexec_b32 s12, s17
	s_cbranch_execnz .LBB30_154
.LBB30_129:
	s_or_b32 exec_lo, exec_lo, s12
	s_and_b32 s12, s7, s8
	s_and_saveexec_b32 s8, s12
	s_cbranch_execnz .LBB30_158
	s_branch .LBB30_162
.LBB30_130:
	v_cmp_ne_u32_e32 vcc_lo, 1, v70
	v_lshlrev_b64 v[16:17], 2, v[0:1]
	s_cbranch_vccnz .LBB30_132
; %bb.131:
	v_add_co_u32 v54, vcc_lo, v52, v16
	v_add_co_ci_u32_e64 v55, null, v53, v17, vcc_lo
	flat_load_dword v54, v[54:55]
	s_waitcnt vmcnt(0) lgkmcnt(0)
	v_mul_f32_e32 v54, s22, v54
	s_branch .LBB30_133
.LBB30_132:
	v_mov_b32_e32 v54, 0
.LBB30_133:
	v_add_f32_e32 v48, v48, v49
	v_add_co_u32 v16, vcc_lo, v50, v16
	v_add_co_ci_u32_e64 v17, null, v51, v17, vcc_lo
	v_add_f32_e32 v48, v48, v54
	flat_store_dword v[16:17], v48
	s_or_b32 exec_lo, exec_lo, s12
	s_and_b32 s17, s1, s8
	s_and_saveexec_b32 s12, s17
	s_cbranch_execz .LBB30_124
.LBB30_134:
	v_cmp_ne_u32_e32 vcc_lo, 1, v70
	v_lshlrev_b64 v[16:17], 2, v[2:3]
	s_cbranch_vccnz .LBB30_136
; %bb.135:
	v_add_co_u32 v48, vcc_lo, v52, v16
	v_add_co_ci_u32_e64 v49, null, v53, v17, vcc_lo
	flat_load_dword v48, v[48:49]
	s_waitcnt vmcnt(0) lgkmcnt(0)
	v_mul_f32_e32 v48, s22, v48
	s_branch .LBB30_137
.LBB30_136:
	v_mov_b32_e32 v48, 0
.LBB30_137:
	v_add_f32_e32 v46, v46, v47
	v_add_co_u32 v16, vcc_lo, v50, v16
	v_add_co_ci_u32_e64 v17, null, v51, v17, vcc_lo
	v_add_f32_e32 v46, v46, v48
	flat_store_dword v[16:17], v46
	s_or_b32 exec_lo, exec_lo, s12
	s_and_b32 s17, s2, s8
	s_and_saveexec_b32 s12, s17
	s_cbranch_execz .LBB30_125
.LBB30_138:
	v_cmp_ne_u32_e32 vcc_lo, 1, v70
	v_lshlrev_b64 v[16:17], 2, v[4:5]
	s_cbranch_vccnz .LBB30_140
; %bb.139:
	v_add_co_u32 v46, vcc_lo, v52, v16
	v_add_co_ci_u32_e64 v47, null, v53, v17, vcc_lo
	flat_load_dword v46, v[46:47]
	s_waitcnt vmcnt(0) lgkmcnt(0)
	v_mul_f32_e32 v46, s22, v46
	s_branch .LBB30_141
.LBB30_140:
	v_mov_b32_e32 v46, 0
.LBB30_141:
	v_add_f32_e32 v44, v44, v45
	v_add_co_u32 v16, vcc_lo, v50, v16
	v_add_co_ci_u32_e64 v17, null, v51, v17, vcc_lo
	v_add_f32_e32 v44, v44, v46
	flat_store_dword v[16:17], v44
	s_or_b32 exec_lo, exec_lo, s12
	s_and_b32 s17, s3, s8
	s_and_saveexec_b32 s12, s17
	s_cbranch_execz .LBB30_126
.LBB30_142:
	v_cmp_ne_u32_e32 vcc_lo, 1, v70
	v_lshlrev_b64 v[16:17], 2, v[6:7]
	s_cbranch_vccnz .LBB30_144
; %bb.143:
	v_add_co_u32 v44, vcc_lo, v52, v16
	v_add_co_ci_u32_e64 v45, null, v53, v17, vcc_lo
	flat_load_dword v44, v[44:45]
	s_waitcnt vmcnt(0) lgkmcnt(0)
	v_mul_f32_e32 v44, s22, v44
	s_branch .LBB30_145
.LBB30_144:
	v_mov_b32_e32 v44, 0
.LBB30_145:
	v_add_f32_e32 v42, v42, v43
	v_add_co_u32 v16, vcc_lo, v50, v16
	v_add_co_ci_u32_e64 v17, null, v51, v17, vcc_lo
	v_add_f32_e32 v42, v42, v44
	flat_store_dword v[16:17], v42
	s_or_b32 exec_lo, exec_lo, s12
	s_and_b32 s17, s4, s8
	s_and_saveexec_b32 s12, s17
	s_cbranch_execz .LBB30_127
.LBB30_146:
	v_cmp_ne_u32_e32 vcc_lo, 1, v70
	v_lshlrev_b64 v[16:17], 2, v[8:9]
	s_cbranch_vccnz .LBB30_148
; %bb.147:
	v_add_co_u32 v42, vcc_lo, v52, v16
	v_add_co_ci_u32_e64 v43, null, v53, v17, vcc_lo
	flat_load_dword v42, v[42:43]
	s_waitcnt vmcnt(0) lgkmcnt(0)
	v_mul_f32_e32 v42, s22, v42
	s_branch .LBB30_149
.LBB30_148:
	v_mov_b32_e32 v42, 0
.LBB30_149:
	v_add_f32_e32 v40, v40, v41
	v_add_co_u32 v16, vcc_lo, v50, v16
	v_add_co_ci_u32_e64 v17, null, v51, v17, vcc_lo
	v_add_f32_e32 v40, v40, v42
	flat_store_dword v[16:17], v40
	s_or_b32 exec_lo, exec_lo, s12
	s_and_b32 s17, s5, s8
	s_and_saveexec_b32 s12, s17
	s_cbranch_execz .LBB30_128
.LBB30_150:
	v_cmp_ne_u32_e32 vcc_lo, 1, v70
	v_lshlrev_b64 v[16:17], 2, v[10:11]
	s_cbranch_vccnz .LBB30_152
; %bb.151:
	v_add_co_u32 v40, vcc_lo, v52, v16
	v_add_co_ci_u32_e64 v41, null, v53, v17, vcc_lo
	flat_load_dword v40, v[40:41]
	s_waitcnt vmcnt(0) lgkmcnt(0)
	v_mul_f32_e32 v40, s22, v40
	s_branch .LBB30_153
.LBB30_152:
	v_mov_b32_e32 v40, 0
.LBB30_153:
	v_add_f32_e32 v38, v38, v39
	v_add_co_u32 v16, vcc_lo, v50, v16
	v_add_co_ci_u32_e64 v17, null, v51, v17, vcc_lo
	v_add_f32_e32 v38, v38, v40
	flat_store_dword v[16:17], v38
	s_or_b32 exec_lo, exec_lo, s12
	s_and_b32 s17, s6, s8
	s_and_saveexec_b32 s12, s17
	s_cbranch_execz .LBB30_129
.LBB30_154:
	v_cmp_ne_u32_e32 vcc_lo, 1, v70
	v_lshlrev_b64 v[16:17], 2, v[12:13]
	s_cbranch_vccnz .LBB30_156
; %bb.155:
	v_add_co_u32 v38, vcc_lo, v52, v16
	v_add_co_ci_u32_e64 v39, null, v53, v17, vcc_lo
	flat_load_dword v38, v[38:39]
	s_waitcnt vmcnt(0) lgkmcnt(0)
	v_mul_f32_e32 v38, s22, v38
	s_branch .LBB30_157
.LBB30_156:
	v_mov_b32_e32 v38, 0
.LBB30_157:
	v_add_f32_e32 v36, v36, v37
	v_add_co_u32 v16, vcc_lo, v50, v16
	v_add_co_ci_u32_e64 v17, null, v51, v17, vcc_lo
	v_add_f32_e32 v36, v36, v38
	flat_store_dword v[16:17], v36
	s_or_b32 exec_lo, exec_lo, s12
	s_and_b32 s12, s7, s8
	s_and_saveexec_b32 s8, s12
	s_cbranch_execz .LBB30_162
.LBB30_158:
	v_cmp_ne_u32_e32 vcc_lo, 1, v70
	v_lshlrev_b64 v[16:17], 2, v[14:15]
	s_cbranch_vccnz .LBB30_160
; %bb.159:
	v_add_co_u32 v36, vcc_lo, v52, v16
	v_add_co_ci_u32_e64 v37, null, v53, v17, vcc_lo
	flat_load_dword v36, v[36:37]
	s_waitcnt vmcnt(0) lgkmcnt(0)
	v_mul_f32_e32 v36, s22, v36
	s_branch .LBB30_161
.LBB30_160:
	v_mov_b32_e32 v36, 0
.LBB30_161:
	v_add_f32_e32 v34, v34, v35
	v_add_co_u32 v16, vcc_lo, v50, v16
	v_add_co_ci_u32_e64 v17, null, v51, v17, vcc_lo
	v_add_f32_e32 v34, v34, v36
	flat_store_dword v[16:17], v34
.LBB30_162:
	s_or_b32 exec_lo, exec_lo, s8
	v_add_nc_u32_e32 v36, 0x60, v71
	v_mad_i64_i32 v[16:17], null, v36, s14, 0
	v_mad_i64_i32 v[34:35], null, v36, s9, 0
	v_cmp_gt_i32_e64 s8, s13, v36
	v_lshlrev_b64 v[16:17], 2, v[16:17]
	s_and_b32 s9, s0, s8
	v_lshlrev_b64 v[36:37], 2, v[34:35]
	v_add_co_u32 v34, vcc_lo, s10, v16
	v_add_co_ci_u32_e64 v35, null, s11, v17, vcc_lo
	v_add_co_u32 v16, vcc_lo, s15, v36
	v_add_co_ci_u32_e64 v17, null, s16, v37, vcc_lo
	s_and_saveexec_b32 s0, s9
	s_cbranch_execnz .LBB30_171
; %bb.163:
	s_or_b32 exec_lo, exec_lo, s0
	s_and_b32 s1, s1, s8
	s_and_saveexec_b32 s0, s1
	s_cbranch_execnz .LBB30_175
.LBB30_164:
	s_or_b32 exec_lo, exec_lo, s0
	s_and_b32 s1, s2, s8
	s_and_saveexec_b32 s0, s1
	s_cbranch_execnz .LBB30_179
.LBB30_165:
	s_or_b32 exec_lo, exec_lo, s0
	s_and_b32 s1, s3, s8
	s_and_saveexec_b32 s0, s1
	s_cbranch_execnz .LBB30_183
.LBB30_166:
	s_or_b32 exec_lo, exec_lo, s0
	s_and_b32 s1, s4, s8
	s_and_saveexec_b32 s0, s1
	s_cbranch_execnz .LBB30_187
.LBB30_167:
	s_or_b32 exec_lo, exec_lo, s0
	s_and_b32 s1, s5, s8
	s_and_saveexec_b32 s0, s1
	s_cbranch_execnz .LBB30_191
.LBB30_168:
	s_or_b32 exec_lo, exec_lo, s0
	s_and_b32 s1, s6, s8
	s_and_saveexec_b32 s0, s1
	s_cbranch_execnz .LBB30_195
.LBB30_169:
	s_or_b32 exec_lo, exec_lo, s0
	s_and_b32 s0, s7, s8
	s_and_saveexec_b32 s1, s0
	s_cbranch_execnz .LBB30_199
.LBB30_170:
	s_endpgm
.LBB30_171:
	v_cmp_ne_u32_e32 vcc_lo, 1, v70
	v_lshlrev_b64 v[0:1], 2, v[0:1]
	s_cbranch_vccnz .LBB30_173
; %bb.172:
	v_add_co_u32 v36, vcc_lo, v34, v0
	v_add_co_ci_u32_e64 v37, null, v35, v1, vcc_lo
	flat_load_dword v36, v[36:37]
	s_waitcnt vmcnt(0) lgkmcnt(0)
	v_mul_f32_e32 v36, s22, v36
	s_branch .LBB30_174
.LBB30_173:
	v_mov_b32_e32 v36, 0
.LBB30_174:
	v_add_f32_e32 v32, v32, v33
	v_add_co_u32 v0, vcc_lo, v16, v0
	v_add_co_ci_u32_e64 v1, null, v17, v1, vcc_lo
	v_add_f32_e32 v32, v32, v36
	flat_store_dword v[0:1], v32
	s_or_b32 exec_lo, exec_lo, s0
	s_and_b32 s1, s1, s8
	s_and_saveexec_b32 s0, s1
	s_cbranch_execz .LBB30_164
.LBB30_175:
	v_cmp_ne_u32_e32 vcc_lo, 1, v70
	v_lshlrev_b64 v[0:1], 2, v[2:3]
	s_cbranch_vccnz .LBB30_177
; %bb.176:
	v_add_co_u32 v2, vcc_lo, v34, v0
	v_add_co_ci_u32_e64 v3, null, v35, v1, vcc_lo
	flat_load_dword v2, v[2:3]
	s_waitcnt vmcnt(0) lgkmcnt(0)
	v_mul_f32_e32 v2, s22, v2
	s_branch .LBB30_178
.LBB30_177:
	v_mov_b32_e32 v2, 0
.LBB30_178:
	v_add_f32_e32 v3, v30, v31
	v_add_co_u32 v0, vcc_lo, v16, v0
	v_add_co_ci_u32_e64 v1, null, v17, v1, vcc_lo
	v_add_f32_e32 v2, v3, v2
	flat_store_dword v[0:1], v2
	s_or_b32 exec_lo, exec_lo, s0
	s_and_b32 s1, s2, s8
	s_and_saveexec_b32 s0, s1
	s_cbranch_execz .LBB30_165
.LBB30_179:
	v_cmp_ne_u32_e32 vcc_lo, 1, v70
	v_lshlrev_b64 v[0:1], 2, v[4:5]
	s_cbranch_vccnz .LBB30_181
; %bb.180:
	v_add_co_u32 v2, vcc_lo, v34, v0
	v_add_co_ci_u32_e64 v3, null, v35, v1, vcc_lo
	flat_load_dword v2, v[2:3]
	s_waitcnt vmcnt(0) lgkmcnt(0)
	v_mul_f32_e32 v2, s22, v2
	s_branch .LBB30_182
.LBB30_181:
	v_mov_b32_e32 v2, 0
.LBB30_182:
	v_add_f32_e32 v3, v28, v29
	v_add_co_u32 v0, vcc_lo, v16, v0
	v_add_co_ci_u32_e64 v1, null, v17, v1, vcc_lo
	v_add_f32_e32 v2, v3, v2
	flat_store_dword v[0:1], v2
	s_or_b32 exec_lo, exec_lo, s0
	s_and_b32 s1, s3, s8
	s_and_saveexec_b32 s0, s1
	s_cbranch_execz .LBB30_166
.LBB30_183:
	v_cmp_ne_u32_e32 vcc_lo, 1, v70
	v_lshlrev_b64 v[0:1], 2, v[6:7]
	s_cbranch_vccnz .LBB30_185
; %bb.184:
	v_add_co_u32 v2, vcc_lo, v34, v0
	v_add_co_ci_u32_e64 v3, null, v35, v1, vcc_lo
	flat_load_dword v2, v[2:3]
	s_waitcnt vmcnt(0) lgkmcnt(0)
	v_mul_f32_e32 v2, s22, v2
	s_branch .LBB30_186
.LBB30_185:
	v_mov_b32_e32 v2, 0
.LBB30_186:
	v_add_f32_e32 v3, v26, v27
	v_add_co_u32 v0, vcc_lo, v16, v0
	v_add_co_ci_u32_e64 v1, null, v17, v1, vcc_lo
	v_add_f32_e32 v2, v3, v2
	flat_store_dword v[0:1], v2
	s_or_b32 exec_lo, exec_lo, s0
	s_and_b32 s1, s4, s8
	s_and_saveexec_b32 s0, s1
	s_cbranch_execz .LBB30_167
.LBB30_187:
	v_cmp_ne_u32_e32 vcc_lo, 1, v70
	v_lshlrev_b64 v[0:1], 2, v[8:9]
	s_cbranch_vccnz .LBB30_189
; %bb.188:
	v_add_co_u32 v2, vcc_lo, v34, v0
	v_add_co_ci_u32_e64 v3, null, v35, v1, vcc_lo
	flat_load_dword v2, v[2:3]
	s_waitcnt vmcnt(0) lgkmcnt(0)
	v_mul_f32_e32 v2, s22, v2
	s_branch .LBB30_190
.LBB30_189:
	v_mov_b32_e32 v2, 0
.LBB30_190:
	v_add_f32_e32 v3, v24, v25
	v_add_co_u32 v0, vcc_lo, v16, v0
	v_add_co_ci_u32_e64 v1, null, v17, v1, vcc_lo
	v_add_f32_e32 v2, v3, v2
	flat_store_dword v[0:1], v2
	s_or_b32 exec_lo, exec_lo, s0
	s_and_b32 s1, s5, s8
	s_and_saveexec_b32 s0, s1
	s_cbranch_execz .LBB30_168
.LBB30_191:
	v_cmp_ne_u32_e32 vcc_lo, 1, v70
	v_lshlrev_b64 v[0:1], 2, v[10:11]
	s_cbranch_vccnz .LBB30_193
; %bb.192:
	v_add_co_u32 v2, vcc_lo, v34, v0
	v_add_co_ci_u32_e64 v3, null, v35, v1, vcc_lo
	flat_load_dword v2, v[2:3]
	s_waitcnt vmcnt(0) lgkmcnt(0)
	v_mul_f32_e32 v2, s22, v2
	s_branch .LBB30_194
.LBB30_193:
	v_mov_b32_e32 v2, 0
.LBB30_194:
	v_add_f32_e32 v3, v22, v23
	v_add_co_u32 v0, vcc_lo, v16, v0
	v_add_co_ci_u32_e64 v1, null, v17, v1, vcc_lo
	v_add_f32_e32 v2, v3, v2
	flat_store_dword v[0:1], v2
	s_or_b32 exec_lo, exec_lo, s0
	s_and_b32 s1, s6, s8
	s_and_saveexec_b32 s0, s1
	s_cbranch_execz .LBB30_169
.LBB30_195:
	v_cmp_ne_u32_e32 vcc_lo, 1, v70
	v_lshlrev_b64 v[0:1], 2, v[12:13]
	s_cbranch_vccnz .LBB30_197
; %bb.196:
	v_add_co_u32 v2, vcc_lo, v34, v0
	v_add_co_ci_u32_e64 v3, null, v35, v1, vcc_lo
	flat_load_dword v2, v[2:3]
	s_waitcnt vmcnt(0) lgkmcnt(0)
	v_mul_f32_e32 v2, s22, v2
	s_branch .LBB30_198
.LBB30_197:
	v_mov_b32_e32 v2, 0
.LBB30_198:
	v_add_f32_e32 v3, v20, v21
	v_add_co_u32 v0, vcc_lo, v16, v0
	v_add_co_ci_u32_e64 v1, null, v17, v1, vcc_lo
	v_add_f32_e32 v2, v3, v2
	flat_store_dword v[0:1], v2
	s_or_b32 exec_lo, exec_lo, s0
	s_and_b32 s0, s7, s8
	s_and_saveexec_b32 s1, s0
	s_cbranch_execz .LBB30_170
.LBB30_199:
	v_cmp_ne_u32_e32 vcc_lo, 1, v70
	v_lshlrev_b64 v[0:1], 2, v[14:15]
	s_cbranch_vccnz .LBB30_201
; %bb.200:
	v_add_co_u32 v2, vcc_lo, v34, v0
	v_add_co_ci_u32_e64 v3, null, v35, v1, vcc_lo
	flat_load_dword v2, v[2:3]
	s_waitcnt vmcnt(0) lgkmcnt(0)
	v_mul_f32_e32 v2, s22, v2
	s_branch .LBB30_202
.LBB30_201:
	v_mov_b32_e32 v2, 0
.LBB30_202:
	v_add_f32_e32 v3, v18, v19
	v_add_co_u32 v0, vcc_lo, v16, v0
	v_add_co_ci_u32_e64 v1, null, v17, v1, vcc_lo
	v_add_f32_e32 v2, v3, v2
	flat_store_dword v[0:1], v2
	s_endpgm
	.section	.rodata,"a",@progbits
	.p2align	6, 0x0
	.amdhsa_kernel _ZN12_GLOBAL__N_120geam_min_plus_kernelIf15HIP_vector_typeIfLj2EES2_Li8ELi32ELi64ELi128ELi4ELi64ELi4ELi4ELi64ELc78ELc78ELb0ELb1ELb0EPKfKS4_KPfEEviiiT16_PT17_ilSA_ilS8_SA_ilPT18_ili26rocblas_geam_ex_operation_
		.amdhsa_group_segment_fixed_size 6144
		.amdhsa_private_segment_fixed_size 0
		.amdhsa_kernarg_size 136
		.amdhsa_user_sgpr_count 6
		.amdhsa_user_sgpr_private_segment_buffer 1
		.amdhsa_user_sgpr_dispatch_ptr 0
		.amdhsa_user_sgpr_queue_ptr 0
		.amdhsa_user_sgpr_kernarg_segment_ptr 1
		.amdhsa_user_sgpr_dispatch_id 0
		.amdhsa_user_sgpr_flat_scratch_init 0
		.amdhsa_user_sgpr_private_segment_size 0
		.amdhsa_wavefront_size32 1
		.amdhsa_uses_dynamic_stack 0
		.amdhsa_system_sgpr_private_segment_wavefront_offset 0
		.amdhsa_system_sgpr_workgroup_id_x 1
		.amdhsa_system_sgpr_workgroup_id_y 0
		.amdhsa_system_sgpr_workgroup_id_z 1
		.amdhsa_system_sgpr_workgroup_info 0
		.amdhsa_system_vgpr_workitem_id 1
		.amdhsa_next_free_vgpr 152
		.amdhsa_next_free_sgpr 29
		.amdhsa_reserve_vcc 1
		.amdhsa_reserve_flat_scratch 0
		.amdhsa_float_round_mode_32 0
		.amdhsa_float_round_mode_16_64 0
		.amdhsa_float_denorm_mode_32 3
		.amdhsa_float_denorm_mode_16_64 3
		.amdhsa_dx10_clamp 1
		.amdhsa_ieee_mode 1
		.amdhsa_fp16_overflow 0
		.amdhsa_workgroup_processor_mode 1
		.amdhsa_memory_ordered 1
		.amdhsa_forward_progress 1
		.amdhsa_shared_vgpr_count 0
		.amdhsa_exception_fp_ieee_invalid_op 0
		.amdhsa_exception_fp_denorm_src 0
		.amdhsa_exception_fp_ieee_div_zero 0
		.amdhsa_exception_fp_ieee_overflow 0
		.amdhsa_exception_fp_ieee_underflow 0
		.amdhsa_exception_fp_ieee_inexact 0
		.amdhsa_exception_int_div_zero 0
	.end_amdhsa_kernel
	.section	.text._ZN12_GLOBAL__N_120geam_min_plus_kernelIf15HIP_vector_typeIfLj2EES2_Li8ELi32ELi64ELi128ELi4ELi64ELi4ELi4ELi64ELc78ELc78ELb0ELb1ELb0EPKfKS4_KPfEEviiiT16_PT17_ilSA_ilS8_SA_ilPT18_ili26rocblas_geam_ex_operation_,"axG",@progbits,_ZN12_GLOBAL__N_120geam_min_plus_kernelIf15HIP_vector_typeIfLj2EES2_Li8ELi32ELi64ELi128ELi4ELi64ELi4ELi4ELi64ELc78ELc78ELb0ELb1ELb0EPKfKS4_KPfEEviiiT16_PT17_ilSA_ilS8_SA_ilPT18_ili26rocblas_geam_ex_operation_,comdat
.Lfunc_end30:
	.size	_ZN12_GLOBAL__N_120geam_min_plus_kernelIf15HIP_vector_typeIfLj2EES2_Li8ELi32ELi64ELi128ELi4ELi64ELi4ELi4ELi64ELc78ELc78ELb0ELb1ELb0EPKfKS4_KPfEEviiiT16_PT17_ilSA_ilS8_SA_ilPT18_ili26rocblas_geam_ex_operation_, .Lfunc_end30-_ZN12_GLOBAL__N_120geam_min_plus_kernelIf15HIP_vector_typeIfLj2EES2_Li8ELi32ELi64ELi128ELi4ELi64ELi4ELi4ELi64ELc78ELc78ELb0ELb1ELb0EPKfKS4_KPfEEviiiT16_PT17_ilSA_ilS8_SA_ilPT18_ili26rocblas_geam_ex_operation_
                                        ; -- End function
	.set _ZN12_GLOBAL__N_120geam_min_plus_kernelIf15HIP_vector_typeIfLj2EES2_Li8ELi32ELi64ELi128ELi4ELi64ELi4ELi4ELi64ELc78ELc78ELb0ELb1ELb0EPKfKS4_KPfEEviiiT16_PT17_ilSA_ilS8_SA_ilPT18_ili26rocblas_geam_ex_operation_.num_vgpr, 152
	.set _ZN12_GLOBAL__N_120geam_min_plus_kernelIf15HIP_vector_typeIfLj2EES2_Li8ELi32ELi64ELi128ELi4ELi64ELi4ELi4ELi64ELc78ELc78ELb0ELb1ELb0EPKfKS4_KPfEEviiiT16_PT17_ilSA_ilS8_SA_ilPT18_ili26rocblas_geam_ex_operation_.num_agpr, 0
	.set _ZN12_GLOBAL__N_120geam_min_plus_kernelIf15HIP_vector_typeIfLj2EES2_Li8ELi32ELi64ELi128ELi4ELi64ELi4ELi4ELi64ELc78ELc78ELb0ELb1ELb0EPKfKS4_KPfEEviiiT16_PT17_ilSA_ilS8_SA_ilPT18_ili26rocblas_geam_ex_operation_.numbered_sgpr, 29
	.set _ZN12_GLOBAL__N_120geam_min_plus_kernelIf15HIP_vector_typeIfLj2EES2_Li8ELi32ELi64ELi128ELi4ELi64ELi4ELi4ELi64ELc78ELc78ELb0ELb1ELb0EPKfKS4_KPfEEviiiT16_PT17_ilSA_ilS8_SA_ilPT18_ili26rocblas_geam_ex_operation_.num_named_barrier, 0
	.set _ZN12_GLOBAL__N_120geam_min_plus_kernelIf15HIP_vector_typeIfLj2EES2_Li8ELi32ELi64ELi128ELi4ELi64ELi4ELi4ELi64ELc78ELc78ELb0ELb1ELb0EPKfKS4_KPfEEviiiT16_PT17_ilSA_ilS8_SA_ilPT18_ili26rocblas_geam_ex_operation_.private_seg_size, 0
	.set _ZN12_GLOBAL__N_120geam_min_plus_kernelIf15HIP_vector_typeIfLj2EES2_Li8ELi32ELi64ELi128ELi4ELi64ELi4ELi4ELi64ELc78ELc78ELb0ELb1ELb0EPKfKS4_KPfEEviiiT16_PT17_ilSA_ilS8_SA_ilPT18_ili26rocblas_geam_ex_operation_.uses_vcc, 1
	.set _ZN12_GLOBAL__N_120geam_min_plus_kernelIf15HIP_vector_typeIfLj2EES2_Li8ELi32ELi64ELi128ELi4ELi64ELi4ELi4ELi64ELc78ELc78ELb0ELb1ELb0EPKfKS4_KPfEEviiiT16_PT17_ilSA_ilS8_SA_ilPT18_ili26rocblas_geam_ex_operation_.uses_flat_scratch, 0
	.set _ZN12_GLOBAL__N_120geam_min_plus_kernelIf15HIP_vector_typeIfLj2EES2_Li8ELi32ELi64ELi128ELi4ELi64ELi4ELi4ELi64ELc78ELc78ELb0ELb1ELb0EPKfKS4_KPfEEviiiT16_PT17_ilSA_ilS8_SA_ilPT18_ili26rocblas_geam_ex_operation_.has_dyn_sized_stack, 0
	.set _ZN12_GLOBAL__N_120geam_min_plus_kernelIf15HIP_vector_typeIfLj2EES2_Li8ELi32ELi64ELi128ELi4ELi64ELi4ELi4ELi64ELc78ELc78ELb0ELb1ELb0EPKfKS4_KPfEEviiiT16_PT17_ilSA_ilS8_SA_ilPT18_ili26rocblas_geam_ex_operation_.has_recursion, 0
	.set _ZN12_GLOBAL__N_120geam_min_plus_kernelIf15HIP_vector_typeIfLj2EES2_Li8ELi32ELi64ELi128ELi4ELi64ELi4ELi4ELi64ELc78ELc78ELb0ELb1ELb0EPKfKS4_KPfEEviiiT16_PT17_ilSA_ilS8_SA_ilPT18_ili26rocblas_geam_ex_operation_.has_indirect_call, 0
	.section	.AMDGPU.csdata,"",@progbits
; Kernel info:
; codeLenInByte = 9236
; TotalNumSgprs: 31
; NumVgprs: 152
; ScratchSize: 0
; MemoryBound: 0
; FloatMode: 240
; IeeeMode: 1
; LDSByteSize: 6144 bytes/workgroup (compile time only)
; SGPRBlocks: 0
; VGPRBlocks: 18
; NumSGPRsForWavesPerEU: 31
; NumVGPRsForWavesPerEU: 152
; Occupancy: 6
; WaveLimiterHint : 1
; COMPUTE_PGM_RSRC2:SCRATCH_EN: 0
; COMPUTE_PGM_RSRC2:USER_SGPR: 6
; COMPUTE_PGM_RSRC2:TRAP_HANDLER: 0
; COMPUTE_PGM_RSRC2:TGID_X_EN: 1
; COMPUTE_PGM_RSRC2:TGID_Y_EN: 0
; COMPUTE_PGM_RSRC2:TGID_Z_EN: 1
; COMPUTE_PGM_RSRC2:TIDIG_COMP_CNT: 1
	.section	.text._ZN12_GLOBAL__N_120geam_min_plus_kernelIf15HIP_vector_typeIfLj2EES2_Li8ELi32ELi64ELi128ELi4ELi64ELi4ELi4ELi64ELc78ELc78ELb1ELb1ELb0EfKPKfKPfEEviiiT16_PT17_ilSA_ilS8_SA_ilPT18_ili26rocblas_geam_ex_operation_,"axG",@progbits,_ZN12_GLOBAL__N_120geam_min_plus_kernelIf15HIP_vector_typeIfLj2EES2_Li8ELi32ELi64ELi128ELi4ELi64ELi4ELi4ELi64ELc78ELc78ELb1ELb1ELb0EfKPKfKPfEEviiiT16_PT17_ilSA_ilS8_SA_ilPT18_ili26rocblas_geam_ex_operation_,comdat
	.globl	_ZN12_GLOBAL__N_120geam_min_plus_kernelIf15HIP_vector_typeIfLj2EES2_Li8ELi32ELi64ELi128ELi4ELi64ELi4ELi4ELi64ELc78ELc78ELb1ELb1ELb0EfKPKfKPfEEviiiT16_PT17_ilSA_ilS8_SA_ilPT18_ili26rocblas_geam_ex_operation_ ; -- Begin function _ZN12_GLOBAL__N_120geam_min_plus_kernelIf15HIP_vector_typeIfLj2EES2_Li8ELi32ELi64ELi128ELi4ELi64ELi4ELi4ELi64ELc78ELc78ELb1ELb1ELb0EfKPKfKPfEEviiiT16_PT17_ilSA_ilS8_SA_ilPT18_ili26rocblas_geam_ex_operation_
	.p2align	8
	.type	_ZN12_GLOBAL__N_120geam_min_plus_kernelIf15HIP_vector_typeIfLj2EES2_Li8ELi32ELi64ELi128ELi4ELi64ELi4ELi4ELi64ELc78ELc78ELb1ELb1ELb0EfKPKfKPfEEviiiT16_PT17_ilSA_ilS8_SA_ilPT18_ili26rocblas_geam_ex_operation_,@function
_ZN12_GLOBAL__N_120geam_min_plus_kernelIf15HIP_vector_typeIfLj2EES2_Li8ELi32ELi64ELi128ELi4ELi64ELi4ELi4ELi64ELc78ELc78ELb1ELb1ELb0EfKPKfKPfEEviiiT16_PT17_ilSA_ilS8_SA_ilPT18_ili26rocblas_geam_ex_operation_: ; @_ZN12_GLOBAL__N_120geam_min_plus_kernelIf15HIP_vector_typeIfLj2EES2_Li8ELi32ELi64ELi128ELi4ELi64ELi4ELi4ELi64ELc78ELc78ELb1ELb1ELb0EfKPKfKPfEEviiiT16_PT17_ilSA_ilS8_SA_ilPT18_ili26rocblas_geam_ex_operation_
; %bb.0:
	s_clause 0x1
	s_load_dwordx4 s[12:15], s[4:5], 0x0
	s_load_dwordx4 s[0:3], s[4:5], 0x20
	s_mov_b32 s18, s7
	s_mov_b32 s19, 0
	s_waitcnt lgkmcnt(0)
	v_cmp_eq_f32_e64 s7, s15, 0
	s_and_b32 vcc_lo, exec_lo, s7
	s_cbranch_vccnz .LBB31_3
; %bb.1:
	s_load_dwordx2 s[8:9], s[4:5], 0x10
	s_lshl_b64 s[10:11], s[18:19], 3
	s_waitcnt lgkmcnt(0)
	s_add_u32 s8, s8, s10
	s_addc_u32 s9, s9, s11
	s_lshl_b64 s[0:1], s[0:1], 2
	s_load_dwordx2 s[8:9], s[8:9], 0x0
	s_waitcnt lgkmcnt(0)
	s_add_u32 s16, s8, s0
	s_addc_u32 s17, s9, s1
	s_andn2_b32 vcc_lo, exec_lo, s7
	s_cbranch_vccnz .LBB31_4
.LBB31_2:
	s_mov_b32 s21, 0
	s_mov_b32 s20, s18
	;; [unrolled: 1-line block ×3, first 2 shown]
	s_mov_b64 s[10:11], 0
	s_andn2_b32 vcc_lo, exec_lo, s0
	s_mov_b64 s[8:9], 0
	s_cbranch_vccz .LBB31_5
	s_branch .LBB31_6
.LBB31_3:
	s_mov_b64 s[16:17], 0
	s_andn2_b32 vcc_lo, exec_lo, s7
	s_cbranch_vccz .LBB31_2
.LBB31_4:
	s_mov_b64 s[20:21], s[18:19]
	s_mov_b64 s[10:11], 0
	;; [unrolled: 1-line block ×3, first 2 shown]
.LBB31_5:
	s_lshl_b64 s[0:1], s[18:19], 3
	s_load_dwordx2 s[8:9], s[4:5], 0x38
	s_add_u32 s0, s2, s0
	s_addc_u32 s1, s3, s1
	s_load_dwordx2 s[0:1], s[0:1], 0x0
	s_waitcnt lgkmcnt(0)
	s_lshl_b64 s[2:3], s[8:9], 2
	s_add_u32 s8, s0, s2
	s_addc_u32 s9, s1, s3
.LBB31_6:
	s_clause 0x1
	s_load_dword s15, s[4:5], 0x40
	s_load_dwordx4 s[0:3], s[4:5], 0x58
	s_waitcnt lgkmcnt(0)
	v_cmp_eq_f32_e64 s7, s15, 0
	v_cmp_neq_f32_e64 s22, s15, 0
	s_and_b32 vcc_lo, exec_lo, s7
	s_cbranch_vccnz .LBB31_8
; %bb.7:
	s_load_dwordx2 s[10:11], s[4:5], 0x48
	s_lshl_b64 s[18:19], s[20:21], 3
	s_waitcnt lgkmcnt(0)
	s_add_u32 s10, s10, s18
	s_addc_u32 s11, s11, s19
	s_lshl_b64 s[0:1], s[0:1], 2
	s_load_dwordx2 s[10:11], s[10:11], 0x0
	s_waitcnt lgkmcnt(0)
	s_add_u32 s10, s10, s0
	s_addc_u32 s11, s11, s1
.LBB31_8:
	s_load_dword s23, s[4:5], 0x18
	s_lshl_b64 s[0:1], s[20:21], 3
	v_lshl_add_u32 v4, v1, 3, v0
	v_mov_b32_e32 v8, 0
	v_mov_b32_e32 v10, 0
	v_and_b32_e32 v9, 63, v4
	v_lshrrev_b32_e32 v72, 6, v4
	s_waitcnt lgkmcnt(0)
	s_ashr_i32 s21, s23, 31
	s_add_u32 s18, s2, s0
	s_addc_u32 s19, s3, s1
	s_add_i32 s0, s12, -1
	s_ashr_i32 s1, s0, 31
	s_lshr_b32 s1, s1, 26
	s_add_i32 s0, s0, s1
	s_ashr_i32 s0, s0, 6
	s_add_i32 s1, s0, 1
	s_not_b32 s0, s0
	v_cvt_f32_u32_e32 v2, s1
	v_rcp_iflag_f32_e32 v2, v2
	v_mul_f32_e32 v2, 0x4f7ffffe, v2
	v_cvt_u32_f32_e32 v2, v2
	v_readfirstlane_b32 s2, v2
	s_mul_i32 s0, s0, s2
	s_mul_hi_u32 s0, s2, s0
	s_add_i32 s2, s2, s0
	s_mul_hi_u32 s0, s6, s2
	s_mul_i32 s2, s0, s1
	s_add_i32 s3, s0, 1
	s_sub_i32 s2, s6, s2
	s_sub_i32 s7, s2, s1
	s_cmp_ge_u32 s2, s1
	s_cselect_b32 s0, s3, s0
	s_cselect_b32 s2, s7, s2
	s_add_i32 s3, s0, 1
	s_cmp_ge_u32 s2, s1
	s_cselect_b32 s2, s3, s0
	s_mul_i32 s0, s2, s1
	s_sub_i32 s0, s6, s0
	s_lshl_b32 s3, s0, 6
	v_cmp_gt_i32_e64 s0, s14, v72
	v_or_b32_e32 v2, s3, v9
	v_cmp_gt_i32_e64 s1, s12, v2
	v_ashrrev_i32_e32 v3, 31, v2
	v_cmp_le_i32_e32 vcc_lo, s12, v2
	s_and_b32 s0, s0, s1
	s_and_saveexec_b32 s1, s0
	s_cbranch_execz .LBB31_10
; %bb.9:
	v_mad_i64_i32 v[5:6], null, s23, v72, 0
	v_lshlrev_b64 v[10:11], 2, v[2:3]
	v_lshlrev_b64 v[5:6], 2, v[5:6]
	v_add_co_u32 v5, s0, s16, v5
	v_add_co_ci_u32_e64 v6, null, s17, v6, s0
	v_add_co_u32 v5, s0, v5, v10
	v_add_co_ci_u32_e64 v6, null, v6, v11, s0
	flat_load_dword v10, v[5:6]
.LBB31_10:
	s_or_b32 exec_lo, exec_lo, s1
	s_load_dword s25, s[4:5], 0x30
	v_lshrrev_b32_e32 v5, 2, v4
	v_and_b32_e32 v73, 3, v0
	s_lshl_b32 s20, s2, 7
	v_add_nc_u32_e32 v4, s20, v5
	v_lshlrev_b32_e32 v6, 2, v73
	v_cmp_le_i32_e64 s2, s14, v73
	v_cmp_le_i32_e64 s0, s13, v4
	v_add_co_u32 v11, s1, s8, v6
	v_add_co_ci_u32_e64 v12, null, s9, 0, s1
	s_nor_b32 s1, s2, s0
	s_and_saveexec_b32 s6, s1
	s_cbranch_execz .LBB31_12
; %bb.11:
	s_waitcnt lgkmcnt(0)
	v_mad_i64_i32 v[7:8], null, v4, s25, 0
	v_lshlrev_b64 v[7:8], 2, v[7:8]
	v_add_co_u32 v7, s1, v11, v7
	v_add_co_ci_u32_e64 v8, null, v12, v8, s1
	flat_load_dword v8, v[7:8]
.LBB31_12:
	s_or_b32 exec_lo, exec_lo, s6
	v_add_nc_u32_e32 v7, 64, v4
	v_mov_b32_e32 v78, 0
	v_mov_b32_e32 v13, 0
	v_cmp_le_i32_e64 s1, s13, v7
	s_nor_b32 s2, s2, s1
	s_and_saveexec_b32 s6, s2
	s_cbranch_execz .LBB31_14
; %bb.13:
	s_waitcnt lgkmcnt(0)
	v_mad_i64_i32 v[13:14], null, v7, s25, 0
	v_lshlrev_b64 v[13:14], 2, v[13:14]
	v_add_co_u32 v13, s2, v11, v13
	v_add_co_ci_u32_e64 v14, null, v12, v14, s2
	flat_load_dword v13, v[13:14]
.LBB31_14:
	s_or_b32 exec_lo, exec_lo, s6
	v_add_nc_u32_e32 v14, 4, v72
	s_xor_b32 s24, vcc_lo, -1
	v_cmp_gt_i32_e64 s2, s14, v14
	s_and_b32 s6, s24, s2
	s_and_saveexec_b32 s2, s6
	s_cbranch_execz .LBB31_16
; %bb.15:
	v_mad_u64_u32 v[15:16], null, s23, v14, 0
	v_mad_u64_u32 v[16:17], null, s21, v14, v[16:17]
	v_lshlrev_b64 v[14:15], 2, v[15:16]
	v_lshlrev_b64 v[16:17], 2, v[2:3]
	v_add_co_u32 v14, vcc_lo, s16, v14
	v_add_co_ci_u32_e64 v15, null, s17, v15, vcc_lo
	v_add_co_u32 v14, vcc_lo, v14, v16
	v_add_co_ci_u32_e64 v15, null, v15, v17, vcc_lo
	flat_load_dword v78, v[14:15]
.LBB31_16:
	s_or_b32 exec_lo, exec_lo, s2
	v_or_b32_e32 v14, 4, v73
	v_mov_b32_e32 v80, 0
	v_mov_b32_e32 v81, 0
	v_cmp_le_i32_e32 vcc_lo, s14, v14
	s_nor_b32 s2, vcc_lo, s0
	s_and_saveexec_b32 s6, s2
	s_cbranch_execz .LBB31_18
; %bb.17:
	s_waitcnt lgkmcnt(0)
	v_mad_i64_i32 v[14:15], null, v4, s25, 0
	v_lshlrev_b64 v[14:15], 2, v[14:15]
	v_add_co_u32 v14, s2, v11, v14
	v_add_co_ci_u32_e64 v15, null, v12, v15, s2
	flat_load_dword v81, v[14:15] offset:16
.LBB31_18:
	s_or_b32 exec_lo, exec_lo, s6
	s_load_dwordx2 s[6:7], s[18:19], 0x0
	s_nor_b32 s18, vcc_lo, s1
	s_and_saveexec_b32 s2, s18
	s_cbranch_execz .LBB31_20
; %bb.19:
	s_waitcnt lgkmcnt(0)
	v_mad_i64_i32 v[14:15], null, v7, s25, 0
	v_lshlrev_b64 v[14:15], 2, v[14:15]
	v_add_co_u32 v11, vcc_lo, v11, v14
	v_add_co_ci_u32_e64 v12, null, v12, v15, vcc_lo
	flat_load_dword v80, v[11:12] offset:16
.LBB31_20:
	s_or_b32 exec_lo, exec_lo, s2
	v_lshlrev_b32_e32 v9, 4, v9
	v_lshlrev_b32_e32 v11, 4, v5
	v_mov_b32_e32 v70, 0
	v_lshl_or_b32 v75, v0, 4, 0x1000
	v_lshlrev_b32_e32 v76, 4, v1
	v_lshl_add_u32 v82, v72, 2, v9
	v_lshl_or_b32 v74, v73, 2, v11
	v_mov_b32_e32 v71, v70
	v_mov_b32_e32 v68, v70
	;; [unrolled: 1-line block ×3, first 2 shown]
	v_or_b32_e32 v77, 0x1000, v82
	s_waitcnt vmcnt(0) lgkmcnt(0)
	ds_write_b32 v82, v10 offset:4096
	ds_write2st64_b32 v74, v8, v13 offset1:4
	v_mov_b32_e32 v8, v70
	v_mov_b32_e32 v9, v70
	;; [unrolled: 1-line block ×60, first 2 shown]
	s_mov_b32 s18, 0
	s_mov_b32 s2, -1
	s_waitcnt lgkmcnt(0)
	s_barrier
	buffer_gl0_inv
.LBB31_21:                              ; =>This Inner Loop Header: Depth=1
	s_lshl_b32 s18, s18, 2
	v_cndmask_b32_e64 v79, 0, 1, s2
	v_add_nc_u32_e32 v95, s18, v75
	v_add_nc_u32_e32 v103, s18, v76
	s_mov_b32 s2, 0
	s_mov_b32 s18, 2
	v_cmp_ne_u32_e32 vcc_lo, 1, v79
	ds_read2_b64 v[83:86], v95 offset1:16
	ds_read2_b64 v[87:90], v95 offset0:32 offset1:48
	ds_read2_b64 v[91:94], v95 offset0:64 offset1:80
	;; [unrolled: 1-line block ×3, first 2 shown]
	ds_read2st64_b64 v[99:102], v103 offset1:1
	ds_read2st64_b64 v[103:106], v103 offset0:2 offset1:3
	s_and_b32 vcc_lo, exec_lo, vcc_lo
	s_waitcnt lgkmcnt(5)
	v_max_f32_e32 v79, v83, v83
	v_max_f32_e32 v83, v84, v84
	v_max_f32_e32 v84, v85, v85
	v_max_f32_e32 v85, v86, v86
	s_waitcnt lgkmcnt(4)
	v_max_f32_e32 v86, v87, v87
	v_max_f32_e32 v87, v88, v88
	v_max_f32_e32 v88, v89, v89
	v_max_f32_e32 v89, v90, v90
	;; [unrolled: 5-line block ×6, first 2 shown]
	v_min_f32_e32 v106, v79, v98
	v_min_f32_e32 v107, v84, v98
	;; [unrolled: 1-line block ×64, first 2 shown]
	v_add_f32_e32 v71, v71, v104
	v_add_f32_e32 v70, v70, v106
	;; [unrolled: 1-line block ×64, first 2 shown]
	s_cbranch_vccz .LBB31_21
; %bb.22:
	v_lshl_or_b32 v5, v5, 4, v6
	ds_write_b32 v82, v78 offset:5120
	v_lshl_add_u32 v78, v0, 4, 0x1400
	v_lshl_add_u32 v79, v1, 4, 0x800
	s_cmp_lt_i32 s14, 9
	ds_write2st64_b32 v5, v81, v80 offset0:8 offset1:12
	s_waitcnt lgkmcnt(0)
	s_barrier
	buffer_gl0_inv
	s_cbranch_scc1 .LBB31_41
; %bb.23:
	v_lshlrev_b64 v[2:3], 2, v[2:3]
	v_mad_i64_i32 v[84:85], null, v4, s25, 0
	v_mad_i64_i32 v[6:7], null, v7, s25, 0
	v_add_nc_u32_e32 v80, 0x1400, v82
	v_add_co_u32 v82, vcc_lo, s16, v2
	v_add_nc_u32_e32 v81, 0x800, v5
	v_add_co_ci_u32_e64 v83, null, s17, v3, vcc_lo
	v_lshlrev_b64 v[2:3], 2, v[84:85]
	v_lshlrev_b64 v[4:5], 2, v[6:7]
	v_mov_b32_e32 v7, 0
	s_add_i32 s16, s14, -8
	s_mov_b32 s17, 8
	s_mov_b32 s18, 0
.LBB31_24:                              ; =>This Loop Header: Depth=1
                                        ;     Child Loop BB31_31 Depth 2
                                        ;     Child Loop BB31_39 Depth 2
	v_add_nc_u32_e32 v6, s17, v72
	v_mov_b32_e32 v86, 0
	v_cmp_gt_i32_e32 vcc_lo, s14, v6
	s_and_b32 s19, s24, vcc_lo
	s_and_saveexec_b32 s2, s19
	s_cbranch_execz .LBB31_26
; %bb.25:                               ;   in Loop: Header=BB31_24 Depth=1
	v_mad_u64_u32 v[84:85], null, v6, s23, 0
	v_mad_u64_u32 v[85:86], null, v6, s21, v[85:86]
	v_lshlrev_b64 v[84:85], 2, v[84:85]
	v_add_co_u32 v84, vcc_lo, v82, v84
	v_add_co_ci_u32_e64 v85, null, v83, v85, vcc_lo
	flat_load_dword v86, v[84:85]
.LBB31_26:                              ;   in Loop: Header=BB31_24 Depth=1
	s_or_b32 exec_lo, exec_lo, s2
	v_or_b32_e32 v6, s17, v73
	v_mov_b32_e32 v87, 0
	v_mov_b32_e32 v88, 0
	v_lshlrev_b64 v[84:85], 2, v[6:7]
	v_cmp_le_i32_e32 vcc_lo, s14, v6
	v_add_co_u32 v84, s2, s8, v84
	v_add_co_ci_u32_e64 v85, null, s9, v85, s2
	s_nor_b32 s2, s0, vcc_lo
	s_and_saveexec_b32 s19, s2
	s_cbranch_execz .LBB31_28
; %bb.27:                               ;   in Loop: Header=BB31_24 Depth=1
	v_add_co_u32 v88, s2, v84, v2
	v_add_co_ci_u32_e64 v89, null, v85, v3, s2
	flat_load_dword v88, v[88:89]
.LBB31_28:                              ;   in Loop: Header=BB31_24 Depth=1
	s_or_b32 exec_lo, exec_lo, s19
	s_nor_b32 s19, s1, vcc_lo
	s_and_saveexec_b32 s2, s19
	s_cbranch_execz .LBB31_30
; %bb.29:                               ;   in Loop: Header=BB31_24 Depth=1
	v_add_co_u32 v89, vcc_lo, v84, v4
	v_add_co_ci_u32_e64 v90, null, v85, v5, vcc_lo
	flat_load_dword v87, v[89:90]
.LBB31_30:                              ;   in Loop: Header=BB31_24 Depth=1
	s_or_b32 exec_lo, exec_lo, s2
	s_mov_b32 s19, 0
	s_mov_b32 s2, -1
.LBB31_31:                              ;   Parent Loop BB31_24 Depth=1
                                        ; =>  This Inner Loop Header: Depth=2
	s_lshl_b32 s19, s19, 2
	v_cndmask_b32_e64 v89, 0, 1, s2
	v_add_nc_u32_e32 v109, s19, v79
	v_add_nc_u32_e32 v105, s19, v78
	s_mov_b32 s2, 0
	s_mov_b32 s19, 2
	v_cmp_ne_u32_e32 vcc_lo, 1, v89
	ds_read2st64_b64 v[89:92], v109 offset1:1
	ds_read2_b64 v[93:96], v105 offset1:16
	ds_read2_b64 v[97:100], v105 offset0:32 offset1:48
	ds_read2_b64 v[101:104], v105 offset0:64 offset1:80
	;; [unrolled: 1-line block ×3, first 2 shown]
	ds_read2st64_b64 v[109:112], v109 offset0:2 offset1:3
	s_and_b32 vcc_lo, exec_lo, vcc_lo
	s_waitcnt lgkmcnt(5)
	v_max_f32_e32 v89, v89, v89
	s_waitcnt lgkmcnt(4)
	v_max_f32_e32 v93, v93, v93
	v_max_f32_e32 v90, v90, v90
	;; [unrolled: 1-line block ×5, first 2 shown]
	s_waitcnt lgkmcnt(3)
	v_max_f32_e32 v97, v97, v97
	v_max_f32_e32 v98, v98, v98
	v_max_f32_e32 v99, v99, v99
	v_max_f32_e32 v100, v100, v100
	s_waitcnt lgkmcnt(2)
	v_max_f32_e32 v101, v101, v101
	v_max_f32_e32 v102, v102, v102
	v_max_f32_e32 v103, v103, v103
	v_max_f32_e32 v104, v104, v104
	;; [unrolled: 5-line block ×3, first 2 shown]
	v_max_f32_e32 v91, v91, v91
	v_max_f32_e32 v92, v92, v92
	s_waitcnt lgkmcnt(0)
	v_max_f32_e32 v109, v109, v109
	v_max_f32_e32 v110, v110, v110
	;; [unrolled: 1-line block ×4, first 2 shown]
	v_min_f32_e32 v113, v93, v89
	v_min_f32_e32 v114, v94, v90
	v_min_f32_e32 v115, v95, v89
	v_min_f32_e32 v116, v96, v90
	v_min_f32_e32 v117, v97, v89
	v_min_f32_e32 v118, v98, v90
	v_min_f32_e32 v119, v99, v89
	v_min_f32_e32 v120, v100, v90
	v_min_f32_e32 v121, v101, v89
	v_min_f32_e32 v122, v102, v90
	v_min_f32_e32 v123, v103, v89
	v_min_f32_e32 v124, v104, v90
	v_min_f32_e32 v125, v105, v89
	v_min_f32_e32 v126, v106, v90
	v_min_f32_e32 v89, v107, v89
	v_min_f32_e32 v90, v108, v90
	v_min_f32_e32 v127, v93, v91
	v_min_f32_e32 v128, v94, v92
	v_min_f32_e32 v129, v95, v91
	v_min_f32_e32 v130, v96, v92
	v_min_f32_e32 v131, v97, v91
	v_min_f32_e32 v132, v98, v92
	v_min_f32_e32 v133, v99, v91
	v_min_f32_e32 v134, v100, v92
	v_min_f32_e32 v135, v101, v91
	v_min_f32_e32 v136, v102, v92
	v_min_f32_e32 v137, v103, v91
	v_min_f32_e32 v138, v104, v92
	v_min_f32_e32 v139, v105, v91
	v_min_f32_e32 v140, v106, v92
	v_min_f32_e32 v91, v107, v91
	v_min_f32_e32 v92, v108, v92
	v_min_f32_e32 v141, v93, v109
	v_min_f32_e32 v142, v94, v110
	v_min_f32_e32 v143, v95, v109
	v_min_f32_e32 v144, v96, v110
	v_min_f32_e32 v145, v97, v109
	v_min_f32_e32 v146, v98, v110
	v_min_f32_e32 v147, v99, v109
	v_min_f32_e32 v148, v100, v110
	v_min_f32_e32 v149, v101, v109
	v_min_f32_e32 v150, v102, v110
	v_min_f32_e32 v151, v103, v109
	v_min_f32_e32 v152, v104, v110
	v_min_f32_e32 v153, v105, v109
	v_min_f32_e32 v154, v106, v110
	v_min_f32_e32 v109, v107, v109
	v_min_f32_e32 v110, v108, v110
	v_min_f32_e32 v93, v93, v111
	v_min_f32_e32 v94, v94, v112
	v_min_f32_e32 v95, v95, v111
	v_min_f32_e32 v96, v96, v112
	v_min_f32_e32 v97, v97, v111
	v_min_f32_e32 v98, v98, v112
	v_min_f32_e32 v99, v99, v111
	v_min_f32_e32 v100, v100, v112
	v_min_f32_e32 v101, v101, v111
	v_min_f32_e32 v102, v102, v112
	v_min_f32_e32 v103, v103, v111
	v_min_f32_e32 v104, v104, v112
	v_min_f32_e32 v105, v105, v111
	v_min_f32_e32 v106, v106, v112
	v_min_f32_e32 v107, v107, v111
	v_min_f32_e32 v108, v108, v112
	v_add_f32_e32 v71, v71, v114
	v_add_f32_e32 v70, v70, v113
	;; [unrolled: 1-line block ×64, first 2 shown]
	s_cbranch_vccz .LBB31_31
; %bb.32:                               ;   in Loop: Header=BB31_24 Depth=1
	v_add3_u32 v89, v72, s17, 4
	s_waitcnt vmcnt(0)
	ds_write_b32 v77, v86
	ds_write2st64_b32 v74, v88, v87 offset1:4
	v_mov_b32_e32 v86, 0
	v_mov_b32_e32 v87, 0
	s_waitcnt lgkmcnt(0)
	v_cmp_gt_i32_e32 vcc_lo, s14, v89
	s_barrier
	buffer_gl0_inv
	s_and_b32 s19, s24, vcc_lo
	s_and_saveexec_b32 s2, s19
	s_cbranch_execz .LBB31_34
; %bb.33:                               ;   in Loop: Header=BB31_24 Depth=1
	v_mad_u64_u32 v[87:88], null, v89, s23, 0
	v_mad_u64_u32 v[88:89], null, v89, s21, v[88:89]
	v_lshlrev_b64 v[87:88], 2, v[87:88]
	v_add_co_u32 v87, vcc_lo, v82, v87
	v_add_co_ci_u32_e64 v88, null, v83, v88, vcc_lo
	flat_load_dword v87, v[87:88]
.LBB31_34:                              ;   in Loop: Header=BB31_24 Depth=1
	s_or_b32 exec_lo, exec_lo, s2
	v_or_b32_e32 v6, 4, v6
	v_cmp_le_i32_e32 vcc_lo, s14, v6
	s_nor_b32 s2, s0, vcc_lo
	s_and_saveexec_b32 s19, s2
	s_cbranch_execz .LBB31_36
; %bb.35:                               ;   in Loop: Header=BB31_24 Depth=1
	v_add_co_u32 v88, s2, v84, v2
	v_add_co_ci_u32_e64 v89, null, v85, v3, s2
	flat_load_dword v86, v[88:89] offset:16
.LBB31_36:                              ;   in Loop: Header=BB31_24 Depth=1
	s_or_b32 exec_lo, exec_lo, s19
	v_mov_b32_e32 v6, 0
	s_nor_b32 s19, s1, vcc_lo
	s_and_saveexec_b32 s2, s19
	s_cbranch_execz .LBB31_38
; %bb.37:                               ;   in Loop: Header=BB31_24 Depth=1
	v_add_co_u32 v84, vcc_lo, v84, v4
	v_add_co_ci_u32_e64 v85, null, v85, v5, vcc_lo
	flat_load_dword v6, v[84:85] offset:16
.LBB31_38:                              ;   in Loop: Header=BB31_24 Depth=1
	s_or_b32 exec_lo, exec_lo, s2
	s_mov_b32 s19, 0
	s_mov_b32 s2, -1
.LBB31_39:                              ;   Parent Loop BB31_24 Depth=1
                                        ; =>  This Inner Loop Header: Depth=2
	s_lshl_b32 s19, s19, 2
	v_cndmask_b32_e64 v84, 0, 1, s2
	v_add_nc_u32_e32 v85, s19, v76
	v_add_nc_u32_e32 v104, s19, v75
	s_mov_b32 s2, 0
	s_mov_b32 s19, 2
	v_cmp_ne_u32_e32 vcc_lo, 1, v84
	ds_read2st64_b64 v[88:91], v85 offset1:1
	ds_read2_b64 v[92:95], v104 offset1:16
	ds_read2_b64 v[96:99], v104 offset0:32 offset1:48
	ds_read2_b64 v[100:103], v104 offset0:64 offset1:80
	;; [unrolled: 1-line block ×3, first 2 shown]
	ds_read2st64_b64 v[108:111], v85 offset0:2 offset1:3
	s_and_b32 vcc_lo, exec_lo, vcc_lo
	s_waitcnt lgkmcnt(5)
	v_max_f32_e32 v84, v88, v88
	s_waitcnt lgkmcnt(4)
	v_max_f32_e32 v85, v92, v92
	v_max_f32_e32 v88, v89, v89
	v_max_f32_e32 v89, v93, v93
	v_max_f32_e32 v92, v94, v94
	v_max_f32_e32 v93, v95, v95
	s_waitcnt lgkmcnt(3)
	v_max_f32_e32 v94, v96, v96
	v_max_f32_e32 v95, v97, v97
	v_max_f32_e32 v96, v98, v98
	v_max_f32_e32 v97, v99, v99
	s_waitcnt lgkmcnt(2)
	v_max_f32_e32 v98, v100, v100
	v_max_f32_e32 v99, v101, v101
	v_max_f32_e32 v100, v102, v102
	v_max_f32_e32 v101, v103, v103
	;; [unrolled: 5-line block ×3, first 2 shown]
	v_max_f32_e32 v90, v90, v90
	v_max_f32_e32 v91, v91, v91
	s_waitcnt lgkmcnt(0)
	v_max_f32_e32 v106, v108, v108
	v_max_f32_e32 v107, v109, v109
	;; [unrolled: 1-line block ×4, first 2 shown]
	v_min_f32_e32 v110, v85, v84
	v_min_f32_e32 v111, v89, v88
	;; [unrolled: 1-line block ×64, first 2 shown]
	v_add_f32_e32 v71, v71, v111
	v_add_f32_e32 v70, v70, v110
	v_add_f32_e32 v69, v69, v113
	v_add_f32_e32 v68, v68, v112
	v_add_f32_e32 v9, v9, v115
	v_add_f32_e32 v8, v8, v114
	v_add_f32_e32 v11, v11, v117
	v_add_f32_e32 v10, v10, v116
	v_add_f32_e32 v13, v13, v119
	v_add_f32_e32 v12, v12, v118
	v_add_f32_e32 v15, v15, v121
	v_add_f32_e32 v14, v14, v120
	v_add_f32_e32 v17, v17, v123
	v_add_f32_e32 v16, v16, v122
	v_add_f32_e32 v67, v67, v88
	v_add_f32_e32 v66, v66, v84
	v_add_f32_e32 v65, v65, v125
	v_add_f32_e32 v64, v64, v124
	v_add_f32_e32 v63, v63, v127
	v_add_f32_e32 v62, v62, v126
	v_add_f32_e32 v61, v61, v129
	v_add_f32_e32 v60, v60, v128
	v_add_f32_e32 v59, v59, v131
	v_add_f32_e32 v58, v58, v130
	v_add_f32_e32 v57, v57, v133
	v_add_f32_e32 v56, v56, v132
	v_add_f32_e32 v55, v55, v135
	v_add_f32_e32 v54, v54, v134
	v_add_f32_e32 v53, v53, v137
	v_add_f32_e32 v52, v52, v136
	v_add_f32_e32 v51, v51, v91
	v_add_f32_e32 v50, v50, v90
	v_add_f32_e32 v49, v49, v139
	v_add_f32_e32 v48, v48, v138
	v_add_f32_e32 v47, v47, v141
	v_add_f32_e32 v46, v46, v140
	v_add_f32_e32 v45, v45, v143
	v_add_f32_e32 v44, v44, v142
	v_add_f32_e32 v43, v43, v145
	v_add_f32_e32 v42, v42, v144
	v_add_f32_e32 v41, v41, v147
	v_add_f32_e32 v40, v40, v146
	v_add_f32_e32 v39, v39, v149
	v_add_f32_e32 v38, v38, v148
	v_add_f32_e32 v37, v37, v151
	v_add_f32_e32 v36, v36, v150
	v_add_f32_e32 v35, v35, v107
	v_add_f32_e32 v34, v34, v106
	v_add_f32_e32 v33, v33, v89
	v_add_f32_e32 v32, v32, v85
	v_add_f32_e32 v31, v31, v93
	v_add_f32_e32 v30, v30, v92
	v_add_f32_e32 v29, v29, v95
	v_add_f32_e32 v28, v28, v94
	v_add_f32_e32 v27, v27, v97
	v_add_f32_e32 v26, v26, v96
	v_add_f32_e32 v25, v25, v99
	v_add_f32_e32 v24, v24, v98
	v_add_f32_e32 v23, v23, v101
	v_add_f32_e32 v22, v22, v100
	v_add_f32_e32 v21, v21, v103
	v_add_f32_e32 v20, v20, v102
	v_add_f32_e32 v19, v19, v105
	v_add_f32_e32 v18, v18, v104
	s_cbranch_vccz .LBB31_39
; %bb.40:                               ;   in Loop: Header=BB31_24 Depth=1
	s_add_i32 s18, s18, 8
	s_add_i32 s17, s17, 8
	s_cmp_ge_i32 s18, s16
	s_waitcnt vmcnt(0)
	ds_write_b32 v80, v87
	ds_write2st64_b32 v81, v86, v6 offset1:4
	s_waitcnt lgkmcnt(0)
	s_barrier
	buffer_gl0_inv
	s_cbranch_scc0 .LBB31_24
.LBB31_41:
	s_mov_b32 s1, 0
	s_mov_b32 s0, -1
.LBB31_42:                              ; =>This Inner Loop Header: Depth=1
	s_lshl_b32 s1, s1, 2
	v_cndmask_b32_e64 v2, 0, 1, s0
	v_add_nc_u32_e32 v6, s1, v79
	v_add_nc_u32_e32 v7, s1, v78
	s_mov_b32 s0, 0
	s_mov_b32 s1, 2
	v_cmp_ne_u32_e32 vcc_lo, 1, v2
	ds_read2st64_b64 v[2:5], v6 offset1:1
	ds_read2_b64 v[72:75], v7 offset1:16
	ds_read2_b64 v[80:83], v7 offset0:32 offset1:48
	ds_read2_b64 v[84:87], v7 offset0:64 offset1:80
	;; [unrolled: 1-line block ×3, first 2 shown]
	ds_read2st64_b64 v[92:95], v6 offset0:2 offset1:3
	s_and_b32 vcc_lo, exec_lo, vcc_lo
	s_waitcnt lgkmcnt(5)
	v_max_f32_e32 v2, v2, v2
	s_waitcnt lgkmcnt(4)
	v_max_f32_e32 v6, v72, v72
	v_max_f32_e32 v3, v3, v3
	;; [unrolled: 1-line block ×5, first 2 shown]
	s_waitcnt lgkmcnt(3)
	v_max_f32_e32 v74, v80, v80
	v_max_f32_e32 v75, v81, v81
	v_max_f32_e32 v76, v82, v82
	v_max_f32_e32 v77, v83, v83
	s_waitcnt lgkmcnt(2)
	v_max_f32_e32 v80, v84, v84
	v_max_f32_e32 v81, v85, v85
	v_max_f32_e32 v82, v86, v86
	v_max_f32_e32 v83, v87, v87
	;; [unrolled: 5-line block ×3, first 2 shown]
	v_max_f32_e32 v4, v4, v4
	v_max_f32_e32 v5, v5, v5
	s_waitcnt lgkmcnt(0)
	v_max_f32_e32 v88, v92, v92
	v_max_f32_e32 v89, v93, v93
	;; [unrolled: 1-line block ×4, first 2 shown]
	v_min_f32_e32 v92, v6, v2
	v_min_f32_e32 v93, v7, v3
	;; [unrolled: 1-line block ×64, first 2 shown]
	v_add_f32_e32 v71, v71, v93
	v_add_f32_e32 v70, v70, v92
	;; [unrolled: 1-line block ×64, first 2 shown]
	s_cbranch_vccz .LBB31_42
; %bb.43:
	s_clause 0x2
	s_load_dword s14, s[4:5], 0x50
	s_load_dword s9, s[4:5], 0x68
	s_load_dwordx2 s[4:5], s[4:5], 0x70
	v_add_nc_u32_e32 v73, s20, v1
	v_add_nc_u32_e32 v0, s3, v0
	v_cndmask_b32_e64 v72, 0, 1, s22
	v_cmp_gt_i32_e64 s8, s13, v73
	v_cmp_gt_i32_e64 s0, s12, v0
	s_waitcnt lgkmcnt(0)
	v_mad_i64_i32 v[1:2], null, v73, s14, 0
	v_mad_i64_i32 v[3:4], null, v73, s9, 0
	s_lshl_b64 s[2:3], s[4:5], 2
	s_add_u32 s16, s6, s2
	s_addc_u32 s17, s7, s3
	v_lshlrev_b64 v[5:6], 2, v[1:2]
	v_ashrrev_i32_e32 v1, 31, v0
	v_lshlrev_b64 v[2:3], 2, v[3:4]
	s_and_b32 s2, s0, s8
	v_add_co_u32 v76, vcc_lo, s10, v5
	v_add_co_ci_u32_e64 v77, null, s11, v6, vcc_lo
	v_add_co_u32 v74, vcc_lo, s16, v2
	v_add_co_ci_u32_e64 v75, null, s17, v3, vcc_lo
	s_and_saveexec_b32 s1, s2
	s_cbranch_execz .LBB31_48
; %bb.44:
	v_lshlrev_b64 v[2:3], 2, v[0:1]
	s_andn2_b32 vcc_lo, exec_lo, s22
	s_cbranch_vccnz .LBB31_46
; %bb.45:
	v_add_co_u32 v4, vcc_lo, v76, v2
	v_add_co_ci_u32_e64 v5, null, v77, v3, vcc_lo
	flat_load_dword v4, v[4:5]
	s_waitcnt vmcnt(0) lgkmcnt(0)
	v_mul_f32_e32 v4, s15, v4
	s_branch .LBB31_47
.LBB31_46:
	v_mov_b32_e32 v4, 0
.LBB31_47:
	v_add_f32_e32 v5, v70, v71
	v_add_co_u32 v2, vcc_lo, v74, v2
	v_add_co_ci_u32_e64 v3, null, v75, v3, vcc_lo
	v_add_f32_e32 v4, v5, v4
	flat_store_dword v[2:3], v4
.LBB31_48:
	s_or_b32 exec_lo, exec_lo, s1
	v_add_nc_u32_e32 v2, 8, v0
	v_cmp_gt_i32_e64 s1, s12, v2
	v_ashrrev_i32_e32 v3, 31, v2
	s_and_b32 s3, s1, s8
	s_and_saveexec_b32 s2, s3
	s_cbranch_execz .LBB31_53
; %bb.49:
	v_cmp_ne_u32_e32 vcc_lo, 1, v72
	v_lshlrev_b64 v[4:5], 2, v[2:3]
	s_cbranch_vccnz .LBB31_51
; %bb.50:
	v_add_co_u32 v6, vcc_lo, v76, v4
	v_add_co_ci_u32_e64 v7, null, v77, v5, vcc_lo
	flat_load_dword v6, v[6:7]
	s_waitcnt vmcnt(0) lgkmcnt(0)
	v_mul_f32_e32 v6, s15, v6
	s_branch .LBB31_52
.LBB31_51:
	v_mov_b32_e32 v6, 0
.LBB31_52:
	v_add_f32_e32 v7, v68, v69
	v_add_co_u32 v4, vcc_lo, v74, v4
	v_add_co_ci_u32_e64 v5, null, v75, v5, vcc_lo
	v_add_f32_e32 v6, v7, v6
	flat_store_dword v[4:5], v6
.LBB31_53:
	s_or_b32 exec_lo, exec_lo, s2
	v_add_nc_u32_e32 v4, 16, v0
	v_cmp_gt_i32_e64 s2, s12, v4
	v_ashrrev_i32_e32 v5, 31, v4
	s_and_b32 s4, s2, s8
	s_and_saveexec_b32 s3, s4
	s_cbranch_execz .LBB31_58
; %bb.54:
	v_cmp_ne_u32_e32 vcc_lo, 1, v72
	v_lshlrev_b64 v[6:7], 2, v[4:5]
	s_cbranch_vccnz .LBB31_56
; %bb.55:
	v_add_co_u32 v68, vcc_lo, v76, v6
	v_add_co_ci_u32_e64 v69, null, v77, v7, vcc_lo
	flat_load_dword v68, v[68:69]
	s_waitcnt vmcnt(0) lgkmcnt(0)
	v_mul_f32_e32 v68, s15, v68
	s_branch .LBB31_57
.LBB31_56:
	v_mov_b32_e32 v68, 0
.LBB31_57:
	v_add_f32_e32 v8, v8, v9
	v_add_co_u32 v6, vcc_lo, v74, v6
	v_add_co_ci_u32_e64 v7, null, v75, v7, vcc_lo
	v_add_f32_e32 v8, v8, v68
	flat_store_dword v[6:7], v8
.LBB31_58:
	;; [unrolled: 27-line block ×7, first 2 shown]
	s_or_b32 exec_lo, exec_lo, s8
	v_add_nc_u32_e32 v68, 32, v73
	v_mad_i64_i32 v[16:17], null, v68, s14, 0
	v_mad_i64_i32 v[66:67], null, v68, s9, 0
	v_cmp_gt_i32_e64 s8, s13, v68
	v_lshlrev_b64 v[16:17], 2, v[16:17]
	s_and_b32 s18, s0, s8
	v_lshlrev_b64 v[66:67], 2, v[66:67]
	v_add_co_u32 v68, vcc_lo, s10, v16
	v_add_co_ci_u32_e64 v69, null, s11, v17, vcc_lo
	v_add_co_u32 v66, vcc_lo, s16, v66
	v_add_co_ci_u32_e64 v67, null, s17, v67, vcc_lo
	s_and_saveexec_b32 s12, s18
	s_cbranch_execnz .LBB31_91
; %bb.84:
	s_or_b32 exec_lo, exec_lo, s12
	s_and_b32 s18, s1, s8
	s_and_saveexec_b32 s12, s18
	s_cbranch_execnz .LBB31_95
.LBB31_85:
	s_or_b32 exec_lo, exec_lo, s12
	s_and_b32 s18, s2, s8
	s_and_saveexec_b32 s12, s18
	s_cbranch_execnz .LBB31_99
.LBB31_86:
	s_or_b32 exec_lo, exec_lo, s12
	s_and_b32 s18, s3, s8
	s_and_saveexec_b32 s12, s18
	s_cbranch_execnz .LBB31_103
.LBB31_87:
	s_or_b32 exec_lo, exec_lo, s12
	s_and_b32 s18, s4, s8
	s_and_saveexec_b32 s12, s18
	s_cbranch_execnz .LBB31_107
.LBB31_88:
	s_or_b32 exec_lo, exec_lo, s12
	s_and_b32 s18, s5, s8
	s_and_saveexec_b32 s12, s18
	s_cbranch_execnz .LBB31_111
.LBB31_89:
	s_or_b32 exec_lo, exec_lo, s12
	s_and_b32 s18, s6, s8
	s_and_saveexec_b32 s12, s18
	s_cbranch_execnz .LBB31_115
.LBB31_90:
	s_or_b32 exec_lo, exec_lo, s12
	s_and_b32 s12, s7, s8
	s_and_saveexec_b32 s8, s12
	s_cbranch_execnz .LBB31_119
	s_branch .LBB31_123
.LBB31_91:
	v_cmp_ne_u32_e32 vcc_lo, 1, v72
	v_lshlrev_b64 v[16:17], 2, v[0:1]
	s_cbranch_vccnz .LBB31_93
; %bb.92:
	v_add_co_u32 v70, vcc_lo, v68, v16
	v_add_co_ci_u32_e64 v71, null, v69, v17, vcc_lo
	flat_load_dword v70, v[70:71]
	s_waitcnt vmcnt(0) lgkmcnt(0)
	v_mul_f32_e32 v70, s15, v70
	s_branch .LBB31_94
.LBB31_93:
	v_mov_b32_e32 v70, 0
.LBB31_94:
	v_add_f32_e32 v64, v64, v65
	v_add_co_u32 v16, vcc_lo, v66, v16
	v_add_co_ci_u32_e64 v17, null, v67, v17, vcc_lo
	v_add_f32_e32 v64, v64, v70
	flat_store_dword v[16:17], v64
	s_or_b32 exec_lo, exec_lo, s12
	s_and_b32 s18, s1, s8
	s_and_saveexec_b32 s12, s18
	s_cbranch_execz .LBB31_85
.LBB31_95:
	v_cmp_ne_u32_e32 vcc_lo, 1, v72
	v_lshlrev_b64 v[16:17], 2, v[2:3]
	s_cbranch_vccnz .LBB31_97
; %bb.96:
	v_add_co_u32 v64, vcc_lo, v68, v16
	v_add_co_ci_u32_e64 v65, null, v69, v17, vcc_lo
	flat_load_dword v64, v[64:65]
	s_waitcnt vmcnt(0) lgkmcnt(0)
	v_mul_f32_e32 v64, s15, v64
	s_branch .LBB31_98
.LBB31_97:
	v_mov_b32_e32 v64, 0
.LBB31_98:
	v_add_f32_e32 v62, v62, v63
	v_add_co_u32 v16, vcc_lo, v66, v16
	v_add_co_ci_u32_e64 v17, null, v67, v17, vcc_lo
	v_add_f32_e32 v62, v62, v64
	flat_store_dword v[16:17], v62
	s_or_b32 exec_lo, exec_lo, s12
	s_and_b32 s18, s2, s8
	s_and_saveexec_b32 s12, s18
	s_cbranch_execz .LBB31_86
.LBB31_99:
	v_cmp_ne_u32_e32 vcc_lo, 1, v72
	v_lshlrev_b64 v[16:17], 2, v[4:5]
	s_cbranch_vccnz .LBB31_101
; %bb.100:
	v_add_co_u32 v62, vcc_lo, v68, v16
	v_add_co_ci_u32_e64 v63, null, v69, v17, vcc_lo
	flat_load_dword v62, v[62:63]
	s_waitcnt vmcnt(0) lgkmcnt(0)
	v_mul_f32_e32 v62, s15, v62
	s_branch .LBB31_102
.LBB31_101:
	v_mov_b32_e32 v62, 0
.LBB31_102:
	v_add_f32_e32 v60, v60, v61
	v_add_co_u32 v16, vcc_lo, v66, v16
	v_add_co_ci_u32_e64 v17, null, v67, v17, vcc_lo
	v_add_f32_e32 v60, v60, v62
	flat_store_dword v[16:17], v60
	s_or_b32 exec_lo, exec_lo, s12
	s_and_b32 s18, s3, s8
	s_and_saveexec_b32 s12, s18
	s_cbranch_execz .LBB31_87
.LBB31_103:
	v_cmp_ne_u32_e32 vcc_lo, 1, v72
	v_lshlrev_b64 v[16:17], 2, v[6:7]
	s_cbranch_vccnz .LBB31_105
; %bb.104:
	v_add_co_u32 v60, vcc_lo, v68, v16
	v_add_co_ci_u32_e64 v61, null, v69, v17, vcc_lo
	flat_load_dword v60, v[60:61]
	s_waitcnt vmcnt(0) lgkmcnt(0)
	v_mul_f32_e32 v60, s15, v60
	s_branch .LBB31_106
.LBB31_105:
	v_mov_b32_e32 v60, 0
.LBB31_106:
	v_add_f32_e32 v58, v58, v59
	v_add_co_u32 v16, vcc_lo, v66, v16
	v_add_co_ci_u32_e64 v17, null, v67, v17, vcc_lo
	v_add_f32_e32 v58, v58, v60
	flat_store_dword v[16:17], v58
	s_or_b32 exec_lo, exec_lo, s12
	s_and_b32 s18, s4, s8
	s_and_saveexec_b32 s12, s18
	s_cbranch_execz .LBB31_88
.LBB31_107:
	v_cmp_ne_u32_e32 vcc_lo, 1, v72
	v_lshlrev_b64 v[16:17], 2, v[8:9]
	s_cbranch_vccnz .LBB31_109
; %bb.108:
	v_add_co_u32 v58, vcc_lo, v68, v16
	v_add_co_ci_u32_e64 v59, null, v69, v17, vcc_lo
	flat_load_dword v58, v[58:59]
	s_waitcnt vmcnt(0) lgkmcnt(0)
	v_mul_f32_e32 v58, s15, v58
	s_branch .LBB31_110
.LBB31_109:
	v_mov_b32_e32 v58, 0
.LBB31_110:
	v_add_f32_e32 v56, v56, v57
	v_add_co_u32 v16, vcc_lo, v66, v16
	v_add_co_ci_u32_e64 v17, null, v67, v17, vcc_lo
	v_add_f32_e32 v56, v56, v58
	flat_store_dword v[16:17], v56
	s_or_b32 exec_lo, exec_lo, s12
	s_and_b32 s18, s5, s8
	s_and_saveexec_b32 s12, s18
	s_cbranch_execz .LBB31_89
.LBB31_111:
	v_cmp_ne_u32_e32 vcc_lo, 1, v72
	v_lshlrev_b64 v[16:17], 2, v[10:11]
	s_cbranch_vccnz .LBB31_113
; %bb.112:
	v_add_co_u32 v56, vcc_lo, v68, v16
	v_add_co_ci_u32_e64 v57, null, v69, v17, vcc_lo
	flat_load_dword v56, v[56:57]
	s_waitcnt vmcnt(0) lgkmcnt(0)
	v_mul_f32_e32 v56, s15, v56
	s_branch .LBB31_114
.LBB31_113:
	v_mov_b32_e32 v56, 0
.LBB31_114:
	v_add_f32_e32 v54, v54, v55
	v_add_co_u32 v16, vcc_lo, v66, v16
	v_add_co_ci_u32_e64 v17, null, v67, v17, vcc_lo
	v_add_f32_e32 v54, v54, v56
	flat_store_dword v[16:17], v54
	s_or_b32 exec_lo, exec_lo, s12
	s_and_b32 s18, s6, s8
	s_and_saveexec_b32 s12, s18
	s_cbranch_execz .LBB31_90
.LBB31_115:
	v_cmp_ne_u32_e32 vcc_lo, 1, v72
	v_lshlrev_b64 v[16:17], 2, v[12:13]
	s_cbranch_vccnz .LBB31_117
; %bb.116:
	v_add_co_u32 v54, vcc_lo, v68, v16
	v_add_co_ci_u32_e64 v55, null, v69, v17, vcc_lo
	flat_load_dword v54, v[54:55]
	s_waitcnt vmcnt(0) lgkmcnt(0)
	v_mul_f32_e32 v54, s15, v54
	s_branch .LBB31_118
.LBB31_117:
	v_mov_b32_e32 v54, 0
.LBB31_118:
	v_add_f32_e32 v52, v52, v53
	v_add_co_u32 v16, vcc_lo, v66, v16
	v_add_co_ci_u32_e64 v17, null, v67, v17, vcc_lo
	v_add_f32_e32 v52, v52, v54
	flat_store_dword v[16:17], v52
	s_or_b32 exec_lo, exec_lo, s12
	s_and_b32 s12, s7, s8
	s_and_saveexec_b32 s8, s12
	s_cbranch_execz .LBB31_123
.LBB31_119:
	v_cmp_ne_u32_e32 vcc_lo, 1, v72
	v_lshlrev_b64 v[16:17], 2, v[14:15]
	s_cbranch_vccnz .LBB31_121
; %bb.120:
	v_add_co_u32 v52, vcc_lo, v68, v16
	v_add_co_ci_u32_e64 v53, null, v69, v17, vcc_lo
	flat_load_dword v52, v[52:53]
	s_waitcnt vmcnt(0) lgkmcnt(0)
	v_mul_f32_e32 v52, s15, v52
	s_branch .LBB31_122
.LBB31_121:
	v_mov_b32_e32 v52, 0
.LBB31_122:
	v_add_f32_e32 v50, v50, v51
	v_add_co_u32 v16, vcc_lo, v66, v16
	v_add_co_ci_u32_e64 v17, null, v67, v17, vcc_lo
	v_add_f32_e32 v50, v50, v52
	flat_store_dword v[16:17], v50
.LBB31_123:
	s_or_b32 exec_lo, exec_lo, s8
	v_add_nc_u32_e32 v52, 64, v73
	v_mad_i64_i32 v[16:17], null, v52, s14, 0
	v_mad_i64_i32 v[50:51], null, v52, s9, 0
	v_cmp_gt_i32_e64 s8, s13, v52
	v_lshlrev_b64 v[16:17], 2, v[16:17]
	s_and_b32 s18, s0, s8
	v_lshlrev_b64 v[50:51], 2, v[50:51]
	v_add_co_u32 v52, vcc_lo, s10, v16
	v_add_co_ci_u32_e64 v53, null, s11, v17, vcc_lo
	v_add_co_u32 v50, vcc_lo, s16, v50
	v_add_co_ci_u32_e64 v51, null, s17, v51, vcc_lo
	s_and_saveexec_b32 s12, s18
	s_cbranch_execnz .LBB31_131
; %bb.124:
	s_or_b32 exec_lo, exec_lo, s12
	s_and_b32 s18, s1, s8
	s_and_saveexec_b32 s12, s18
	s_cbranch_execnz .LBB31_135
.LBB31_125:
	s_or_b32 exec_lo, exec_lo, s12
	s_and_b32 s18, s2, s8
	s_and_saveexec_b32 s12, s18
	s_cbranch_execnz .LBB31_139
.LBB31_126:
	s_or_b32 exec_lo, exec_lo, s12
	s_and_b32 s18, s3, s8
	s_and_saveexec_b32 s12, s18
	s_cbranch_execnz .LBB31_143
.LBB31_127:
	s_or_b32 exec_lo, exec_lo, s12
	s_and_b32 s18, s4, s8
	s_and_saveexec_b32 s12, s18
	s_cbranch_execnz .LBB31_147
.LBB31_128:
	s_or_b32 exec_lo, exec_lo, s12
	s_and_b32 s18, s5, s8
	s_and_saveexec_b32 s12, s18
	s_cbranch_execnz .LBB31_151
.LBB31_129:
	s_or_b32 exec_lo, exec_lo, s12
	s_and_b32 s18, s6, s8
	s_and_saveexec_b32 s12, s18
	s_cbranch_execnz .LBB31_155
.LBB31_130:
	s_or_b32 exec_lo, exec_lo, s12
	s_and_b32 s12, s7, s8
	s_and_saveexec_b32 s8, s12
	s_cbranch_execnz .LBB31_159
	s_branch .LBB31_163
.LBB31_131:
	v_cmp_ne_u32_e32 vcc_lo, 1, v72
	v_lshlrev_b64 v[16:17], 2, v[0:1]
	s_cbranch_vccnz .LBB31_133
; %bb.132:
	v_add_co_u32 v54, vcc_lo, v52, v16
	v_add_co_ci_u32_e64 v55, null, v53, v17, vcc_lo
	flat_load_dword v54, v[54:55]
	s_waitcnt vmcnt(0) lgkmcnt(0)
	v_mul_f32_e32 v54, s15, v54
	s_branch .LBB31_134
.LBB31_133:
	v_mov_b32_e32 v54, 0
.LBB31_134:
	v_add_f32_e32 v48, v48, v49
	v_add_co_u32 v16, vcc_lo, v50, v16
	v_add_co_ci_u32_e64 v17, null, v51, v17, vcc_lo
	v_add_f32_e32 v48, v48, v54
	flat_store_dword v[16:17], v48
	s_or_b32 exec_lo, exec_lo, s12
	s_and_b32 s18, s1, s8
	s_and_saveexec_b32 s12, s18
	s_cbranch_execz .LBB31_125
.LBB31_135:
	v_cmp_ne_u32_e32 vcc_lo, 1, v72
	v_lshlrev_b64 v[16:17], 2, v[2:3]
	s_cbranch_vccnz .LBB31_137
; %bb.136:
	v_add_co_u32 v48, vcc_lo, v52, v16
	v_add_co_ci_u32_e64 v49, null, v53, v17, vcc_lo
	flat_load_dword v48, v[48:49]
	s_waitcnt vmcnt(0) lgkmcnt(0)
	v_mul_f32_e32 v48, s15, v48
	s_branch .LBB31_138
.LBB31_137:
	v_mov_b32_e32 v48, 0
.LBB31_138:
	v_add_f32_e32 v46, v46, v47
	v_add_co_u32 v16, vcc_lo, v50, v16
	v_add_co_ci_u32_e64 v17, null, v51, v17, vcc_lo
	v_add_f32_e32 v46, v46, v48
	flat_store_dword v[16:17], v46
	s_or_b32 exec_lo, exec_lo, s12
	s_and_b32 s18, s2, s8
	s_and_saveexec_b32 s12, s18
	s_cbranch_execz .LBB31_126
.LBB31_139:
	v_cmp_ne_u32_e32 vcc_lo, 1, v72
	v_lshlrev_b64 v[16:17], 2, v[4:5]
	s_cbranch_vccnz .LBB31_141
; %bb.140:
	v_add_co_u32 v46, vcc_lo, v52, v16
	v_add_co_ci_u32_e64 v47, null, v53, v17, vcc_lo
	flat_load_dword v46, v[46:47]
	s_waitcnt vmcnt(0) lgkmcnt(0)
	v_mul_f32_e32 v46, s15, v46
	s_branch .LBB31_142
.LBB31_141:
	v_mov_b32_e32 v46, 0
.LBB31_142:
	v_add_f32_e32 v44, v44, v45
	v_add_co_u32 v16, vcc_lo, v50, v16
	v_add_co_ci_u32_e64 v17, null, v51, v17, vcc_lo
	v_add_f32_e32 v44, v44, v46
	flat_store_dword v[16:17], v44
	s_or_b32 exec_lo, exec_lo, s12
	s_and_b32 s18, s3, s8
	s_and_saveexec_b32 s12, s18
	s_cbranch_execz .LBB31_127
.LBB31_143:
	v_cmp_ne_u32_e32 vcc_lo, 1, v72
	v_lshlrev_b64 v[16:17], 2, v[6:7]
	s_cbranch_vccnz .LBB31_145
; %bb.144:
	v_add_co_u32 v44, vcc_lo, v52, v16
	v_add_co_ci_u32_e64 v45, null, v53, v17, vcc_lo
	flat_load_dword v44, v[44:45]
	s_waitcnt vmcnt(0) lgkmcnt(0)
	v_mul_f32_e32 v44, s15, v44
	s_branch .LBB31_146
.LBB31_145:
	v_mov_b32_e32 v44, 0
.LBB31_146:
	v_add_f32_e32 v42, v42, v43
	v_add_co_u32 v16, vcc_lo, v50, v16
	v_add_co_ci_u32_e64 v17, null, v51, v17, vcc_lo
	v_add_f32_e32 v42, v42, v44
	flat_store_dword v[16:17], v42
	s_or_b32 exec_lo, exec_lo, s12
	s_and_b32 s18, s4, s8
	s_and_saveexec_b32 s12, s18
	s_cbranch_execz .LBB31_128
.LBB31_147:
	v_cmp_ne_u32_e32 vcc_lo, 1, v72
	v_lshlrev_b64 v[16:17], 2, v[8:9]
	s_cbranch_vccnz .LBB31_149
; %bb.148:
	v_add_co_u32 v42, vcc_lo, v52, v16
	v_add_co_ci_u32_e64 v43, null, v53, v17, vcc_lo
	flat_load_dword v42, v[42:43]
	s_waitcnt vmcnt(0) lgkmcnt(0)
	v_mul_f32_e32 v42, s15, v42
	s_branch .LBB31_150
.LBB31_149:
	v_mov_b32_e32 v42, 0
.LBB31_150:
	v_add_f32_e32 v40, v40, v41
	v_add_co_u32 v16, vcc_lo, v50, v16
	v_add_co_ci_u32_e64 v17, null, v51, v17, vcc_lo
	v_add_f32_e32 v40, v40, v42
	flat_store_dword v[16:17], v40
	s_or_b32 exec_lo, exec_lo, s12
	s_and_b32 s18, s5, s8
	s_and_saveexec_b32 s12, s18
	s_cbranch_execz .LBB31_129
.LBB31_151:
	v_cmp_ne_u32_e32 vcc_lo, 1, v72
	v_lshlrev_b64 v[16:17], 2, v[10:11]
	s_cbranch_vccnz .LBB31_153
; %bb.152:
	v_add_co_u32 v40, vcc_lo, v52, v16
	v_add_co_ci_u32_e64 v41, null, v53, v17, vcc_lo
	flat_load_dword v40, v[40:41]
	s_waitcnt vmcnt(0) lgkmcnt(0)
	v_mul_f32_e32 v40, s15, v40
	s_branch .LBB31_154
.LBB31_153:
	v_mov_b32_e32 v40, 0
.LBB31_154:
	v_add_f32_e32 v38, v38, v39
	v_add_co_u32 v16, vcc_lo, v50, v16
	v_add_co_ci_u32_e64 v17, null, v51, v17, vcc_lo
	v_add_f32_e32 v38, v38, v40
	flat_store_dword v[16:17], v38
	s_or_b32 exec_lo, exec_lo, s12
	s_and_b32 s18, s6, s8
	s_and_saveexec_b32 s12, s18
	s_cbranch_execz .LBB31_130
.LBB31_155:
	v_cmp_ne_u32_e32 vcc_lo, 1, v72
	v_lshlrev_b64 v[16:17], 2, v[12:13]
	s_cbranch_vccnz .LBB31_157
; %bb.156:
	v_add_co_u32 v38, vcc_lo, v52, v16
	v_add_co_ci_u32_e64 v39, null, v53, v17, vcc_lo
	flat_load_dword v38, v[38:39]
	s_waitcnt vmcnt(0) lgkmcnt(0)
	v_mul_f32_e32 v38, s15, v38
	s_branch .LBB31_158
.LBB31_157:
	v_mov_b32_e32 v38, 0
.LBB31_158:
	v_add_f32_e32 v36, v36, v37
	v_add_co_u32 v16, vcc_lo, v50, v16
	v_add_co_ci_u32_e64 v17, null, v51, v17, vcc_lo
	v_add_f32_e32 v36, v36, v38
	flat_store_dword v[16:17], v36
	s_or_b32 exec_lo, exec_lo, s12
	s_and_b32 s12, s7, s8
	s_and_saveexec_b32 s8, s12
	s_cbranch_execz .LBB31_163
.LBB31_159:
	v_cmp_ne_u32_e32 vcc_lo, 1, v72
	v_lshlrev_b64 v[16:17], 2, v[14:15]
	s_cbranch_vccnz .LBB31_161
; %bb.160:
	v_add_co_u32 v36, vcc_lo, v52, v16
	v_add_co_ci_u32_e64 v37, null, v53, v17, vcc_lo
	flat_load_dword v36, v[36:37]
	s_waitcnt vmcnt(0) lgkmcnt(0)
	v_mul_f32_e32 v36, s15, v36
	s_branch .LBB31_162
.LBB31_161:
	v_mov_b32_e32 v36, 0
.LBB31_162:
	v_add_f32_e32 v34, v34, v35
	v_add_co_u32 v16, vcc_lo, v50, v16
	v_add_co_ci_u32_e64 v17, null, v51, v17, vcc_lo
	v_add_f32_e32 v34, v34, v36
	flat_store_dword v[16:17], v34
.LBB31_163:
	s_or_b32 exec_lo, exec_lo, s8
	v_add_nc_u32_e32 v36, 0x60, v73
	v_mad_i64_i32 v[16:17], null, v36, s14, 0
	v_mad_i64_i32 v[34:35], null, v36, s9, 0
	v_cmp_gt_i32_e64 s8, s13, v36
	v_lshlrev_b64 v[16:17], 2, v[16:17]
	s_and_b32 s9, s0, s8
	v_lshlrev_b64 v[36:37], 2, v[34:35]
	v_add_co_u32 v34, vcc_lo, s10, v16
	v_add_co_ci_u32_e64 v35, null, s11, v17, vcc_lo
	v_add_co_u32 v16, vcc_lo, s16, v36
	v_add_co_ci_u32_e64 v17, null, s17, v37, vcc_lo
	s_and_saveexec_b32 s0, s9
	s_cbranch_execnz .LBB31_172
; %bb.164:
	s_or_b32 exec_lo, exec_lo, s0
	s_and_b32 s1, s1, s8
	s_and_saveexec_b32 s0, s1
	s_cbranch_execnz .LBB31_176
.LBB31_165:
	s_or_b32 exec_lo, exec_lo, s0
	s_and_b32 s1, s2, s8
	s_and_saveexec_b32 s0, s1
	s_cbranch_execnz .LBB31_180
.LBB31_166:
	s_or_b32 exec_lo, exec_lo, s0
	s_and_b32 s1, s3, s8
	s_and_saveexec_b32 s0, s1
	s_cbranch_execnz .LBB31_184
.LBB31_167:
	s_or_b32 exec_lo, exec_lo, s0
	s_and_b32 s1, s4, s8
	s_and_saveexec_b32 s0, s1
	s_cbranch_execnz .LBB31_188
.LBB31_168:
	s_or_b32 exec_lo, exec_lo, s0
	s_and_b32 s1, s5, s8
	s_and_saveexec_b32 s0, s1
	s_cbranch_execnz .LBB31_192
.LBB31_169:
	s_or_b32 exec_lo, exec_lo, s0
	s_and_b32 s1, s6, s8
	s_and_saveexec_b32 s0, s1
	s_cbranch_execnz .LBB31_196
.LBB31_170:
	s_or_b32 exec_lo, exec_lo, s0
	s_and_b32 s0, s7, s8
	s_and_saveexec_b32 s1, s0
	s_cbranch_execnz .LBB31_200
.LBB31_171:
	s_endpgm
.LBB31_172:
	v_cmp_ne_u32_e32 vcc_lo, 1, v72
	v_lshlrev_b64 v[0:1], 2, v[0:1]
	s_cbranch_vccnz .LBB31_174
; %bb.173:
	v_add_co_u32 v36, vcc_lo, v34, v0
	v_add_co_ci_u32_e64 v37, null, v35, v1, vcc_lo
	flat_load_dword v36, v[36:37]
	s_waitcnt vmcnt(0) lgkmcnt(0)
	v_mul_f32_e32 v36, s15, v36
	s_branch .LBB31_175
.LBB31_174:
	v_mov_b32_e32 v36, 0
.LBB31_175:
	v_add_f32_e32 v32, v32, v33
	v_add_co_u32 v0, vcc_lo, v16, v0
	v_add_co_ci_u32_e64 v1, null, v17, v1, vcc_lo
	v_add_f32_e32 v32, v32, v36
	flat_store_dword v[0:1], v32
	s_or_b32 exec_lo, exec_lo, s0
	s_and_b32 s1, s1, s8
	s_and_saveexec_b32 s0, s1
	s_cbranch_execz .LBB31_165
.LBB31_176:
	v_cmp_ne_u32_e32 vcc_lo, 1, v72
	v_lshlrev_b64 v[0:1], 2, v[2:3]
	s_cbranch_vccnz .LBB31_178
; %bb.177:
	v_add_co_u32 v2, vcc_lo, v34, v0
	v_add_co_ci_u32_e64 v3, null, v35, v1, vcc_lo
	flat_load_dword v2, v[2:3]
	s_waitcnt vmcnt(0) lgkmcnt(0)
	v_mul_f32_e32 v2, s15, v2
	s_branch .LBB31_179
.LBB31_178:
	v_mov_b32_e32 v2, 0
.LBB31_179:
	v_add_f32_e32 v3, v30, v31
	v_add_co_u32 v0, vcc_lo, v16, v0
	v_add_co_ci_u32_e64 v1, null, v17, v1, vcc_lo
	v_add_f32_e32 v2, v3, v2
	flat_store_dword v[0:1], v2
	s_or_b32 exec_lo, exec_lo, s0
	s_and_b32 s1, s2, s8
	s_and_saveexec_b32 s0, s1
	s_cbranch_execz .LBB31_166
.LBB31_180:
	v_cmp_ne_u32_e32 vcc_lo, 1, v72
	v_lshlrev_b64 v[0:1], 2, v[4:5]
	s_cbranch_vccnz .LBB31_182
; %bb.181:
	v_add_co_u32 v2, vcc_lo, v34, v0
	v_add_co_ci_u32_e64 v3, null, v35, v1, vcc_lo
	flat_load_dword v2, v[2:3]
	s_waitcnt vmcnt(0) lgkmcnt(0)
	v_mul_f32_e32 v2, s15, v2
	s_branch .LBB31_183
.LBB31_182:
	v_mov_b32_e32 v2, 0
.LBB31_183:
	v_add_f32_e32 v3, v28, v29
	v_add_co_u32 v0, vcc_lo, v16, v0
	v_add_co_ci_u32_e64 v1, null, v17, v1, vcc_lo
	v_add_f32_e32 v2, v3, v2
	flat_store_dword v[0:1], v2
	s_or_b32 exec_lo, exec_lo, s0
	s_and_b32 s1, s3, s8
	s_and_saveexec_b32 s0, s1
	s_cbranch_execz .LBB31_167
.LBB31_184:
	v_cmp_ne_u32_e32 vcc_lo, 1, v72
	v_lshlrev_b64 v[0:1], 2, v[6:7]
	s_cbranch_vccnz .LBB31_186
; %bb.185:
	v_add_co_u32 v2, vcc_lo, v34, v0
	v_add_co_ci_u32_e64 v3, null, v35, v1, vcc_lo
	flat_load_dword v2, v[2:3]
	s_waitcnt vmcnt(0) lgkmcnt(0)
	v_mul_f32_e32 v2, s15, v2
	s_branch .LBB31_187
.LBB31_186:
	v_mov_b32_e32 v2, 0
.LBB31_187:
	v_add_f32_e32 v3, v26, v27
	v_add_co_u32 v0, vcc_lo, v16, v0
	v_add_co_ci_u32_e64 v1, null, v17, v1, vcc_lo
	v_add_f32_e32 v2, v3, v2
	flat_store_dword v[0:1], v2
	s_or_b32 exec_lo, exec_lo, s0
	s_and_b32 s1, s4, s8
	s_and_saveexec_b32 s0, s1
	s_cbranch_execz .LBB31_168
.LBB31_188:
	v_cmp_ne_u32_e32 vcc_lo, 1, v72
	v_lshlrev_b64 v[0:1], 2, v[8:9]
	s_cbranch_vccnz .LBB31_190
; %bb.189:
	v_add_co_u32 v2, vcc_lo, v34, v0
	v_add_co_ci_u32_e64 v3, null, v35, v1, vcc_lo
	flat_load_dword v2, v[2:3]
	s_waitcnt vmcnt(0) lgkmcnt(0)
	v_mul_f32_e32 v2, s15, v2
	s_branch .LBB31_191
.LBB31_190:
	v_mov_b32_e32 v2, 0
.LBB31_191:
	v_add_f32_e32 v3, v24, v25
	v_add_co_u32 v0, vcc_lo, v16, v0
	v_add_co_ci_u32_e64 v1, null, v17, v1, vcc_lo
	v_add_f32_e32 v2, v3, v2
	flat_store_dword v[0:1], v2
	s_or_b32 exec_lo, exec_lo, s0
	s_and_b32 s1, s5, s8
	s_and_saveexec_b32 s0, s1
	s_cbranch_execz .LBB31_169
.LBB31_192:
	v_cmp_ne_u32_e32 vcc_lo, 1, v72
	v_lshlrev_b64 v[0:1], 2, v[10:11]
	s_cbranch_vccnz .LBB31_194
; %bb.193:
	v_add_co_u32 v2, vcc_lo, v34, v0
	v_add_co_ci_u32_e64 v3, null, v35, v1, vcc_lo
	flat_load_dword v2, v[2:3]
	s_waitcnt vmcnt(0) lgkmcnt(0)
	v_mul_f32_e32 v2, s15, v2
	s_branch .LBB31_195
.LBB31_194:
	v_mov_b32_e32 v2, 0
.LBB31_195:
	v_add_f32_e32 v3, v22, v23
	v_add_co_u32 v0, vcc_lo, v16, v0
	v_add_co_ci_u32_e64 v1, null, v17, v1, vcc_lo
	v_add_f32_e32 v2, v3, v2
	flat_store_dword v[0:1], v2
	s_or_b32 exec_lo, exec_lo, s0
	s_and_b32 s1, s6, s8
	s_and_saveexec_b32 s0, s1
	s_cbranch_execz .LBB31_170
.LBB31_196:
	v_cmp_ne_u32_e32 vcc_lo, 1, v72
	v_lshlrev_b64 v[0:1], 2, v[12:13]
	s_cbranch_vccnz .LBB31_198
; %bb.197:
	v_add_co_u32 v2, vcc_lo, v34, v0
	v_add_co_ci_u32_e64 v3, null, v35, v1, vcc_lo
	flat_load_dword v2, v[2:3]
	s_waitcnt vmcnt(0) lgkmcnt(0)
	v_mul_f32_e32 v2, s15, v2
	s_branch .LBB31_199
.LBB31_198:
	v_mov_b32_e32 v2, 0
.LBB31_199:
	v_add_f32_e32 v3, v20, v21
	v_add_co_u32 v0, vcc_lo, v16, v0
	v_add_co_ci_u32_e64 v1, null, v17, v1, vcc_lo
	v_add_f32_e32 v2, v3, v2
	flat_store_dword v[0:1], v2
	s_or_b32 exec_lo, exec_lo, s0
	s_and_b32 s0, s7, s8
	s_and_saveexec_b32 s1, s0
	s_cbranch_execz .LBB31_171
.LBB31_200:
	v_cmp_ne_u32_e32 vcc_lo, 1, v72
	v_lshlrev_b64 v[0:1], 2, v[14:15]
	s_cbranch_vccnz .LBB31_202
; %bb.201:
	v_add_co_u32 v2, vcc_lo, v34, v0
	v_add_co_ci_u32_e64 v3, null, v35, v1, vcc_lo
	flat_load_dword v2, v[2:3]
	s_waitcnt vmcnt(0) lgkmcnt(0)
	v_mul_f32_e32 v2, s15, v2
	s_branch .LBB31_203
.LBB31_202:
	v_mov_b32_e32 v2, 0
.LBB31_203:
	v_add_f32_e32 v3, v18, v19
	v_add_co_u32 v0, vcc_lo, v16, v0
	v_add_co_ci_u32_e64 v1, null, v17, v1, vcc_lo
	v_add_f32_e32 v2, v3, v2
	flat_store_dword v[0:1], v2
	s_endpgm
	.section	.rodata,"a",@progbits
	.p2align	6, 0x0
	.amdhsa_kernel _ZN12_GLOBAL__N_120geam_min_plus_kernelIf15HIP_vector_typeIfLj2EES2_Li8ELi32ELi64ELi128ELi4ELi64ELi4ELi4ELi64ELc78ELc78ELb1ELb1ELb0EfKPKfKPfEEviiiT16_PT17_ilSA_ilS8_SA_ilPT18_ili26rocblas_geam_ex_operation_
		.amdhsa_group_segment_fixed_size 6144
		.amdhsa_private_segment_fixed_size 0
		.amdhsa_kernarg_size 128
		.amdhsa_user_sgpr_count 6
		.amdhsa_user_sgpr_private_segment_buffer 1
		.amdhsa_user_sgpr_dispatch_ptr 0
		.amdhsa_user_sgpr_queue_ptr 0
		.amdhsa_user_sgpr_kernarg_segment_ptr 1
		.amdhsa_user_sgpr_dispatch_id 0
		.amdhsa_user_sgpr_flat_scratch_init 0
		.amdhsa_user_sgpr_private_segment_size 0
		.amdhsa_wavefront_size32 1
		.amdhsa_uses_dynamic_stack 0
		.amdhsa_system_sgpr_private_segment_wavefront_offset 0
		.amdhsa_system_sgpr_workgroup_id_x 1
		.amdhsa_system_sgpr_workgroup_id_y 0
		.amdhsa_system_sgpr_workgroup_id_z 1
		.amdhsa_system_sgpr_workgroup_info 0
		.amdhsa_system_vgpr_workitem_id 1
		.amdhsa_next_free_vgpr 155
		.amdhsa_next_free_sgpr 26
		.amdhsa_reserve_vcc 1
		.amdhsa_reserve_flat_scratch 0
		.amdhsa_float_round_mode_32 0
		.amdhsa_float_round_mode_16_64 0
		.amdhsa_float_denorm_mode_32 3
		.amdhsa_float_denorm_mode_16_64 3
		.amdhsa_dx10_clamp 1
		.amdhsa_ieee_mode 1
		.amdhsa_fp16_overflow 0
		.amdhsa_workgroup_processor_mode 1
		.amdhsa_memory_ordered 1
		.amdhsa_forward_progress 1
		.amdhsa_shared_vgpr_count 0
		.amdhsa_exception_fp_ieee_invalid_op 0
		.amdhsa_exception_fp_denorm_src 0
		.amdhsa_exception_fp_ieee_div_zero 0
		.amdhsa_exception_fp_ieee_overflow 0
		.amdhsa_exception_fp_ieee_underflow 0
		.amdhsa_exception_fp_ieee_inexact 0
		.amdhsa_exception_int_div_zero 0
	.end_amdhsa_kernel
	.section	.text._ZN12_GLOBAL__N_120geam_min_plus_kernelIf15HIP_vector_typeIfLj2EES2_Li8ELi32ELi64ELi128ELi4ELi64ELi4ELi4ELi64ELc78ELc78ELb1ELb1ELb0EfKPKfKPfEEviiiT16_PT17_ilSA_ilS8_SA_ilPT18_ili26rocblas_geam_ex_operation_,"axG",@progbits,_ZN12_GLOBAL__N_120geam_min_plus_kernelIf15HIP_vector_typeIfLj2EES2_Li8ELi32ELi64ELi128ELi4ELi64ELi4ELi4ELi64ELc78ELc78ELb1ELb1ELb0EfKPKfKPfEEviiiT16_PT17_ilSA_ilS8_SA_ilPT18_ili26rocblas_geam_ex_operation_,comdat
.Lfunc_end31:
	.size	_ZN12_GLOBAL__N_120geam_min_plus_kernelIf15HIP_vector_typeIfLj2EES2_Li8ELi32ELi64ELi128ELi4ELi64ELi4ELi4ELi64ELc78ELc78ELb1ELb1ELb0EfKPKfKPfEEviiiT16_PT17_ilSA_ilS8_SA_ilPT18_ili26rocblas_geam_ex_operation_, .Lfunc_end31-_ZN12_GLOBAL__N_120geam_min_plus_kernelIf15HIP_vector_typeIfLj2EES2_Li8ELi32ELi64ELi128ELi4ELi64ELi4ELi4ELi64ELc78ELc78ELb1ELb1ELb0EfKPKfKPfEEviiiT16_PT17_ilSA_ilS8_SA_ilPT18_ili26rocblas_geam_ex_operation_
                                        ; -- End function
	.set _ZN12_GLOBAL__N_120geam_min_plus_kernelIf15HIP_vector_typeIfLj2EES2_Li8ELi32ELi64ELi128ELi4ELi64ELi4ELi4ELi64ELc78ELc78ELb1ELb1ELb0EfKPKfKPfEEviiiT16_PT17_ilSA_ilS8_SA_ilPT18_ili26rocblas_geam_ex_operation_.num_vgpr, 155
	.set _ZN12_GLOBAL__N_120geam_min_plus_kernelIf15HIP_vector_typeIfLj2EES2_Li8ELi32ELi64ELi128ELi4ELi64ELi4ELi4ELi64ELc78ELc78ELb1ELb1ELb0EfKPKfKPfEEviiiT16_PT17_ilSA_ilS8_SA_ilPT18_ili26rocblas_geam_ex_operation_.num_agpr, 0
	.set _ZN12_GLOBAL__N_120geam_min_plus_kernelIf15HIP_vector_typeIfLj2EES2_Li8ELi32ELi64ELi128ELi4ELi64ELi4ELi4ELi64ELc78ELc78ELb1ELb1ELb0EfKPKfKPfEEviiiT16_PT17_ilSA_ilS8_SA_ilPT18_ili26rocblas_geam_ex_operation_.numbered_sgpr, 26
	.set _ZN12_GLOBAL__N_120geam_min_plus_kernelIf15HIP_vector_typeIfLj2EES2_Li8ELi32ELi64ELi128ELi4ELi64ELi4ELi4ELi64ELc78ELc78ELb1ELb1ELb0EfKPKfKPfEEviiiT16_PT17_ilSA_ilS8_SA_ilPT18_ili26rocblas_geam_ex_operation_.num_named_barrier, 0
	.set _ZN12_GLOBAL__N_120geam_min_plus_kernelIf15HIP_vector_typeIfLj2EES2_Li8ELi32ELi64ELi128ELi4ELi64ELi4ELi4ELi64ELc78ELc78ELb1ELb1ELb0EfKPKfKPfEEviiiT16_PT17_ilSA_ilS8_SA_ilPT18_ili26rocblas_geam_ex_operation_.private_seg_size, 0
	.set _ZN12_GLOBAL__N_120geam_min_plus_kernelIf15HIP_vector_typeIfLj2EES2_Li8ELi32ELi64ELi128ELi4ELi64ELi4ELi4ELi64ELc78ELc78ELb1ELb1ELb0EfKPKfKPfEEviiiT16_PT17_ilSA_ilS8_SA_ilPT18_ili26rocblas_geam_ex_operation_.uses_vcc, 1
	.set _ZN12_GLOBAL__N_120geam_min_plus_kernelIf15HIP_vector_typeIfLj2EES2_Li8ELi32ELi64ELi128ELi4ELi64ELi4ELi4ELi64ELc78ELc78ELb1ELb1ELb0EfKPKfKPfEEviiiT16_PT17_ilSA_ilS8_SA_ilPT18_ili26rocblas_geam_ex_operation_.uses_flat_scratch, 0
	.set _ZN12_GLOBAL__N_120geam_min_plus_kernelIf15HIP_vector_typeIfLj2EES2_Li8ELi32ELi64ELi128ELi4ELi64ELi4ELi4ELi64ELc78ELc78ELb1ELb1ELb0EfKPKfKPfEEviiiT16_PT17_ilSA_ilS8_SA_ilPT18_ili26rocblas_geam_ex_operation_.has_dyn_sized_stack, 0
	.set _ZN12_GLOBAL__N_120geam_min_plus_kernelIf15HIP_vector_typeIfLj2EES2_Li8ELi32ELi64ELi128ELi4ELi64ELi4ELi4ELi64ELc78ELc78ELb1ELb1ELb0EfKPKfKPfEEviiiT16_PT17_ilSA_ilS8_SA_ilPT18_ili26rocblas_geam_ex_operation_.has_recursion, 0
	.set _ZN12_GLOBAL__N_120geam_min_plus_kernelIf15HIP_vector_typeIfLj2EES2_Li8ELi32ELi64ELi128ELi4ELi64ELi4ELi4ELi64ELc78ELc78ELb1ELb1ELb0EfKPKfKPfEEviiiT16_PT17_ilSA_ilS8_SA_ilPT18_ili26rocblas_geam_ex_operation_.has_indirect_call, 0
	.section	.AMDGPU.csdata,"",@progbits
; Kernel info:
; codeLenInByte = 9064
; TotalNumSgprs: 28
; NumVgprs: 155
; ScratchSize: 0
; MemoryBound: 0
; FloatMode: 240
; IeeeMode: 1
; LDSByteSize: 6144 bytes/workgroup (compile time only)
; SGPRBlocks: 0
; VGPRBlocks: 19
; NumSGPRsForWavesPerEU: 28
; NumVGPRsForWavesPerEU: 155
; Occupancy: 6
; WaveLimiterHint : 1
; COMPUTE_PGM_RSRC2:SCRATCH_EN: 0
; COMPUTE_PGM_RSRC2:USER_SGPR: 6
; COMPUTE_PGM_RSRC2:TRAP_HANDLER: 0
; COMPUTE_PGM_RSRC2:TGID_X_EN: 1
; COMPUTE_PGM_RSRC2:TGID_Y_EN: 0
; COMPUTE_PGM_RSRC2:TGID_Z_EN: 1
; COMPUTE_PGM_RSRC2:TIDIG_COMP_CNT: 1
	.section	.text._ZN12_GLOBAL__N_120geam_min_plus_kernelIf15HIP_vector_typeIfLj2EES2_Li8ELi32ELi64ELi128ELi4ELi64ELi4ELi4ELi64ELc78ELc78ELb0ELb1ELb0EfKPKfKPfEEviiiT16_PT17_ilSA_ilS8_SA_ilPT18_ili26rocblas_geam_ex_operation_,"axG",@progbits,_ZN12_GLOBAL__N_120geam_min_plus_kernelIf15HIP_vector_typeIfLj2EES2_Li8ELi32ELi64ELi128ELi4ELi64ELi4ELi4ELi64ELc78ELc78ELb0ELb1ELb0EfKPKfKPfEEviiiT16_PT17_ilSA_ilS8_SA_ilPT18_ili26rocblas_geam_ex_operation_,comdat
	.globl	_ZN12_GLOBAL__N_120geam_min_plus_kernelIf15HIP_vector_typeIfLj2EES2_Li8ELi32ELi64ELi128ELi4ELi64ELi4ELi4ELi64ELc78ELc78ELb0ELb1ELb0EfKPKfKPfEEviiiT16_PT17_ilSA_ilS8_SA_ilPT18_ili26rocblas_geam_ex_operation_ ; -- Begin function _ZN12_GLOBAL__N_120geam_min_plus_kernelIf15HIP_vector_typeIfLj2EES2_Li8ELi32ELi64ELi128ELi4ELi64ELi4ELi4ELi64ELc78ELc78ELb0ELb1ELb0EfKPKfKPfEEviiiT16_PT17_ilSA_ilS8_SA_ilPT18_ili26rocblas_geam_ex_operation_
	.p2align	8
	.type	_ZN12_GLOBAL__N_120geam_min_plus_kernelIf15HIP_vector_typeIfLj2EES2_Li8ELi32ELi64ELi128ELi4ELi64ELi4ELi4ELi64ELc78ELc78ELb0ELb1ELb0EfKPKfKPfEEviiiT16_PT17_ilSA_ilS8_SA_ilPT18_ili26rocblas_geam_ex_operation_,@function
_ZN12_GLOBAL__N_120geam_min_plus_kernelIf15HIP_vector_typeIfLj2EES2_Li8ELi32ELi64ELi128ELi4ELi64ELi4ELi4ELi64ELc78ELc78ELb0ELb1ELb0EfKPKfKPfEEviiiT16_PT17_ilSA_ilS8_SA_ilPT18_ili26rocblas_geam_ex_operation_: ; @_ZN12_GLOBAL__N_120geam_min_plus_kernelIf15HIP_vector_typeIfLj2EES2_Li8ELi32ELi64ELi128ELi4ELi64ELi4ELi4ELi64ELc78ELc78ELb0ELb1ELb0EfKPKfKPfEEviiiT16_PT17_ilSA_ilS8_SA_ilPT18_ili26rocblas_geam_ex_operation_
; %bb.0:
	s_clause 0x1
	s_load_dwordx4 s[12:15], s[4:5], 0x0
	s_load_dwordx4 s[0:3], s[4:5], 0x20
	s_mov_b32 s18, s7
	s_mov_b32 s19, 0
	s_waitcnt lgkmcnt(0)
	v_cmp_eq_f32_e64 s7, s15, 0
	v_cmp_neq_f32_e64 s23, s15, 0
	s_and_b32 vcc_lo, exec_lo, s7
	s_cbranch_vccnz .LBB32_3
; %bb.1:
	s_load_dwordx2 s[8:9], s[4:5], 0x10
	s_lshl_b64 s[10:11], s[18:19], 3
	s_waitcnt lgkmcnt(0)
	s_add_u32 s8, s8, s10
	s_addc_u32 s9, s9, s11
	s_lshl_b64 s[0:1], s[0:1], 2
	s_load_dwordx2 s[8:9], s[8:9], 0x0
	s_waitcnt lgkmcnt(0)
	s_add_u32 s16, s8, s0
	s_addc_u32 s17, s9, s1
	s_andn2_b32 vcc_lo, exec_lo, s7
	s_cbranch_vccnz .LBB32_4
.LBB32_2:
	s_mov_b32 s21, 0
	s_mov_b32 s20, s18
	s_mov_b32 s0, s21
	s_mov_b64 s[10:11], 0
	s_andn2_b32 vcc_lo, exec_lo, s0
	s_mov_b64 s[8:9], 0
	s_cbranch_vccz .LBB32_5
	s_branch .LBB32_6
.LBB32_3:
	s_mov_b64 s[16:17], 0
	s_andn2_b32 vcc_lo, exec_lo, s7
	s_cbranch_vccz .LBB32_2
.LBB32_4:
	s_mov_b64 s[20:21], s[18:19]
	s_mov_b64 s[10:11], 0
	;; [unrolled: 1-line block ×3, first 2 shown]
.LBB32_5:
	s_lshl_b64 s[0:1], s[18:19], 3
	s_load_dwordx2 s[8:9], s[4:5], 0x38
	s_add_u32 s0, s2, s0
	s_addc_u32 s1, s3, s1
	s_load_dwordx2 s[0:1], s[0:1], 0x0
	s_waitcnt lgkmcnt(0)
	s_lshl_b64 s[2:3], s[8:9], 2
	s_add_u32 s8, s0, s2
	s_addc_u32 s9, s1, s3
.LBB32_6:
	s_clause 0x1
	s_load_dword s22, s[4:5], 0x40
	s_load_dwordx4 s[0:3], s[4:5], 0x58
	s_waitcnt lgkmcnt(0)
	v_cmp_eq_f32_e64 s18, s22, 0
	v_cmp_neq_f32_e64 s7, s22, 0
	s_and_b32 vcc_lo, exec_lo, s18
	s_cbranch_vccnz .LBB32_8
; %bb.7:
	s_load_dwordx2 s[10:11], s[4:5], 0x48
	s_lshl_b64 s[18:19], s[20:21], 3
	s_waitcnt lgkmcnt(0)
	s_add_u32 s10, s10, s18
	s_addc_u32 s11, s11, s19
	s_lshl_b64 s[0:1], s[0:1], 2
	s_load_dwordx2 s[10:11], s[10:11], 0x0
	s_waitcnt lgkmcnt(0)
	s_add_u32 s10, s10, s0
	s_addc_u32 s11, s11, s1
.LBB32_8:
	s_load_dword s24, s[4:5], 0x18
	s_lshl_b64 s[0:1], s[20:21], 3
	v_lshl_add_u32 v4, v1, 3, v0
	v_mov_b32_e32 v6, 0
	v_mov_b32_e32 v8, 0
	v_and_b32_e32 v7, 63, v4
	v_lshrrev_b32_e32 v70, 6, v4
	v_cmp_gt_i32_e32 vcc_lo, s14, v70
	s_waitcnt lgkmcnt(0)
	s_ashr_i32 s21, s24, 31
	s_add_u32 s18, s2, s0
	s_addc_u32 s19, s3, s1
	s_add_i32 s0, s12, -1
	s_ashr_i32 s1, s0, 31
	s_lshr_b32 s1, s1, 26
	s_add_i32 s0, s0, s1
	s_ashr_i32 s0, s0, 6
	s_add_i32 s2, s0, 1
	s_not_b32 s0, s0
	v_cvt_f32_u32_e32 v2, s2
	v_rcp_iflag_f32_e32 v2, v2
	v_mul_f32_e32 v2, 0x4f7ffffe, v2
	v_cvt_u32_f32_e32 v2, v2
	v_readfirstlane_b32 s1, v2
	s_mul_i32 s0, s0, s1
	s_mul_hi_u32 s0, s1, s0
	s_add_i32 s1, s1, s0
	s_mul_hi_u32 s0, s6, s1
	s_mul_i32 s1, s0, s2
	s_add_i32 s3, s0, 1
	s_sub_i32 s1, s6, s1
	s_sub_i32 s20, s1, s2
	s_cmp_ge_u32 s1, s2
	s_cselect_b32 s0, s3, s0
	s_cselect_b32 s1, s20, s1
	s_add_i32 s3, s0, 1
	s_cmp_ge_u32 s1, s2
	s_cselect_b32 s1, s3, s0
	s_mul_i32 s0, s1, s2
	s_sub_i32 s0, s6, s0
	s_lshl_b32 s6, s0, 6
	v_or_b32_e32 v2, s6, v7
	v_cmp_gt_i32_e64 s0, s12, v2
	v_ashrrev_i32_e32 v3, 31, v2
	s_and_b32 s2, vcc_lo, s0
	s_and_b32 s3, s23, s2
	s_and_saveexec_b32 s2, s3
	s_cbranch_execz .LBB32_10
; %bb.9:
	v_mad_i64_i32 v[8:9], null, s24, v70, 0
	v_lshlrev_b64 v[10:11], 2, v[2:3]
	v_lshlrev_b64 v[8:9], 2, v[8:9]
	v_add_co_u32 v5, vcc_lo, s16, v8
	v_add_co_ci_u32_e64 v9, null, s17, v9, vcc_lo
	v_add_co_u32 v8, vcc_lo, v5, v10
	v_add_co_ci_u32_e64 v9, null, v9, v11, vcc_lo
	flat_load_dword v5, v[8:9]
	s_waitcnt vmcnt(0) lgkmcnt(0)
	v_mul_f32_e32 v8, s15, v5
.LBB32_10:
	s_or_b32 exec_lo, exec_lo, s2
	v_and_b32_e32 v71, 3, v0
	s_add_i32 s25, s14, -1
	s_load_dword s28, s[4:5], 0x30
	v_lshrrev_b32_e32 v5, 2, v4
	s_lshl_b32 s20, s1, 7
	v_min_i32_e32 v9, s25, v71
	v_cmp_le_i32_e32 vcc_lo, s14, v71
	s_xor_b32 s3, s23, -1
	v_add_nc_u32_e32 v4, s20, v5
	v_ashrrev_i32_e32 v10, 31, v9
	v_cmp_le_i32_e64 s1, s13, v4
	v_lshlrev_b64 v[10:11], 2, v[9:10]
	s_or_b32 s26, s1, s3
	s_nor_b32 s1, vcc_lo, s26
	v_add_co_u32 v10, s2, s8, v10
	v_add_co_ci_u32_e64 v11, null, s9, v11, s2
	s_and_saveexec_b32 s2, s1
	s_cbranch_execz .LBB32_12
; %bb.11:
	s_waitcnt lgkmcnt(0)
	v_mad_i64_i32 v[12:13], null, v4, s28, 0
	v_lshlrev_b64 v[12:13], 2, v[12:13]
	v_add_co_u32 v12, s1, v10, v12
	v_add_co_ci_u32_e64 v13, null, v11, v13, s1
	flat_load_dword v6, v[12:13]
	s_waitcnt vmcnt(0) lgkmcnt(0)
	v_mul_f32_e32 v6, s15, v6
.LBB32_12:
	s_or_b32 exec_lo, exec_lo, s2
	v_add_nc_u32_e32 v78, 64, v4
	v_mov_b32_e32 v76, 0
	v_mov_b32_e32 v9, 0
	v_cmp_le_i32_e64 s1, s13, v78
	s_or_b32 s27, s1, s3
	s_nor_b32 s2, vcc_lo, s27
	s_and_saveexec_b32 s1, s2
	s_cbranch_execz .LBB32_14
; %bb.13:
	s_waitcnt lgkmcnt(0)
	v_mad_i64_i32 v[12:13], null, v78, s28, 0
	v_lshlrev_b64 v[12:13], 2, v[12:13]
	v_add_co_u32 v9, vcc_lo, v10, v12
	v_add_co_ci_u32_e64 v10, null, v11, v13, vcc_lo
	flat_load_dword v9, v[9:10]
	s_waitcnt vmcnt(0) lgkmcnt(0)
	v_mul_f32_e32 v9, s15, v9
.LBB32_14:
	s_or_b32 exec_lo, exec_lo, s1
	v_add_nc_u32_e32 v10, 4, v70
	v_cmp_gt_i32_e32 vcc_lo, s14, v10
	s_and_b32 s1, s0, vcc_lo
	s_and_b32 s2, s23, s1
	s_and_saveexec_b32 s1, s2
	s_cbranch_execz .LBB32_16
; %bb.15:
	v_mad_u64_u32 v[11:12], null, s24, v10, 0
	v_mad_u64_u32 v[12:13], null, s21, v10, v[12:13]
	v_lshlrev_b64 v[10:11], 2, v[11:12]
	v_lshlrev_b64 v[12:13], 2, v[2:3]
	v_add_co_u32 v10, vcc_lo, s16, v10
	v_add_co_ci_u32_e64 v11, null, s17, v11, vcc_lo
	v_add_co_u32 v10, vcc_lo, v10, v12
	v_add_co_ci_u32_e64 v11, null, v11, v13, vcc_lo
	flat_load_dword v10, v[10:11]
	s_waitcnt vmcnt(0) lgkmcnt(0)
	v_mul_f32_e32 v76, s15, v10
.LBB32_16:
	s_or_b32 exec_lo, exec_lo, s1
	v_or_b32_e32 v12, 4, v71
	v_mov_b32_e32 v79, 0
	v_mov_b32_e32 v80, 0
	v_min_i32_e32 v10, s25, v12
	v_cmp_le_i32_e32 vcc_lo, s14, v12
	v_ashrrev_i32_e32 v11, 31, v10
	v_lshlrev_b64 v[10:11], 2, v[10:11]
	v_add_co_u32 v10, s1, s8, v10
	v_add_co_ci_u32_e64 v11, null, s9, v11, s1
	s_nor_b32 s1, vcc_lo, s26
	s_and_saveexec_b32 s2, s1
	s_cbranch_execz .LBB32_18
; %bb.17:
	s_waitcnt lgkmcnt(0)
	v_mad_i64_i32 v[12:13], null, v4, s28, 0
	v_lshlrev_b64 v[12:13], 2, v[12:13]
	v_add_co_u32 v12, s1, v10, v12
	v_add_co_ci_u32_e64 v13, null, v11, v13, s1
	flat_load_dword v12, v[12:13]
	s_waitcnt vmcnt(0) lgkmcnt(0)
	v_mul_f32_e32 v80, s15, v12
.LBB32_18:
	s_or_b32 exec_lo, exec_lo, s2
	s_load_dwordx2 s[2:3], s[18:19], 0x0
	s_nor_b32 s18, vcc_lo, s27
	s_and_saveexec_b32 s1, s18
	s_cbranch_execz .LBB32_20
; %bb.19:
	s_waitcnt lgkmcnt(0)
	v_mad_i64_i32 v[12:13], null, v78, s28, 0
	v_lshlrev_b64 v[12:13], 2, v[12:13]
	v_add_co_u32 v10, vcc_lo, v10, v12
	v_add_co_ci_u32_e64 v11, null, v11, v13, vcc_lo
	flat_load_dword v10, v[10:11]
	s_waitcnt vmcnt(0) lgkmcnt(0)
	v_mul_f32_e32 v79, s15, v10
.LBB32_20:
	s_or_b32 exec_lo, exec_lo, s1
	v_lshlrev_b32_e32 v7, 4, v7
	v_lshlrev_b32_e32 v10, 4, v5
	v_mov_b32_e32 v68, 0
	v_lshl_or_b32 v73, v0, 4, 0x1000
	v_lshlrev_b32_e32 v74, 4, v1
	v_lshl_add_u32 v81, v70, 2, v7
	v_lshl_or_b32 v72, v71, 2, v10
	v_mov_b32_e32 v69, v68
	v_mov_b32_e32 v7, v68
	;; [unrolled: 1-line block ×3, first 2 shown]
	v_or_b32_e32 v75, 0x1000, v81
	ds_write_b32 v81, v8 offset:4096
	ds_write2st64_b32 v72, v6, v9 offset1:4
	v_mov_b32_e32 v6, v68
	v_mov_b32_e32 v8, v68
	v_mov_b32_e32 v9, v68
	v_mov_b32_e32 v11, v68
	v_mov_b32_e32 v12, v68
	v_mov_b32_e32 v13, v68
	v_mov_b32_e32 v14, v68
	v_mov_b32_e32 v15, v68
	v_mov_b32_e32 v16, v68
	v_mov_b32_e32 v17, v68
	v_mov_b32_e32 v66, v68
	v_mov_b32_e32 v67, v68
	v_mov_b32_e32 v64, v68
	v_mov_b32_e32 v65, v68
	v_mov_b32_e32 v62, v68
	v_mov_b32_e32 v63, v68
	v_mov_b32_e32 v60, v68
	v_mov_b32_e32 v61, v68
	v_mov_b32_e32 v58, v68
	v_mov_b32_e32 v59, v68
	v_mov_b32_e32 v56, v68
	v_mov_b32_e32 v57, v68
	v_mov_b32_e32 v54, v68
	v_mov_b32_e32 v55, v68
	v_mov_b32_e32 v52, v68
	v_mov_b32_e32 v53, v68
	v_mov_b32_e32 v50, v68
	v_mov_b32_e32 v51, v68
	v_mov_b32_e32 v48, v68
	v_mov_b32_e32 v49, v68
	v_mov_b32_e32 v46, v68
	v_mov_b32_e32 v47, v68
	v_mov_b32_e32 v44, v68
	v_mov_b32_e32 v45, v68
	v_mov_b32_e32 v42, v68
	v_mov_b32_e32 v43, v68
	v_mov_b32_e32 v40, v68
	v_mov_b32_e32 v41, v68
	v_mov_b32_e32 v38, v68
	v_mov_b32_e32 v39, v68
	v_mov_b32_e32 v36, v68
	v_mov_b32_e32 v37, v68
	v_mov_b32_e32 v34, v68
	v_mov_b32_e32 v35, v68
	v_mov_b32_e32 v32, v68
	v_mov_b32_e32 v33, v68
	v_mov_b32_e32 v30, v68
	v_mov_b32_e32 v31, v68
	v_mov_b32_e32 v28, v68
	v_mov_b32_e32 v29, v68
	v_mov_b32_e32 v26, v68
	v_mov_b32_e32 v27, v68
	v_mov_b32_e32 v24, v68
	v_mov_b32_e32 v25, v68
	v_mov_b32_e32 v22, v68
	v_mov_b32_e32 v23, v68
	v_mov_b32_e32 v20, v68
	v_mov_b32_e32 v21, v68
	v_mov_b32_e32 v18, v68
	v_mov_b32_e32 v19, v68
	s_mov_b32 s18, 0
	s_mov_b32 s1, -1
	s_waitcnt lgkmcnt(0)
	s_barrier
	buffer_gl0_inv
.LBB32_21:                              ; =>This Inner Loop Header: Depth=1
	s_lshl_b32 s18, s18, 2
	v_cndmask_b32_e64 v77, 0, 1, s1
	v_add_nc_u32_e32 v94, s18, v73
	v_add_nc_u32_e32 v102, s18, v74
	s_mov_b32 s1, 0
	s_mov_b32 s18, 2
	v_cmp_ne_u32_e32 vcc_lo, 1, v77
	ds_read2_b64 v[82:85], v94 offset1:16
	ds_read2_b64 v[86:89], v94 offset0:32 offset1:48
	ds_read2_b64 v[90:93], v94 offset0:64 offset1:80
	;; [unrolled: 1-line block ×3, first 2 shown]
	ds_read2st64_b64 v[98:101], v102 offset1:1
	ds_read2st64_b64 v[102:105], v102 offset0:2 offset1:3
	s_and_b32 vcc_lo, exec_lo, vcc_lo
	s_waitcnt lgkmcnt(5)
	v_max_f32_e32 v77, v82, v82
	v_max_f32_e32 v82, v83, v83
	v_max_f32_e32 v83, v84, v84
	v_max_f32_e32 v84, v85, v85
	s_waitcnt lgkmcnt(4)
	v_max_f32_e32 v85, v86, v86
	v_max_f32_e32 v86, v87, v87
	v_max_f32_e32 v87, v88, v88
	v_max_f32_e32 v88, v89, v89
	;; [unrolled: 5-line block ×6, first 2 shown]
	v_min_f32_e32 v105, v77, v97
	v_min_f32_e32 v106, v83, v97
	;; [unrolled: 1-line block ×64, first 2 shown]
	v_add_f32_e32 v69, v69, v103
	v_add_f32_e32 v68, v68, v105
	;; [unrolled: 1-line block ×64, first 2 shown]
	s_cbranch_vccz .LBB32_21
; %bb.22:
	v_lshlrev_b32_e32 v77, 2, v71
	ds_write_b32 v81, v76 offset:5120
	v_lshl_add_u32 v76, v0, 4, 0x1400
	s_cmp_lt_i32 s14, 9
	v_lshl_or_b32 v5, v5, 4, v77
	v_lshl_add_u32 v77, v1, 4, 0x800
	ds_write2st64_b32 v5, v80, v79 offset0:8 offset1:12
	s_waitcnt lgkmcnt(0)
	s_barrier
	buffer_gl0_inv
	s_cbranch_scc1 .LBB32_41
; %bb.23:
	v_mad_i64_i32 v[82:83], null, v4, s28, 0
	v_mad_i64_i32 v[84:85], null, v78, s28, 0
	v_lshlrev_b64 v[86:87], 2, v[2:3]
	v_add_nc_u32_e32 v79, 0x800, v5
	v_add_nc_u32_e32 v78, 0x1400, v81
	s_mov_b32 s18, 0
	v_lshlrev_b64 v[2:3], 2, v[82:83]
	v_add_co_u32 v80, vcc_lo, s16, v86
	v_lshlrev_b64 v[4:5], 2, v[84:85]
	v_add_co_ci_u32_e64 v81, null, s17, v87, vcc_lo
	s_add_i32 s16, s14, -8
	s_mov_b32 s17, 8
.LBB32_24:                              ; =>This Loop Header: Depth=1
                                        ;     Child Loop BB32_31 Depth 2
                                        ;     Child Loop BB32_39 Depth 2
	v_add_nc_u32_e32 v82, s17, v70
	v_mov_b32_e32 v83, 0
	v_mov_b32_e32 v84, 0
	v_cmp_gt_i32_e32 vcc_lo, s14, v82
	s_and_b32 s1, s0, vcc_lo
	s_and_b32 s19, s23, s1
	s_and_saveexec_b32 s1, s19
	s_cbranch_execz .LBB32_26
; %bb.25:                               ;   in Loop: Header=BB32_24 Depth=1
	v_mad_u64_u32 v[84:85], null, v82, s24, 0
	v_mad_u64_u32 v[85:86], null, v82, s21, v[85:86]
	v_lshlrev_b64 v[84:85], 2, v[84:85]
	v_add_co_u32 v84, vcc_lo, v80, v84
	v_add_co_ci_u32_e64 v85, null, v81, v85, vcc_lo
	flat_load_dword v82, v[84:85]
	s_waitcnt vmcnt(0) lgkmcnt(0)
	v_mul_f32_e32 v84, s15, v82
.LBB32_26:                              ;   in Loop: Header=BB32_24 Depth=1
	s_or_b32 exec_lo, exec_lo, s1
	v_or_b32_e32 v82, s17, v71
	v_min_i32_e32 v85, s25, v82
	v_cmp_le_i32_e32 vcc_lo, s14, v82
	v_ashrrev_i32_e32 v86, 31, v85
	v_lshlrev_b64 v[86:87], 2, v[85:86]
	v_add_co_u32 v86, s1, s8, v86
	v_add_co_ci_u32_e64 v87, null, s9, v87, s1
	s_nor_b32 s1, s26, vcc_lo
	s_and_saveexec_b32 s19, s1
	s_cbranch_execz .LBB32_28
; %bb.27:                               ;   in Loop: Header=BB32_24 Depth=1
	v_add_co_u32 v88, s1, v86, v2
	v_add_co_ci_u32_e64 v89, null, v87, v3, s1
	flat_load_dword v83, v[88:89]
	s_waitcnt vmcnt(0) lgkmcnt(0)
	v_mul_f32_e32 v83, s15, v83
.LBB32_28:                              ;   in Loop: Header=BB32_24 Depth=1
	s_or_b32 exec_lo, exec_lo, s19
	v_mov_b32_e32 v85, 0
	s_nor_b32 s19, s27, vcc_lo
	s_and_saveexec_b32 s1, s19
	s_cbranch_execz .LBB32_30
; %bb.29:                               ;   in Loop: Header=BB32_24 Depth=1
	v_add_co_u32 v85, vcc_lo, v86, v4
	v_add_co_ci_u32_e64 v86, null, v87, v5, vcc_lo
	flat_load_dword v85, v[85:86]
	s_waitcnt vmcnt(0) lgkmcnt(0)
	v_mul_f32_e32 v85, s15, v85
.LBB32_30:                              ;   in Loop: Header=BB32_24 Depth=1
	s_or_b32 exec_lo, exec_lo, s1
	s_mov_b32 s19, 0
	s_mov_b32 s1, -1
.LBB32_31:                              ;   Parent Loop BB32_24 Depth=1
                                        ; =>  This Inner Loop Header: Depth=2
	s_lshl_b32 s19, s19, 2
	v_cndmask_b32_e64 v86, 0, 1, s1
	v_add_nc_u32_e32 v106, s19, v77
	v_add_nc_u32_e32 v102, s19, v76
	s_mov_b32 s1, 0
	s_mov_b32 s19, 2
	v_cmp_ne_u32_e32 vcc_lo, 1, v86
	ds_read2st64_b64 v[86:89], v106 offset1:1
	ds_read2_b64 v[90:93], v102 offset1:16
	ds_read2_b64 v[94:97], v102 offset0:32 offset1:48
	ds_read2_b64 v[98:101], v102 offset0:64 offset1:80
	;; [unrolled: 1-line block ×3, first 2 shown]
	ds_read2st64_b64 v[106:109], v106 offset0:2 offset1:3
	s_and_b32 vcc_lo, exec_lo, vcc_lo
	s_waitcnt lgkmcnt(5)
	v_max_f32_e32 v86, v86, v86
	s_waitcnt lgkmcnt(4)
	v_max_f32_e32 v90, v90, v90
	v_max_f32_e32 v87, v87, v87
	;; [unrolled: 1-line block ×5, first 2 shown]
	s_waitcnt lgkmcnt(3)
	v_max_f32_e32 v94, v94, v94
	v_max_f32_e32 v95, v95, v95
	v_max_f32_e32 v96, v96, v96
	v_max_f32_e32 v97, v97, v97
	s_waitcnt lgkmcnt(2)
	v_max_f32_e32 v98, v98, v98
	v_max_f32_e32 v99, v99, v99
	v_max_f32_e32 v100, v100, v100
	v_max_f32_e32 v101, v101, v101
	;; [unrolled: 5-line block ×3, first 2 shown]
	v_max_f32_e32 v88, v88, v88
	v_max_f32_e32 v89, v89, v89
	s_waitcnt lgkmcnt(0)
	v_max_f32_e32 v106, v106, v106
	v_max_f32_e32 v107, v107, v107
	;; [unrolled: 1-line block ×4, first 2 shown]
	v_min_f32_e32 v110, v90, v86
	v_min_f32_e32 v111, v91, v87
	;; [unrolled: 1-line block ×64, first 2 shown]
	v_add_f32_e32 v69, v69, v111
	v_add_f32_e32 v68, v68, v110
	;; [unrolled: 1-line block ×64, first 2 shown]
	s_cbranch_vccz .LBB32_31
; %bb.32:                               ;   in Loop: Header=BB32_24 Depth=1
	v_add3_u32 v86, v70, s17, 4
	ds_write_b32 v75, v84
	ds_write2st64_b32 v72, v83, v85 offset1:4
	v_mov_b32_e32 v83, 0
	v_mov_b32_e32 v84, 0
	v_cmp_gt_i32_e32 vcc_lo, s14, v86
	s_waitcnt lgkmcnt(0)
	s_barrier
	buffer_gl0_inv
	s_and_b32 s1, s0, vcc_lo
	s_and_b32 s19, s23, s1
	s_and_saveexec_b32 s1, s19
	s_cbranch_execz .LBB32_34
; %bb.33:                               ;   in Loop: Header=BB32_24 Depth=1
	v_mad_u64_u32 v[84:85], null, v86, s24, 0
	v_mad_u64_u32 v[85:86], null, v86, s21, v[85:86]
	v_lshlrev_b64 v[84:85], 2, v[84:85]
	v_add_co_u32 v84, vcc_lo, v80, v84
	v_add_co_ci_u32_e64 v85, null, v81, v85, vcc_lo
	flat_load_dword v84, v[84:85]
	s_waitcnt vmcnt(0) lgkmcnt(0)
	v_mul_f32_e32 v84, s15, v84
.LBB32_34:                              ;   in Loop: Header=BB32_24 Depth=1
	s_or_b32 exec_lo, exec_lo, s1
	v_or_b32_e32 v82, 4, v82
	v_min_i32_e32 v85, s25, v82
	v_cmp_le_i32_e32 vcc_lo, s14, v82
	v_ashrrev_i32_e32 v86, 31, v85
	v_lshlrev_b64 v[85:86], 2, v[85:86]
	v_add_co_u32 v85, s1, s8, v85
	v_add_co_ci_u32_e64 v86, null, s9, v86, s1
	s_nor_b32 s1, s26, vcc_lo
	s_and_saveexec_b32 s19, s1
	s_cbranch_execz .LBB32_36
; %bb.35:                               ;   in Loop: Header=BB32_24 Depth=1
	v_add_co_u32 v82, s1, v85, v2
	v_add_co_ci_u32_e64 v83, null, v86, v3, s1
	flat_load_dword v82, v[82:83]
	s_waitcnt vmcnt(0) lgkmcnt(0)
	v_mul_f32_e32 v83, s15, v82
.LBB32_36:                              ;   in Loop: Header=BB32_24 Depth=1
	s_or_b32 exec_lo, exec_lo, s19
	v_mov_b32_e32 v82, 0
	s_nor_b32 s19, s27, vcc_lo
	s_and_saveexec_b32 s1, s19
	s_cbranch_execz .LBB32_38
; %bb.37:                               ;   in Loop: Header=BB32_24 Depth=1
	v_add_co_u32 v85, vcc_lo, v85, v4
	v_add_co_ci_u32_e64 v86, null, v86, v5, vcc_lo
	flat_load_dword v82, v[85:86]
	s_waitcnt vmcnt(0) lgkmcnt(0)
	v_mul_f32_e32 v82, s15, v82
.LBB32_38:                              ;   in Loop: Header=BB32_24 Depth=1
	s_or_b32 exec_lo, exec_lo, s1
	s_mov_b32 s19, 0
	s_mov_b32 s1, -1
.LBB32_39:                              ;   Parent Loop BB32_24 Depth=1
                                        ; =>  This Inner Loop Header: Depth=2
	s_lshl_b32 s19, s19, 2
	v_cndmask_b32_e64 v85, 0, 1, s1
	v_add_nc_u32_e32 v105, s19, v74
	v_add_nc_u32_e32 v101, s19, v73
	s_mov_b32 s1, 0
	s_mov_b32 s19, 2
	v_cmp_ne_u32_e32 vcc_lo, 1, v85
	ds_read2st64_b64 v[85:88], v105 offset1:1
	ds_read2_b64 v[89:92], v101 offset1:16
	ds_read2_b64 v[93:96], v101 offset0:32 offset1:48
	ds_read2_b64 v[97:100], v101 offset0:64 offset1:80
	;; [unrolled: 1-line block ×3, first 2 shown]
	ds_read2st64_b64 v[105:108], v105 offset0:2 offset1:3
	s_and_b32 vcc_lo, exec_lo, vcc_lo
	s_waitcnt lgkmcnt(5)
	v_max_f32_e32 v85, v85, v85
	s_waitcnt lgkmcnt(4)
	v_max_f32_e32 v89, v89, v89
	v_max_f32_e32 v86, v86, v86
	v_max_f32_e32 v90, v90, v90
	v_max_f32_e32 v91, v91, v91
	v_max_f32_e32 v92, v92, v92
	s_waitcnt lgkmcnt(3)
	v_max_f32_e32 v93, v93, v93
	v_max_f32_e32 v94, v94, v94
	v_max_f32_e32 v95, v95, v95
	v_max_f32_e32 v96, v96, v96
	s_waitcnt lgkmcnt(2)
	v_max_f32_e32 v97, v97, v97
	v_max_f32_e32 v98, v98, v98
	v_max_f32_e32 v99, v99, v99
	v_max_f32_e32 v100, v100, v100
	;; [unrolled: 5-line block ×3, first 2 shown]
	v_max_f32_e32 v87, v87, v87
	v_max_f32_e32 v88, v88, v88
	s_waitcnt lgkmcnt(0)
	v_max_f32_e32 v105, v105, v105
	v_max_f32_e32 v106, v106, v106
	;; [unrolled: 1-line block ×4, first 2 shown]
	v_min_f32_e32 v109, v89, v85
	v_min_f32_e32 v110, v90, v86
	;; [unrolled: 1-line block ×64, first 2 shown]
	v_add_f32_e32 v69, v69, v110
	v_add_f32_e32 v68, v68, v109
	;; [unrolled: 1-line block ×64, first 2 shown]
	s_cbranch_vccz .LBB32_39
; %bb.40:                               ;   in Loop: Header=BB32_24 Depth=1
	s_add_i32 s18, s18, 8
	s_add_i32 s17, s17, 8
	s_cmp_ge_i32 s18, s16
	ds_write_b32 v78, v84
	ds_write2st64_b32 v79, v83, v82 offset1:4
	s_waitcnt lgkmcnt(0)
	s_barrier
	buffer_gl0_inv
	s_cbranch_scc0 .LBB32_24
.LBB32_41:
	s_mov_b32 s0, -1
.LBB32_42:                              ; =>This Inner Loop Header: Depth=1
	s_lshl_b32 s1, s1, 2
	v_cndmask_b32_e64 v2, 0, 1, s0
	v_add_nc_u32_e32 v74, s1, v77
	v_add_nc_u32_e32 v75, s1, v76
	s_mov_b32 s0, 0
	s_mov_b32 s1, 2
	v_cmp_ne_u32_e32 vcc_lo, 1, v2
	ds_read2st64_b64 v[2:5], v74 offset1:1
	ds_read2_b64 v[70:73], v75 offset1:16
	ds_read2_b64 v[78:81], v75 offset0:32 offset1:48
	ds_read2_b64 v[82:85], v75 offset0:64 offset1:80
	;; [unrolled: 1-line block ×3, first 2 shown]
	ds_read2st64_b64 v[90:93], v74 offset0:2 offset1:3
	s_and_b32 vcc_lo, exec_lo, vcc_lo
	s_waitcnt lgkmcnt(5)
	v_max_f32_e32 v2, v2, v2
	s_waitcnt lgkmcnt(4)
	v_max_f32_e32 v70, v70, v70
	v_max_f32_e32 v3, v3, v3
	;; [unrolled: 1-line block ×5, first 2 shown]
	s_waitcnt lgkmcnt(3)
	v_max_f32_e32 v74, v78, v78
	v_max_f32_e32 v75, v79, v79
	v_max_f32_e32 v78, v80, v80
	v_max_f32_e32 v79, v81, v81
	s_waitcnt lgkmcnt(2)
	v_max_f32_e32 v80, v82, v82
	v_max_f32_e32 v81, v83, v83
	v_max_f32_e32 v82, v84, v84
	v_max_f32_e32 v83, v85, v85
	;; [unrolled: 5-line block ×3, first 2 shown]
	v_max_f32_e32 v4, v4, v4
	v_max_f32_e32 v5, v5, v5
	s_waitcnt lgkmcnt(0)
	v_max_f32_e32 v88, v90, v90
	v_max_f32_e32 v89, v91, v91
	;; [unrolled: 1-line block ×4, first 2 shown]
	v_min_f32_e32 v92, v70, v2
	v_min_f32_e32 v93, v71, v3
	;; [unrolled: 1-line block ×64, first 2 shown]
	v_add_f32_e32 v69, v69, v93
	v_add_f32_e32 v68, v68, v92
	;; [unrolled: 1-line block ×64, first 2 shown]
	s_cbranch_vccz .LBB32_42
; %bb.43:
	s_clause 0x2
	s_load_dword s14, s[4:5], 0x50
	s_load_dword s9, s[4:5], 0x68
	s_load_dwordx2 s[4:5], s[4:5], 0x70
	v_add_nc_u32_e32 v71, s20, v1
	v_add_nc_u32_e32 v0, s6, v0
	v_cndmask_b32_e64 v70, 0, 1, s7
	v_cmp_gt_i32_e64 s8, s13, v71
	v_cmp_gt_i32_e64 s0, s12, v0
	s_waitcnt lgkmcnt(0)
	v_mad_i64_i32 v[1:2], null, v71, s14, 0
	v_mad_i64_i32 v[3:4], null, v71, s9, 0
	s_lshl_b64 s[4:5], s[4:5], 2
	s_add_u32 s15, s2, s4
	s_addc_u32 s16, s3, s5
	v_lshlrev_b64 v[72:73], 2, v[1:2]
	v_ashrrev_i32_e32 v1, 31, v0
	v_lshlrev_b64 v[2:3], 2, v[3:4]
	s_and_b32 s2, s0, s8
	v_add_co_u32 v74, vcc_lo, s10, v72
	v_add_co_ci_u32_e64 v75, null, s11, v73, vcc_lo
	v_add_co_u32 v72, vcc_lo, s15, v2
	v_add_co_ci_u32_e64 v73, null, s16, v3, vcc_lo
	s_and_saveexec_b32 s1, s2
	s_cbranch_execz .LBB32_48
; %bb.44:
	v_lshlrev_b64 v[2:3], 2, v[0:1]
	s_andn2_b32 vcc_lo, exec_lo, s7
	s_cbranch_vccnz .LBB32_46
; %bb.45:
	v_add_co_u32 v4, vcc_lo, v74, v2
	v_add_co_ci_u32_e64 v5, null, v75, v3, vcc_lo
	flat_load_dword v4, v[4:5]
	s_waitcnt vmcnt(0) lgkmcnt(0)
	v_mul_f32_e32 v4, s22, v4
	s_branch .LBB32_47
.LBB32_46:
	v_mov_b32_e32 v4, 0
.LBB32_47:
	v_add_f32_e32 v5, v68, v69
	v_add_co_u32 v2, vcc_lo, v72, v2
	v_add_co_ci_u32_e64 v3, null, v73, v3, vcc_lo
	v_add_f32_e32 v4, v5, v4
	flat_store_dword v[2:3], v4
.LBB32_48:
	s_or_b32 exec_lo, exec_lo, s1
	v_add_nc_u32_e32 v2, 8, v0
	v_cmp_gt_i32_e64 s1, s12, v2
	v_ashrrev_i32_e32 v3, 31, v2
	s_and_b32 s3, s1, s8
	s_and_saveexec_b32 s2, s3
	s_cbranch_execz .LBB32_53
; %bb.49:
	v_cmp_ne_u32_e32 vcc_lo, 1, v70
	v_lshlrev_b64 v[4:5], 2, v[2:3]
	s_cbranch_vccnz .LBB32_51
; %bb.50:
	v_add_co_u32 v68, vcc_lo, v74, v4
	v_add_co_ci_u32_e64 v69, null, v75, v5, vcc_lo
	flat_load_dword v68, v[68:69]
	s_waitcnt vmcnt(0) lgkmcnt(0)
	v_mul_f32_e32 v68, s22, v68
	s_branch .LBB32_52
.LBB32_51:
	v_mov_b32_e32 v68, 0
.LBB32_52:
	v_add_f32_e32 v6, v6, v7
	v_add_co_u32 v4, vcc_lo, v72, v4
	v_add_co_ci_u32_e64 v5, null, v73, v5, vcc_lo
	v_add_f32_e32 v6, v6, v68
	flat_store_dword v[4:5], v6
.LBB32_53:
	s_or_b32 exec_lo, exec_lo, s2
	v_add_nc_u32_e32 v4, 16, v0
	v_cmp_gt_i32_e64 s2, s12, v4
	v_ashrrev_i32_e32 v5, 31, v4
	s_and_b32 s4, s2, s8
	s_and_saveexec_b32 s3, s4
	s_cbranch_execz .LBB32_58
; %bb.54:
	v_cmp_ne_u32_e32 vcc_lo, 1, v70
	v_lshlrev_b64 v[6:7], 2, v[4:5]
	s_cbranch_vccnz .LBB32_56
; %bb.55:
	v_add_co_u32 v68, vcc_lo, v74, v6
	v_add_co_ci_u32_e64 v69, null, v75, v7, vcc_lo
	flat_load_dword v68, v[68:69]
	s_waitcnt vmcnt(0) lgkmcnt(0)
	v_mul_f32_e32 v68, s22, v68
	s_branch .LBB32_57
.LBB32_56:
	v_mov_b32_e32 v68, 0
.LBB32_57:
	v_add_f32_e32 v8, v8, v9
	v_add_co_u32 v6, vcc_lo, v72, v6
	v_add_co_ci_u32_e64 v7, null, v73, v7, vcc_lo
	v_add_f32_e32 v8, v8, v68
	flat_store_dword v[6:7], v8
.LBB32_58:
	;; [unrolled: 27-line block ×7, first 2 shown]
	s_or_b32 exec_lo, exec_lo, s8
	v_add_nc_u32_e32 v68, 32, v71
	v_mad_i64_i32 v[16:17], null, v68, s14, 0
	v_mad_i64_i32 v[66:67], null, v68, s9, 0
	v_cmp_gt_i32_e64 s8, s13, v68
	v_lshlrev_b64 v[16:17], 2, v[16:17]
	s_and_b32 s17, s0, s8
	v_lshlrev_b64 v[66:67], 2, v[66:67]
	v_add_co_u32 v68, vcc_lo, s10, v16
	v_add_co_ci_u32_e64 v69, null, s11, v17, vcc_lo
	v_add_co_u32 v66, vcc_lo, s15, v66
	v_add_co_ci_u32_e64 v67, null, s16, v67, vcc_lo
	s_and_saveexec_b32 s12, s17
	s_cbranch_execnz .LBB32_91
; %bb.84:
	s_or_b32 exec_lo, exec_lo, s12
	s_and_b32 s17, s1, s8
	s_and_saveexec_b32 s12, s17
	s_cbranch_execnz .LBB32_95
.LBB32_85:
	s_or_b32 exec_lo, exec_lo, s12
	s_and_b32 s17, s2, s8
	s_and_saveexec_b32 s12, s17
	s_cbranch_execnz .LBB32_99
.LBB32_86:
	s_or_b32 exec_lo, exec_lo, s12
	s_and_b32 s17, s3, s8
	s_and_saveexec_b32 s12, s17
	s_cbranch_execnz .LBB32_103
.LBB32_87:
	s_or_b32 exec_lo, exec_lo, s12
	s_and_b32 s17, s4, s8
	s_and_saveexec_b32 s12, s17
	s_cbranch_execnz .LBB32_107
.LBB32_88:
	s_or_b32 exec_lo, exec_lo, s12
	s_and_b32 s17, s5, s8
	s_and_saveexec_b32 s12, s17
	s_cbranch_execnz .LBB32_111
.LBB32_89:
	s_or_b32 exec_lo, exec_lo, s12
	s_and_b32 s17, s6, s8
	s_and_saveexec_b32 s12, s17
	s_cbranch_execnz .LBB32_115
.LBB32_90:
	s_or_b32 exec_lo, exec_lo, s12
	s_and_b32 s12, s7, s8
	s_and_saveexec_b32 s8, s12
	s_cbranch_execnz .LBB32_119
	s_branch .LBB32_123
.LBB32_91:
	v_cmp_ne_u32_e32 vcc_lo, 1, v70
	v_lshlrev_b64 v[16:17], 2, v[0:1]
	s_cbranch_vccnz .LBB32_93
; %bb.92:
	v_add_co_u32 v72, vcc_lo, v68, v16
	v_add_co_ci_u32_e64 v73, null, v69, v17, vcc_lo
	flat_load_dword v72, v[72:73]
	s_waitcnt vmcnt(0) lgkmcnt(0)
	v_mul_f32_e32 v72, s22, v72
	s_branch .LBB32_94
.LBB32_93:
	v_mov_b32_e32 v72, 0
.LBB32_94:
	v_add_f32_e32 v64, v64, v65
	v_add_co_u32 v16, vcc_lo, v66, v16
	v_add_co_ci_u32_e64 v17, null, v67, v17, vcc_lo
	v_add_f32_e32 v64, v64, v72
	flat_store_dword v[16:17], v64
	s_or_b32 exec_lo, exec_lo, s12
	s_and_b32 s17, s1, s8
	s_and_saveexec_b32 s12, s17
	s_cbranch_execz .LBB32_85
.LBB32_95:
	v_cmp_ne_u32_e32 vcc_lo, 1, v70
	v_lshlrev_b64 v[16:17], 2, v[2:3]
	s_cbranch_vccnz .LBB32_97
; %bb.96:
	v_add_co_u32 v64, vcc_lo, v68, v16
	v_add_co_ci_u32_e64 v65, null, v69, v17, vcc_lo
	flat_load_dword v64, v[64:65]
	s_waitcnt vmcnt(0) lgkmcnt(0)
	v_mul_f32_e32 v64, s22, v64
	s_branch .LBB32_98
.LBB32_97:
	v_mov_b32_e32 v64, 0
.LBB32_98:
	v_add_f32_e32 v62, v62, v63
	v_add_co_u32 v16, vcc_lo, v66, v16
	v_add_co_ci_u32_e64 v17, null, v67, v17, vcc_lo
	v_add_f32_e32 v62, v62, v64
	flat_store_dword v[16:17], v62
	s_or_b32 exec_lo, exec_lo, s12
	s_and_b32 s17, s2, s8
	s_and_saveexec_b32 s12, s17
	s_cbranch_execz .LBB32_86
.LBB32_99:
	v_cmp_ne_u32_e32 vcc_lo, 1, v70
	v_lshlrev_b64 v[16:17], 2, v[4:5]
	s_cbranch_vccnz .LBB32_101
; %bb.100:
	v_add_co_u32 v62, vcc_lo, v68, v16
	v_add_co_ci_u32_e64 v63, null, v69, v17, vcc_lo
	flat_load_dword v62, v[62:63]
	s_waitcnt vmcnt(0) lgkmcnt(0)
	v_mul_f32_e32 v62, s22, v62
	s_branch .LBB32_102
.LBB32_101:
	v_mov_b32_e32 v62, 0
.LBB32_102:
	v_add_f32_e32 v60, v60, v61
	v_add_co_u32 v16, vcc_lo, v66, v16
	v_add_co_ci_u32_e64 v17, null, v67, v17, vcc_lo
	v_add_f32_e32 v60, v60, v62
	flat_store_dword v[16:17], v60
	s_or_b32 exec_lo, exec_lo, s12
	s_and_b32 s17, s3, s8
	s_and_saveexec_b32 s12, s17
	s_cbranch_execz .LBB32_87
.LBB32_103:
	v_cmp_ne_u32_e32 vcc_lo, 1, v70
	v_lshlrev_b64 v[16:17], 2, v[6:7]
	s_cbranch_vccnz .LBB32_105
; %bb.104:
	v_add_co_u32 v60, vcc_lo, v68, v16
	v_add_co_ci_u32_e64 v61, null, v69, v17, vcc_lo
	flat_load_dword v60, v[60:61]
	s_waitcnt vmcnt(0) lgkmcnt(0)
	v_mul_f32_e32 v60, s22, v60
	s_branch .LBB32_106
.LBB32_105:
	v_mov_b32_e32 v60, 0
.LBB32_106:
	v_add_f32_e32 v58, v58, v59
	v_add_co_u32 v16, vcc_lo, v66, v16
	v_add_co_ci_u32_e64 v17, null, v67, v17, vcc_lo
	v_add_f32_e32 v58, v58, v60
	flat_store_dword v[16:17], v58
	s_or_b32 exec_lo, exec_lo, s12
	s_and_b32 s17, s4, s8
	s_and_saveexec_b32 s12, s17
	s_cbranch_execz .LBB32_88
.LBB32_107:
	v_cmp_ne_u32_e32 vcc_lo, 1, v70
	v_lshlrev_b64 v[16:17], 2, v[8:9]
	s_cbranch_vccnz .LBB32_109
; %bb.108:
	v_add_co_u32 v58, vcc_lo, v68, v16
	v_add_co_ci_u32_e64 v59, null, v69, v17, vcc_lo
	flat_load_dword v58, v[58:59]
	s_waitcnt vmcnt(0) lgkmcnt(0)
	v_mul_f32_e32 v58, s22, v58
	s_branch .LBB32_110
.LBB32_109:
	v_mov_b32_e32 v58, 0
.LBB32_110:
	v_add_f32_e32 v56, v56, v57
	v_add_co_u32 v16, vcc_lo, v66, v16
	v_add_co_ci_u32_e64 v17, null, v67, v17, vcc_lo
	v_add_f32_e32 v56, v56, v58
	flat_store_dword v[16:17], v56
	s_or_b32 exec_lo, exec_lo, s12
	s_and_b32 s17, s5, s8
	s_and_saveexec_b32 s12, s17
	s_cbranch_execz .LBB32_89
.LBB32_111:
	v_cmp_ne_u32_e32 vcc_lo, 1, v70
	v_lshlrev_b64 v[16:17], 2, v[10:11]
	s_cbranch_vccnz .LBB32_113
; %bb.112:
	v_add_co_u32 v56, vcc_lo, v68, v16
	v_add_co_ci_u32_e64 v57, null, v69, v17, vcc_lo
	flat_load_dword v56, v[56:57]
	s_waitcnt vmcnt(0) lgkmcnt(0)
	v_mul_f32_e32 v56, s22, v56
	s_branch .LBB32_114
.LBB32_113:
	v_mov_b32_e32 v56, 0
.LBB32_114:
	v_add_f32_e32 v54, v54, v55
	v_add_co_u32 v16, vcc_lo, v66, v16
	v_add_co_ci_u32_e64 v17, null, v67, v17, vcc_lo
	v_add_f32_e32 v54, v54, v56
	flat_store_dword v[16:17], v54
	s_or_b32 exec_lo, exec_lo, s12
	s_and_b32 s17, s6, s8
	s_and_saveexec_b32 s12, s17
	s_cbranch_execz .LBB32_90
.LBB32_115:
	v_cmp_ne_u32_e32 vcc_lo, 1, v70
	v_lshlrev_b64 v[16:17], 2, v[12:13]
	s_cbranch_vccnz .LBB32_117
; %bb.116:
	v_add_co_u32 v54, vcc_lo, v68, v16
	v_add_co_ci_u32_e64 v55, null, v69, v17, vcc_lo
	flat_load_dword v54, v[54:55]
	s_waitcnt vmcnt(0) lgkmcnt(0)
	v_mul_f32_e32 v54, s22, v54
	s_branch .LBB32_118
.LBB32_117:
	v_mov_b32_e32 v54, 0
.LBB32_118:
	v_add_f32_e32 v52, v52, v53
	v_add_co_u32 v16, vcc_lo, v66, v16
	v_add_co_ci_u32_e64 v17, null, v67, v17, vcc_lo
	v_add_f32_e32 v52, v52, v54
	flat_store_dword v[16:17], v52
	s_or_b32 exec_lo, exec_lo, s12
	s_and_b32 s12, s7, s8
	s_and_saveexec_b32 s8, s12
	s_cbranch_execz .LBB32_123
.LBB32_119:
	v_cmp_ne_u32_e32 vcc_lo, 1, v70
	v_lshlrev_b64 v[16:17], 2, v[14:15]
	s_cbranch_vccnz .LBB32_121
; %bb.120:
	v_add_co_u32 v52, vcc_lo, v68, v16
	v_add_co_ci_u32_e64 v53, null, v69, v17, vcc_lo
	flat_load_dword v52, v[52:53]
	s_waitcnt vmcnt(0) lgkmcnt(0)
	v_mul_f32_e32 v52, s22, v52
	s_branch .LBB32_122
.LBB32_121:
	v_mov_b32_e32 v52, 0
.LBB32_122:
	v_add_f32_e32 v50, v50, v51
	v_add_co_u32 v16, vcc_lo, v66, v16
	v_add_co_ci_u32_e64 v17, null, v67, v17, vcc_lo
	v_add_f32_e32 v50, v50, v52
	flat_store_dword v[16:17], v50
.LBB32_123:
	s_or_b32 exec_lo, exec_lo, s8
	v_add_nc_u32_e32 v52, 64, v71
	v_mad_i64_i32 v[16:17], null, v52, s14, 0
	v_mad_i64_i32 v[50:51], null, v52, s9, 0
	v_cmp_gt_i32_e64 s8, s13, v52
	v_lshlrev_b64 v[16:17], 2, v[16:17]
	s_and_b32 s17, s0, s8
	v_lshlrev_b64 v[50:51], 2, v[50:51]
	v_add_co_u32 v52, vcc_lo, s10, v16
	v_add_co_ci_u32_e64 v53, null, s11, v17, vcc_lo
	v_add_co_u32 v50, vcc_lo, s15, v50
	v_add_co_ci_u32_e64 v51, null, s16, v51, vcc_lo
	s_and_saveexec_b32 s12, s17
	s_cbranch_execnz .LBB32_131
; %bb.124:
	s_or_b32 exec_lo, exec_lo, s12
	s_and_b32 s17, s1, s8
	s_and_saveexec_b32 s12, s17
	s_cbranch_execnz .LBB32_135
.LBB32_125:
	s_or_b32 exec_lo, exec_lo, s12
	s_and_b32 s17, s2, s8
	s_and_saveexec_b32 s12, s17
	s_cbranch_execnz .LBB32_139
.LBB32_126:
	s_or_b32 exec_lo, exec_lo, s12
	s_and_b32 s17, s3, s8
	s_and_saveexec_b32 s12, s17
	s_cbranch_execnz .LBB32_143
.LBB32_127:
	s_or_b32 exec_lo, exec_lo, s12
	s_and_b32 s17, s4, s8
	s_and_saveexec_b32 s12, s17
	s_cbranch_execnz .LBB32_147
.LBB32_128:
	s_or_b32 exec_lo, exec_lo, s12
	s_and_b32 s17, s5, s8
	s_and_saveexec_b32 s12, s17
	s_cbranch_execnz .LBB32_151
.LBB32_129:
	s_or_b32 exec_lo, exec_lo, s12
	s_and_b32 s17, s6, s8
	s_and_saveexec_b32 s12, s17
	s_cbranch_execnz .LBB32_155
.LBB32_130:
	s_or_b32 exec_lo, exec_lo, s12
	s_and_b32 s12, s7, s8
	s_and_saveexec_b32 s8, s12
	s_cbranch_execnz .LBB32_159
	s_branch .LBB32_163
.LBB32_131:
	v_cmp_ne_u32_e32 vcc_lo, 1, v70
	v_lshlrev_b64 v[16:17], 2, v[0:1]
	s_cbranch_vccnz .LBB32_133
; %bb.132:
	v_add_co_u32 v54, vcc_lo, v52, v16
	v_add_co_ci_u32_e64 v55, null, v53, v17, vcc_lo
	flat_load_dword v54, v[54:55]
	s_waitcnt vmcnt(0) lgkmcnt(0)
	v_mul_f32_e32 v54, s22, v54
	s_branch .LBB32_134
.LBB32_133:
	v_mov_b32_e32 v54, 0
.LBB32_134:
	v_add_f32_e32 v48, v48, v49
	v_add_co_u32 v16, vcc_lo, v50, v16
	v_add_co_ci_u32_e64 v17, null, v51, v17, vcc_lo
	v_add_f32_e32 v48, v48, v54
	flat_store_dword v[16:17], v48
	s_or_b32 exec_lo, exec_lo, s12
	s_and_b32 s17, s1, s8
	s_and_saveexec_b32 s12, s17
	s_cbranch_execz .LBB32_125
.LBB32_135:
	v_cmp_ne_u32_e32 vcc_lo, 1, v70
	v_lshlrev_b64 v[16:17], 2, v[2:3]
	s_cbranch_vccnz .LBB32_137
; %bb.136:
	v_add_co_u32 v48, vcc_lo, v52, v16
	v_add_co_ci_u32_e64 v49, null, v53, v17, vcc_lo
	flat_load_dword v48, v[48:49]
	s_waitcnt vmcnt(0) lgkmcnt(0)
	v_mul_f32_e32 v48, s22, v48
	s_branch .LBB32_138
.LBB32_137:
	v_mov_b32_e32 v48, 0
.LBB32_138:
	v_add_f32_e32 v46, v46, v47
	v_add_co_u32 v16, vcc_lo, v50, v16
	v_add_co_ci_u32_e64 v17, null, v51, v17, vcc_lo
	v_add_f32_e32 v46, v46, v48
	flat_store_dword v[16:17], v46
	s_or_b32 exec_lo, exec_lo, s12
	s_and_b32 s17, s2, s8
	s_and_saveexec_b32 s12, s17
	s_cbranch_execz .LBB32_126
.LBB32_139:
	v_cmp_ne_u32_e32 vcc_lo, 1, v70
	v_lshlrev_b64 v[16:17], 2, v[4:5]
	s_cbranch_vccnz .LBB32_141
; %bb.140:
	v_add_co_u32 v46, vcc_lo, v52, v16
	v_add_co_ci_u32_e64 v47, null, v53, v17, vcc_lo
	flat_load_dword v46, v[46:47]
	s_waitcnt vmcnt(0) lgkmcnt(0)
	v_mul_f32_e32 v46, s22, v46
	s_branch .LBB32_142
.LBB32_141:
	v_mov_b32_e32 v46, 0
.LBB32_142:
	v_add_f32_e32 v44, v44, v45
	v_add_co_u32 v16, vcc_lo, v50, v16
	v_add_co_ci_u32_e64 v17, null, v51, v17, vcc_lo
	v_add_f32_e32 v44, v44, v46
	flat_store_dword v[16:17], v44
	s_or_b32 exec_lo, exec_lo, s12
	s_and_b32 s17, s3, s8
	s_and_saveexec_b32 s12, s17
	s_cbranch_execz .LBB32_127
.LBB32_143:
	v_cmp_ne_u32_e32 vcc_lo, 1, v70
	v_lshlrev_b64 v[16:17], 2, v[6:7]
	s_cbranch_vccnz .LBB32_145
; %bb.144:
	v_add_co_u32 v44, vcc_lo, v52, v16
	v_add_co_ci_u32_e64 v45, null, v53, v17, vcc_lo
	flat_load_dword v44, v[44:45]
	s_waitcnt vmcnt(0) lgkmcnt(0)
	v_mul_f32_e32 v44, s22, v44
	s_branch .LBB32_146
.LBB32_145:
	v_mov_b32_e32 v44, 0
.LBB32_146:
	v_add_f32_e32 v42, v42, v43
	v_add_co_u32 v16, vcc_lo, v50, v16
	v_add_co_ci_u32_e64 v17, null, v51, v17, vcc_lo
	v_add_f32_e32 v42, v42, v44
	flat_store_dword v[16:17], v42
	s_or_b32 exec_lo, exec_lo, s12
	s_and_b32 s17, s4, s8
	s_and_saveexec_b32 s12, s17
	s_cbranch_execz .LBB32_128
.LBB32_147:
	v_cmp_ne_u32_e32 vcc_lo, 1, v70
	v_lshlrev_b64 v[16:17], 2, v[8:9]
	s_cbranch_vccnz .LBB32_149
; %bb.148:
	v_add_co_u32 v42, vcc_lo, v52, v16
	v_add_co_ci_u32_e64 v43, null, v53, v17, vcc_lo
	flat_load_dword v42, v[42:43]
	s_waitcnt vmcnt(0) lgkmcnt(0)
	v_mul_f32_e32 v42, s22, v42
	s_branch .LBB32_150
.LBB32_149:
	v_mov_b32_e32 v42, 0
.LBB32_150:
	v_add_f32_e32 v40, v40, v41
	v_add_co_u32 v16, vcc_lo, v50, v16
	v_add_co_ci_u32_e64 v17, null, v51, v17, vcc_lo
	v_add_f32_e32 v40, v40, v42
	flat_store_dword v[16:17], v40
	s_or_b32 exec_lo, exec_lo, s12
	s_and_b32 s17, s5, s8
	s_and_saveexec_b32 s12, s17
	s_cbranch_execz .LBB32_129
.LBB32_151:
	v_cmp_ne_u32_e32 vcc_lo, 1, v70
	v_lshlrev_b64 v[16:17], 2, v[10:11]
	s_cbranch_vccnz .LBB32_153
; %bb.152:
	v_add_co_u32 v40, vcc_lo, v52, v16
	v_add_co_ci_u32_e64 v41, null, v53, v17, vcc_lo
	flat_load_dword v40, v[40:41]
	s_waitcnt vmcnt(0) lgkmcnt(0)
	v_mul_f32_e32 v40, s22, v40
	s_branch .LBB32_154
.LBB32_153:
	v_mov_b32_e32 v40, 0
.LBB32_154:
	v_add_f32_e32 v38, v38, v39
	v_add_co_u32 v16, vcc_lo, v50, v16
	v_add_co_ci_u32_e64 v17, null, v51, v17, vcc_lo
	v_add_f32_e32 v38, v38, v40
	flat_store_dword v[16:17], v38
	s_or_b32 exec_lo, exec_lo, s12
	s_and_b32 s17, s6, s8
	s_and_saveexec_b32 s12, s17
	s_cbranch_execz .LBB32_130
.LBB32_155:
	v_cmp_ne_u32_e32 vcc_lo, 1, v70
	v_lshlrev_b64 v[16:17], 2, v[12:13]
	s_cbranch_vccnz .LBB32_157
; %bb.156:
	v_add_co_u32 v38, vcc_lo, v52, v16
	v_add_co_ci_u32_e64 v39, null, v53, v17, vcc_lo
	flat_load_dword v38, v[38:39]
	s_waitcnt vmcnt(0) lgkmcnt(0)
	v_mul_f32_e32 v38, s22, v38
	s_branch .LBB32_158
.LBB32_157:
	v_mov_b32_e32 v38, 0
.LBB32_158:
	v_add_f32_e32 v36, v36, v37
	v_add_co_u32 v16, vcc_lo, v50, v16
	v_add_co_ci_u32_e64 v17, null, v51, v17, vcc_lo
	v_add_f32_e32 v36, v36, v38
	flat_store_dword v[16:17], v36
	s_or_b32 exec_lo, exec_lo, s12
	s_and_b32 s12, s7, s8
	s_and_saveexec_b32 s8, s12
	s_cbranch_execz .LBB32_163
.LBB32_159:
	v_cmp_ne_u32_e32 vcc_lo, 1, v70
	v_lshlrev_b64 v[16:17], 2, v[14:15]
	s_cbranch_vccnz .LBB32_161
; %bb.160:
	v_add_co_u32 v36, vcc_lo, v52, v16
	v_add_co_ci_u32_e64 v37, null, v53, v17, vcc_lo
	flat_load_dword v36, v[36:37]
	s_waitcnt vmcnt(0) lgkmcnt(0)
	v_mul_f32_e32 v36, s22, v36
	s_branch .LBB32_162
.LBB32_161:
	v_mov_b32_e32 v36, 0
.LBB32_162:
	v_add_f32_e32 v34, v34, v35
	v_add_co_u32 v16, vcc_lo, v50, v16
	v_add_co_ci_u32_e64 v17, null, v51, v17, vcc_lo
	v_add_f32_e32 v34, v34, v36
	flat_store_dword v[16:17], v34
.LBB32_163:
	s_or_b32 exec_lo, exec_lo, s8
	v_add_nc_u32_e32 v36, 0x60, v71
	v_mad_i64_i32 v[16:17], null, v36, s14, 0
	v_mad_i64_i32 v[34:35], null, v36, s9, 0
	v_cmp_gt_i32_e64 s8, s13, v36
	v_lshlrev_b64 v[16:17], 2, v[16:17]
	s_and_b32 s9, s0, s8
	v_lshlrev_b64 v[36:37], 2, v[34:35]
	v_add_co_u32 v34, vcc_lo, s10, v16
	v_add_co_ci_u32_e64 v35, null, s11, v17, vcc_lo
	v_add_co_u32 v16, vcc_lo, s15, v36
	v_add_co_ci_u32_e64 v17, null, s16, v37, vcc_lo
	s_and_saveexec_b32 s0, s9
	s_cbranch_execnz .LBB32_172
; %bb.164:
	s_or_b32 exec_lo, exec_lo, s0
	s_and_b32 s1, s1, s8
	s_and_saveexec_b32 s0, s1
	s_cbranch_execnz .LBB32_176
.LBB32_165:
	s_or_b32 exec_lo, exec_lo, s0
	s_and_b32 s1, s2, s8
	s_and_saveexec_b32 s0, s1
	s_cbranch_execnz .LBB32_180
.LBB32_166:
	s_or_b32 exec_lo, exec_lo, s0
	s_and_b32 s1, s3, s8
	s_and_saveexec_b32 s0, s1
	s_cbranch_execnz .LBB32_184
.LBB32_167:
	s_or_b32 exec_lo, exec_lo, s0
	s_and_b32 s1, s4, s8
	s_and_saveexec_b32 s0, s1
	s_cbranch_execnz .LBB32_188
.LBB32_168:
	s_or_b32 exec_lo, exec_lo, s0
	s_and_b32 s1, s5, s8
	s_and_saveexec_b32 s0, s1
	s_cbranch_execnz .LBB32_192
.LBB32_169:
	s_or_b32 exec_lo, exec_lo, s0
	s_and_b32 s1, s6, s8
	s_and_saveexec_b32 s0, s1
	s_cbranch_execnz .LBB32_196
.LBB32_170:
	s_or_b32 exec_lo, exec_lo, s0
	s_and_b32 s0, s7, s8
	s_and_saveexec_b32 s1, s0
	s_cbranch_execnz .LBB32_200
.LBB32_171:
	s_endpgm
.LBB32_172:
	v_cmp_ne_u32_e32 vcc_lo, 1, v70
	v_lshlrev_b64 v[0:1], 2, v[0:1]
	s_cbranch_vccnz .LBB32_174
; %bb.173:
	v_add_co_u32 v36, vcc_lo, v34, v0
	v_add_co_ci_u32_e64 v37, null, v35, v1, vcc_lo
	flat_load_dword v36, v[36:37]
	s_waitcnt vmcnt(0) lgkmcnt(0)
	v_mul_f32_e32 v36, s22, v36
	s_branch .LBB32_175
.LBB32_174:
	v_mov_b32_e32 v36, 0
.LBB32_175:
	v_add_f32_e32 v32, v32, v33
	v_add_co_u32 v0, vcc_lo, v16, v0
	v_add_co_ci_u32_e64 v1, null, v17, v1, vcc_lo
	v_add_f32_e32 v32, v32, v36
	flat_store_dword v[0:1], v32
	s_or_b32 exec_lo, exec_lo, s0
	s_and_b32 s1, s1, s8
	s_and_saveexec_b32 s0, s1
	s_cbranch_execz .LBB32_165
.LBB32_176:
	v_cmp_ne_u32_e32 vcc_lo, 1, v70
	v_lshlrev_b64 v[0:1], 2, v[2:3]
	s_cbranch_vccnz .LBB32_178
; %bb.177:
	v_add_co_u32 v2, vcc_lo, v34, v0
	v_add_co_ci_u32_e64 v3, null, v35, v1, vcc_lo
	flat_load_dword v2, v[2:3]
	s_waitcnt vmcnt(0) lgkmcnt(0)
	v_mul_f32_e32 v2, s22, v2
	s_branch .LBB32_179
.LBB32_178:
	v_mov_b32_e32 v2, 0
.LBB32_179:
	v_add_f32_e32 v3, v30, v31
	v_add_co_u32 v0, vcc_lo, v16, v0
	v_add_co_ci_u32_e64 v1, null, v17, v1, vcc_lo
	v_add_f32_e32 v2, v3, v2
	flat_store_dword v[0:1], v2
	s_or_b32 exec_lo, exec_lo, s0
	s_and_b32 s1, s2, s8
	s_and_saveexec_b32 s0, s1
	s_cbranch_execz .LBB32_166
.LBB32_180:
	v_cmp_ne_u32_e32 vcc_lo, 1, v70
	v_lshlrev_b64 v[0:1], 2, v[4:5]
	s_cbranch_vccnz .LBB32_182
; %bb.181:
	v_add_co_u32 v2, vcc_lo, v34, v0
	v_add_co_ci_u32_e64 v3, null, v35, v1, vcc_lo
	flat_load_dword v2, v[2:3]
	s_waitcnt vmcnt(0) lgkmcnt(0)
	v_mul_f32_e32 v2, s22, v2
	s_branch .LBB32_183
.LBB32_182:
	v_mov_b32_e32 v2, 0
.LBB32_183:
	v_add_f32_e32 v3, v28, v29
	v_add_co_u32 v0, vcc_lo, v16, v0
	v_add_co_ci_u32_e64 v1, null, v17, v1, vcc_lo
	v_add_f32_e32 v2, v3, v2
	flat_store_dword v[0:1], v2
	s_or_b32 exec_lo, exec_lo, s0
	s_and_b32 s1, s3, s8
	s_and_saveexec_b32 s0, s1
	s_cbranch_execz .LBB32_167
.LBB32_184:
	v_cmp_ne_u32_e32 vcc_lo, 1, v70
	v_lshlrev_b64 v[0:1], 2, v[6:7]
	s_cbranch_vccnz .LBB32_186
; %bb.185:
	v_add_co_u32 v2, vcc_lo, v34, v0
	v_add_co_ci_u32_e64 v3, null, v35, v1, vcc_lo
	flat_load_dword v2, v[2:3]
	s_waitcnt vmcnt(0) lgkmcnt(0)
	v_mul_f32_e32 v2, s22, v2
	s_branch .LBB32_187
.LBB32_186:
	v_mov_b32_e32 v2, 0
.LBB32_187:
	v_add_f32_e32 v3, v26, v27
	v_add_co_u32 v0, vcc_lo, v16, v0
	v_add_co_ci_u32_e64 v1, null, v17, v1, vcc_lo
	v_add_f32_e32 v2, v3, v2
	flat_store_dword v[0:1], v2
	s_or_b32 exec_lo, exec_lo, s0
	s_and_b32 s1, s4, s8
	s_and_saveexec_b32 s0, s1
	s_cbranch_execz .LBB32_168
.LBB32_188:
	v_cmp_ne_u32_e32 vcc_lo, 1, v70
	v_lshlrev_b64 v[0:1], 2, v[8:9]
	s_cbranch_vccnz .LBB32_190
; %bb.189:
	v_add_co_u32 v2, vcc_lo, v34, v0
	v_add_co_ci_u32_e64 v3, null, v35, v1, vcc_lo
	flat_load_dword v2, v[2:3]
	s_waitcnt vmcnt(0) lgkmcnt(0)
	v_mul_f32_e32 v2, s22, v2
	s_branch .LBB32_191
.LBB32_190:
	v_mov_b32_e32 v2, 0
.LBB32_191:
	v_add_f32_e32 v3, v24, v25
	v_add_co_u32 v0, vcc_lo, v16, v0
	v_add_co_ci_u32_e64 v1, null, v17, v1, vcc_lo
	v_add_f32_e32 v2, v3, v2
	flat_store_dword v[0:1], v2
	s_or_b32 exec_lo, exec_lo, s0
	s_and_b32 s1, s5, s8
	s_and_saveexec_b32 s0, s1
	s_cbranch_execz .LBB32_169
.LBB32_192:
	v_cmp_ne_u32_e32 vcc_lo, 1, v70
	v_lshlrev_b64 v[0:1], 2, v[10:11]
	s_cbranch_vccnz .LBB32_194
; %bb.193:
	v_add_co_u32 v2, vcc_lo, v34, v0
	v_add_co_ci_u32_e64 v3, null, v35, v1, vcc_lo
	flat_load_dword v2, v[2:3]
	s_waitcnt vmcnt(0) lgkmcnt(0)
	v_mul_f32_e32 v2, s22, v2
	s_branch .LBB32_195
.LBB32_194:
	v_mov_b32_e32 v2, 0
.LBB32_195:
	v_add_f32_e32 v3, v22, v23
	v_add_co_u32 v0, vcc_lo, v16, v0
	v_add_co_ci_u32_e64 v1, null, v17, v1, vcc_lo
	v_add_f32_e32 v2, v3, v2
	flat_store_dword v[0:1], v2
	s_or_b32 exec_lo, exec_lo, s0
	s_and_b32 s1, s6, s8
	s_and_saveexec_b32 s0, s1
	s_cbranch_execz .LBB32_170
.LBB32_196:
	v_cmp_ne_u32_e32 vcc_lo, 1, v70
	v_lshlrev_b64 v[0:1], 2, v[12:13]
	s_cbranch_vccnz .LBB32_198
; %bb.197:
	v_add_co_u32 v2, vcc_lo, v34, v0
	v_add_co_ci_u32_e64 v3, null, v35, v1, vcc_lo
	flat_load_dword v2, v[2:3]
	s_waitcnt vmcnt(0) lgkmcnt(0)
	v_mul_f32_e32 v2, s22, v2
	s_branch .LBB32_199
.LBB32_198:
	v_mov_b32_e32 v2, 0
.LBB32_199:
	v_add_f32_e32 v3, v20, v21
	v_add_co_u32 v0, vcc_lo, v16, v0
	v_add_co_ci_u32_e64 v1, null, v17, v1, vcc_lo
	v_add_f32_e32 v2, v3, v2
	flat_store_dword v[0:1], v2
	s_or_b32 exec_lo, exec_lo, s0
	s_and_b32 s0, s7, s8
	s_and_saveexec_b32 s1, s0
	s_cbranch_execz .LBB32_171
.LBB32_200:
	v_cmp_ne_u32_e32 vcc_lo, 1, v70
	v_lshlrev_b64 v[0:1], 2, v[14:15]
	s_cbranch_vccnz .LBB32_202
; %bb.201:
	v_add_co_u32 v2, vcc_lo, v34, v0
	v_add_co_ci_u32_e64 v3, null, v35, v1, vcc_lo
	flat_load_dword v2, v[2:3]
	s_waitcnt vmcnt(0) lgkmcnt(0)
	v_mul_f32_e32 v2, s22, v2
	s_branch .LBB32_203
.LBB32_202:
	v_mov_b32_e32 v2, 0
.LBB32_203:
	v_add_f32_e32 v3, v18, v19
	v_add_co_u32 v0, vcc_lo, v16, v0
	v_add_co_ci_u32_e64 v1, null, v17, v1, vcc_lo
	v_add_f32_e32 v2, v3, v2
	flat_store_dword v[0:1], v2
	s_endpgm
	.section	.rodata,"a",@progbits
	.p2align	6, 0x0
	.amdhsa_kernel _ZN12_GLOBAL__N_120geam_min_plus_kernelIf15HIP_vector_typeIfLj2EES2_Li8ELi32ELi64ELi128ELi4ELi64ELi4ELi4ELi64ELc78ELc78ELb0ELb1ELb0EfKPKfKPfEEviiiT16_PT17_ilSA_ilS8_SA_ilPT18_ili26rocblas_geam_ex_operation_
		.amdhsa_group_segment_fixed_size 6144
		.amdhsa_private_segment_fixed_size 0
		.amdhsa_kernarg_size 128
		.amdhsa_user_sgpr_count 6
		.amdhsa_user_sgpr_private_segment_buffer 1
		.amdhsa_user_sgpr_dispatch_ptr 0
		.amdhsa_user_sgpr_queue_ptr 0
		.amdhsa_user_sgpr_kernarg_segment_ptr 1
		.amdhsa_user_sgpr_dispatch_id 0
		.amdhsa_user_sgpr_flat_scratch_init 0
		.amdhsa_user_sgpr_private_segment_size 0
		.amdhsa_wavefront_size32 1
		.amdhsa_uses_dynamic_stack 0
		.amdhsa_system_sgpr_private_segment_wavefront_offset 0
		.amdhsa_system_sgpr_workgroup_id_x 1
		.amdhsa_system_sgpr_workgroup_id_y 0
		.amdhsa_system_sgpr_workgroup_id_z 1
		.amdhsa_system_sgpr_workgroup_info 0
		.amdhsa_system_vgpr_workitem_id 1
		.amdhsa_next_free_vgpr 152
		.amdhsa_next_free_sgpr 29
		.amdhsa_reserve_vcc 1
		.amdhsa_reserve_flat_scratch 0
		.amdhsa_float_round_mode_32 0
		.amdhsa_float_round_mode_16_64 0
		.amdhsa_float_denorm_mode_32 3
		.amdhsa_float_denorm_mode_16_64 3
		.amdhsa_dx10_clamp 1
		.amdhsa_ieee_mode 1
		.amdhsa_fp16_overflow 0
		.amdhsa_workgroup_processor_mode 1
		.amdhsa_memory_ordered 1
		.amdhsa_forward_progress 1
		.amdhsa_shared_vgpr_count 0
		.amdhsa_exception_fp_ieee_invalid_op 0
		.amdhsa_exception_fp_denorm_src 0
		.amdhsa_exception_fp_ieee_div_zero 0
		.amdhsa_exception_fp_ieee_overflow 0
		.amdhsa_exception_fp_ieee_underflow 0
		.amdhsa_exception_fp_ieee_inexact 0
		.amdhsa_exception_int_div_zero 0
	.end_amdhsa_kernel
	.section	.text._ZN12_GLOBAL__N_120geam_min_plus_kernelIf15HIP_vector_typeIfLj2EES2_Li8ELi32ELi64ELi128ELi4ELi64ELi4ELi4ELi64ELc78ELc78ELb0ELb1ELb0EfKPKfKPfEEviiiT16_PT17_ilSA_ilS8_SA_ilPT18_ili26rocblas_geam_ex_operation_,"axG",@progbits,_ZN12_GLOBAL__N_120geam_min_plus_kernelIf15HIP_vector_typeIfLj2EES2_Li8ELi32ELi64ELi128ELi4ELi64ELi4ELi4ELi64ELc78ELc78ELb0ELb1ELb0EfKPKfKPfEEviiiT16_PT17_ilSA_ilS8_SA_ilPT18_ili26rocblas_geam_ex_operation_,comdat
.Lfunc_end32:
	.size	_ZN12_GLOBAL__N_120geam_min_plus_kernelIf15HIP_vector_typeIfLj2EES2_Li8ELi32ELi64ELi128ELi4ELi64ELi4ELi4ELi64ELc78ELc78ELb0ELb1ELb0EfKPKfKPfEEviiiT16_PT17_ilSA_ilS8_SA_ilPT18_ili26rocblas_geam_ex_operation_, .Lfunc_end32-_ZN12_GLOBAL__N_120geam_min_plus_kernelIf15HIP_vector_typeIfLj2EES2_Li8ELi32ELi64ELi128ELi4ELi64ELi4ELi4ELi64ELc78ELc78ELb0ELb1ELb0EfKPKfKPfEEviiiT16_PT17_ilSA_ilS8_SA_ilPT18_ili26rocblas_geam_ex_operation_
                                        ; -- End function
	.set _ZN12_GLOBAL__N_120geam_min_plus_kernelIf15HIP_vector_typeIfLj2EES2_Li8ELi32ELi64ELi128ELi4ELi64ELi4ELi4ELi64ELc78ELc78ELb0ELb1ELb0EfKPKfKPfEEviiiT16_PT17_ilSA_ilS8_SA_ilPT18_ili26rocblas_geam_ex_operation_.num_vgpr, 152
	.set _ZN12_GLOBAL__N_120geam_min_plus_kernelIf15HIP_vector_typeIfLj2EES2_Li8ELi32ELi64ELi128ELi4ELi64ELi4ELi4ELi64ELc78ELc78ELb0ELb1ELb0EfKPKfKPfEEviiiT16_PT17_ilSA_ilS8_SA_ilPT18_ili26rocblas_geam_ex_operation_.num_agpr, 0
	.set _ZN12_GLOBAL__N_120geam_min_plus_kernelIf15HIP_vector_typeIfLj2EES2_Li8ELi32ELi64ELi128ELi4ELi64ELi4ELi4ELi64ELc78ELc78ELb0ELb1ELb0EfKPKfKPfEEviiiT16_PT17_ilSA_ilS8_SA_ilPT18_ili26rocblas_geam_ex_operation_.numbered_sgpr, 29
	.set _ZN12_GLOBAL__N_120geam_min_plus_kernelIf15HIP_vector_typeIfLj2EES2_Li8ELi32ELi64ELi128ELi4ELi64ELi4ELi4ELi64ELc78ELc78ELb0ELb1ELb0EfKPKfKPfEEviiiT16_PT17_ilSA_ilS8_SA_ilPT18_ili26rocblas_geam_ex_operation_.num_named_barrier, 0
	.set _ZN12_GLOBAL__N_120geam_min_plus_kernelIf15HIP_vector_typeIfLj2EES2_Li8ELi32ELi64ELi128ELi4ELi64ELi4ELi4ELi64ELc78ELc78ELb0ELb1ELb0EfKPKfKPfEEviiiT16_PT17_ilSA_ilS8_SA_ilPT18_ili26rocblas_geam_ex_operation_.private_seg_size, 0
	.set _ZN12_GLOBAL__N_120geam_min_plus_kernelIf15HIP_vector_typeIfLj2EES2_Li8ELi32ELi64ELi128ELi4ELi64ELi4ELi4ELi64ELc78ELc78ELb0ELb1ELb0EfKPKfKPfEEviiiT16_PT17_ilSA_ilS8_SA_ilPT18_ili26rocblas_geam_ex_operation_.uses_vcc, 1
	.set _ZN12_GLOBAL__N_120geam_min_plus_kernelIf15HIP_vector_typeIfLj2EES2_Li8ELi32ELi64ELi128ELi4ELi64ELi4ELi4ELi64ELc78ELc78ELb0ELb1ELb0EfKPKfKPfEEviiiT16_PT17_ilSA_ilS8_SA_ilPT18_ili26rocblas_geam_ex_operation_.uses_flat_scratch, 0
	.set _ZN12_GLOBAL__N_120geam_min_plus_kernelIf15HIP_vector_typeIfLj2EES2_Li8ELi32ELi64ELi128ELi4ELi64ELi4ELi4ELi64ELc78ELc78ELb0ELb1ELb0EfKPKfKPfEEviiiT16_PT17_ilSA_ilS8_SA_ilPT18_ili26rocblas_geam_ex_operation_.has_dyn_sized_stack, 0
	.set _ZN12_GLOBAL__N_120geam_min_plus_kernelIf15HIP_vector_typeIfLj2EES2_Li8ELi32ELi64ELi128ELi4ELi64ELi4ELi4ELi64ELc78ELc78ELb0ELb1ELb0EfKPKfKPfEEviiiT16_PT17_ilSA_ilS8_SA_ilPT18_ili26rocblas_geam_ex_operation_.has_recursion, 0
	.set _ZN12_GLOBAL__N_120geam_min_plus_kernelIf15HIP_vector_typeIfLj2EES2_Li8ELi32ELi64ELi128ELi4ELi64ELi4ELi4ELi64ELc78ELc78ELb0ELb1ELb0EfKPKfKPfEEviiiT16_PT17_ilSA_ilS8_SA_ilPT18_ili26rocblas_geam_ex_operation_.has_indirect_call, 0
	.section	.AMDGPU.csdata,"",@progbits
; Kernel info:
; codeLenInByte = 9248
; TotalNumSgprs: 31
; NumVgprs: 152
; ScratchSize: 0
; MemoryBound: 0
; FloatMode: 240
; IeeeMode: 1
; LDSByteSize: 6144 bytes/workgroup (compile time only)
; SGPRBlocks: 0
; VGPRBlocks: 18
; NumSGPRsForWavesPerEU: 31
; NumVGPRsForWavesPerEU: 152
; Occupancy: 6
; WaveLimiterHint : 1
; COMPUTE_PGM_RSRC2:SCRATCH_EN: 0
; COMPUTE_PGM_RSRC2:USER_SGPR: 6
; COMPUTE_PGM_RSRC2:TRAP_HANDLER: 0
; COMPUTE_PGM_RSRC2:TGID_X_EN: 1
; COMPUTE_PGM_RSRC2:TGID_Y_EN: 0
; COMPUTE_PGM_RSRC2:TGID_Z_EN: 1
; COMPUTE_PGM_RSRC2:TIDIG_COMP_CNT: 1
	.section	.text._ZN12_GLOBAL__N_120geam_min_plus_kernelIf15HIP_vector_typeIfLj2EES2_Li8ELi32ELi64ELi128ELi4ELi4ELi64ELi4ELi64ELc84ELc78ELb0ELb0ELb0EPKfKS4_KPfEEviiiT16_PT17_ilSA_ilS8_SA_ilPT18_ili26rocblas_geam_ex_operation_,"axG",@progbits,_ZN12_GLOBAL__N_120geam_min_plus_kernelIf15HIP_vector_typeIfLj2EES2_Li8ELi32ELi64ELi128ELi4ELi4ELi64ELi4ELi64ELc84ELc78ELb0ELb0ELb0EPKfKS4_KPfEEviiiT16_PT17_ilSA_ilS8_SA_ilPT18_ili26rocblas_geam_ex_operation_,comdat
	.globl	_ZN12_GLOBAL__N_120geam_min_plus_kernelIf15HIP_vector_typeIfLj2EES2_Li8ELi32ELi64ELi128ELi4ELi4ELi64ELi4ELi64ELc84ELc78ELb0ELb0ELb0EPKfKS4_KPfEEviiiT16_PT17_ilSA_ilS8_SA_ilPT18_ili26rocblas_geam_ex_operation_ ; -- Begin function _ZN12_GLOBAL__N_120geam_min_plus_kernelIf15HIP_vector_typeIfLj2EES2_Li8ELi32ELi64ELi128ELi4ELi4ELi64ELi4ELi64ELc84ELc78ELb0ELb0ELb0EPKfKS4_KPfEEviiiT16_PT17_ilSA_ilS8_SA_ilPT18_ili26rocblas_geam_ex_operation_
	.p2align	8
	.type	_ZN12_GLOBAL__N_120geam_min_plus_kernelIf15HIP_vector_typeIfLj2EES2_Li8ELi32ELi64ELi128ELi4ELi4ELi64ELi4ELi64ELc84ELc78ELb0ELb0ELb0EPKfKS4_KPfEEviiiT16_PT17_ilSA_ilS8_SA_ilPT18_ili26rocblas_geam_ex_operation_,@function
_ZN12_GLOBAL__N_120geam_min_plus_kernelIf15HIP_vector_typeIfLj2EES2_Li8ELi32ELi64ELi128ELi4ELi4ELi64ELi4ELi64ELc84ELc78ELb0ELb0ELb0EPKfKS4_KPfEEviiiT16_PT17_ilSA_ilS8_SA_ilPT18_ili26rocblas_geam_ex_operation_: ; @_ZN12_GLOBAL__N_120geam_min_plus_kernelIf15HIP_vector_typeIfLj2EES2_Li8ELi32ELi64ELi128ELi4ELi4ELi64ELi4ELi64ELc84ELc78ELb0ELb0ELb0EPKfKS4_KPfEEviiiT16_PT17_ilSA_ilS8_SA_ilPT18_ili26rocblas_geam_ex_operation_
; %bb.0:
	s_clause 0x1
	s_load_dwordx4 s[0:3], s[4:5], 0x10
	s_load_dwordx4 s[8:11], s[4:5], 0x28
	s_mov_b32 s18, s7
	s_mov_b32 s19, 0
	s_lshl_b64 s[16:17], s[18:19], 2
	s_waitcnt lgkmcnt(0)
	s_add_u32 s0, s0, s16
	s_addc_u32 s1, s1, s17
	s_load_dword s24, s[0:1], 0x0
	s_clause 0x1
	s_load_dwordx4 s[12:15], s[4:5], 0x40
	s_load_dwordx2 s[20:21], s[4:5], 0x50
	s_waitcnt lgkmcnt(0)
	v_cmp_eq_f32_e64 s1, s24, 0
	s_add_u32 s22, s14, s16
	v_cmp_neq_f32_e64 s0, s24, 0
	s_addc_u32 s23, s15, s17
	s_mov_b64 s[14:15], 0
	s_and_b32 s1, exec_lo, s1
	s_mov_b64 s[16:17], 0
	s_mov_b32 vcc_lo, s1
	s_cbranch_vccnz .LBB33_2
; %bb.1:
	s_lshl_b64 s[16:17], s[18:19], 3
	s_add_u32 s2, s2, s16
	s_addc_u32 s3, s3, s17
	s_lshl_b64 s[8:9], s[8:9], 2
	s_load_dwordx2 s[2:3], s[2:3], 0x0
	s_waitcnt lgkmcnt(0)
	s_add_u32 s16, s2, s8
	s_addc_u32 s17, s3, s9
.LBB33_2:
	s_load_dword s3, s[22:23], 0x0
	v_cndmask_b32_e64 v2, 0, 1, s0
	s_andn2_b32 vcc_lo, exec_lo, s0
	v_cmp_ne_u32_e64 s2, 1, v2
	s_cbranch_vccnz .LBB33_4
; %bb.3:
	s_lshl_b64 s[8:9], s[18:19], 3
	s_add_u32 s8, s10, s8
	s_addc_u32 s9, s11, s9
	s_lshl_b64 s[10:11], s[12:13], 2
	s_load_dwordx2 s[8:9], s[8:9], 0x0
	s_waitcnt lgkmcnt(0)
	s_add_u32 s14, s8, s10
	s_addc_u32 s15, s9, s11
.LBB33_4:
	s_load_dwordx4 s[8:11], s[4:5], 0x60
	s_waitcnt lgkmcnt(0)
	v_cmp_eq_f32_e64 s0, s3, 0
	s_and_b32 s0, exec_lo, s0
	s_mov_b32 vcc_lo, s0
	s_cbranch_vccnz .LBB33_6
; %bb.5:
	s_lshl_b64 s[12:13], s[18:19], 3
	s_add_u32 s12, s20, s12
	s_addc_u32 s13, s21, s13
	s_lshl_b64 s[8:9], s[8:9], 2
	s_load_dwordx2 s[12:13], s[12:13], 0x0
	s_waitcnt lgkmcnt(0)
	s_add_u32 s8, s12, s8
	s_addc_u32 s9, s13, s9
	s_branch .LBB33_7
.LBB33_6:
	s_mov_b64 s[8:9], 0
.LBB33_7:
	s_load_dword s7, s[4:5], 0x0
	s_lshl_b64 s[12:13], s[18:19], 3
	s_clause 0x1
	s_load_dword s19, s[4:5], 0x20
	s_load_dword s18, s[4:5], 0x38
	s_add_u32 s10, s10, s12
	s_addc_u32 s11, s11, s13
	v_and_b32_e32 v12, 3, v0
	v_mov_b32_e32 v7, 0
	v_mov_b32_e32 v10, 0
	;; [unrolled: 1-line block ×4, first 2 shown]
	v_lshlrev_b32_e32 v6, 2, v12
	s_waitcnt lgkmcnt(0)
	s_add_i32 s7, s7, -1
	s_ashr_i32 s12, s7, 31
	s_lshr_b32 s12, s12, 26
	s_add_i32 s7, s7, s12
	s_ashr_i32 s7, s7, 6
	s_add_i32 s12, s7, 1
	s_not_b32 s7, s7
	v_cvt_f32_u32_e32 v2, s12
	v_rcp_iflag_f32_e32 v2, v2
	v_mul_f32_e32 v2, 0x4f7ffffe, v2
	v_cvt_u32_f32_e32 v2, v2
	v_readfirstlane_b32 s13, v2
	v_lshl_add_u32 v2, v1, 3, v0
	s_mul_i32 s7, s7, s13
	v_lshrrev_b32_e32 v5, 2, v2
	s_mul_hi_u32 s7, s13, s7
	s_add_i32 s13, s13, s7
	s_mul_hi_u32 s7, s6, s13
	s_mul_i32 s13, s7, s12
	s_add_i32 s20, s7, 1
	s_sub_i32 s13, s6, s13
	s_sub_i32 s21, s13, s12
	s_cmp_ge_u32 s13, s12
	s_cselect_b32 s7, s20, s7
	s_cselect_b32 s13, s21, s13
	s_add_i32 s20, s7, 1
	s_cmp_ge_u32 s13, s12
	s_cselect_b32 s7, s20, s7
	s_and_b32 vcc_lo, exec_lo, s2
	s_lshl_b32 s13, s7, 7
	s_mul_i32 s12, s7, s12
	v_add_nc_u32_e32 v2, s13, v5
	s_sub_i32 s6, s6, s12
	s_lshl_b32 s12, s6, 6
	v_add_nc_u32_e32 v4, s12, v5
	v_add_nc_u32_e32 v3, 64, v2
	s_cbranch_vccnz .LBB33_9
; %bb.8:
	v_mad_i64_i32 v[8:9], null, v4, s19, 0
	v_mad_i64_i32 v[10:11], null, v2, s18, 0
	;; [unrolled: 1-line block ×3, first 2 shown]
	v_add_co_u32 v15, s6, s14, v6
	v_lshlrev_b64 v[8:9], 2, v[8:9]
	v_add_co_ci_u32_e64 v16, null, s15, 0, s6
	v_lshlrev_b64 v[13:14], 2, v[13:14]
	v_add_co_u32 v17, vcc_lo, s16, v8
	v_add_co_ci_u32_e64 v18, null, s17, v9, vcc_lo
	v_lshlrev_b64 v[8:9], 2, v[10:11]
	v_add_co_u32 v10, vcc_lo, v17, v6
	v_add_co_ci_u32_e64 v11, null, 0, v18, vcc_lo
	v_add_co_u32 v8, vcc_lo, v15, v8
	v_add_co_ci_u32_e64 v9, null, v16, v9, vcc_lo
	;; [unrolled: 2-line block ×3, first 2 shown]
	flat_load_dword v8, v[8:9]
	flat_load_dword v9, v[10:11]
	;; [unrolled: 1-line block ×3, first 2 shown]
	s_waitcnt vmcnt(2) lgkmcnt(2)
	v_mul_f32_e32 v14, s24, v8
	s_waitcnt vmcnt(1) lgkmcnt(1)
	v_mul_f32_e32 v10, s24, v9
	;; [unrolled: 2-line block ×3, first 2 shown]
.LBB33_9:
	s_load_dwordx2 s[6:7], s[10:11], 0x0
	v_mov_b32_e32 v9, 0
	v_mov_b32_e32 v8, 0
	s_and_b32 vcc_lo, exec_lo, s2
	s_cbranch_vccnz .LBB33_11
; %bb.10:
	v_mad_i64_i32 v[7:8], null, v4, s19, 0
	v_mad_i64_i32 v[15:16], null, v2, s18, 0
	;; [unrolled: 1-line block ×3, first 2 shown]
	v_add_co_u32 v9, s2, s14, v6
	v_lshlrev_b64 v[7:8], 2, v[7:8]
	v_add_co_ci_u32_e64 v13, null, s15, 0, s2
	v_lshlrev_b64 v[17:18], 2, v[17:18]
	v_add_co_u32 v19, vcc_lo, s16, v7
	v_add_co_ci_u32_e64 v20, null, s17, v8, vcc_lo
	v_lshlrev_b64 v[7:8], 2, v[15:16]
	v_add_co_u32 v15, vcc_lo, v19, v6
	v_add_co_ci_u32_e64 v16, null, 0, v20, vcc_lo
	v_add_co_u32 v7, vcc_lo, v9, v7
	v_add_co_ci_u32_e64 v8, null, v13, v8, vcc_lo
	;; [unrolled: 2-line block ×3, first 2 shown]
	flat_load_dword v7, v[7:8] offset:16
	flat_load_dword v9, v[15:16] offset:16
	;; [unrolled: 1-line block ×3, first 2 shown]
	s_waitcnt vmcnt(2) lgkmcnt(0)
	v_mul_f32_e32 v8, s24, v7
	s_waitcnt vmcnt(1)
	v_mul_f32_e32 v7, s24, v9
	s_waitcnt vmcnt(0)
	v_mul_f32_e32 v9, s24, v13
.LBB33_11:
	v_lshlrev_b32_e32 v13, 4, v5
	v_mov_b32_e32 v74, 0
	v_cmp_neq_f32_e64 s2, s3, 0
	v_lshl_or_b32 v76, v0, 4, 0x1000
	v_lshlrev_b32_e32 v77, 4, v1
	v_lshl_or_b32 v13, v12, 2, v13
	v_mov_b32_e32 v75, v74
	v_mov_b32_e32 v72, v74
	;; [unrolled: 1-line block ×4, first 2 shown]
	v_add_nc_u32_e32 v78, 0x1000, v13
	ds_write_b32 v13, v10 offset:4096
	ds_write2st64_b32 v13, v14, v11 offset1:4
	v_mov_b32_e32 v71, v74
	v_mov_b32_e32 v10, v74
	;; [unrolled: 1-line block ×59, first 2 shown]
	s_mov_b32 s11, 0
	s_mov_b32 s10, -1
	s_waitcnt lgkmcnt(0)
	s_barrier
	buffer_gl0_inv
.LBB33_12:                              ; =>This Inner Loop Header: Depth=1
	s_lshl_b32 s11, s11, 2
	v_cndmask_b32_e64 v79, 0, 1, s10
	v_add_nc_u32_e32 v91, s11, v76
	v_add_nc_u32_e32 v99, s11, v77
	s_mov_b32 s10, 0
	s_mov_b32 s11, 2
	v_cmp_ne_u32_e32 vcc_lo, 1, v79
	ds_read2_b64 v[79:82], v91 offset1:16
	ds_read2_b64 v[83:86], v91 offset0:32 offset1:48
	ds_read2_b64 v[87:90], v91 offset0:64 offset1:80
	;; [unrolled: 1-line block ×3, first 2 shown]
	ds_read2st64_b64 v[95:98], v99 offset1:1
	ds_read2st64_b64 v[99:102], v99 offset0:2 offset1:3
	s_and_b32 vcc_lo, exec_lo, vcc_lo
	s_waitcnt lgkmcnt(5)
	v_max_f32_e32 v79, v79, v79
	v_max_f32_e32 v80, v80, v80
	v_max_f32_e32 v81, v81, v81
	v_max_f32_e32 v82, v82, v82
	s_waitcnt lgkmcnt(4)
	v_max_f32_e32 v83, v83, v83
	v_max_f32_e32 v84, v84, v84
	v_max_f32_e32 v85, v85, v85
	v_max_f32_e32 v86, v86, v86
	;; [unrolled: 5-line block ×6, first 2 shown]
	v_min_f32_e32 v103, v79, v95
	v_min_f32_e32 v104, v81, v95
	;; [unrolled: 1-line block ×64, first 2 shown]
	v_add_f32_e32 v75, v101, v75
	v_add_f32_e32 v74, v103, v74
	;; [unrolled: 1-line block ×64, first 2 shown]
	s_cbranch_vccz .LBB33_12
; %bb.13:
	s_load_dword s10, s[4:5], 0x8
	v_lshl_or_b32 v5, v5, 4, v6
	v_lshl_add_u32 v79, v0, 4, 0x1400
	v_lshl_add_u32 v80, v1, 4, 0x800
	ds_write_b32 v5, v7 offset:5120
	ds_write2st64_b32 v5, v8, v9 offset0:8 offset1:12
	s_waitcnt lgkmcnt(0)
	s_barrier
	buffer_gl0_inv
	s_cmp_lt_i32 s10, 9
	s_cbranch_scc1 .LBB33_28
; %bb.14:
	v_mad_i64_i32 v[6:7], null, v4, s19, 0
	v_mad_i64_i32 v[83:84], null, v3, s18, 0
	;; [unrolled: 1-line block ×3, first 2 shown]
	v_add_nc_u32_e32 v81, 0x1400, v5
	v_add_nc_u32_e32 v82, 0x800, v5
	v_lshlrev_b64 v[6:7], 2, v[6:7]
	s_add_i32 s10, s10, -8
	v_lshlrev_b64 v[4:5], 2, v[83:84]
	s_mov_b32 s11, 8
	v_lshlrev_b64 v[2:3], 2, v[8:9]
	v_add_co_u32 v83, vcc_lo, s16, v6
	v_add_co_ci_u32_e64 v84, null, s17, v7, vcc_lo
	v_mov_b32_e32 v7, 0
	s_mov_b32 s16, 0
.LBB33_15:                              ; =>This Loop Header: Depth=1
                                        ;     Child Loop BB33_20 Depth 2
                                        ;     Child Loop BB33_26 Depth 2
	s_mov_b32 s17, -1
	s_mov_b32 vcc_lo, s1
                                        ; implicit-def: $vgpr8_vgpr9
	s_cbranch_vccz .LBB33_17
; %bb.16:                               ;   in Loop: Header=BB33_15 Depth=1
	v_mov_b32_e32 v8, v7
	s_mov_b32 s17, 0
.LBB33_17:                              ;   in Loop: Header=BB33_15 Depth=1
	v_mov_b32_e32 v6, 0
	v_mov_b32_e32 v9, 0
	s_andn2_b32 vcc_lo, exec_lo, s17
	s_cbranch_vccnz .LBB33_19
; %bb.18:                               ;   in Loop: Header=BB33_15 Depth=1
	v_or_b32_e32 v6, s11, v12
	v_lshlrev_b64 v[8:9], 2, v[6:7]
	v_add_co_u32 v6, vcc_lo, s14, v8
	v_add_co_ci_u32_e64 v88, null, s15, v9, vcc_lo
	v_add_co_u32 v8, vcc_lo, v83, v8
	v_add_co_ci_u32_e64 v9, null, v84, v9, vcc_lo
	;; [unrolled: 2-line block ×4, first 2 shown]
	flat_load_dword v6, v[8:9]
	s_clause 0x1
	flat_load_dword v8, v[85:86]
	flat_load_dword v9, v[87:88]
	s_waitcnt vmcnt(2) lgkmcnt(2)
	v_mul_f32_e32 v6, s24, v6
	s_waitcnt vmcnt(1) lgkmcnt(1)
	v_mul_f32_e32 v8, s24, v8
	;; [unrolled: 2-line block ×3, first 2 shown]
.LBB33_19:                              ;   in Loop: Header=BB33_15 Depth=1
	s_mov_b32 s18, 0
	s_mov_b32 s17, -1
.LBB33_20:                              ;   Parent Loop BB33_15 Depth=1
                                        ; =>  This Inner Loop Header: Depth=2
	s_lshl_b32 s18, s18, 2
	v_cndmask_b32_e64 v85, 0, 1, s17
	v_add_nc_u32_e32 v105, s18, v80
	v_add_nc_u32_e32 v101, s18, v79
	s_mov_b32 s17, 0
	s_mov_b32 s18, 2
	v_cmp_ne_u32_e32 vcc_lo, 1, v85
	ds_read2st64_b64 v[85:88], v105 offset1:1
	ds_read2_b64 v[89:92], v101 offset1:16
	ds_read2_b64 v[93:96], v101 offset0:32 offset1:48
	ds_read2_b64 v[97:100], v101 offset0:64 offset1:80
	;; [unrolled: 1-line block ×3, first 2 shown]
	ds_read2st64_b64 v[105:108], v105 offset0:2 offset1:3
	s_and_b32 vcc_lo, exec_lo, vcc_lo
	s_waitcnt lgkmcnt(5)
	v_max_f32_e32 v85, v85, v85
	s_waitcnt lgkmcnt(4)
	v_max_f32_e32 v89, v89, v89
	v_max_f32_e32 v86, v86, v86
	;; [unrolled: 1-line block ×5, first 2 shown]
	s_waitcnt lgkmcnt(3)
	v_max_f32_e32 v93, v93, v93
	v_max_f32_e32 v94, v94, v94
	v_max_f32_e32 v95, v95, v95
	v_max_f32_e32 v96, v96, v96
	s_waitcnt lgkmcnt(2)
	v_max_f32_e32 v97, v97, v97
	v_max_f32_e32 v98, v98, v98
	v_max_f32_e32 v99, v99, v99
	v_max_f32_e32 v100, v100, v100
	;; [unrolled: 5-line block ×3, first 2 shown]
	v_max_f32_e32 v87, v87, v87
	v_max_f32_e32 v88, v88, v88
	s_waitcnt lgkmcnt(0)
	v_max_f32_e32 v105, v105, v105
	v_max_f32_e32 v106, v106, v106
	;; [unrolled: 1-line block ×4, first 2 shown]
	v_min_f32_e32 v109, v89, v85
	v_min_f32_e32 v110, v90, v86
	;; [unrolled: 1-line block ×64, first 2 shown]
	v_add_f32_e32 v75, v110, v75
	v_add_f32_e32 v74, v109, v74
	;; [unrolled: 1-line block ×64, first 2 shown]
	s_cbranch_vccz .LBB33_20
; %bb.21:                               ;   in Loop: Header=BB33_15 Depth=1
	s_mov_b32 s17, -1
	s_mov_b32 vcc_lo, s1
	ds_write_b32 v78, v6
	ds_write2st64_b32 v13, v8, v9 offset1:4
	s_waitcnt lgkmcnt(0)
	s_barrier
	buffer_gl0_inv
                                        ; implicit-def: $vgpr8_vgpr9
	s_cbranch_vccz .LBB33_23
; %bb.22:                               ;   in Loop: Header=BB33_15 Depth=1
	v_mov_b32_e32 v8, v7
	s_mov_b32 s17, 0
.LBB33_23:                              ;   in Loop: Header=BB33_15 Depth=1
	v_mov_b32_e32 v6, 0
	v_mov_b32_e32 v9, 0
	s_andn2_b32 vcc_lo, exec_lo, s17
	s_cbranch_vccnz .LBB33_25
; %bb.24:                               ;   in Loop: Header=BB33_15 Depth=1
	v_or_b32_e32 v6, s11, v12
	v_lshlrev_b64 v[8:9], 2, v[6:7]
	v_add_co_u32 v6, vcc_lo, s14, v8
	v_add_co_ci_u32_e64 v88, null, s15, v9, vcc_lo
	v_add_co_u32 v8, vcc_lo, v83, v8
	v_add_co_ci_u32_e64 v9, null, v84, v9, vcc_lo
	;; [unrolled: 2-line block ×4, first 2 shown]
	flat_load_dword v6, v[8:9] offset:16
	s_clause 0x1
	flat_load_dword v8, v[85:86] offset:16
	flat_load_dword v9, v[87:88] offset:16
	s_waitcnt vmcnt(2) lgkmcnt(2)
	v_mul_f32_e32 v6, s24, v6
	s_waitcnt vmcnt(1) lgkmcnt(1)
	v_mul_f32_e32 v8, s24, v8
	;; [unrolled: 2-line block ×3, first 2 shown]
.LBB33_25:                              ;   in Loop: Header=BB33_15 Depth=1
	s_mov_b32 s18, 0
	s_mov_b32 s17, -1
.LBB33_26:                              ;   Parent Loop BB33_15 Depth=1
                                        ; =>  This Inner Loop Header: Depth=2
	s_lshl_b32 s18, s18, 2
	v_cndmask_b32_e64 v85, 0, 1, s17
	v_add_nc_u32_e32 v105, s18, v77
	v_add_nc_u32_e32 v101, s18, v76
	s_mov_b32 s17, 0
	s_mov_b32 s18, 2
	v_cmp_ne_u32_e32 vcc_lo, 1, v85
	ds_read2st64_b64 v[85:88], v105 offset1:1
	ds_read2_b64 v[89:92], v101 offset1:16
	ds_read2_b64 v[93:96], v101 offset0:32 offset1:48
	ds_read2_b64 v[97:100], v101 offset0:64 offset1:80
	;; [unrolled: 1-line block ×3, first 2 shown]
	ds_read2st64_b64 v[105:108], v105 offset0:2 offset1:3
	s_and_b32 vcc_lo, exec_lo, vcc_lo
	s_waitcnt lgkmcnt(5)
	v_max_f32_e32 v85, v85, v85
	s_waitcnt lgkmcnt(4)
	v_max_f32_e32 v89, v89, v89
	v_max_f32_e32 v86, v86, v86
	;; [unrolled: 1-line block ×5, first 2 shown]
	s_waitcnt lgkmcnt(3)
	v_max_f32_e32 v93, v93, v93
	v_max_f32_e32 v94, v94, v94
	v_max_f32_e32 v95, v95, v95
	v_max_f32_e32 v96, v96, v96
	s_waitcnt lgkmcnt(2)
	v_max_f32_e32 v97, v97, v97
	v_max_f32_e32 v98, v98, v98
	v_max_f32_e32 v99, v99, v99
	v_max_f32_e32 v100, v100, v100
	s_waitcnt lgkmcnt(1)
	v_max_f32_e32 v101, v101, v101
	v_max_f32_e32 v102, v102, v102
	v_max_f32_e32 v103, v103, v103
	v_max_f32_e32 v104, v104, v104
	v_max_f32_e32 v87, v87, v87
	v_max_f32_e32 v88, v88, v88
	s_waitcnt lgkmcnt(0)
	v_max_f32_e32 v105, v105, v105
	v_max_f32_e32 v106, v106, v106
	;; [unrolled: 1-line block ×4, first 2 shown]
	v_min_f32_e32 v109, v89, v85
	v_min_f32_e32 v110, v90, v86
	;; [unrolled: 1-line block ×64, first 2 shown]
	v_add_f32_e32 v75, v110, v75
	v_add_f32_e32 v74, v109, v74
	;; [unrolled: 1-line block ×64, first 2 shown]
	s_cbranch_vccz .LBB33_26
; %bb.27:                               ;   in Loop: Header=BB33_15 Depth=1
	s_add_i32 s16, s16, 8
	s_add_i32 s11, s11, 8
	s_cmp_ge_i32 s16, s10
	ds_write_b32 v81, v6
	ds_write2st64_b32 v82, v8, v9 offset1:4
	s_waitcnt lgkmcnt(0)
	s_barrier
	buffer_gl0_inv
	s_cbranch_scc0 .LBB33_15
.LBB33_28:
	s_mov_b32 s10, 0
	s_mov_b32 s1, -1
.LBB33_29:                              ; =>This Inner Loop Header: Depth=1
	s_lshl_b32 s10, s10, 2
	v_cndmask_b32_e64 v2, 0, 1, s1
	v_add_nc_u32_e32 v12, s10, v80
	v_add_nc_u32_e32 v13, s10, v79
	s_mov_b32 s1, 0
	s_mov_b32 s10, 2
	v_cmp_ne_u32_e32 vcc_lo, 1, v2
	ds_read2st64_b64 v[2:5], v12 offset1:1
	ds_read2_b64 v[6:9], v13 offset1:16
	ds_read2_b64 v[81:84], v13 offset0:32 offset1:48
	ds_read2_b64 v[85:88], v13 offset0:64 offset1:80
	;; [unrolled: 1-line block ×3, first 2 shown]
	ds_read2st64_b64 v[93:96], v12 offset0:2 offset1:3
	s_and_b32 vcc_lo, exec_lo, vcc_lo
	s_waitcnt lgkmcnt(5)
	v_max_f32_e32 v2, v2, v2
	s_waitcnt lgkmcnt(4)
	v_max_f32_e32 v6, v6, v6
	v_max_f32_e32 v3, v3, v3
	;; [unrolled: 1-line block ×5, first 2 shown]
	s_waitcnt lgkmcnt(3)
	v_max_f32_e32 v12, v81, v81
	v_max_f32_e32 v13, v82, v82
	v_max_f32_e32 v76, v83, v83
	v_max_f32_e32 v77, v84, v84
	s_waitcnt lgkmcnt(2)
	v_max_f32_e32 v78, v85, v85
	v_max_f32_e32 v81, v86, v86
	v_max_f32_e32 v82, v87, v87
	v_max_f32_e32 v83, v88, v88
	;; [unrolled: 5-line block ×3, first 2 shown]
	v_max_f32_e32 v4, v4, v4
	v_max_f32_e32 v5, v5, v5
	s_waitcnt lgkmcnt(0)
	v_max_f32_e32 v88, v93, v93
	v_max_f32_e32 v89, v94, v94
	;; [unrolled: 1-line block ×4, first 2 shown]
	v_min_f32_e32 v92, v6, v2
	v_min_f32_e32 v93, v7, v3
	;; [unrolled: 1-line block ×64, first 2 shown]
	v_add_f32_e32 v75, v93, v75
	v_add_f32_e32 v74, v92, v74
	;; [unrolled: 1-line block ×64, first 2 shown]
	s_cbranch_vccz .LBB33_29
; %bb.30:
	s_load_dword s10, s[4:5], 0x58
	v_add_nc_u32_e32 v76, s13, v1
	v_add_nc_u32_e32 v12, s12, v0
	v_cndmask_b32_e64 v0, 0, 1, s2
	v_mov_b32_e32 v4, 0
	v_ashrrev_i32_e32 v13, 31, v12
	v_cmp_ne_u32_e64 s1, 1, v0
	s_waitcnt lgkmcnt(0)
	v_mad_i64_i32 v[1:2], null, v76, s10, 0
	v_lshlrev_b64 v[2:3], 2, v[1:2]
	v_lshlrev_b64 v[0:1], 2, v[12:13]
	v_add_co_u32 v77, vcc_lo, s8, v2
	v_add_co_ci_u32_e64 v78, null, s9, v3, vcc_lo
	v_mov_b32_e32 v2, 0
	s_andn2_b32 vcc_lo, exec_lo, s2
	s_cbranch_vccnz .LBB33_32
; %bb.31:
	v_add_co_u32 v2, vcc_lo, v77, v0
	v_add_co_ci_u32_e64 v3, null, v78, v1, vcc_lo
	flat_load_dword v2, v[2:3]
	s_waitcnt vmcnt(0) lgkmcnt(0)
	v_mul_f32_e32 v2, s3, v2
.LBB33_32:
	s_clause 0x1
	s_load_dword s2, s[4:5], 0x70
	s_load_dwordx2 s[4:5], s[4:5], 0x78
	v_add_nc_u32_e32 v7, 8, v12
	v_add_f32_e32 v3, v74, v75
	v_ashrrev_i32_e32 v8, 31, v7
	v_add_f32_e32 v9, v3, v2
	v_lshlrev_b64 v[2:3], 2, v[7:8]
	s_waitcnt lgkmcnt(0)
	v_mad_i64_i32 v[5:6], null, v76, s2, 0
	s_lshl_b64 s[4:5], s[4:5], 2
	s_add_u32 s4, s6, s4
	s_addc_u32 s5, s7, s5
	v_lshlrev_b64 v[5:6], 2, v[5:6]
	v_add_co_u32 v74, vcc_lo, s4, v5
	v_add_co_ci_u32_e64 v75, null, s5, v6, vcc_lo
	v_add_co_u32 v5, vcc_lo, v74, v0
	v_add_co_ci_u32_e64 v6, null, v75, v1, vcc_lo
	s_and_b32 vcc_lo, exec_lo, s1
	flat_store_dword v[5:6], v9
	s_cbranch_vccnz .LBB33_34
; %bb.33:
	v_add_co_u32 v4, vcc_lo, v77, v2
	v_add_co_ci_u32_e64 v5, null, v78, v3, vcc_lo
	flat_load_dword v4, v[4:5]
	s_waitcnt vmcnt(0) lgkmcnt(0)
	v_mul_f32_e32 v4, s3, v4
.LBB33_34:
	v_add_nc_u32_e32 v5, 16, v12
	v_add_f32_e32 v7, v72, v73
	v_add_co_u32 v72, vcc_lo, v74, v2
	v_add_co_ci_u32_e64 v73, null, v75, v3, vcc_lo
	v_ashrrev_i32_e32 v6, 31, v5
	v_add_f32_e32 v7, v7, v4
	v_mov_b32_e32 v8, 0
	s_and_b32 vcc_lo, exec_lo, s1
	v_lshlrev_b64 v[4:5], 2, v[5:6]
	v_mov_b32_e32 v6, 0
	flat_store_dword v[72:73], v7
	s_cbranch_vccnz .LBB33_36
; %bb.35:
	v_add_co_u32 v6, vcc_lo, v77, v4
	v_add_co_ci_u32_e64 v7, null, v78, v5, vcc_lo
	flat_load_dword v6, v[6:7]
	s_waitcnt vmcnt(0) lgkmcnt(0)
	v_mul_f32_e32 v6, s3, v6
.LBB33_36:
	v_add_nc_u32_e32 v72, 24, v12
	v_add_f32_e32 v7, v70, v71
	v_add_co_u32 v70, vcc_lo, v74, v4
	v_add_co_ci_u32_e64 v71, null, v75, v5, vcc_lo
	v_ashrrev_i32_e32 v73, 31, v72
	v_add_f32_e32 v9, v7, v6
	s_and_b32 vcc_lo, exec_lo, s1
	v_lshlrev_b64 v[6:7], 2, v[72:73]
	flat_store_dword v[70:71], v9
	s_cbranch_vccnz .LBB33_38
; %bb.37:
	v_add_co_u32 v8, vcc_lo, v77, v6
	v_add_co_ci_u32_e64 v9, null, v78, v7, vcc_lo
	flat_load_dword v8, v[8:9]
	s_waitcnt vmcnt(0) lgkmcnt(0)
	v_mul_f32_e32 v8, s3, v8
.LBB33_38:
	v_add_nc_u32_e32 v9, 32, v12
	v_add_f32_e32 v11, v10, v11
	v_add_co_u32 v70, vcc_lo, v74, v6
	v_add_co_ci_u32_e64 v71, null, v75, v7, vcc_lo
	v_ashrrev_i32_e32 v10, 31, v9
	v_add_f32_e32 v13, v11, v8
	v_mov_b32_e32 v8, 0
	s_and_b32 vcc_lo, exec_lo, s1
	v_lshlrev_b64 v[10:11], 2, v[9:10]
	v_mov_b32_e32 v9, 0
	flat_store_dword v[70:71], v13
	s_cbranch_vccnz .LBB33_40
; %bb.39:
	v_add_co_u32 v70, vcc_lo, v77, v10
	v_add_co_ci_u32_e64 v71, null, v78, v11, vcc_lo
	flat_load_dword v9, v[70:71]
	s_waitcnt vmcnt(0) lgkmcnt(0)
	v_mul_f32_e32 v9, s3, v9
.LBB33_40:
	v_add_nc_u32_e32 v13, 40, v12
	v_add_f32_e32 v15, v14, v15
	v_add_co_u32 v70, vcc_lo, v74, v10
	v_add_co_ci_u32_e64 v71, null, v75, v11, vcc_lo
	v_ashrrev_i32_e32 v14, 31, v13
	v_add_f32_e32 v9, v15, v9
	s_and_b32 vcc_lo, exec_lo, s1
	v_lshlrev_b64 v[14:15], 2, v[13:14]
	flat_store_dword v[70:71], v9
	s_cbranch_vccnz .LBB33_42
; %bb.41:
	v_add_co_u32 v8, vcc_lo, v77, v14
	v_add_co_ci_u32_e64 v9, null, v78, v15, vcc_lo
	flat_load_dword v8, v[8:9]
	s_waitcnt vmcnt(0) lgkmcnt(0)
	v_mul_f32_e32 v8, s3, v8
.LBB33_42:
	v_add_nc_u32_e32 v70, 48, v12
	v_add_f32_e32 v9, v68, v69
	v_add_co_u32 v72, vcc_lo, v74, v14
	v_add_co_ci_u32_e64 v73, null, v75, v15, vcc_lo
	v_ashrrev_i32_e32 v71, 31, v70
	v_add_f32_e32 v69, v9, v8
	v_mov_b32_e32 v68, 0
	v_mov_b32_e32 v13, 0
	s_and_b32 vcc_lo, exec_lo, s1
	v_lshlrev_b64 v[8:9], 2, v[70:71]
	flat_store_dword v[72:73], v69
	s_cbranch_vccnz .LBB33_44
; %bb.43:
	v_add_co_u32 v69, vcc_lo, v77, v8
	v_add_co_ci_u32_e64 v70, null, v78, v9, vcc_lo
	flat_load_dword v13, v[69:70]
	s_waitcnt vmcnt(0) lgkmcnt(0)
	v_mul_f32_e32 v13, s3, v13
.LBB33_44:
	v_add_nc_u32_e32 v69, 56, v12
	v_add_f32_e32 v12, v66, v67
	v_add_co_u32 v66, vcc_lo, v74, v8
	v_add_co_ci_u32_e64 v67, null, v75, v9, vcc_lo
	v_ashrrev_i32_e32 v70, 31, v69
	v_add_f32_e32 v71, v12, v13
	s_and_b32 vcc_lo, exec_lo, s1
	v_lshlrev_b64 v[12:13], 2, v[69:70]
	flat_store_dword v[66:67], v71
	s_cbranch_vccnz .LBB33_46
; %bb.45:
	v_add_co_u32 v66, vcc_lo, v77, v12
	v_add_co_ci_u32_e64 v67, null, v78, v13, vcc_lo
	flat_load_dword v66, v[66:67]
	s_waitcnt vmcnt(0) lgkmcnt(0)
	v_mul_f32_e32 v68, s3, v66
.LBB33_46:
	v_add_nc_u32_e32 v67, 32, v76
	v_add_f32_e32 v71, v64, v65
	v_mov_b32_e32 v66, 0
	v_mad_i64_i32 v[69:70], null, v67, s10, 0
	v_add_f32_e32 v71, v71, v68
	v_mov_b32_e32 v68, 0
	v_lshlrev_b64 v[64:65], 2, v[69:70]
	v_add_co_u32 v69, vcc_lo, v74, v12
	v_add_co_ci_u32_e64 v70, null, v75, v13, vcc_lo
	v_add_co_u32 v64, vcc_lo, s8, v64
	v_add_co_ci_u32_e64 v65, null, s9, v65, vcc_lo
	s_and_b32 vcc_lo, exec_lo, s1
	flat_store_dword v[69:70], v71
	s_cbranch_vccnz .LBB33_48
; %bb.47:
	v_add_co_u32 v68, vcc_lo, v64, v0
	v_add_co_ci_u32_e64 v69, null, v65, v1, vcc_lo
	flat_load_dword v68, v[68:69]
	s_waitcnt vmcnt(0) lgkmcnt(0)
	v_mul_f32_e32 v68, s3, v68
.LBB33_48:
	v_mad_i64_i32 v[69:70], null, v67, s2, 0
	v_add_f32_e32 v67, v62, v63
	v_lshlrev_b64 v[69:70], 2, v[69:70]
	v_add_co_u32 v62, vcc_lo, s4, v69
	v_add_co_ci_u32_e64 v63, null, s5, v70, vcc_lo
	v_add_f32_e32 v69, v67, v68
	v_add_co_u32 v67, vcc_lo, v62, v0
	v_add_co_ci_u32_e64 v68, null, v63, v1, vcc_lo
	s_and_b32 vcc_lo, exec_lo, s1
	flat_store_dword v[67:68], v69
	s_cbranch_vccnz .LBB33_50
; %bb.49:
	v_add_co_u32 v66, vcc_lo, v64, v2
	v_add_co_ci_u32_e64 v67, null, v65, v3, vcc_lo
	flat_load_dword v66, v[66:67]
	s_waitcnt vmcnt(0) lgkmcnt(0)
	v_mul_f32_e32 v66, s3, v66
.LBB33_50:
	v_add_f32_e32 v60, v60, v61
	v_add_co_u32 v67, vcc_lo, v62, v2
	v_add_co_ci_u32_e64 v68, null, v63, v3, vcc_lo
	v_add_f32_e32 v66, v60, v66
	v_mov_b32_e32 v60, 0
	v_mov_b32_e32 v61, 0
	s_and_b32 vcc_lo, exec_lo, s1
	flat_store_dword v[67:68], v66
	s_cbranch_vccnz .LBB33_52
; %bb.51:
	v_add_co_u32 v66, vcc_lo, v64, v4
	v_add_co_ci_u32_e64 v67, null, v65, v5, vcc_lo
	flat_load_dword v61, v[66:67]
	s_waitcnt vmcnt(0) lgkmcnt(0)
	v_mul_f32_e32 v61, s3, v61
.LBB33_52:
	v_add_f32_e32 v58, v58, v59
	v_add_f32_e32 v61, v58, v61
	v_add_co_u32 v58, vcc_lo, v62, v4
	v_add_co_ci_u32_e64 v59, null, v63, v5, vcc_lo
	s_and_b32 vcc_lo, exec_lo, s1
	flat_store_dword v[58:59], v61
	s_cbranch_vccnz .LBB33_54
; %bb.53:
	v_add_co_u32 v58, vcc_lo, v64, v6
	v_add_co_ci_u32_e64 v59, null, v65, v7, vcc_lo
	flat_load_dword v58, v[58:59]
	s_waitcnt vmcnt(0) lgkmcnt(0)
	v_mul_f32_e32 v60, s3, v58
.LBB33_54:
	v_add_f32_e32 v56, v56, v57
	v_add_co_u32 v58, vcc_lo, v62, v6
	v_add_co_ci_u32_e64 v59, null, v63, v7, vcc_lo
	v_add_f32_e32 v60, v56, v60
	v_mov_b32_e32 v56, 0
	v_mov_b32_e32 v57, 0
	s_and_b32 vcc_lo, exec_lo, s1
	flat_store_dword v[58:59], v60
	s_cbranch_vccnz .LBB33_56
; %bb.55:
	v_add_co_u32 v57, vcc_lo, v64, v10
	v_add_co_ci_u32_e64 v58, null, v65, v11, vcc_lo
	flat_load_dword v57, v[57:58]
	s_waitcnt vmcnt(0) lgkmcnt(0)
	v_mul_f32_e32 v57, s3, v57
.LBB33_56:
	v_add_f32_e32 v54, v54, v55
	v_add_f32_e32 v57, v54, v57
	v_add_co_u32 v54, vcc_lo, v62, v10
	v_add_co_ci_u32_e64 v55, null, v63, v11, vcc_lo
	s_and_b32 vcc_lo, exec_lo, s1
	flat_store_dword v[54:55], v57
	s_cbranch_vccnz .LBB33_58
; %bb.57:
	v_add_co_u32 v54, vcc_lo, v64, v14
	v_add_co_ci_u32_e64 v55, null, v65, v15, vcc_lo
	flat_load_dword v54, v[54:55]
	s_waitcnt vmcnt(0) lgkmcnt(0)
	v_mul_f32_e32 v56, s3, v54
.LBB33_58:
	v_add_f32_e32 v52, v52, v53
	v_add_co_u32 v54, vcc_lo, v62, v14
	v_add_co_ci_u32_e64 v55, null, v63, v15, vcc_lo
	v_add_f32_e32 v56, v52, v56
	v_mov_b32_e32 v52, 0
	v_mov_b32_e32 v53, 0
	s_and_b32 vcc_lo, exec_lo, s1
	flat_store_dword v[54:55], v56
	s_cbranch_vccnz .LBB33_60
; %bb.59:
	v_add_co_u32 v53, vcc_lo, v64, v8
	v_add_co_ci_u32_e64 v54, null, v65, v9, vcc_lo
	flat_load_dword v53, v[53:54]
	s_waitcnt vmcnt(0) lgkmcnt(0)
	v_mul_f32_e32 v53, s3, v53
.LBB33_60:
	v_add_f32_e32 v50, v50, v51
	v_add_f32_e32 v53, v50, v53
	v_add_co_u32 v50, vcc_lo, v62, v8
	v_add_co_ci_u32_e64 v51, null, v63, v9, vcc_lo
	s_and_b32 vcc_lo, exec_lo, s1
	flat_store_dword v[50:51], v53
	s_cbranch_vccnz .LBB33_62
; %bb.61:
	v_add_co_u32 v50, vcc_lo, v64, v12
	v_add_co_ci_u32_e64 v51, null, v65, v13, vcc_lo
	flat_load_dword v50, v[50:51]
	s_waitcnt vmcnt(0) lgkmcnt(0)
	v_mul_f32_e32 v52, s3, v50
.LBB33_62:
	v_add_nc_u32_e32 v51, 64, v76
	v_add_f32_e32 v55, v48, v49
	v_mov_b32_e32 v50, 0
	v_mad_i64_i32 v[53:54], null, v51, s10, 0
	v_add_f32_e32 v55, v55, v52
	v_mov_b32_e32 v52, 0
	v_lshlrev_b64 v[48:49], 2, v[53:54]
	v_add_co_u32 v53, vcc_lo, v62, v12
	v_add_co_ci_u32_e64 v54, null, v63, v13, vcc_lo
	v_add_co_u32 v48, vcc_lo, s8, v48
	v_add_co_ci_u32_e64 v49, null, s9, v49, vcc_lo
	s_and_b32 vcc_lo, exec_lo, s1
	flat_store_dword v[53:54], v55
	s_cbranch_vccnz .LBB33_64
; %bb.63:
	v_add_co_u32 v52, vcc_lo, v48, v0
	v_add_co_ci_u32_e64 v53, null, v49, v1, vcc_lo
	flat_load_dword v52, v[52:53]
	s_waitcnt vmcnt(0) lgkmcnt(0)
	v_mul_f32_e32 v52, s3, v52
.LBB33_64:
	v_mad_i64_i32 v[53:54], null, v51, s2, 0
	v_add_f32_e32 v51, v46, v47
	v_lshlrev_b64 v[53:54], 2, v[53:54]
	v_add_co_u32 v46, vcc_lo, s4, v53
	v_add_co_ci_u32_e64 v47, null, s5, v54, vcc_lo
	v_add_f32_e32 v53, v51, v52
	v_add_co_u32 v51, vcc_lo, v46, v0
	v_add_co_ci_u32_e64 v52, null, v47, v1, vcc_lo
	s_and_b32 vcc_lo, exec_lo, s1
	flat_store_dword v[51:52], v53
	s_cbranch_vccnz .LBB33_66
; %bb.65:
	v_add_co_u32 v50, vcc_lo, v48, v2
	v_add_co_ci_u32_e64 v51, null, v49, v3, vcc_lo
	flat_load_dword v50, v[50:51]
	s_waitcnt vmcnt(0) lgkmcnt(0)
	v_mul_f32_e32 v50, s3, v50
.LBB33_66:
	v_add_f32_e32 v44, v44, v45
	v_add_co_u32 v51, vcc_lo, v46, v2
	v_add_co_ci_u32_e64 v52, null, v47, v3, vcc_lo
	v_add_f32_e32 v50, v44, v50
	v_mov_b32_e32 v44, 0
	v_mov_b32_e32 v45, 0
	s_and_b32 vcc_lo, exec_lo, s1
	flat_store_dword v[51:52], v50
	s_cbranch_vccnz .LBB33_68
; %bb.67:
	v_add_co_u32 v50, vcc_lo, v48, v4
	v_add_co_ci_u32_e64 v51, null, v49, v5, vcc_lo
	flat_load_dword v45, v[50:51]
	s_waitcnt vmcnt(0) lgkmcnt(0)
	v_mul_f32_e32 v45, s3, v45
.LBB33_68:
	v_add_f32_e32 v42, v42, v43
	v_add_f32_e32 v45, v42, v45
	v_add_co_u32 v42, vcc_lo, v46, v4
	v_add_co_ci_u32_e64 v43, null, v47, v5, vcc_lo
	s_and_b32 vcc_lo, exec_lo, s1
	flat_store_dword v[42:43], v45
	s_cbranch_vccnz .LBB33_70
; %bb.69:
	v_add_co_u32 v42, vcc_lo, v48, v6
	v_add_co_ci_u32_e64 v43, null, v49, v7, vcc_lo
	flat_load_dword v42, v[42:43]
	s_waitcnt vmcnt(0) lgkmcnt(0)
	v_mul_f32_e32 v44, s3, v42
.LBB33_70:
	v_add_f32_e32 v40, v40, v41
	v_add_co_u32 v42, vcc_lo, v46, v6
	v_add_co_ci_u32_e64 v43, null, v47, v7, vcc_lo
	v_add_f32_e32 v44, v40, v44
	v_mov_b32_e32 v40, 0
	v_mov_b32_e32 v41, 0
	s_and_b32 vcc_lo, exec_lo, s1
	flat_store_dword v[42:43], v44
	s_cbranch_vccnz .LBB33_72
; %bb.71:
	v_add_co_u32 v41, vcc_lo, v48, v10
	v_add_co_ci_u32_e64 v42, null, v49, v11, vcc_lo
	flat_load_dword v41, v[41:42]
	s_waitcnt vmcnt(0) lgkmcnt(0)
	v_mul_f32_e32 v41, s3, v41
.LBB33_72:
	v_add_f32_e32 v38, v38, v39
	;; [unrolled: 30-line block ×3, first 2 shown]
	v_add_f32_e32 v37, v34, v37
	v_add_co_u32 v34, vcc_lo, v46, v8
	v_add_co_ci_u32_e64 v35, null, v47, v9, vcc_lo
	s_and_b32 vcc_lo, exec_lo, s1
	flat_store_dword v[34:35], v37
	s_cbranch_vccnz .LBB33_78
; %bb.77:
	v_add_co_u32 v34, vcc_lo, v48, v12
	v_add_co_ci_u32_e64 v35, null, v49, v13, vcc_lo
	flat_load_dword v34, v[34:35]
	s_waitcnt vmcnt(0) lgkmcnt(0)
	v_mul_f32_e32 v36, s3, v34
.LBB33_78:
	v_add_nc_u32_e32 v35, 0x60, v76
	v_add_f32_e32 v39, v32, v33
	v_mov_b32_e32 v34, 0
	v_mad_i64_i32 v[37:38], null, v35, s10, 0
	v_add_f32_e32 v39, v39, v36
	v_mov_b32_e32 v36, 0
	v_lshlrev_b64 v[32:33], 2, v[37:38]
	v_add_co_u32 v37, vcc_lo, v46, v12
	v_add_co_ci_u32_e64 v38, null, v47, v13, vcc_lo
	v_add_co_u32 v32, vcc_lo, s8, v32
	v_add_co_ci_u32_e64 v33, null, s9, v33, vcc_lo
	s_and_b32 vcc_lo, exec_lo, s1
	flat_store_dword v[37:38], v39
	s_cbranch_vccnz .LBB33_80
; %bb.79:
	v_add_co_u32 v36, vcc_lo, v32, v0
	v_add_co_ci_u32_e64 v37, null, v33, v1, vcc_lo
	flat_load_dword v36, v[36:37]
	s_waitcnt vmcnt(0) lgkmcnt(0)
	v_mul_f32_e32 v36, s3, v36
.LBB33_80:
	v_mad_i64_i32 v[37:38], null, v35, s2, 0
	v_add_f32_e32 v35, v30, v31
	v_add_f32_e32 v35, v35, v36
	v_lshlrev_b64 v[37:38], 2, v[37:38]
	v_add_co_u32 v30, vcc_lo, s4, v37
	v_add_co_ci_u32_e64 v31, null, s5, v38, vcc_lo
	v_add_co_u32 v0, vcc_lo, v30, v0
	v_add_co_ci_u32_e64 v1, null, v31, v1, vcc_lo
	s_and_b32 vcc_lo, exec_lo, s1
	flat_store_dword v[0:1], v35
	s_cbranch_vccnz .LBB33_82
; %bb.81:
	v_add_co_u32 v0, vcc_lo, v32, v2
	v_add_co_ci_u32_e64 v1, null, v33, v3, vcc_lo
	flat_load_dword v0, v[0:1]
	s_waitcnt vmcnt(0) lgkmcnt(0)
	v_mul_f32_e32 v34, s3, v0
.LBB33_82:
	v_add_f32_e32 v0, v28, v29
	v_add_co_u32 v2, vcc_lo, v30, v2
	v_add_co_ci_u32_e64 v3, null, v31, v3, vcc_lo
	v_add_f32_e32 v28, v0, v34
	v_mov_b32_e32 v0, 0
	v_mov_b32_e32 v1, 0
	s_and_b32 vcc_lo, exec_lo, s1
	flat_store_dword v[2:3], v28
	s_cbranch_vccnz .LBB33_84
; %bb.83:
	v_add_co_u32 v1, vcc_lo, v32, v4
	v_add_co_ci_u32_e64 v2, null, v33, v5, vcc_lo
	flat_load_dword v1, v[1:2]
	s_waitcnt vmcnt(0) lgkmcnt(0)
	v_mul_f32_e32 v1, s3, v1
.LBB33_84:
	v_add_f32_e32 v2, v26, v27
	v_add_f32_e32 v3, v2, v1
	v_add_co_u32 v1, vcc_lo, v30, v4
	v_add_co_ci_u32_e64 v2, null, v31, v5, vcc_lo
	s_and_b32 vcc_lo, exec_lo, s1
	flat_store_dword v[1:2], v3
	s_cbranch_vccnz .LBB33_86
; %bb.85:
	v_add_co_u32 v0, vcc_lo, v32, v6
	v_add_co_ci_u32_e64 v1, null, v33, v7, vcc_lo
	flat_load_dword v0, v[0:1]
	s_waitcnt vmcnt(0) lgkmcnt(0)
	v_mul_f32_e32 v0, s3, v0
.LBB33_86:
	v_add_f32_e32 v1, v24, v25
	v_add_co_u32 v2, vcc_lo, v30, v6
	v_add_co_ci_u32_e64 v3, null, v31, v7, vcc_lo
	v_add_f32_e32 v4, v1, v0
	v_mov_b32_e32 v0, 0
	v_mov_b32_e32 v1, 0
	s_and_b32 vcc_lo, exec_lo, s1
	flat_store_dword v[2:3], v4
	s_cbranch_vccnz .LBB33_88
; %bb.87:
	v_add_co_u32 v1, vcc_lo, v32, v10
	v_add_co_ci_u32_e64 v2, null, v33, v11, vcc_lo
	flat_load_dword v1, v[1:2]
	s_waitcnt vmcnt(0) lgkmcnt(0)
	v_mul_f32_e32 v1, s3, v1
.LBB33_88:
	v_add_f32_e32 v2, v22, v23
	v_add_f32_e32 v3, v2, v1
	v_add_co_u32 v1, vcc_lo, v30, v10
	v_add_co_ci_u32_e64 v2, null, v31, v11, vcc_lo
	s_and_b32 vcc_lo, exec_lo, s1
	flat_store_dword v[1:2], v3
	s_cbranch_vccnz .LBB33_90
; %bb.89:
	v_add_co_u32 v0, vcc_lo, v32, v14
	v_add_co_ci_u32_e64 v1, null, v33, v15, vcc_lo
	flat_load_dword v0, v[0:1]
	s_waitcnt vmcnt(0) lgkmcnt(0)
	v_mul_f32_e32 v0, s3, v0
.LBB33_90:
	v_add_f32_e32 v3, v20, v21
	v_add_co_u32 v1, vcc_lo, v30, v14
	v_add_co_ci_u32_e64 v2, null, v31, v15, vcc_lo
	v_add_f32_e32 v3, v3, v0
	v_add_f32_e32 v0, v18, v19
	s_mov_b32 s1, -1
	s_mov_b32 vcc_lo, s0
	flat_store_dword v[1:2], v3
	s_cbranch_vccz .LBB33_92
; %bb.91:
	v_add_co_u32 v1, vcc_lo, v30, v8
	v_add_f32_e32 v3, 0, v0
	v_add_co_ci_u32_e64 v2, null, v31, v9, vcc_lo
	s_mov_b32 s1, 0
	flat_store_dword v[1:2], v3
.LBB33_92:
	v_mov_b32_e32 v1, 0
	s_andn2_b32 vcc_lo, exec_lo, s1
	s_cbranch_vccnz .LBB33_94
; %bb.93:
	v_add_co_u32 v1, vcc_lo, v32, v8
	v_add_co_ci_u32_e64 v2, null, v33, v9, vcc_lo
	flat_load_dword v3, v[1:2]
	v_add_co_u32 v1, vcc_lo, v30, v8
	v_add_co_ci_u32_e64 v2, null, v31, v9, vcc_lo
	s_waitcnt vmcnt(0) lgkmcnt(0)
	v_fmac_f32_e32 v0, s3, v3
	v_add_co_u32 v3, vcc_lo, v32, v12
	v_add_co_ci_u32_e64 v4, null, v33, v13, vcc_lo
	flat_store_dword v[1:2], v0
	flat_load_dword v0, v[3:4]
	s_waitcnt vmcnt(0) lgkmcnt(0)
	v_mul_f32_e32 v1, s3, v0
.LBB33_94:
	v_add_f32_e32 v0, v16, v17
	v_add_f32_e32 v2, v0, v1
	v_add_co_u32 v0, vcc_lo, v30, v12
	v_add_co_ci_u32_e64 v1, null, v31, v13, vcc_lo
	flat_store_dword v[0:1], v2
	s_endpgm
	.section	.rodata,"a",@progbits
	.p2align	6, 0x0
	.amdhsa_kernel _ZN12_GLOBAL__N_120geam_min_plus_kernelIf15HIP_vector_typeIfLj2EES2_Li8ELi32ELi64ELi128ELi4ELi4ELi64ELi4ELi64ELc84ELc78ELb0ELb0ELb0EPKfKS4_KPfEEviiiT16_PT17_ilSA_ilS8_SA_ilPT18_ili26rocblas_geam_ex_operation_
		.amdhsa_group_segment_fixed_size 6144
		.amdhsa_private_segment_fixed_size 0
		.amdhsa_kernarg_size 136
		.amdhsa_user_sgpr_count 6
		.amdhsa_user_sgpr_private_segment_buffer 1
		.amdhsa_user_sgpr_dispatch_ptr 0
		.amdhsa_user_sgpr_queue_ptr 0
		.amdhsa_user_sgpr_kernarg_segment_ptr 1
		.amdhsa_user_sgpr_dispatch_id 0
		.amdhsa_user_sgpr_flat_scratch_init 0
		.amdhsa_user_sgpr_private_segment_size 0
		.amdhsa_wavefront_size32 1
		.amdhsa_uses_dynamic_stack 0
		.amdhsa_system_sgpr_private_segment_wavefront_offset 0
		.amdhsa_system_sgpr_workgroup_id_x 1
		.amdhsa_system_sgpr_workgroup_id_y 0
		.amdhsa_system_sgpr_workgroup_id_z 1
		.amdhsa_system_sgpr_workgroup_info 0
		.amdhsa_system_vgpr_workitem_id 1
		.amdhsa_next_free_vgpr 151
		.amdhsa_next_free_sgpr 25
		.amdhsa_reserve_vcc 1
		.amdhsa_reserve_flat_scratch 1
		.amdhsa_float_round_mode_32 0
		.amdhsa_float_round_mode_16_64 0
		.amdhsa_float_denorm_mode_32 3
		.amdhsa_float_denorm_mode_16_64 3
		.amdhsa_dx10_clamp 1
		.amdhsa_ieee_mode 1
		.amdhsa_fp16_overflow 0
		.amdhsa_workgroup_processor_mode 1
		.amdhsa_memory_ordered 1
		.amdhsa_forward_progress 1
		.amdhsa_shared_vgpr_count 0
		.amdhsa_exception_fp_ieee_invalid_op 0
		.amdhsa_exception_fp_denorm_src 0
		.amdhsa_exception_fp_ieee_div_zero 0
		.amdhsa_exception_fp_ieee_overflow 0
		.amdhsa_exception_fp_ieee_underflow 0
		.amdhsa_exception_fp_ieee_inexact 0
		.amdhsa_exception_int_div_zero 0
	.end_amdhsa_kernel
	.section	.text._ZN12_GLOBAL__N_120geam_min_plus_kernelIf15HIP_vector_typeIfLj2EES2_Li8ELi32ELi64ELi128ELi4ELi4ELi64ELi4ELi64ELc84ELc78ELb0ELb0ELb0EPKfKS4_KPfEEviiiT16_PT17_ilSA_ilS8_SA_ilPT18_ili26rocblas_geam_ex_operation_,"axG",@progbits,_ZN12_GLOBAL__N_120geam_min_plus_kernelIf15HIP_vector_typeIfLj2EES2_Li8ELi32ELi64ELi128ELi4ELi4ELi64ELi4ELi64ELc84ELc78ELb0ELb0ELb0EPKfKS4_KPfEEviiiT16_PT17_ilSA_ilS8_SA_ilPT18_ili26rocblas_geam_ex_operation_,comdat
.Lfunc_end33:
	.size	_ZN12_GLOBAL__N_120geam_min_plus_kernelIf15HIP_vector_typeIfLj2EES2_Li8ELi32ELi64ELi128ELi4ELi4ELi64ELi4ELi64ELc84ELc78ELb0ELb0ELb0EPKfKS4_KPfEEviiiT16_PT17_ilSA_ilS8_SA_ilPT18_ili26rocblas_geam_ex_operation_, .Lfunc_end33-_ZN12_GLOBAL__N_120geam_min_plus_kernelIf15HIP_vector_typeIfLj2EES2_Li8ELi32ELi64ELi128ELi4ELi4ELi64ELi4ELi64ELc84ELc78ELb0ELb0ELb0EPKfKS4_KPfEEviiiT16_PT17_ilSA_ilS8_SA_ilPT18_ili26rocblas_geam_ex_operation_
                                        ; -- End function
	.set _ZN12_GLOBAL__N_120geam_min_plus_kernelIf15HIP_vector_typeIfLj2EES2_Li8ELi32ELi64ELi128ELi4ELi4ELi64ELi4ELi64ELc84ELc78ELb0ELb0ELb0EPKfKS4_KPfEEviiiT16_PT17_ilSA_ilS8_SA_ilPT18_ili26rocblas_geam_ex_operation_.num_vgpr, 151
	.set _ZN12_GLOBAL__N_120geam_min_plus_kernelIf15HIP_vector_typeIfLj2EES2_Li8ELi32ELi64ELi128ELi4ELi4ELi64ELi4ELi64ELc84ELc78ELb0ELb0ELb0EPKfKS4_KPfEEviiiT16_PT17_ilSA_ilS8_SA_ilPT18_ili26rocblas_geam_ex_operation_.num_agpr, 0
	.set _ZN12_GLOBAL__N_120geam_min_plus_kernelIf15HIP_vector_typeIfLj2EES2_Li8ELi32ELi64ELi128ELi4ELi4ELi64ELi4ELi64ELc84ELc78ELb0ELb0ELb0EPKfKS4_KPfEEviiiT16_PT17_ilSA_ilS8_SA_ilPT18_ili26rocblas_geam_ex_operation_.numbered_sgpr, 25
	.set _ZN12_GLOBAL__N_120geam_min_plus_kernelIf15HIP_vector_typeIfLj2EES2_Li8ELi32ELi64ELi128ELi4ELi4ELi64ELi4ELi64ELc84ELc78ELb0ELb0ELb0EPKfKS4_KPfEEviiiT16_PT17_ilSA_ilS8_SA_ilPT18_ili26rocblas_geam_ex_operation_.num_named_barrier, 0
	.set _ZN12_GLOBAL__N_120geam_min_plus_kernelIf15HIP_vector_typeIfLj2EES2_Li8ELi32ELi64ELi128ELi4ELi4ELi64ELi4ELi64ELc84ELc78ELb0ELb0ELb0EPKfKS4_KPfEEviiiT16_PT17_ilSA_ilS8_SA_ilPT18_ili26rocblas_geam_ex_operation_.private_seg_size, 0
	.set _ZN12_GLOBAL__N_120geam_min_plus_kernelIf15HIP_vector_typeIfLj2EES2_Li8ELi32ELi64ELi128ELi4ELi4ELi64ELi4ELi64ELc84ELc78ELb0ELb0ELb0EPKfKS4_KPfEEviiiT16_PT17_ilSA_ilS8_SA_ilPT18_ili26rocblas_geam_ex_operation_.uses_vcc, 1
	.set _ZN12_GLOBAL__N_120geam_min_plus_kernelIf15HIP_vector_typeIfLj2EES2_Li8ELi32ELi64ELi128ELi4ELi4ELi64ELi4ELi64ELc84ELc78ELb0ELb0ELb0EPKfKS4_KPfEEviiiT16_PT17_ilSA_ilS8_SA_ilPT18_ili26rocblas_geam_ex_operation_.uses_flat_scratch, 1
	.set _ZN12_GLOBAL__N_120geam_min_plus_kernelIf15HIP_vector_typeIfLj2EES2_Li8ELi32ELi64ELi128ELi4ELi4ELi64ELi4ELi64ELc84ELc78ELb0ELb0ELb0EPKfKS4_KPfEEviiiT16_PT17_ilSA_ilS8_SA_ilPT18_ili26rocblas_geam_ex_operation_.has_dyn_sized_stack, 0
	.set _ZN12_GLOBAL__N_120geam_min_plus_kernelIf15HIP_vector_typeIfLj2EES2_Li8ELi32ELi64ELi128ELi4ELi4ELi64ELi4ELi64ELc84ELc78ELb0ELb0ELb0EPKfKS4_KPfEEviiiT16_PT17_ilSA_ilS8_SA_ilPT18_ili26rocblas_geam_ex_operation_.has_recursion, 0
	.set _ZN12_GLOBAL__N_120geam_min_plus_kernelIf15HIP_vector_typeIfLj2EES2_Li8ELi32ELi64ELi128ELi4ELi4ELi64ELi4ELi64ELc84ELc78ELb0ELb0ELb0EPKfKS4_KPfEEviiiT16_PT17_ilSA_ilS8_SA_ilPT18_ili26rocblas_geam_ex_operation_.has_indirect_call, 0
	.section	.AMDGPU.csdata,"",@progbits
; Kernel info:
; codeLenInByte = 7660
; TotalNumSgprs: 27
; NumVgprs: 151
; ScratchSize: 0
; MemoryBound: 0
; FloatMode: 240
; IeeeMode: 1
; LDSByteSize: 6144 bytes/workgroup (compile time only)
; SGPRBlocks: 0
; VGPRBlocks: 18
; NumSGPRsForWavesPerEU: 27
; NumVGPRsForWavesPerEU: 151
; Occupancy: 6
; WaveLimiterHint : 1
; COMPUTE_PGM_RSRC2:SCRATCH_EN: 0
; COMPUTE_PGM_RSRC2:USER_SGPR: 6
; COMPUTE_PGM_RSRC2:TRAP_HANDLER: 0
; COMPUTE_PGM_RSRC2:TGID_X_EN: 1
; COMPUTE_PGM_RSRC2:TGID_Y_EN: 0
; COMPUTE_PGM_RSRC2:TGID_Z_EN: 1
; COMPUTE_PGM_RSRC2:TIDIG_COMP_CNT: 1
	.section	.text._ZN12_GLOBAL__N_120geam_min_plus_kernelIf15HIP_vector_typeIfLj2EES2_Li8ELi32ELi64ELi128ELi4ELi4ELi64ELi4ELi64ELc84ELc78ELb1ELb0ELb0EfKPKfKPfEEviiiT16_PT17_ilSA_ilS8_SA_ilPT18_ili26rocblas_geam_ex_operation_,"axG",@progbits,_ZN12_GLOBAL__N_120geam_min_plus_kernelIf15HIP_vector_typeIfLj2EES2_Li8ELi32ELi64ELi128ELi4ELi4ELi64ELi4ELi64ELc84ELc78ELb1ELb0ELb0EfKPKfKPfEEviiiT16_PT17_ilSA_ilS8_SA_ilPT18_ili26rocblas_geam_ex_operation_,comdat
	.globl	_ZN12_GLOBAL__N_120geam_min_plus_kernelIf15HIP_vector_typeIfLj2EES2_Li8ELi32ELi64ELi128ELi4ELi4ELi64ELi4ELi64ELc84ELc78ELb1ELb0ELb0EfKPKfKPfEEviiiT16_PT17_ilSA_ilS8_SA_ilPT18_ili26rocblas_geam_ex_operation_ ; -- Begin function _ZN12_GLOBAL__N_120geam_min_plus_kernelIf15HIP_vector_typeIfLj2EES2_Li8ELi32ELi64ELi128ELi4ELi4ELi64ELi4ELi64ELc84ELc78ELb1ELb0ELb0EfKPKfKPfEEviiiT16_PT17_ilSA_ilS8_SA_ilPT18_ili26rocblas_geam_ex_operation_
	.p2align	8
	.type	_ZN12_GLOBAL__N_120geam_min_plus_kernelIf15HIP_vector_typeIfLj2EES2_Li8ELi32ELi64ELi128ELi4ELi4ELi64ELi4ELi64ELc84ELc78ELb1ELb0ELb0EfKPKfKPfEEviiiT16_PT17_ilSA_ilS8_SA_ilPT18_ili26rocblas_geam_ex_operation_,@function
_ZN12_GLOBAL__N_120geam_min_plus_kernelIf15HIP_vector_typeIfLj2EES2_Li8ELi32ELi64ELi128ELi4ELi4ELi64ELi4ELi64ELc84ELc78ELb1ELb0ELb0EfKPKfKPfEEviiiT16_PT17_ilSA_ilS8_SA_ilPT18_ili26rocblas_geam_ex_operation_: ; @_ZN12_GLOBAL__N_120geam_min_plus_kernelIf15HIP_vector_typeIfLj2EES2_Li8ELi32ELi64ELi128ELi4ELi4ELi64ELi4ELi64ELc84ELc78ELb1ELb0ELb0EfKPKfKPfEEviiiT16_PT17_ilSA_ilS8_SA_ilPT18_ili26rocblas_geam_ex_operation_
; %bb.0:
	s_clause 0x1
	s_load_dwordx2 s[16:17], s[4:5], 0x8
	s_load_dwordx4 s[0:3], s[4:5], 0x20
	s_mov_b32 s8, s7
	s_mov_b32 s9, 0
	s_waitcnt lgkmcnt(0)
	v_cmp_eq_f32_e64 s7, s17, 0
	s_and_b32 vcc_lo, exec_lo, s7
	s_cbranch_vccnz .LBB34_3
; %bb.1:
	s_load_dwordx2 s[10:11], s[4:5], 0x10
	s_lshl_b64 s[12:13], s[8:9], 3
	s_waitcnt lgkmcnt(0)
	s_add_u32 s10, s10, s12
	s_addc_u32 s11, s11, s13
	s_lshl_b64 s[0:1], s[0:1], 2
	s_load_dwordx2 s[10:11], s[10:11], 0x0
	s_waitcnt lgkmcnt(0)
	s_add_u32 s18, s10, s0
	s_addc_u32 s19, s11, s1
	s_andn2_b32 vcc_lo, exec_lo, s7
	s_cbranch_vccnz .LBB34_4
.LBB34_2:
	s_mov_b32 s21, 0
	s_mov_b32 s20, s8
	s_mov_b32 s0, s21
	s_mov_b64 s[12:13], 0
	s_andn2_b32 vcc_lo, exec_lo, s0
	s_mov_b64 s[14:15], 0
	s_cbranch_vccz .LBB34_5
	s_branch .LBB34_6
.LBB34_3:
	s_mov_b64 s[18:19], 0
	s_andn2_b32 vcc_lo, exec_lo, s7
	s_cbranch_vccz .LBB34_2
.LBB34_4:
	s_mov_b64 s[20:21], s[8:9]
	s_mov_b64 s[12:13], 0
	;; [unrolled: 1-line block ×3, first 2 shown]
.LBB34_5:
	s_lshl_b64 s[0:1], s[8:9], 3
	s_load_dwordx2 s[8:9], s[4:5], 0x38
	s_add_u32 s0, s2, s0
	s_addc_u32 s1, s3, s1
	s_load_dwordx2 s[0:1], s[0:1], 0x0
	s_waitcnt lgkmcnt(0)
	s_lshl_b64 s[2:3], s[8:9], 2
	s_add_u32 s14, s0, s2
	s_addc_u32 s15, s1, s3
.LBB34_6:
	s_clause 0x1
	s_load_dword s7, s[4:5], 0x40
	s_load_dwordx4 s[8:11], s[4:5], 0x58
	s_mov_b32 s17, 0
	s_waitcnt lgkmcnt(0)
	v_cmp_eq_f32_e64 s0, s7, 0
	s_and_b32 s0, exec_lo, s0
	s_mov_b32 vcc_lo, s0
	s_cbranch_vccnz .LBB34_8
; %bb.7:
	s_load_dwordx2 s[2:3], s[4:5], 0x48
	s_lshl_b64 s[12:13], s[20:21], 3
	s_waitcnt lgkmcnt(0)
	s_add_u32 s2, s2, s12
	s_addc_u32 s3, s3, s13
	s_lshl_b64 s[8:9], s[8:9], 2
	s_load_dwordx2 s[2:3], s[2:3], 0x0
	s_waitcnt lgkmcnt(0)
	s_add_u32 s12, s2, s8
	s_addc_u32 s13, s3, s9
.LBB34_8:
	s_load_dword s1, s[4:5], 0x0
	s_lshl_b64 s[2:3], s[20:21], 3
	s_clause 0x1
	s_load_dword s8, s[4:5], 0x18
	s_load_dword s9, s[4:5], 0x30
	s_add_u32 s2, s10, s2
	s_addc_u32 s3, s11, s3
	v_and_b32_e32 v78, 3, v0
	v_mov_b32_e32 v76, 0
	v_lshl_or_b32 v81, v0, 4, 0x1000
	v_lshlrev_b32_e32 v82, 4, v1
	v_lshlrev_b32_e32 v13, 2, v78
	v_mov_b32_e32 v77, v76
	v_mov_b32_e32 v74, v76
	v_mov_b32_e32 v75, v76
	v_mov_b32_e32 v72, v76
	v_mov_b32_e32 v73, v76
	v_mov_b32_e32 v70, v76
	v_mov_b32_e32 v71, v76
	v_mov_b32_e32 v68, v76
	v_mov_b32_e32 v69, v76
	s_waitcnt lgkmcnt(0)
	s_add_i32 s1, s1, -1
	v_mov_b32_e32 v66, v76
	s_ashr_i32 s10, s1, 31
	v_mov_b32_e32 v67, v76
	s_lshr_b32 s10, s10, 26
	v_mov_b32_e32 v64, v76
	s_add_i32 s1, s1, s10
	v_mov_b32_e32 v65, v76
	s_ashr_i32 s1, s1, 6
	v_mov_b32_e32 v62, v76
	s_add_i32 s10, s1, 1
	s_not_b32 s1, s1
	v_cvt_f32_u32_e32 v2, s10
	v_mov_b32_e32 v63, v76
	v_mov_b32_e32 v60, v76
	;; [unrolled: 1-line block ×4, first 2 shown]
	v_rcp_iflag_f32_e32 v2, v2
	v_mov_b32_e32 v59, v76
	v_mov_b32_e32 v56, v76
	;; [unrolled: 1-line block ×9, first 2 shown]
	v_mul_f32_e32 v2, 0x4f7ffffe, v2
	v_mov_b32_e32 v48, v76
	v_mov_b32_e32 v49, v76
	;; [unrolled: 1-line block ×4, first 2 shown]
	v_cvt_u32_f32_e32 v2, v2
	v_mov_b32_e32 v44, v76
	v_mov_b32_e32 v45, v76
	v_mov_b32_e32 v42, v76
	v_mov_b32_e32 v43, v76
	v_readfirstlane_b32 s11, v2
	v_lshl_add_u32 v2, v1, 3, v0
	v_mov_b32_e32 v40, v76
	v_mov_b32_e32 v41, v76
	;; [unrolled: 1-line block ×3, first 2 shown]
	s_mul_i32 s1, s1, s11
	v_lshrrev_b32_e32 v12, 2, v2
	s_mul_hi_u32 s1, s11, s1
	v_mov_b32_e32 v39, v76
	s_add_i32 s11, s11, s1
	v_mov_b32_e32 v36, v76
	s_mul_hi_u32 s1, s6, s11
	v_lshl_or_b32 v85, v12, 4, v13
	s_mul_i32 s11, s1, s10
	s_add_i32 s20, s1, 1
	s_sub_i32 s11, s6, s11
	v_mov_b32_e32 v37, v76
	s_sub_i32 s21, s11, s10
	s_cmp_ge_u32 s11, s10
	v_mov_b32_e32 v34, v76
	s_cselect_b32 s1, s20, s1
	s_cselect_b32 s11, s21, s11
	s_add_i32 s20, s1, 1
	s_cmp_ge_u32 s11, s10
	v_mov_b32_e32 v35, v76
	s_cselect_b32 s1, s20, s1
	v_mov_b32_e32 v32, v76
	s_mul_i32 s10, s1, s10
	s_lshl_b32 s1, s1, 7
	s_sub_i32 s6, s6, s10
	v_add_nc_u32_e32 v4, s1, v12
	s_lshl_b32 s6, s6, 6
	v_mov_b32_e32 v33, v76
	v_add_nc_u32_e32 v5, s6, v12
	v_mov_b32_e32 v30, v76
	v_mad_i64_i32 v[2:3], null, v4, s9, 0
	v_add_nc_u32_e32 v6, 64, v4
	v_mad_i64_i32 v[4:5], null, v5, s8, 0
	v_add_co_u32 v14, s8, s14, v13
	v_mad_i64_i32 v[6:7], null, v6, s9, 0
	v_lshlrev_b64 v[2:3], 2, v[2:3]
	v_add_co_ci_u32_e64 v15, null, s15, 0, s8
	v_lshlrev_b64 v[8:9], 2, v[4:5]
	v_cmp_neq_f32_e64 s8, s7, 0
	v_mov_b32_e32 v31, v76
	v_lshlrev_b64 v[4:5], 2, v[6:7]
	v_add_co_u32 v10, vcc_lo, v14, v2
	v_add_co_ci_u32_e64 v11, null, v15, v3, vcc_lo
	v_add_co_u32 v79, vcc_lo, s18, v8
	v_add_co_ci_u32_e64 v80, null, s19, v9, vcc_lo
	;; [unrolled: 2-line block ×4, first 2 shown]
	s_clause 0x1
	flat_load_dword v83, v[10:11]
	flat_load_dword v84, v[6:7]
	;; [unrolled: 1-line block ×3, first 2 shown]
	s_clause 0x1
	flat_load_dword v6, v[6:7] offset:16
	flat_load_dword v7, v[10:11] offset:16
	;; [unrolled: 1-line block ×3, first 2 shown]
	s_load_dwordx2 s[2:3], s[2:3], 0x0
	v_mov_b32_e32 v14, v76
	v_mov_b32_e32 v15, v76
	;; [unrolled: 1-line block ×16, first 2 shown]
	v_add_nc_u32_e32 v86, 0x1000, v85
	s_mov_b32 s9, -1
	s_waitcnt vmcnt(4) lgkmcnt(0)
	ds_write2st64_b32 v85, v83, v84 offset1:4
	s_waitcnt vmcnt(3)
	ds_write_b32 v85, v87 offset:4096
	s_waitcnt vmcnt(0) lgkmcnt(0)
	s_barrier
	buffer_gl0_inv
.LBB34_9:                               ; =>This Inner Loop Header: Depth=1
	s_lshl_b32 s10, s17, 2
	v_cndmask_b32_e64 v9, 0, 1, s9
	v_add_nc_u32_e32 v13, s10, v81
	v_add_nc_u32_e32 v83, s10, v82
	s_mov_b32 s9, 0
	s_mov_b32 s17, 2
	v_cmp_ne_u32_e32 vcc_lo, 1, v9
	ds_read2_b64 v[9:12], v13 offset1:16
	ds_read2_b64 v[87:90], v13 offset0:32 offset1:48
	ds_read2_b64 v[91:94], v13 offset0:64 offset1:80
	;; [unrolled: 1-line block ×3, first 2 shown]
	ds_read2st64_b64 v[99:102], v83 offset1:1
	ds_read2st64_b64 v[103:106], v83 offset0:2 offset1:3
	s_and_b32 vcc_lo, exec_lo, vcc_lo
	s_waitcnt lgkmcnt(5)
	v_max_f32_e32 v9, v9, v9
	v_max_f32_e32 v10, v10, v10
	v_max_f32_e32 v11, v11, v11
	v_max_f32_e32 v12, v12, v12
	s_waitcnt lgkmcnt(4)
	v_max_f32_e32 v13, v87, v87
	v_max_f32_e32 v83, v88, v88
	v_max_f32_e32 v84, v89, v89
	v_max_f32_e32 v87, v90, v90
	;; [unrolled: 5-line block ×6, first 2 shown]
	v_min_f32_e32 v104, v9, v96
	v_min_f32_e32 v105, v11, v96
	;; [unrolled: 1-line block ×64, first 2 shown]
	v_add_f32_e32 v77, v102, v77
	v_add_f32_e32 v76, v104, v76
	;; [unrolled: 1-line block ×64, first 2 shown]
	s_cbranch_vccz .LBB34_9
; %bb.10:
	v_lshl_add_u32 v83, v0, 4, 0x1400
	v_lshl_add_u32 v84, v1, 4, 0x800
	s_cmp_lt_i32 s16, 9
	ds_write_b32 v85, v8 offset:5120
	ds_write2st64_b32 v85, v7, v6 offset0:8 offset1:12
	s_waitcnt lgkmcnt(0)
	s_barrier
	buffer_gl0_inv
	s_cbranch_scc1 .LBB34_17
; %bb.11:
	v_add_nc_u32_e32 v87, 0x1400, v85
	v_add_nc_u32_e32 v88, 0x800, v85
	v_mov_b32_e32 v7, 0
	s_add_i32 s9, s16, -8
	s_mov_b32 s10, 8
	s_mov_b32 s11, 0
.LBB34_12:                              ; =>This Loop Header: Depth=1
                                        ;     Child Loop BB34_13 Depth 2
                                        ;     Child Loop BB34_15 Depth 2
	v_or_b32_e32 v6, s10, v78
	s_mov_b32 s16, -1
	s_mov_b32 s17, 0
	v_lshlrev_b64 v[8:9], 2, v[6:7]
	v_add_co_u32 v6, vcc_lo, s14, v8
	v_add_co_ci_u32_e64 v13, null, s15, v9, vcc_lo
	v_add_co_u32 v8, vcc_lo, v79, v8
	v_add_co_ci_u32_e64 v9, null, v80, v9, vcc_lo
	;; [unrolled: 2-line block ×4, first 2 shown]
	flat_load_dword v6, v[8:9]
	s_clause 0x1
	flat_load_dword v89, v[10:11]
	flat_load_dword v90, v[12:13]
.LBB34_13:                              ;   Parent Loop BB34_12 Depth=1
                                        ; =>  This Inner Loop Header: Depth=2
	s_lshl_b32 s17, s17, 2
	v_cndmask_b32_e64 v91, 0, 1, s16
	v_add_nc_u32_e32 v111, s17, v84
	v_add_nc_u32_e32 v107, s17, v83
	s_mov_b32 s16, 0
	s_mov_b32 s17, 2
	v_cmp_ne_u32_e32 vcc_lo, 1, v91
	ds_read2st64_b64 v[91:94], v111 offset1:1
	ds_read2_b64 v[95:98], v107 offset1:16
	ds_read2_b64 v[99:102], v107 offset0:32 offset1:48
	ds_read2_b64 v[103:106], v107 offset0:64 offset1:80
	;; [unrolled: 1-line block ×3, first 2 shown]
	ds_read2st64_b64 v[111:114], v111 offset0:2 offset1:3
	s_and_b32 vcc_lo, exec_lo, vcc_lo
	s_waitcnt lgkmcnt(5)
	v_max_f32_e32 v91, v91, v91
	s_waitcnt lgkmcnt(4)
	v_max_f32_e32 v95, v95, v95
	v_max_f32_e32 v92, v92, v92
	;; [unrolled: 1-line block ×5, first 2 shown]
	s_waitcnt lgkmcnt(3)
	v_max_f32_e32 v99, v99, v99
	v_max_f32_e32 v100, v100, v100
	v_max_f32_e32 v101, v101, v101
	v_max_f32_e32 v102, v102, v102
	s_waitcnt lgkmcnt(2)
	v_max_f32_e32 v103, v103, v103
	v_max_f32_e32 v104, v104, v104
	v_max_f32_e32 v105, v105, v105
	v_max_f32_e32 v106, v106, v106
	s_waitcnt lgkmcnt(1)
	v_max_f32_e32 v107, v107, v107
	v_max_f32_e32 v108, v108, v108
	v_max_f32_e32 v109, v109, v109
	v_max_f32_e32 v110, v110, v110
	v_max_f32_e32 v93, v93, v93
	v_max_f32_e32 v94, v94, v94
	s_waitcnt lgkmcnt(0)
	v_max_f32_e32 v111, v111, v111
	v_max_f32_e32 v112, v112, v112
	v_max_f32_e32 v113, v113, v113
	v_max_f32_e32 v114, v114, v114
	v_min_f32_e32 v115, v95, v91
	v_min_f32_e32 v116, v96, v92
	;; [unrolled: 1-line block ×64, first 2 shown]
	v_add_f32_e32 v77, v116, v77
	v_add_f32_e32 v76, v115, v76
	;; [unrolled: 1-line block ×64, first 2 shown]
	s_cbranch_vccz .LBB34_13
; %bb.14:                               ;   in Loop: Header=BB34_12 Depth=1
	s_waitcnt vmcnt(2)
	ds_write_b32 v86, v6
	s_waitcnt vmcnt(0)
	ds_write2st64_b32 v85, v89, v90 offset1:4
	s_waitcnt lgkmcnt(0)
	s_barrier
	buffer_gl0_inv
	flat_load_dword v6, v[8:9] offset:16
	s_clause 0x1
	flat_load_dword v8, v[10:11] offset:16
	flat_load_dword v9, v[12:13] offset:16
	s_mov_b32 s17, 0
	s_mov_b32 s16, -1
.LBB34_15:                              ;   Parent Loop BB34_12 Depth=1
                                        ; =>  This Inner Loop Header: Depth=2
	s_lshl_b32 s17, s17, 2
	v_cndmask_b32_e64 v10, 0, 1, s16
	v_add_nc_u32_e32 v105, s17, v82
	v_add_nc_u32_e32 v101, s17, v81
	s_mov_b32 s16, 0
	s_mov_b32 s17, 2
	v_cmp_ne_u32_e32 vcc_lo, 1, v10
	ds_read2st64_b64 v[10:13], v105 offset1:1
	ds_read2_b64 v[89:92], v101 offset1:16
	ds_read2_b64 v[93:96], v101 offset0:32 offset1:48
	ds_read2_b64 v[97:100], v101 offset0:64 offset1:80
	;; [unrolled: 1-line block ×3, first 2 shown]
	ds_read2st64_b64 v[105:108], v105 offset0:2 offset1:3
	s_and_b32 vcc_lo, exec_lo, vcc_lo
	s_waitcnt lgkmcnt(5)
	v_max_f32_e32 v10, v10, v10
	s_waitcnt lgkmcnt(4)
	v_max_f32_e32 v89, v89, v89
	v_max_f32_e32 v11, v11, v11
	;; [unrolled: 1-line block ×5, first 2 shown]
	s_waitcnt lgkmcnt(3)
	v_max_f32_e32 v93, v93, v93
	v_max_f32_e32 v94, v94, v94
	v_max_f32_e32 v95, v95, v95
	v_max_f32_e32 v96, v96, v96
	s_waitcnt lgkmcnt(2)
	v_max_f32_e32 v97, v97, v97
	v_max_f32_e32 v98, v98, v98
	v_max_f32_e32 v99, v99, v99
	v_max_f32_e32 v100, v100, v100
	;; [unrolled: 5-line block ×3, first 2 shown]
	v_max_f32_e32 v12, v12, v12
	v_max_f32_e32 v13, v13, v13
	s_waitcnt lgkmcnt(0)
	v_max_f32_e32 v105, v105, v105
	v_max_f32_e32 v106, v106, v106
	;; [unrolled: 1-line block ×4, first 2 shown]
	v_min_f32_e32 v109, v89, v10
	v_min_f32_e32 v110, v90, v11
	;; [unrolled: 1-line block ×64, first 2 shown]
	v_add_f32_e32 v77, v110, v77
	v_add_f32_e32 v76, v109, v76
	;; [unrolled: 1-line block ×64, first 2 shown]
	s_cbranch_vccz .LBB34_15
; %bb.16:                               ;   in Loop: Header=BB34_12 Depth=1
	s_add_i32 s11, s11, 8
	s_add_i32 s10, s10, 8
	s_cmp_ge_i32 s11, s9
	s_waitcnt vmcnt(2)
	ds_write_b32 v87, v6
	s_waitcnt vmcnt(0)
	ds_write2st64_b32 v88, v8, v9 offset1:4
	s_waitcnt lgkmcnt(0)
	s_barrier
	buffer_gl0_inv
	s_cbranch_scc0 .LBB34_12
.LBB34_17:
	s_mov_b32 s10, 0
	s_mov_b32 s9, -1
.LBB34_18:                              ; =>This Inner Loop Header: Depth=1
	s_lshl_b32 s10, s10, 2
	v_cndmask_b32_e64 v2, 0, 1, s9
	v_add_nc_u32_e32 v82, s10, v84
	v_add_nc_u32_e32 v85, s10, v83
	s_mov_b32 s9, 0
	s_mov_b32 s10, 2
	v_cmp_ne_u32_e32 vcc_lo, 1, v2
	ds_read2st64_b64 v[2:5], v82 offset1:1
	ds_read2_b64 v[6:9], v85 offset1:16
	ds_read2_b64 v[10:13], v85 offset0:32 offset1:48
	ds_read2_b64 v[78:81], v85 offset0:64 offset1:80
	;; [unrolled: 1-line block ×3, first 2 shown]
	ds_read2st64_b64 v[89:92], v82 offset0:2 offset1:3
	s_and_b32 vcc_lo, exec_lo, vcc_lo
	s_waitcnt lgkmcnt(5)
	v_max_f32_e32 v2, v2, v2
	s_waitcnt lgkmcnt(4)
	v_max_f32_e32 v6, v6, v6
	v_max_f32_e32 v3, v3, v3
	;; [unrolled: 1-line block ×5, first 2 shown]
	s_waitcnt lgkmcnt(3)
	v_max_f32_e32 v10, v10, v10
	v_max_f32_e32 v11, v11, v11
	v_max_f32_e32 v12, v12, v12
	v_max_f32_e32 v13, v13, v13
	s_waitcnt lgkmcnt(2)
	v_max_f32_e32 v78, v78, v78
	v_max_f32_e32 v79, v79, v79
	v_max_f32_e32 v80, v80, v80
	v_max_f32_e32 v81, v81, v81
	;; [unrolled: 5-line block ×3, first 2 shown]
	v_max_f32_e32 v4, v4, v4
	v_max_f32_e32 v5, v5, v5
	s_waitcnt lgkmcnt(0)
	v_max_f32_e32 v88, v89, v89
	v_max_f32_e32 v89, v90, v90
	;; [unrolled: 1-line block ×4, first 2 shown]
	v_min_f32_e32 v92, v6, v2
	v_min_f32_e32 v93, v7, v3
	;; [unrolled: 1-line block ×64, first 2 shown]
	v_add_f32_e32 v77, v93, v77
	v_add_f32_e32 v76, v92, v76
	;; [unrolled: 1-line block ×64, first 2 shown]
	s_cbranch_vccz .LBB34_18
; %bb.19:
	s_load_dword s9, s[4:5], 0x50
	v_add_nc_u32_e32 v78, s1, v1
	v_add_nc_u32_e32 v12, s6, v0
	v_cndmask_b32_e64 v0, 0, 1, s8
	v_mov_b32_e32 v4, 0
	v_ashrrev_i32_e32 v13, 31, v12
	v_cmp_ne_u32_e64 s1, 1, v0
	s_waitcnt lgkmcnt(0)
	v_mad_i64_i32 v[1:2], null, v78, s9, 0
	v_lshlrev_b64 v[2:3], 2, v[1:2]
	v_lshlrev_b64 v[0:1], 2, v[12:13]
	v_add_co_u32 v79, vcc_lo, s12, v2
	v_add_co_ci_u32_e64 v80, null, s13, v3, vcc_lo
	v_mov_b32_e32 v2, 0
	s_andn2_b32 vcc_lo, exec_lo, s8
	s_cbranch_vccnz .LBB34_21
; %bb.20:
	v_add_co_u32 v2, vcc_lo, v79, v0
	v_add_co_ci_u32_e64 v3, null, v80, v1, vcc_lo
	flat_load_dword v2, v[2:3]
	s_waitcnt vmcnt(0) lgkmcnt(0)
	v_mul_f32_e32 v2, s7, v2
.LBB34_21:
	s_clause 0x1
	s_load_dword s6, s[4:5], 0x68
	s_load_dwordx2 s[4:5], s[4:5], 0x70
	v_add_nc_u32_e32 v7, 8, v12
	v_add_f32_e32 v3, v76, v77
	v_ashrrev_i32_e32 v8, 31, v7
	v_add_f32_e32 v9, v3, v2
	v_lshlrev_b64 v[2:3], 2, v[7:8]
	s_waitcnt lgkmcnt(0)
	v_mad_i64_i32 v[5:6], null, v78, s6, 0
	s_lshl_b64 s[4:5], s[4:5], 2
	s_add_u32 s2, s2, s4
	s_addc_u32 s3, s3, s5
	v_lshlrev_b64 v[5:6], 2, v[5:6]
	v_add_co_u32 v76, vcc_lo, s2, v5
	v_add_co_ci_u32_e64 v77, null, s3, v6, vcc_lo
	v_add_co_u32 v5, vcc_lo, v76, v0
	v_add_co_ci_u32_e64 v6, null, v77, v1, vcc_lo
	s_and_b32 vcc_lo, exec_lo, s1
	flat_store_dword v[5:6], v9
	s_cbranch_vccnz .LBB34_23
; %bb.22:
	v_add_co_u32 v4, vcc_lo, v79, v2
	v_add_co_ci_u32_e64 v5, null, v80, v3, vcc_lo
	flat_load_dword v4, v[4:5]
	s_waitcnt vmcnt(0) lgkmcnt(0)
	v_mul_f32_e32 v4, s7, v4
.LBB34_23:
	v_add_nc_u32_e32 v5, 16, v12
	v_add_f32_e32 v7, v74, v75
	v_add_co_u32 v9, vcc_lo, v76, v2
	v_add_co_ci_u32_e64 v10, null, v77, v3, vcc_lo
	v_ashrrev_i32_e32 v6, 31, v5
	v_add_f32_e32 v7, v7, v4
	v_mov_b32_e32 v8, 0
	s_and_b32 vcc_lo, exec_lo, s1
	v_lshlrev_b64 v[4:5], 2, v[5:6]
	v_mov_b32_e32 v6, 0
	flat_store_dword v[9:10], v7
	s_cbranch_vccnz .LBB34_25
; %bb.24:
	v_add_co_u32 v6, vcc_lo, v79, v4
	v_add_co_ci_u32_e64 v7, null, v80, v5, vcc_lo
	flat_load_dword v6, v[6:7]
	s_waitcnt vmcnt(0) lgkmcnt(0)
	v_mul_f32_e32 v6, s7, v6
.LBB34_25:
	v_add_nc_u32_e32 v9, 24, v12
	v_add_f32_e32 v7, v72, v73
	v_add_co_u32 v72, vcc_lo, v76, v4
	v_add_co_ci_u32_e64 v73, null, v77, v5, vcc_lo
	v_ashrrev_i32_e32 v10, 31, v9
	v_add_f32_e32 v11, v7, v6
	s_and_b32 vcc_lo, exec_lo, s1
	v_lshlrev_b64 v[6:7], 2, v[9:10]
	flat_store_dword v[72:73], v11
	s_cbranch_vccnz .LBB34_27
; %bb.26:
	v_add_co_u32 v8, vcc_lo, v79, v6
	v_add_co_ci_u32_e64 v9, null, v80, v7, vcc_lo
	flat_load_dword v8, v[8:9]
	s_waitcnt vmcnt(0) lgkmcnt(0)
	v_mul_f32_e32 v8, s7, v8
.LBB34_27:
	v_add_nc_u32_e32 v9, 32, v12
	v_add_f32_e32 v11, v70, v71
	v_add_co_u32 v70, vcc_lo, v76, v6
	v_add_co_ci_u32_e64 v71, null, v77, v7, vcc_lo
	v_ashrrev_i32_e32 v10, 31, v9
	v_add_f32_e32 v13, v11, v8
	v_mov_b32_e32 v8, 0
	s_and_b32 vcc_lo, exec_lo, s1
	v_lshlrev_b64 v[10:11], 2, v[9:10]
	v_mov_b32_e32 v9, 0
	flat_store_dword v[70:71], v13
	s_cbranch_vccnz .LBB34_29
; %bb.28:
	v_add_co_u32 v70, vcc_lo, v79, v10
	v_add_co_ci_u32_e64 v71, null, v80, v11, vcc_lo
	flat_load_dword v9, v[70:71]
	s_waitcnt vmcnt(0) lgkmcnt(0)
	v_mul_f32_e32 v9, s7, v9
.LBB34_29:
	v_add_nc_u32_e32 v13, 40, v12
	v_add_f32_e32 v15, v14, v15
	v_add_co_u32 v70, vcc_lo, v76, v10
	v_add_co_ci_u32_e64 v71, null, v77, v11, vcc_lo
	v_ashrrev_i32_e32 v14, 31, v13
	v_add_f32_e32 v9, v15, v9
	s_and_b32 vcc_lo, exec_lo, s1
	v_lshlrev_b64 v[14:15], 2, v[13:14]
	flat_store_dword v[70:71], v9
	s_cbranch_vccnz .LBB34_31
; %bb.30:
	v_add_co_u32 v8, vcc_lo, v79, v14
	v_add_co_ci_u32_e64 v9, null, v80, v15, vcc_lo
	flat_load_dword v8, v[8:9]
	s_waitcnt vmcnt(0) lgkmcnt(0)
	v_mul_f32_e32 v8, s7, v8
.LBB34_31:
	v_add_nc_u32_e32 v70, 48, v12
	v_add_f32_e32 v9, v68, v69
	v_add_co_u32 v72, vcc_lo, v76, v14
	v_add_co_ci_u32_e64 v73, null, v77, v15, vcc_lo
	v_ashrrev_i32_e32 v71, 31, v70
	v_add_f32_e32 v69, v9, v8
	v_mov_b32_e32 v68, 0
	v_mov_b32_e32 v13, 0
	s_and_b32 vcc_lo, exec_lo, s1
	v_lshlrev_b64 v[8:9], 2, v[70:71]
	flat_store_dword v[72:73], v69
	s_cbranch_vccnz .LBB34_33
; %bb.32:
	v_add_co_u32 v69, vcc_lo, v79, v8
	v_add_co_ci_u32_e64 v70, null, v80, v9, vcc_lo
	flat_load_dword v13, v[69:70]
	s_waitcnt vmcnt(0) lgkmcnt(0)
	v_mul_f32_e32 v13, s7, v13
.LBB34_33:
	v_add_nc_u32_e32 v69, 56, v12
	v_add_f32_e32 v12, v66, v67
	v_add_co_u32 v66, vcc_lo, v76, v8
	v_add_co_ci_u32_e64 v67, null, v77, v9, vcc_lo
	v_ashrrev_i32_e32 v70, 31, v69
	v_add_f32_e32 v71, v12, v13
	s_and_b32 vcc_lo, exec_lo, s1
	v_lshlrev_b64 v[12:13], 2, v[69:70]
	flat_store_dword v[66:67], v71
	s_cbranch_vccnz .LBB34_35
; %bb.34:
	v_add_co_u32 v66, vcc_lo, v79, v12
	v_add_co_ci_u32_e64 v67, null, v80, v13, vcc_lo
	flat_load_dword v66, v[66:67]
	s_waitcnt vmcnt(0) lgkmcnt(0)
	v_mul_f32_e32 v68, s7, v66
.LBB34_35:
	v_add_nc_u32_e32 v67, 32, v78
	v_add_f32_e32 v71, v64, v65
	v_mov_b32_e32 v66, 0
	v_mad_i64_i32 v[69:70], null, v67, s9, 0
	v_add_f32_e32 v71, v71, v68
	v_mov_b32_e32 v68, 0
	v_lshlrev_b64 v[64:65], 2, v[69:70]
	v_add_co_u32 v69, vcc_lo, v76, v12
	v_add_co_ci_u32_e64 v70, null, v77, v13, vcc_lo
	v_add_co_u32 v64, vcc_lo, s12, v64
	v_add_co_ci_u32_e64 v65, null, s13, v65, vcc_lo
	s_and_b32 vcc_lo, exec_lo, s1
	flat_store_dword v[69:70], v71
	s_cbranch_vccnz .LBB34_37
; %bb.36:
	v_add_co_u32 v68, vcc_lo, v64, v0
	v_add_co_ci_u32_e64 v69, null, v65, v1, vcc_lo
	flat_load_dword v68, v[68:69]
	s_waitcnt vmcnt(0) lgkmcnt(0)
	v_mul_f32_e32 v68, s7, v68
.LBB34_37:
	v_mad_i64_i32 v[69:70], null, v67, s6, 0
	v_add_f32_e32 v67, v62, v63
	v_lshlrev_b64 v[69:70], 2, v[69:70]
	v_add_co_u32 v62, vcc_lo, s2, v69
	v_add_co_ci_u32_e64 v63, null, s3, v70, vcc_lo
	v_add_f32_e32 v69, v67, v68
	v_add_co_u32 v67, vcc_lo, v62, v0
	v_add_co_ci_u32_e64 v68, null, v63, v1, vcc_lo
	s_and_b32 vcc_lo, exec_lo, s1
	flat_store_dword v[67:68], v69
	s_cbranch_vccnz .LBB34_39
; %bb.38:
	v_add_co_u32 v66, vcc_lo, v64, v2
	v_add_co_ci_u32_e64 v67, null, v65, v3, vcc_lo
	flat_load_dword v66, v[66:67]
	s_waitcnt vmcnt(0) lgkmcnt(0)
	v_mul_f32_e32 v66, s7, v66
.LBB34_39:
	v_add_f32_e32 v60, v60, v61
	v_add_co_u32 v67, vcc_lo, v62, v2
	v_add_co_ci_u32_e64 v68, null, v63, v3, vcc_lo
	v_add_f32_e32 v66, v60, v66
	v_mov_b32_e32 v60, 0
	v_mov_b32_e32 v61, 0
	s_and_b32 vcc_lo, exec_lo, s1
	flat_store_dword v[67:68], v66
	s_cbranch_vccnz .LBB34_41
; %bb.40:
	v_add_co_u32 v66, vcc_lo, v64, v4
	v_add_co_ci_u32_e64 v67, null, v65, v5, vcc_lo
	flat_load_dword v61, v[66:67]
	s_waitcnt vmcnt(0) lgkmcnt(0)
	v_mul_f32_e32 v61, s7, v61
.LBB34_41:
	v_add_f32_e32 v58, v58, v59
	v_add_f32_e32 v61, v58, v61
	v_add_co_u32 v58, vcc_lo, v62, v4
	v_add_co_ci_u32_e64 v59, null, v63, v5, vcc_lo
	s_and_b32 vcc_lo, exec_lo, s1
	flat_store_dword v[58:59], v61
	s_cbranch_vccnz .LBB34_43
; %bb.42:
	v_add_co_u32 v58, vcc_lo, v64, v6
	v_add_co_ci_u32_e64 v59, null, v65, v7, vcc_lo
	flat_load_dword v58, v[58:59]
	s_waitcnt vmcnt(0) lgkmcnt(0)
	v_mul_f32_e32 v60, s7, v58
.LBB34_43:
	v_add_f32_e32 v56, v56, v57
	v_add_co_u32 v58, vcc_lo, v62, v6
	v_add_co_ci_u32_e64 v59, null, v63, v7, vcc_lo
	v_add_f32_e32 v60, v56, v60
	v_mov_b32_e32 v56, 0
	v_mov_b32_e32 v57, 0
	s_and_b32 vcc_lo, exec_lo, s1
	flat_store_dword v[58:59], v60
	s_cbranch_vccnz .LBB34_45
; %bb.44:
	v_add_co_u32 v57, vcc_lo, v64, v10
	v_add_co_ci_u32_e64 v58, null, v65, v11, vcc_lo
	flat_load_dword v57, v[57:58]
	s_waitcnt vmcnt(0) lgkmcnt(0)
	v_mul_f32_e32 v57, s7, v57
.LBB34_45:
	v_add_f32_e32 v54, v54, v55
	;; [unrolled: 30-line block ×3, first 2 shown]
	v_add_f32_e32 v53, v50, v53
	v_add_co_u32 v50, vcc_lo, v62, v8
	v_add_co_ci_u32_e64 v51, null, v63, v9, vcc_lo
	s_and_b32 vcc_lo, exec_lo, s1
	flat_store_dword v[50:51], v53
	s_cbranch_vccnz .LBB34_51
; %bb.50:
	v_add_co_u32 v50, vcc_lo, v64, v12
	v_add_co_ci_u32_e64 v51, null, v65, v13, vcc_lo
	flat_load_dword v50, v[50:51]
	s_waitcnt vmcnt(0) lgkmcnt(0)
	v_mul_f32_e32 v52, s7, v50
.LBB34_51:
	v_add_nc_u32_e32 v51, 64, v78
	v_add_f32_e32 v55, v48, v49
	v_mov_b32_e32 v50, 0
	v_mad_i64_i32 v[53:54], null, v51, s9, 0
	v_add_f32_e32 v55, v55, v52
	v_mov_b32_e32 v52, 0
	v_lshlrev_b64 v[48:49], 2, v[53:54]
	v_add_co_u32 v53, vcc_lo, v62, v12
	v_add_co_ci_u32_e64 v54, null, v63, v13, vcc_lo
	v_add_co_u32 v48, vcc_lo, s12, v48
	v_add_co_ci_u32_e64 v49, null, s13, v49, vcc_lo
	s_and_b32 vcc_lo, exec_lo, s1
	flat_store_dword v[53:54], v55
	s_cbranch_vccnz .LBB34_53
; %bb.52:
	v_add_co_u32 v52, vcc_lo, v48, v0
	v_add_co_ci_u32_e64 v53, null, v49, v1, vcc_lo
	flat_load_dword v52, v[52:53]
	s_waitcnt vmcnt(0) lgkmcnt(0)
	v_mul_f32_e32 v52, s7, v52
.LBB34_53:
	v_mad_i64_i32 v[53:54], null, v51, s6, 0
	v_add_f32_e32 v51, v46, v47
	v_lshlrev_b64 v[53:54], 2, v[53:54]
	v_add_co_u32 v46, vcc_lo, s2, v53
	v_add_co_ci_u32_e64 v47, null, s3, v54, vcc_lo
	v_add_f32_e32 v53, v51, v52
	v_add_co_u32 v51, vcc_lo, v46, v0
	v_add_co_ci_u32_e64 v52, null, v47, v1, vcc_lo
	s_and_b32 vcc_lo, exec_lo, s1
	flat_store_dword v[51:52], v53
	s_cbranch_vccnz .LBB34_55
; %bb.54:
	v_add_co_u32 v50, vcc_lo, v48, v2
	v_add_co_ci_u32_e64 v51, null, v49, v3, vcc_lo
	flat_load_dword v50, v[50:51]
	s_waitcnt vmcnt(0) lgkmcnt(0)
	v_mul_f32_e32 v50, s7, v50
.LBB34_55:
	v_add_f32_e32 v44, v44, v45
	v_add_co_u32 v51, vcc_lo, v46, v2
	v_add_co_ci_u32_e64 v52, null, v47, v3, vcc_lo
	v_add_f32_e32 v50, v44, v50
	v_mov_b32_e32 v44, 0
	v_mov_b32_e32 v45, 0
	s_and_b32 vcc_lo, exec_lo, s1
	flat_store_dword v[51:52], v50
	s_cbranch_vccnz .LBB34_57
; %bb.56:
	v_add_co_u32 v50, vcc_lo, v48, v4
	v_add_co_ci_u32_e64 v51, null, v49, v5, vcc_lo
	flat_load_dword v45, v[50:51]
	s_waitcnt vmcnt(0) lgkmcnt(0)
	v_mul_f32_e32 v45, s7, v45
.LBB34_57:
	v_add_f32_e32 v42, v42, v43
	v_add_f32_e32 v45, v42, v45
	v_add_co_u32 v42, vcc_lo, v46, v4
	v_add_co_ci_u32_e64 v43, null, v47, v5, vcc_lo
	s_and_b32 vcc_lo, exec_lo, s1
	flat_store_dword v[42:43], v45
	s_cbranch_vccnz .LBB34_59
; %bb.58:
	v_add_co_u32 v42, vcc_lo, v48, v6
	v_add_co_ci_u32_e64 v43, null, v49, v7, vcc_lo
	flat_load_dword v42, v[42:43]
	s_waitcnt vmcnt(0) lgkmcnt(0)
	v_mul_f32_e32 v44, s7, v42
.LBB34_59:
	v_add_f32_e32 v40, v40, v41
	v_add_co_u32 v42, vcc_lo, v46, v6
	v_add_co_ci_u32_e64 v43, null, v47, v7, vcc_lo
	v_add_f32_e32 v44, v40, v44
	v_mov_b32_e32 v40, 0
	v_mov_b32_e32 v41, 0
	s_and_b32 vcc_lo, exec_lo, s1
	flat_store_dword v[42:43], v44
	s_cbranch_vccnz .LBB34_61
; %bb.60:
	v_add_co_u32 v41, vcc_lo, v48, v10
	v_add_co_ci_u32_e64 v42, null, v49, v11, vcc_lo
	flat_load_dword v41, v[41:42]
	s_waitcnt vmcnt(0) lgkmcnt(0)
	v_mul_f32_e32 v41, s7, v41
.LBB34_61:
	v_add_f32_e32 v38, v38, v39
	;; [unrolled: 30-line block ×3, first 2 shown]
	v_add_f32_e32 v37, v34, v37
	v_add_co_u32 v34, vcc_lo, v46, v8
	v_add_co_ci_u32_e64 v35, null, v47, v9, vcc_lo
	s_and_b32 vcc_lo, exec_lo, s1
	flat_store_dword v[34:35], v37
	s_cbranch_vccnz .LBB34_67
; %bb.66:
	v_add_co_u32 v34, vcc_lo, v48, v12
	v_add_co_ci_u32_e64 v35, null, v49, v13, vcc_lo
	flat_load_dword v34, v[34:35]
	s_waitcnt vmcnt(0) lgkmcnt(0)
	v_mul_f32_e32 v36, s7, v34
.LBB34_67:
	v_add_nc_u32_e32 v35, 0x60, v78
	v_add_f32_e32 v39, v32, v33
	v_mov_b32_e32 v34, 0
	v_mad_i64_i32 v[37:38], null, v35, s9, 0
	v_add_f32_e32 v39, v39, v36
	v_mov_b32_e32 v36, 0
	v_lshlrev_b64 v[32:33], 2, v[37:38]
	v_add_co_u32 v37, vcc_lo, v46, v12
	v_add_co_ci_u32_e64 v38, null, v47, v13, vcc_lo
	v_add_co_u32 v32, vcc_lo, s12, v32
	v_add_co_ci_u32_e64 v33, null, s13, v33, vcc_lo
	s_and_b32 vcc_lo, exec_lo, s1
	flat_store_dword v[37:38], v39
	s_cbranch_vccnz .LBB34_69
; %bb.68:
	v_add_co_u32 v36, vcc_lo, v32, v0
	v_add_co_ci_u32_e64 v37, null, v33, v1, vcc_lo
	flat_load_dword v36, v[36:37]
	s_waitcnt vmcnt(0) lgkmcnt(0)
	v_mul_f32_e32 v36, s7, v36
.LBB34_69:
	v_mad_i64_i32 v[37:38], null, v35, s6, 0
	v_add_f32_e32 v35, v30, v31
	v_add_f32_e32 v35, v35, v36
	v_lshlrev_b64 v[37:38], 2, v[37:38]
	v_add_co_u32 v30, vcc_lo, s2, v37
	v_add_co_ci_u32_e64 v31, null, s3, v38, vcc_lo
	v_add_co_u32 v0, vcc_lo, v30, v0
	v_add_co_ci_u32_e64 v1, null, v31, v1, vcc_lo
	s_and_b32 vcc_lo, exec_lo, s1
	flat_store_dword v[0:1], v35
	s_cbranch_vccnz .LBB34_71
; %bb.70:
	v_add_co_u32 v0, vcc_lo, v32, v2
	v_add_co_ci_u32_e64 v1, null, v33, v3, vcc_lo
	flat_load_dword v0, v[0:1]
	s_waitcnt vmcnt(0) lgkmcnt(0)
	v_mul_f32_e32 v34, s7, v0
.LBB34_71:
	v_add_f32_e32 v0, v28, v29
	v_add_co_u32 v2, vcc_lo, v30, v2
	v_add_co_ci_u32_e64 v3, null, v31, v3, vcc_lo
	v_add_f32_e32 v28, v0, v34
	v_mov_b32_e32 v0, 0
	v_mov_b32_e32 v1, 0
	s_and_b32 vcc_lo, exec_lo, s1
	flat_store_dword v[2:3], v28
	s_cbranch_vccnz .LBB34_73
; %bb.72:
	v_add_co_u32 v1, vcc_lo, v32, v4
	v_add_co_ci_u32_e64 v2, null, v33, v5, vcc_lo
	flat_load_dword v1, v[1:2]
	s_waitcnt vmcnt(0) lgkmcnt(0)
	v_mul_f32_e32 v1, s7, v1
.LBB34_73:
	v_add_f32_e32 v2, v26, v27
	v_add_f32_e32 v3, v2, v1
	v_add_co_u32 v1, vcc_lo, v30, v4
	v_add_co_ci_u32_e64 v2, null, v31, v5, vcc_lo
	s_and_b32 vcc_lo, exec_lo, s1
	flat_store_dword v[1:2], v3
	s_cbranch_vccnz .LBB34_75
; %bb.74:
	v_add_co_u32 v0, vcc_lo, v32, v6
	v_add_co_ci_u32_e64 v1, null, v33, v7, vcc_lo
	flat_load_dword v0, v[0:1]
	s_waitcnt vmcnt(0) lgkmcnt(0)
	v_mul_f32_e32 v0, s7, v0
.LBB34_75:
	v_add_f32_e32 v1, v24, v25
	v_add_co_u32 v2, vcc_lo, v30, v6
	v_add_co_ci_u32_e64 v3, null, v31, v7, vcc_lo
	v_add_f32_e32 v4, v1, v0
	v_mov_b32_e32 v0, 0
	v_mov_b32_e32 v1, 0
	s_and_b32 vcc_lo, exec_lo, s1
	flat_store_dword v[2:3], v4
	s_cbranch_vccnz .LBB34_77
; %bb.76:
	v_add_co_u32 v1, vcc_lo, v32, v10
	v_add_co_ci_u32_e64 v2, null, v33, v11, vcc_lo
	flat_load_dword v1, v[1:2]
	s_waitcnt vmcnt(0) lgkmcnt(0)
	v_mul_f32_e32 v1, s7, v1
.LBB34_77:
	v_add_f32_e32 v2, v22, v23
	v_add_f32_e32 v3, v2, v1
	v_add_co_u32 v1, vcc_lo, v30, v10
	v_add_co_ci_u32_e64 v2, null, v31, v11, vcc_lo
	s_and_b32 vcc_lo, exec_lo, s1
	flat_store_dword v[1:2], v3
	s_cbranch_vccnz .LBB34_79
; %bb.78:
	v_add_co_u32 v0, vcc_lo, v32, v14
	v_add_co_ci_u32_e64 v1, null, v33, v15, vcc_lo
	flat_load_dword v0, v[0:1]
	s_waitcnt vmcnt(0) lgkmcnt(0)
	v_mul_f32_e32 v0, s7, v0
.LBB34_79:
	v_add_f32_e32 v3, v20, v21
	v_add_co_u32 v1, vcc_lo, v30, v14
	v_add_co_ci_u32_e64 v2, null, v31, v15, vcc_lo
	v_add_f32_e32 v3, v3, v0
	v_add_f32_e32 v0, v18, v19
	s_mov_b32 s1, -1
	s_mov_b32 vcc_lo, s0
	flat_store_dword v[1:2], v3
	s_cbranch_vccz .LBB34_81
; %bb.80:
	v_add_co_u32 v1, vcc_lo, v30, v8
	v_add_f32_e32 v3, 0, v0
	v_add_co_ci_u32_e64 v2, null, v31, v9, vcc_lo
	s_mov_b32 s1, 0
	flat_store_dword v[1:2], v3
.LBB34_81:
	v_mov_b32_e32 v1, 0
	s_andn2_b32 vcc_lo, exec_lo, s1
	s_cbranch_vccnz .LBB34_83
; %bb.82:
	v_add_co_u32 v1, vcc_lo, v32, v8
	v_add_co_ci_u32_e64 v2, null, v33, v9, vcc_lo
	flat_load_dword v3, v[1:2]
	v_add_co_u32 v1, vcc_lo, v30, v8
	v_add_co_ci_u32_e64 v2, null, v31, v9, vcc_lo
	s_waitcnt vmcnt(0) lgkmcnt(0)
	v_fmac_f32_e32 v0, s7, v3
	v_add_co_u32 v3, vcc_lo, v32, v12
	v_add_co_ci_u32_e64 v4, null, v33, v13, vcc_lo
	flat_store_dword v[1:2], v0
	flat_load_dword v0, v[3:4]
	s_waitcnt vmcnt(0) lgkmcnt(0)
	v_mul_f32_e32 v1, s7, v0
.LBB34_83:
	v_add_f32_e32 v0, v16, v17
	v_add_f32_e32 v2, v0, v1
	v_add_co_u32 v0, vcc_lo, v30, v12
	v_add_co_ci_u32_e64 v1, null, v31, v13, vcc_lo
	flat_store_dword v[0:1], v2
	s_endpgm
	.section	.rodata,"a",@progbits
	.p2align	6, 0x0
	.amdhsa_kernel _ZN12_GLOBAL__N_120geam_min_plus_kernelIf15HIP_vector_typeIfLj2EES2_Li8ELi32ELi64ELi128ELi4ELi4ELi64ELi4ELi64ELc84ELc78ELb1ELb0ELb0EfKPKfKPfEEviiiT16_PT17_ilSA_ilS8_SA_ilPT18_ili26rocblas_geam_ex_operation_
		.amdhsa_group_segment_fixed_size 6144
		.amdhsa_private_segment_fixed_size 0
		.amdhsa_kernarg_size 128
		.amdhsa_user_sgpr_count 6
		.amdhsa_user_sgpr_private_segment_buffer 1
		.amdhsa_user_sgpr_dispatch_ptr 0
		.amdhsa_user_sgpr_queue_ptr 0
		.amdhsa_user_sgpr_kernarg_segment_ptr 1
		.amdhsa_user_sgpr_dispatch_id 0
		.amdhsa_user_sgpr_flat_scratch_init 0
		.amdhsa_user_sgpr_private_segment_size 0
		.amdhsa_wavefront_size32 1
		.amdhsa_uses_dynamic_stack 0
		.amdhsa_system_sgpr_private_segment_wavefront_offset 0
		.amdhsa_system_sgpr_workgroup_id_x 1
		.amdhsa_system_sgpr_workgroup_id_y 0
		.amdhsa_system_sgpr_workgroup_id_z 1
		.amdhsa_system_sgpr_workgroup_info 0
		.amdhsa_system_vgpr_workitem_id 1
		.amdhsa_next_free_vgpr 157
		.amdhsa_next_free_sgpr 22
		.amdhsa_reserve_vcc 1
		.amdhsa_reserve_flat_scratch 1
		.amdhsa_float_round_mode_32 0
		.amdhsa_float_round_mode_16_64 0
		.amdhsa_float_denorm_mode_32 3
		.amdhsa_float_denorm_mode_16_64 3
		.amdhsa_dx10_clamp 1
		.amdhsa_ieee_mode 1
		.amdhsa_fp16_overflow 0
		.amdhsa_workgroup_processor_mode 1
		.amdhsa_memory_ordered 1
		.amdhsa_forward_progress 1
		.amdhsa_shared_vgpr_count 0
		.amdhsa_exception_fp_ieee_invalid_op 0
		.amdhsa_exception_fp_denorm_src 0
		.amdhsa_exception_fp_ieee_div_zero 0
		.amdhsa_exception_fp_ieee_overflow 0
		.amdhsa_exception_fp_ieee_underflow 0
		.amdhsa_exception_fp_ieee_inexact 0
		.amdhsa_exception_int_div_zero 0
	.end_amdhsa_kernel
	.section	.text._ZN12_GLOBAL__N_120geam_min_plus_kernelIf15HIP_vector_typeIfLj2EES2_Li8ELi32ELi64ELi128ELi4ELi4ELi64ELi4ELi64ELc84ELc78ELb1ELb0ELb0EfKPKfKPfEEviiiT16_PT17_ilSA_ilS8_SA_ilPT18_ili26rocblas_geam_ex_operation_,"axG",@progbits,_ZN12_GLOBAL__N_120geam_min_plus_kernelIf15HIP_vector_typeIfLj2EES2_Li8ELi32ELi64ELi128ELi4ELi4ELi64ELi4ELi64ELc84ELc78ELb1ELb0ELb0EfKPKfKPfEEviiiT16_PT17_ilSA_ilS8_SA_ilPT18_ili26rocblas_geam_ex_operation_,comdat
.Lfunc_end34:
	.size	_ZN12_GLOBAL__N_120geam_min_plus_kernelIf15HIP_vector_typeIfLj2EES2_Li8ELi32ELi64ELi128ELi4ELi4ELi64ELi4ELi64ELc84ELc78ELb1ELb0ELb0EfKPKfKPfEEviiiT16_PT17_ilSA_ilS8_SA_ilPT18_ili26rocblas_geam_ex_operation_, .Lfunc_end34-_ZN12_GLOBAL__N_120geam_min_plus_kernelIf15HIP_vector_typeIfLj2EES2_Li8ELi32ELi64ELi128ELi4ELi4ELi64ELi4ELi64ELc84ELc78ELb1ELb0ELb0EfKPKfKPfEEviiiT16_PT17_ilSA_ilS8_SA_ilPT18_ili26rocblas_geam_ex_operation_
                                        ; -- End function
	.set _ZN12_GLOBAL__N_120geam_min_plus_kernelIf15HIP_vector_typeIfLj2EES2_Li8ELi32ELi64ELi128ELi4ELi4ELi64ELi4ELi64ELc84ELc78ELb1ELb0ELb0EfKPKfKPfEEviiiT16_PT17_ilSA_ilS8_SA_ilPT18_ili26rocblas_geam_ex_operation_.num_vgpr, 157
	.set _ZN12_GLOBAL__N_120geam_min_plus_kernelIf15HIP_vector_typeIfLj2EES2_Li8ELi32ELi64ELi128ELi4ELi4ELi64ELi4ELi64ELc84ELc78ELb1ELb0ELb0EfKPKfKPfEEviiiT16_PT17_ilSA_ilS8_SA_ilPT18_ili26rocblas_geam_ex_operation_.num_agpr, 0
	.set _ZN12_GLOBAL__N_120geam_min_plus_kernelIf15HIP_vector_typeIfLj2EES2_Li8ELi32ELi64ELi128ELi4ELi4ELi64ELi4ELi64ELc84ELc78ELb1ELb0ELb0EfKPKfKPfEEviiiT16_PT17_ilSA_ilS8_SA_ilPT18_ili26rocblas_geam_ex_operation_.numbered_sgpr, 22
	.set _ZN12_GLOBAL__N_120geam_min_plus_kernelIf15HIP_vector_typeIfLj2EES2_Li8ELi32ELi64ELi128ELi4ELi4ELi64ELi4ELi64ELc84ELc78ELb1ELb0ELb0EfKPKfKPfEEviiiT16_PT17_ilSA_ilS8_SA_ilPT18_ili26rocblas_geam_ex_operation_.num_named_barrier, 0
	.set _ZN12_GLOBAL__N_120geam_min_plus_kernelIf15HIP_vector_typeIfLj2EES2_Li8ELi32ELi64ELi128ELi4ELi4ELi64ELi4ELi64ELc84ELc78ELb1ELb0ELb0EfKPKfKPfEEviiiT16_PT17_ilSA_ilS8_SA_ilPT18_ili26rocblas_geam_ex_operation_.private_seg_size, 0
	.set _ZN12_GLOBAL__N_120geam_min_plus_kernelIf15HIP_vector_typeIfLj2EES2_Li8ELi32ELi64ELi128ELi4ELi4ELi64ELi4ELi64ELc84ELc78ELb1ELb0ELb0EfKPKfKPfEEviiiT16_PT17_ilSA_ilS8_SA_ilPT18_ili26rocblas_geam_ex_operation_.uses_vcc, 1
	.set _ZN12_GLOBAL__N_120geam_min_plus_kernelIf15HIP_vector_typeIfLj2EES2_Li8ELi32ELi64ELi128ELi4ELi4ELi64ELi4ELi64ELc84ELc78ELb1ELb0ELb0EfKPKfKPfEEviiiT16_PT17_ilSA_ilS8_SA_ilPT18_ili26rocblas_geam_ex_operation_.uses_flat_scratch, 1
	.set _ZN12_GLOBAL__N_120geam_min_plus_kernelIf15HIP_vector_typeIfLj2EES2_Li8ELi32ELi64ELi128ELi4ELi4ELi64ELi4ELi64ELc84ELc78ELb1ELb0ELb0EfKPKfKPfEEviiiT16_PT17_ilSA_ilS8_SA_ilPT18_ili26rocblas_geam_ex_operation_.has_dyn_sized_stack, 0
	.set _ZN12_GLOBAL__N_120geam_min_plus_kernelIf15HIP_vector_typeIfLj2EES2_Li8ELi32ELi64ELi128ELi4ELi4ELi64ELi4ELi64ELc84ELc78ELb1ELb0ELb0EfKPKfKPfEEviiiT16_PT17_ilSA_ilS8_SA_ilPT18_ili26rocblas_geam_ex_operation_.has_recursion, 0
	.set _ZN12_GLOBAL__N_120geam_min_plus_kernelIf15HIP_vector_typeIfLj2EES2_Li8ELi32ELi64ELi128ELi4ELi4ELi64ELi4ELi64ELc84ELc78ELb1ELb0ELb0EfKPKfKPfEEviiiT16_PT17_ilSA_ilS8_SA_ilPT18_ili26rocblas_geam_ex_operation_.has_indirect_call, 0
	.section	.AMDGPU.csdata,"",@progbits
; Kernel info:
; codeLenInByte = 7192
; TotalNumSgprs: 24
; NumVgprs: 157
; ScratchSize: 0
; MemoryBound: 0
; FloatMode: 240
; IeeeMode: 1
; LDSByteSize: 6144 bytes/workgroup (compile time only)
; SGPRBlocks: 0
; VGPRBlocks: 19
; NumSGPRsForWavesPerEU: 24
; NumVGPRsForWavesPerEU: 157
; Occupancy: 6
; WaveLimiterHint : 1
; COMPUTE_PGM_RSRC2:SCRATCH_EN: 0
; COMPUTE_PGM_RSRC2:USER_SGPR: 6
; COMPUTE_PGM_RSRC2:TRAP_HANDLER: 0
; COMPUTE_PGM_RSRC2:TGID_X_EN: 1
; COMPUTE_PGM_RSRC2:TGID_Y_EN: 0
; COMPUTE_PGM_RSRC2:TGID_Z_EN: 1
; COMPUTE_PGM_RSRC2:TIDIG_COMP_CNT: 1
	.section	.text._ZN12_GLOBAL__N_120geam_min_plus_kernelIf15HIP_vector_typeIfLj2EES2_Li8ELi32ELi64ELi128ELi4ELi4ELi64ELi4ELi64ELc84ELc78ELb0ELb0ELb0EfKPKfKPfEEviiiT16_PT17_ilSA_ilS8_SA_ilPT18_ili26rocblas_geam_ex_operation_,"axG",@progbits,_ZN12_GLOBAL__N_120geam_min_plus_kernelIf15HIP_vector_typeIfLj2EES2_Li8ELi32ELi64ELi128ELi4ELi4ELi64ELi4ELi64ELc84ELc78ELb0ELb0ELb0EfKPKfKPfEEviiiT16_PT17_ilSA_ilS8_SA_ilPT18_ili26rocblas_geam_ex_operation_,comdat
	.globl	_ZN12_GLOBAL__N_120geam_min_plus_kernelIf15HIP_vector_typeIfLj2EES2_Li8ELi32ELi64ELi128ELi4ELi4ELi64ELi4ELi64ELc84ELc78ELb0ELb0ELb0EfKPKfKPfEEviiiT16_PT17_ilSA_ilS8_SA_ilPT18_ili26rocblas_geam_ex_operation_ ; -- Begin function _ZN12_GLOBAL__N_120geam_min_plus_kernelIf15HIP_vector_typeIfLj2EES2_Li8ELi32ELi64ELi128ELi4ELi4ELi64ELi4ELi64ELc84ELc78ELb0ELb0ELb0EfKPKfKPfEEviiiT16_PT17_ilSA_ilS8_SA_ilPT18_ili26rocblas_geam_ex_operation_
	.p2align	8
	.type	_ZN12_GLOBAL__N_120geam_min_plus_kernelIf15HIP_vector_typeIfLj2EES2_Li8ELi32ELi64ELi128ELi4ELi4ELi64ELi4ELi64ELc84ELc78ELb0ELb0ELb0EfKPKfKPfEEviiiT16_PT17_ilSA_ilS8_SA_ilPT18_ili26rocblas_geam_ex_operation_,@function
_ZN12_GLOBAL__N_120geam_min_plus_kernelIf15HIP_vector_typeIfLj2EES2_Li8ELi32ELi64ELi128ELi4ELi4ELi64ELi4ELi64ELc84ELc78ELb0ELb0ELb0EfKPKfKPfEEviiiT16_PT17_ilSA_ilS8_SA_ilPT18_ili26rocblas_geam_ex_operation_: ; @_ZN12_GLOBAL__N_120geam_min_plus_kernelIf15HIP_vector_typeIfLj2EES2_Li8ELi32ELi64ELi128ELi4ELi4ELi64ELi4ELi64ELc84ELc78ELb0ELb0ELb0EfKPKfKPfEEviiiT16_PT17_ilSA_ilS8_SA_ilPT18_ili26rocblas_geam_ex_operation_
; %bb.0:
	s_clause 0x1
	s_load_dwordx2 s[14:15], s[4:5], 0x8
	s_load_dwordx4 s[8:11], s[4:5], 0x20
	s_mov_b32 s2, s7
	s_mov_b32 s3, 0
	s_waitcnt lgkmcnt(0)
	v_cmp_eq_f32_e64 s0, s15, 0
	s_and_b32 s1, exec_lo, s0
	s_mov_b32 vcc_lo, s1
	s_cbranch_vccnz .LBB35_3
; %bb.1:
	s_load_dwordx2 s[12:13], s[4:5], 0x10
	s_lshl_b64 s[16:17], s[2:3], 3
	s_waitcnt lgkmcnt(0)
	s_add_u32 s12, s12, s16
	s_addc_u32 s13, s13, s17
	s_lshl_b64 s[8:9], s[8:9], 2
	s_load_dwordx2 s[12:13], s[12:13], 0x0
	s_waitcnt lgkmcnt(0)
	s_add_u32 s18, s12, s8
	s_addc_u32 s19, s13, s9
	s_andn2_b32 vcc_lo, exec_lo, s0
	s_cbranch_vccnz .LBB35_4
.LBB35_2:
	s_mov_b32 s21, 0
	s_mov_b32 s20, s2
	;; [unrolled: 1-line block ×3, first 2 shown]
	s_mov_b64 s[12:13], 0
	s_andn2_b32 vcc_lo, exec_lo, s0
	s_mov_b64 s[16:17], 0
	s_cbranch_vccz .LBB35_5
	s_branch .LBB35_6
.LBB35_3:
	s_mov_b64 s[18:19], 0
	s_andn2_b32 vcc_lo, exec_lo, s0
	s_cbranch_vccz .LBB35_2
.LBB35_4:
	s_mov_b64 s[20:21], s[2:3]
	s_mov_b64 s[12:13], 0
	;; [unrolled: 1-line block ×3, first 2 shown]
.LBB35_5:
	s_lshl_b64 s[2:3], s[2:3], 3
	s_load_dwordx2 s[8:9], s[4:5], 0x38
	s_add_u32 s2, s10, s2
	s_addc_u32 s3, s11, s3
	s_load_dwordx2 s[2:3], s[2:3], 0x0
	s_waitcnt lgkmcnt(0)
	s_lshl_b64 s[8:9], s[8:9], 2
	s_add_u32 s16, s2, s8
	s_addc_u32 s17, s3, s9
.LBB35_6:
	s_clause 0x1
	s_load_dword s3, s[4:5], 0x40
	s_load_dwordx4 s[8:11], s[4:5], 0x58
	v_cmp_neq_f32_e64 s7, s15, 0
	s_waitcnt lgkmcnt(0)
	v_cmp_eq_f32_e64 s0, s3, 0
	s_and_b32 s0, exec_lo, s0
	s_mov_b32 vcc_lo, s0
	s_cbranch_vccnz .LBB35_8
; %bb.7:
	s_load_dwordx2 s[12:13], s[4:5], 0x48
	s_lshl_b64 s[22:23], s[20:21], 3
	s_waitcnt lgkmcnt(0)
	s_add_u32 s12, s12, s22
	s_addc_u32 s13, s13, s23
	s_lshl_b64 s[8:9], s[8:9], 2
	s_load_dwordx2 s[12:13], s[12:13], 0x0
	s_waitcnt lgkmcnt(0)
	s_add_u32 s12, s12, s8
	s_addc_u32 s13, s13, s9
.LBB35_8:
	s_load_dword s2, s[4:5], 0x0
	s_lshl_b64 s[8:9], s[20:21], 3
	s_clause 0x1
	s_load_dword s21, s[4:5], 0x18
	s_load_dword s20, s[4:5], 0x30
	s_add_u32 s8, s10, s8
	s_addc_u32 s9, s11, s9
	v_and_b32_e32 v12, 3, v0
	v_cndmask_b32_e64 v3, 0, 1, s7
	v_mov_b32_e32 v7, 0
	v_mov_b32_e32 v10, 0
	;; [unrolled: 1-line block ×3, first 2 shown]
	v_lshlrev_b32_e32 v6, 2, v12
	v_mov_b32_e32 v14, 0
	s_waitcnt lgkmcnt(0)
	s_add_i32 s2, s2, -1
	s_ashr_i32 s10, s2, 31
	s_lshr_b32 s10, s10, 26
	s_add_i32 s2, s2, s10
	s_ashr_i32 s2, s2, 6
	s_add_i32 s10, s2, 1
	s_not_b32 s2, s2
	v_cvt_f32_u32_e32 v2, s10
	v_rcp_iflag_f32_e32 v2, v2
	v_mul_f32_e32 v2, 0x4f7ffffe, v2
	v_cvt_u32_f32_e32 v2, v2
	v_readfirstlane_b32 s11, v2
	v_lshl_add_u32 v2, v1, 3, v0
	s_mul_i32 s2, s2, s11
	v_lshrrev_b32_e32 v5, 2, v2
	s_mul_hi_u32 s2, s11, s2
	s_add_i32 s11, s11, s2
	s_mul_hi_u32 s2, s6, s11
	s_mul_i32 s11, s2, s10
	s_add_i32 s22, s2, 1
	s_sub_i32 s11, s6, s11
	s_sub_i32 s23, s11, s10
	s_cmp_ge_u32 s11, s10
	s_cselect_b32 s2, s22, s2
	s_cselect_b32 s11, s23, s11
	s_add_i32 s22, s2, 1
	s_cmp_ge_u32 s11, s10
	s_cselect_b32 s2, s22, s2
	s_andn2_b32 vcc_lo, exec_lo, s7
	s_lshl_b32 s11, s2, 7
	s_mul_i32 s10, s2, s10
	v_add_nc_u32_e32 v2, s11, v5
	s_sub_i32 s6, s6, s10
	v_cmp_ne_u32_e64 s2, 1, v3
	s_lshl_b32 s10, s6, 6
	v_add_nc_u32_e32 v4, s10, v5
	v_add_nc_u32_e32 v3, 64, v2
	s_cbranch_vccnz .LBB35_10
; %bb.9:
	v_mad_i64_i32 v[8:9], null, v4, s21, 0
	v_mad_i64_i32 v[10:11], null, v2, s20, 0
	v_mad_i64_i32 v[13:14], null, v3, s20, 0
	v_add_co_u32 v15, s6, s16, v6
	v_lshlrev_b64 v[8:9], 2, v[8:9]
	v_add_co_ci_u32_e64 v16, null, s17, 0, s6
	v_lshlrev_b64 v[13:14], 2, v[13:14]
	v_add_co_u32 v17, vcc_lo, s18, v8
	v_add_co_ci_u32_e64 v18, null, s19, v9, vcc_lo
	v_lshlrev_b64 v[8:9], 2, v[10:11]
	v_add_co_u32 v10, vcc_lo, v17, v6
	v_add_co_ci_u32_e64 v11, null, 0, v18, vcc_lo
	v_add_co_u32 v8, vcc_lo, v15, v8
	v_add_co_ci_u32_e64 v9, null, v16, v9, vcc_lo
	;; [unrolled: 2-line block ×3, first 2 shown]
	flat_load_dword v8, v[8:9]
	flat_load_dword v9, v[10:11]
	;; [unrolled: 1-line block ×3, first 2 shown]
	s_waitcnt vmcnt(2) lgkmcnt(2)
	v_mul_f32_e32 v14, s15, v8
	s_waitcnt vmcnt(1) lgkmcnt(1)
	v_mul_f32_e32 v10, s15, v9
	;; [unrolled: 2-line block ×3, first 2 shown]
.LBB35_10:
	s_load_dwordx2 s[6:7], s[8:9], 0x0
	v_mov_b32_e32 v9, 0
	v_mov_b32_e32 v8, 0
	s_and_b32 vcc_lo, exec_lo, s2
	s_cbranch_vccnz .LBB35_12
; %bb.11:
	v_mad_i64_i32 v[7:8], null, v4, s21, 0
	v_mad_i64_i32 v[15:16], null, v2, s20, 0
	;; [unrolled: 1-line block ×3, first 2 shown]
	v_add_co_u32 v9, s2, s16, v6
	v_lshlrev_b64 v[7:8], 2, v[7:8]
	v_add_co_ci_u32_e64 v13, null, s17, 0, s2
	v_lshlrev_b64 v[17:18], 2, v[17:18]
	v_add_co_u32 v19, vcc_lo, s18, v7
	v_add_co_ci_u32_e64 v20, null, s19, v8, vcc_lo
	v_lshlrev_b64 v[7:8], 2, v[15:16]
	v_add_co_u32 v15, vcc_lo, v19, v6
	v_add_co_ci_u32_e64 v16, null, 0, v20, vcc_lo
	v_add_co_u32 v7, vcc_lo, v9, v7
	v_add_co_ci_u32_e64 v8, null, v13, v8, vcc_lo
	;; [unrolled: 2-line block ×3, first 2 shown]
	flat_load_dword v7, v[7:8] offset:16
	flat_load_dword v9, v[15:16] offset:16
	;; [unrolled: 1-line block ×3, first 2 shown]
	s_waitcnt vmcnt(2) lgkmcnt(0)
	v_mul_f32_e32 v8, s15, v7
	s_waitcnt vmcnt(1)
	v_mul_f32_e32 v7, s15, v9
	s_waitcnt vmcnt(0)
	v_mul_f32_e32 v9, s15, v13
.LBB35_12:
	v_lshlrev_b32_e32 v13, 4, v5
	v_mov_b32_e32 v74, 0
	v_cmp_neq_f32_e64 s2, s3, 0
	v_lshl_or_b32 v76, v0, 4, 0x1000
	v_lshlrev_b32_e32 v77, 4, v1
	v_lshl_or_b32 v13, v12, 2, v13
	v_mov_b32_e32 v75, v74
	v_mov_b32_e32 v72, v74
	;; [unrolled: 1-line block ×4, first 2 shown]
	v_add_nc_u32_e32 v78, 0x1000, v13
	ds_write_b32 v13, v10 offset:4096
	ds_write2st64_b32 v13, v14, v11 offset1:4
	v_mov_b32_e32 v71, v74
	v_mov_b32_e32 v10, v74
	v_mov_b32_e32 v11, v74
	v_mov_b32_e32 v14, v74
	v_mov_b32_e32 v15, v74
	v_mov_b32_e32 v68, v74
	v_mov_b32_e32 v69, v74
	v_mov_b32_e32 v66, v74
	v_mov_b32_e32 v67, v74
	v_mov_b32_e32 v64, v74
	v_mov_b32_e32 v65, v74
	v_mov_b32_e32 v62, v74
	v_mov_b32_e32 v63, v74
	v_mov_b32_e32 v60, v74
	v_mov_b32_e32 v61, v74
	v_mov_b32_e32 v58, v74
	v_mov_b32_e32 v59, v74
	v_mov_b32_e32 v56, v74
	v_mov_b32_e32 v57, v74
	v_mov_b32_e32 v54, v74
	v_mov_b32_e32 v55, v74
	v_mov_b32_e32 v52, v74
	v_mov_b32_e32 v53, v74
	v_mov_b32_e32 v50, v74
	v_mov_b32_e32 v51, v74
	v_mov_b32_e32 v48, v74
	v_mov_b32_e32 v49, v74
	v_mov_b32_e32 v46, v74
	v_mov_b32_e32 v47, v74
	v_mov_b32_e32 v44, v74
	v_mov_b32_e32 v45, v74
	v_mov_b32_e32 v42, v74
	v_mov_b32_e32 v43, v74
	v_mov_b32_e32 v40, v74
	v_mov_b32_e32 v41, v74
	v_mov_b32_e32 v38, v74
	v_mov_b32_e32 v39, v74
	v_mov_b32_e32 v36, v74
	v_mov_b32_e32 v37, v74
	v_mov_b32_e32 v34, v74
	v_mov_b32_e32 v35, v74
	v_mov_b32_e32 v32, v74
	v_mov_b32_e32 v33, v74
	v_mov_b32_e32 v30, v74
	v_mov_b32_e32 v31, v74
	v_mov_b32_e32 v28, v74
	v_mov_b32_e32 v29, v74
	v_mov_b32_e32 v26, v74
	v_mov_b32_e32 v27, v74
	v_mov_b32_e32 v24, v74
	v_mov_b32_e32 v25, v74
	v_mov_b32_e32 v22, v74
	v_mov_b32_e32 v23, v74
	v_mov_b32_e32 v20, v74
	v_mov_b32_e32 v21, v74
	v_mov_b32_e32 v18, v74
	v_mov_b32_e32 v19, v74
	v_mov_b32_e32 v16, v74
	v_mov_b32_e32 v17, v74
	s_mov_b32 s9, 0
	s_mov_b32 s8, -1
	s_waitcnt lgkmcnt(0)
	s_barrier
	buffer_gl0_inv
.LBB35_13:                              ; =>This Inner Loop Header: Depth=1
	s_lshl_b32 s9, s9, 2
	v_cndmask_b32_e64 v79, 0, 1, s8
	v_add_nc_u32_e32 v91, s9, v76
	v_add_nc_u32_e32 v99, s9, v77
	s_mov_b32 s8, 0
	s_mov_b32 s9, 2
	v_cmp_ne_u32_e32 vcc_lo, 1, v79
	ds_read2_b64 v[79:82], v91 offset1:16
	ds_read2_b64 v[83:86], v91 offset0:32 offset1:48
	ds_read2_b64 v[87:90], v91 offset0:64 offset1:80
	ds_read2_b64 v[91:94], v91 offset0:96 offset1:112
	ds_read2st64_b64 v[95:98], v99 offset1:1
	ds_read2st64_b64 v[99:102], v99 offset0:2 offset1:3
	s_and_b32 vcc_lo, exec_lo, vcc_lo
	s_waitcnt lgkmcnt(5)
	v_max_f32_e32 v79, v79, v79
	v_max_f32_e32 v80, v80, v80
	v_max_f32_e32 v81, v81, v81
	v_max_f32_e32 v82, v82, v82
	s_waitcnt lgkmcnt(4)
	v_max_f32_e32 v83, v83, v83
	v_max_f32_e32 v84, v84, v84
	v_max_f32_e32 v85, v85, v85
	v_max_f32_e32 v86, v86, v86
	s_waitcnt lgkmcnt(3)
	v_max_f32_e32 v87, v87, v87
	v_max_f32_e32 v88, v88, v88
	v_max_f32_e32 v89, v89, v89
	v_max_f32_e32 v90, v90, v90
	s_waitcnt lgkmcnt(2)
	v_max_f32_e32 v91, v91, v91
	v_max_f32_e32 v92, v92, v92
	v_max_f32_e32 v93, v93, v93
	v_max_f32_e32 v94, v94, v94
	s_waitcnt lgkmcnt(1)
	v_max_f32_e32 v95, v95, v95
	v_max_f32_e32 v96, v96, v96
	v_max_f32_e32 v97, v97, v97
	v_max_f32_e32 v98, v98, v98
	s_waitcnt lgkmcnt(0)
	v_max_f32_e32 v99, v99, v99
	v_max_f32_e32 v100, v100, v100
	v_max_f32_e32 v101, v101, v101
	v_max_f32_e32 v102, v102, v102
	v_min_f32_e32 v103, v79, v95
	v_min_f32_e32 v104, v81, v95
	;; [unrolled: 1-line block ×64, first 2 shown]
	v_add_f32_e32 v75, v101, v75
	v_add_f32_e32 v74, v103, v74
	;; [unrolled: 1-line block ×64, first 2 shown]
	s_cbranch_vccz .LBB35_13
; %bb.14:
	v_lshl_or_b32 v5, v5, 4, v6
	v_lshl_add_u32 v79, v0, 4, 0x1400
	v_lshl_add_u32 v80, v1, 4, 0x800
	s_cmp_lt_i32 s14, 9
	ds_write_b32 v5, v7 offset:5120
	ds_write2st64_b32 v5, v8, v9 offset0:8 offset1:12
	s_waitcnt lgkmcnt(0)
	s_barrier
	buffer_gl0_inv
	s_cbranch_scc1 .LBB35_29
; %bb.15:
	v_mad_i64_i32 v[6:7], null, v4, s21, 0
	v_mad_i64_i32 v[83:84], null, v3, s20, 0
	v_mad_i64_i32 v[8:9], null, v2, s20, 0
	v_add_nc_u32_e32 v81, 0x1400, v5
	v_add_nc_u32_e32 v82, 0x800, v5
	v_lshlrev_b64 v[6:7], 2, v[6:7]
	s_add_i32 s8, s14, -8
	v_lshlrev_b64 v[4:5], 2, v[83:84]
	s_mov_b32 s9, 8
	v_lshlrev_b64 v[2:3], 2, v[8:9]
	s_mov_b32 s14, 0
	v_add_co_u32 v83, vcc_lo, s18, v6
	v_add_co_ci_u32_e64 v84, null, s19, v7, vcc_lo
	v_mov_b32_e32 v7, 0
.LBB35_16:                              ; =>This Loop Header: Depth=1
                                        ;     Child Loop BB35_21 Depth 2
                                        ;     Child Loop BB35_27 Depth 2
	s_mov_b32 s18, -1
	s_mov_b32 vcc_lo, s1
                                        ; implicit-def: $vgpr8_vgpr9
	s_cbranch_vccz .LBB35_18
; %bb.17:                               ;   in Loop: Header=BB35_16 Depth=1
	v_mov_b32_e32 v8, v7
	s_mov_b32 s18, 0
.LBB35_18:                              ;   in Loop: Header=BB35_16 Depth=1
	v_mov_b32_e32 v6, 0
	v_mov_b32_e32 v9, 0
	s_andn2_b32 vcc_lo, exec_lo, s18
	s_cbranch_vccnz .LBB35_20
; %bb.19:                               ;   in Loop: Header=BB35_16 Depth=1
	v_or_b32_e32 v6, s9, v12
	v_lshlrev_b64 v[8:9], 2, v[6:7]
	v_add_co_u32 v6, vcc_lo, s16, v8
	v_add_co_ci_u32_e64 v88, null, s17, v9, vcc_lo
	v_add_co_u32 v8, vcc_lo, v83, v8
	v_add_co_ci_u32_e64 v9, null, v84, v9, vcc_lo
	;; [unrolled: 2-line block ×4, first 2 shown]
	flat_load_dword v6, v[8:9]
	s_clause 0x1
	flat_load_dword v8, v[85:86]
	flat_load_dword v9, v[87:88]
	s_waitcnt vmcnt(2) lgkmcnt(2)
	v_mul_f32_e32 v6, s15, v6
	s_waitcnt vmcnt(1) lgkmcnt(1)
	v_mul_f32_e32 v8, s15, v8
	;; [unrolled: 2-line block ×3, first 2 shown]
.LBB35_20:                              ;   in Loop: Header=BB35_16 Depth=1
	s_mov_b32 s19, 0
	s_mov_b32 s18, -1
.LBB35_21:                              ;   Parent Loop BB35_16 Depth=1
                                        ; =>  This Inner Loop Header: Depth=2
	s_lshl_b32 s19, s19, 2
	v_cndmask_b32_e64 v85, 0, 1, s18
	v_add_nc_u32_e32 v105, s19, v80
	v_add_nc_u32_e32 v101, s19, v79
	s_mov_b32 s18, 0
	s_mov_b32 s19, 2
	v_cmp_ne_u32_e32 vcc_lo, 1, v85
	ds_read2st64_b64 v[85:88], v105 offset1:1
	ds_read2_b64 v[89:92], v101 offset1:16
	ds_read2_b64 v[93:96], v101 offset0:32 offset1:48
	ds_read2_b64 v[97:100], v101 offset0:64 offset1:80
	;; [unrolled: 1-line block ×3, first 2 shown]
	ds_read2st64_b64 v[105:108], v105 offset0:2 offset1:3
	s_and_b32 vcc_lo, exec_lo, vcc_lo
	s_waitcnt lgkmcnt(5)
	v_max_f32_e32 v85, v85, v85
	s_waitcnt lgkmcnt(4)
	v_max_f32_e32 v89, v89, v89
	v_max_f32_e32 v86, v86, v86
	;; [unrolled: 1-line block ×5, first 2 shown]
	s_waitcnt lgkmcnt(3)
	v_max_f32_e32 v93, v93, v93
	v_max_f32_e32 v94, v94, v94
	v_max_f32_e32 v95, v95, v95
	v_max_f32_e32 v96, v96, v96
	s_waitcnt lgkmcnt(2)
	v_max_f32_e32 v97, v97, v97
	v_max_f32_e32 v98, v98, v98
	v_max_f32_e32 v99, v99, v99
	v_max_f32_e32 v100, v100, v100
	;; [unrolled: 5-line block ×3, first 2 shown]
	v_max_f32_e32 v87, v87, v87
	v_max_f32_e32 v88, v88, v88
	s_waitcnt lgkmcnt(0)
	v_max_f32_e32 v105, v105, v105
	v_max_f32_e32 v106, v106, v106
	;; [unrolled: 1-line block ×4, first 2 shown]
	v_min_f32_e32 v109, v89, v85
	v_min_f32_e32 v110, v90, v86
	;; [unrolled: 1-line block ×64, first 2 shown]
	v_add_f32_e32 v75, v110, v75
	v_add_f32_e32 v74, v109, v74
	v_add_f32_e32 v73, v112, v73
	v_add_f32_e32 v72, v111, v72
	v_add_f32_e32 v71, v114, v71
	v_add_f32_e32 v70, v113, v70
	v_add_f32_e32 v11, v116, v11
	v_add_f32_e32 v10, v115, v10
	v_add_f32_e32 v15, v118, v15
	v_add_f32_e32 v14, v117, v14
	v_add_f32_e32 v69, v120, v69
	v_add_f32_e32 v68, v119, v68
	v_add_f32_e32 v67, v122, v67
	v_add_f32_e32 v66, v121, v66
	v_add_f32_e32 v65, v86, v65
	v_add_f32_e32 v64, v85, v64
	v_add_f32_e32 v63, v124, v63
	v_add_f32_e32 v62, v123, v62
	v_add_f32_e32 v61, v126, v61
	v_add_f32_e32 v60, v125, v60
	v_add_f32_e32 v59, v128, v59
	v_add_f32_e32 v58, v127, v58
	v_add_f32_e32 v57, v130, v57
	v_add_f32_e32 v56, v129, v56
	v_add_f32_e32 v55, v132, v55
	v_add_f32_e32 v54, v131, v54
	v_add_f32_e32 v53, v134, v53
	v_add_f32_e32 v52, v133, v52
	v_add_f32_e32 v51, v136, v51
	v_add_f32_e32 v50, v135, v50
	v_add_f32_e32 v49, v88, v49
	v_add_f32_e32 v48, v87, v48
	v_add_f32_e32 v47, v138, v47
	v_add_f32_e32 v46, v137, v46
	v_add_f32_e32 v45, v140, v45
	v_add_f32_e32 v44, v139, v44
	v_add_f32_e32 v43, v142, v43
	v_add_f32_e32 v42, v141, v42
	v_add_f32_e32 v41, v144, v41
	v_add_f32_e32 v40, v143, v40
	v_add_f32_e32 v39, v146, v39
	v_add_f32_e32 v38, v145, v38
	v_add_f32_e32 v37, v148, v37
	v_add_f32_e32 v36, v147, v36
	v_add_f32_e32 v35, v150, v35
	v_add_f32_e32 v34, v149, v34
	v_add_f32_e32 v33, v106, v33
	v_add_f32_e32 v32, v105, v32
	v_add_f32_e32 v31, v90, v31
	v_add_f32_e32 v30, v89, v30
	v_add_f32_e32 v29, v92, v29
	v_add_f32_e32 v28, v91, v28
	v_add_f32_e32 v27, v94, v27
	v_add_f32_e32 v26, v93, v26
	v_add_f32_e32 v25, v96, v25
	v_add_f32_e32 v24, v95, v24
	v_add_f32_e32 v23, v98, v23
	v_add_f32_e32 v22, v97, v22
	v_add_f32_e32 v21, v100, v21
	v_add_f32_e32 v20, v99, v20
	v_add_f32_e32 v19, v102, v19
	v_add_f32_e32 v18, v101, v18
	v_add_f32_e32 v17, v104, v17
	v_add_f32_e32 v16, v103, v16
	s_cbranch_vccz .LBB35_21
; %bb.22:                               ;   in Loop: Header=BB35_16 Depth=1
	s_mov_b32 s18, -1
	s_mov_b32 vcc_lo, s1
	ds_write_b32 v78, v6
	ds_write2st64_b32 v13, v8, v9 offset1:4
	s_waitcnt lgkmcnt(0)
	s_barrier
	buffer_gl0_inv
                                        ; implicit-def: $vgpr8_vgpr9
	s_cbranch_vccz .LBB35_24
; %bb.23:                               ;   in Loop: Header=BB35_16 Depth=1
	v_mov_b32_e32 v8, v7
	s_mov_b32 s18, 0
.LBB35_24:                              ;   in Loop: Header=BB35_16 Depth=1
	v_mov_b32_e32 v6, 0
	v_mov_b32_e32 v9, 0
	s_andn2_b32 vcc_lo, exec_lo, s18
	s_cbranch_vccnz .LBB35_26
; %bb.25:                               ;   in Loop: Header=BB35_16 Depth=1
	v_or_b32_e32 v6, s9, v12
	v_lshlrev_b64 v[8:9], 2, v[6:7]
	v_add_co_u32 v6, vcc_lo, s16, v8
	v_add_co_ci_u32_e64 v88, null, s17, v9, vcc_lo
	v_add_co_u32 v8, vcc_lo, v83, v8
	v_add_co_ci_u32_e64 v9, null, v84, v9, vcc_lo
	;; [unrolled: 2-line block ×4, first 2 shown]
	flat_load_dword v6, v[8:9] offset:16
	s_clause 0x1
	flat_load_dword v8, v[85:86] offset:16
	flat_load_dword v9, v[87:88] offset:16
	s_waitcnt vmcnt(2) lgkmcnt(2)
	v_mul_f32_e32 v6, s15, v6
	s_waitcnt vmcnt(1) lgkmcnt(1)
	v_mul_f32_e32 v8, s15, v8
	;; [unrolled: 2-line block ×3, first 2 shown]
.LBB35_26:                              ;   in Loop: Header=BB35_16 Depth=1
	s_mov_b32 s19, 0
	s_mov_b32 s18, -1
.LBB35_27:                              ;   Parent Loop BB35_16 Depth=1
                                        ; =>  This Inner Loop Header: Depth=2
	s_lshl_b32 s19, s19, 2
	v_cndmask_b32_e64 v85, 0, 1, s18
	v_add_nc_u32_e32 v105, s19, v77
	v_add_nc_u32_e32 v101, s19, v76
	s_mov_b32 s18, 0
	s_mov_b32 s19, 2
	v_cmp_ne_u32_e32 vcc_lo, 1, v85
	ds_read2st64_b64 v[85:88], v105 offset1:1
	ds_read2_b64 v[89:92], v101 offset1:16
	ds_read2_b64 v[93:96], v101 offset0:32 offset1:48
	ds_read2_b64 v[97:100], v101 offset0:64 offset1:80
	;; [unrolled: 1-line block ×3, first 2 shown]
	ds_read2st64_b64 v[105:108], v105 offset0:2 offset1:3
	s_and_b32 vcc_lo, exec_lo, vcc_lo
	s_waitcnt lgkmcnt(5)
	v_max_f32_e32 v85, v85, v85
	s_waitcnt lgkmcnt(4)
	v_max_f32_e32 v89, v89, v89
	v_max_f32_e32 v86, v86, v86
	;; [unrolled: 1-line block ×5, first 2 shown]
	s_waitcnt lgkmcnt(3)
	v_max_f32_e32 v93, v93, v93
	v_max_f32_e32 v94, v94, v94
	v_max_f32_e32 v95, v95, v95
	v_max_f32_e32 v96, v96, v96
	s_waitcnt lgkmcnt(2)
	v_max_f32_e32 v97, v97, v97
	v_max_f32_e32 v98, v98, v98
	v_max_f32_e32 v99, v99, v99
	v_max_f32_e32 v100, v100, v100
	;; [unrolled: 5-line block ×3, first 2 shown]
	v_max_f32_e32 v87, v87, v87
	v_max_f32_e32 v88, v88, v88
	s_waitcnt lgkmcnt(0)
	v_max_f32_e32 v105, v105, v105
	v_max_f32_e32 v106, v106, v106
	;; [unrolled: 1-line block ×4, first 2 shown]
	v_min_f32_e32 v109, v89, v85
	v_min_f32_e32 v110, v90, v86
	;; [unrolled: 1-line block ×64, first 2 shown]
	v_add_f32_e32 v75, v110, v75
	v_add_f32_e32 v74, v109, v74
	;; [unrolled: 1-line block ×64, first 2 shown]
	s_cbranch_vccz .LBB35_27
; %bb.28:                               ;   in Loop: Header=BB35_16 Depth=1
	s_add_i32 s14, s14, 8
	s_add_i32 s9, s9, 8
	s_cmp_ge_i32 s14, s8
	ds_write_b32 v81, v6
	ds_write2st64_b32 v82, v8, v9 offset1:4
	s_waitcnt lgkmcnt(0)
	s_barrier
	buffer_gl0_inv
	s_cbranch_scc0 .LBB35_16
.LBB35_29:
	s_mov_b32 s8, 0
	s_mov_b32 s1, -1
.LBB35_30:                              ; =>This Inner Loop Header: Depth=1
	s_lshl_b32 s8, s8, 2
	v_cndmask_b32_e64 v2, 0, 1, s1
	v_add_nc_u32_e32 v12, s8, v80
	v_add_nc_u32_e32 v13, s8, v79
	s_mov_b32 s1, 0
	s_mov_b32 s8, 2
	v_cmp_ne_u32_e32 vcc_lo, 1, v2
	ds_read2st64_b64 v[2:5], v12 offset1:1
	ds_read2_b64 v[6:9], v13 offset1:16
	ds_read2_b64 v[81:84], v13 offset0:32 offset1:48
	ds_read2_b64 v[85:88], v13 offset0:64 offset1:80
	;; [unrolled: 1-line block ×3, first 2 shown]
	ds_read2st64_b64 v[93:96], v12 offset0:2 offset1:3
	s_and_b32 vcc_lo, exec_lo, vcc_lo
	s_waitcnt lgkmcnt(5)
	v_max_f32_e32 v2, v2, v2
	s_waitcnt lgkmcnt(4)
	v_max_f32_e32 v6, v6, v6
	v_max_f32_e32 v3, v3, v3
	;; [unrolled: 1-line block ×5, first 2 shown]
	s_waitcnt lgkmcnt(3)
	v_max_f32_e32 v12, v81, v81
	v_max_f32_e32 v13, v82, v82
	v_max_f32_e32 v76, v83, v83
	v_max_f32_e32 v77, v84, v84
	s_waitcnt lgkmcnt(2)
	v_max_f32_e32 v78, v85, v85
	v_max_f32_e32 v81, v86, v86
	v_max_f32_e32 v82, v87, v87
	v_max_f32_e32 v83, v88, v88
	;; [unrolled: 5-line block ×3, first 2 shown]
	v_max_f32_e32 v4, v4, v4
	v_max_f32_e32 v5, v5, v5
	s_waitcnt lgkmcnt(0)
	v_max_f32_e32 v88, v93, v93
	v_max_f32_e32 v89, v94, v94
	;; [unrolled: 1-line block ×4, first 2 shown]
	v_min_f32_e32 v92, v6, v2
	v_min_f32_e32 v93, v7, v3
	;; [unrolled: 1-line block ×64, first 2 shown]
	v_add_f32_e32 v75, v93, v75
	v_add_f32_e32 v74, v92, v74
	v_add_f32_e32 v73, v95, v73
	v_add_f32_e32 v72, v94, v72
	v_add_f32_e32 v71, v97, v71
	v_add_f32_e32 v70, v96, v70
	v_add_f32_e32 v11, v99, v11
	v_add_f32_e32 v10, v98, v10
	v_add_f32_e32 v15, v101, v15
	v_add_f32_e32 v14, v100, v14
	v_add_f32_e32 v69, v103, v69
	v_add_f32_e32 v68, v102, v68
	v_add_f32_e32 v67, v105, v67
	v_add_f32_e32 v66, v104, v66
	v_add_f32_e32 v65, v3, v65
	v_add_f32_e32 v64, v2, v64
	v_add_f32_e32 v63, v107, v63
	v_add_f32_e32 v62, v106, v62
	v_add_f32_e32 v61, v109, v61
	v_add_f32_e32 v60, v108, v60
	v_add_f32_e32 v59, v111, v59
	v_add_f32_e32 v58, v110, v58
	v_add_f32_e32 v57, v113, v57
	v_add_f32_e32 v56, v112, v56
	v_add_f32_e32 v55, v115, v55
	v_add_f32_e32 v54, v114, v54
	v_add_f32_e32 v53, v117, v53
	v_add_f32_e32 v52, v116, v52
	v_add_f32_e32 v51, v119, v51
	v_add_f32_e32 v50, v118, v50
	v_add_f32_e32 v49, v5, v49
	v_add_f32_e32 v48, v4, v48
	v_add_f32_e32 v47, v121, v47
	v_add_f32_e32 v46, v120, v46
	v_add_f32_e32 v45, v123, v45
	v_add_f32_e32 v44, v122, v44
	v_add_f32_e32 v43, v125, v43
	v_add_f32_e32 v42, v124, v42
	v_add_f32_e32 v41, v127, v41
	v_add_f32_e32 v40, v126, v40
	v_add_f32_e32 v39, v129, v39
	v_add_f32_e32 v38, v128, v38
	v_add_f32_e32 v37, v131, v37
	v_add_f32_e32 v36, v130, v36
	v_add_f32_e32 v35, v133, v35
	v_add_f32_e32 v34, v132, v34
	v_add_f32_e32 v33, v89, v33
	v_add_f32_e32 v32, v88, v32
	v_add_f32_e32 v31, v7, v31
	v_add_f32_e32 v30, v6, v30
	v_add_f32_e32 v29, v9, v29
	v_add_f32_e32 v28, v8, v28
	v_add_f32_e32 v27, v13, v27
	v_add_f32_e32 v26, v12, v26
	v_add_f32_e32 v25, v77, v25
	v_add_f32_e32 v24, v76, v24
	v_add_f32_e32 v23, v81, v23
	v_add_f32_e32 v22, v78, v22
	v_add_f32_e32 v21, v83, v21
	v_add_f32_e32 v20, v82, v20
	v_add_f32_e32 v19, v85, v19
	v_add_f32_e32 v18, v84, v18
	v_add_f32_e32 v17, v87, v17
	v_add_f32_e32 v16, v86, v16
	s_cbranch_vccz .LBB35_30
; %bb.31:
	s_load_dword s8, s[4:5], 0x50
	v_add_nc_u32_e32 v76, s11, v1
	v_add_nc_u32_e32 v12, s10, v0
	v_cndmask_b32_e64 v0, 0, 1, s2
	v_mov_b32_e32 v4, 0
	v_ashrrev_i32_e32 v13, 31, v12
	v_cmp_ne_u32_e64 s1, 1, v0
	s_waitcnt lgkmcnt(0)
	v_mad_i64_i32 v[1:2], null, v76, s8, 0
	v_lshlrev_b64 v[2:3], 2, v[1:2]
	v_lshlrev_b64 v[0:1], 2, v[12:13]
	v_add_co_u32 v77, vcc_lo, s12, v2
	v_add_co_ci_u32_e64 v78, null, s13, v3, vcc_lo
	v_mov_b32_e32 v2, 0
	s_andn2_b32 vcc_lo, exec_lo, s2
	s_cbranch_vccnz .LBB35_33
; %bb.32:
	v_add_co_u32 v2, vcc_lo, v77, v0
	v_add_co_ci_u32_e64 v3, null, v78, v1, vcc_lo
	flat_load_dword v2, v[2:3]
	s_waitcnt vmcnt(0) lgkmcnt(0)
	v_mul_f32_e32 v2, s3, v2
.LBB35_33:
	s_clause 0x1
	s_load_dword s2, s[4:5], 0x68
	s_load_dwordx2 s[4:5], s[4:5], 0x70
	v_add_nc_u32_e32 v7, 8, v12
	v_add_f32_e32 v3, v74, v75
	v_ashrrev_i32_e32 v8, 31, v7
	v_add_f32_e32 v9, v3, v2
	v_lshlrev_b64 v[2:3], 2, v[7:8]
	s_waitcnt lgkmcnt(0)
	v_mad_i64_i32 v[5:6], null, v76, s2, 0
	s_lshl_b64 s[4:5], s[4:5], 2
	s_add_u32 s4, s6, s4
	s_addc_u32 s5, s7, s5
	v_lshlrev_b64 v[5:6], 2, v[5:6]
	v_add_co_u32 v74, vcc_lo, s4, v5
	v_add_co_ci_u32_e64 v75, null, s5, v6, vcc_lo
	v_add_co_u32 v5, vcc_lo, v74, v0
	v_add_co_ci_u32_e64 v6, null, v75, v1, vcc_lo
	s_and_b32 vcc_lo, exec_lo, s1
	flat_store_dword v[5:6], v9
	s_cbranch_vccnz .LBB35_35
; %bb.34:
	v_add_co_u32 v4, vcc_lo, v77, v2
	v_add_co_ci_u32_e64 v5, null, v78, v3, vcc_lo
	flat_load_dword v4, v[4:5]
	s_waitcnt vmcnt(0) lgkmcnt(0)
	v_mul_f32_e32 v4, s3, v4
.LBB35_35:
	v_add_nc_u32_e32 v5, 16, v12
	v_add_f32_e32 v7, v72, v73
	v_add_co_u32 v72, vcc_lo, v74, v2
	v_add_co_ci_u32_e64 v73, null, v75, v3, vcc_lo
	v_ashrrev_i32_e32 v6, 31, v5
	v_add_f32_e32 v7, v7, v4
	v_mov_b32_e32 v8, 0
	s_and_b32 vcc_lo, exec_lo, s1
	v_lshlrev_b64 v[4:5], 2, v[5:6]
	v_mov_b32_e32 v6, 0
	flat_store_dword v[72:73], v7
	s_cbranch_vccnz .LBB35_37
; %bb.36:
	v_add_co_u32 v6, vcc_lo, v77, v4
	v_add_co_ci_u32_e64 v7, null, v78, v5, vcc_lo
	flat_load_dword v6, v[6:7]
	s_waitcnt vmcnt(0) lgkmcnt(0)
	v_mul_f32_e32 v6, s3, v6
.LBB35_37:
	v_add_nc_u32_e32 v72, 24, v12
	v_add_f32_e32 v7, v70, v71
	v_add_co_u32 v70, vcc_lo, v74, v4
	v_add_co_ci_u32_e64 v71, null, v75, v5, vcc_lo
	v_ashrrev_i32_e32 v73, 31, v72
	v_add_f32_e32 v9, v7, v6
	s_and_b32 vcc_lo, exec_lo, s1
	v_lshlrev_b64 v[6:7], 2, v[72:73]
	flat_store_dword v[70:71], v9
	s_cbranch_vccnz .LBB35_39
; %bb.38:
	v_add_co_u32 v8, vcc_lo, v77, v6
	v_add_co_ci_u32_e64 v9, null, v78, v7, vcc_lo
	flat_load_dword v8, v[8:9]
	s_waitcnt vmcnt(0) lgkmcnt(0)
	v_mul_f32_e32 v8, s3, v8
.LBB35_39:
	v_add_nc_u32_e32 v9, 32, v12
	v_add_f32_e32 v11, v10, v11
	v_add_co_u32 v70, vcc_lo, v74, v6
	v_add_co_ci_u32_e64 v71, null, v75, v7, vcc_lo
	v_ashrrev_i32_e32 v10, 31, v9
	v_add_f32_e32 v13, v11, v8
	v_mov_b32_e32 v8, 0
	s_and_b32 vcc_lo, exec_lo, s1
	v_lshlrev_b64 v[10:11], 2, v[9:10]
	v_mov_b32_e32 v9, 0
	flat_store_dword v[70:71], v13
	s_cbranch_vccnz .LBB35_41
; %bb.40:
	v_add_co_u32 v70, vcc_lo, v77, v10
	v_add_co_ci_u32_e64 v71, null, v78, v11, vcc_lo
	flat_load_dword v9, v[70:71]
	s_waitcnt vmcnt(0) lgkmcnt(0)
	v_mul_f32_e32 v9, s3, v9
.LBB35_41:
	v_add_nc_u32_e32 v13, 40, v12
	v_add_f32_e32 v15, v14, v15
	v_add_co_u32 v70, vcc_lo, v74, v10
	v_add_co_ci_u32_e64 v71, null, v75, v11, vcc_lo
	v_ashrrev_i32_e32 v14, 31, v13
	v_add_f32_e32 v9, v15, v9
	s_and_b32 vcc_lo, exec_lo, s1
	v_lshlrev_b64 v[14:15], 2, v[13:14]
	flat_store_dword v[70:71], v9
	s_cbranch_vccnz .LBB35_43
; %bb.42:
	v_add_co_u32 v8, vcc_lo, v77, v14
	v_add_co_ci_u32_e64 v9, null, v78, v15, vcc_lo
	flat_load_dword v8, v[8:9]
	s_waitcnt vmcnt(0) lgkmcnt(0)
	v_mul_f32_e32 v8, s3, v8
.LBB35_43:
	v_add_nc_u32_e32 v70, 48, v12
	v_add_f32_e32 v9, v68, v69
	v_add_co_u32 v72, vcc_lo, v74, v14
	v_add_co_ci_u32_e64 v73, null, v75, v15, vcc_lo
	v_ashrrev_i32_e32 v71, 31, v70
	v_add_f32_e32 v69, v9, v8
	v_mov_b32_e32 v68, 0
	v_mov_b32_e32 v13, 0
	s_and_b32 vcc_lo, exec_lo, s1
	v_lshlrev_b64 v[8:9], 2, v[70:71]
	flat_store_dword v[72:73], v69
	s_cbranch_vccnz .LBB35_45
; %bb.44:
	v_add_co_u32 v69, vcc_lo, v77, v8
	v_add_co_ci_u32_e64 v70, null, v78, v9, vcc_lo
	flat_load_dword v13, v[69:70]
	s_waitcnt vmcnt(0) lgkmcnt(0)
	v_mul_f32_e32 v13, s3, v13
.LBB35_45:
	v_add_nc_u32_e32 v69, 56, v12
	v_add_f32_e32 v12, v66, v67
	v_add_co_u32 v66, vcc_lo, v74, v8
	v_add_co_ci_u32_e64 v67, null, v75, v9, vcc_lo
	v_ashrrev_i32_e32 v70, 31, v69
	v_add_f32_e32 v71, v12, v13
	s_and_b32 vcc_lo, exec_lo, s1
	v_lshlrev_b64 v[12:13], 2, v[69:70]
	flat_store_dword v[66:67], v71
	s_cbranch_vccnz .LBB35_47
; %bb.46:
	v_add_co_u32 v66, vcc_lo, v77, v12
	v_add_co_ci_u32_e64 v67, null, v78, v13, vcc_lo
	flat_load_dword v66, v[66:67]
	s_waitcnt vmcnt(0) lgkmcnt(0)
	v_mul_f32_e32 v68, s3, v66
.LBB35_47:
	v_add_nc_u32_e32 v67, 32, v76
	v_add_f32_e32 v71, v64, v65
	v_mov_b32_e32 v66, 0
	v_mad_i64_i32 v[69:70], null, v67, s8, 0
	v_add_f32_e32 v71, v71, v68
	v_mov_b32_e32 v68, 0
	v_lshlrev_b64 v[64:65], 2, v[69:70]
	v_add_co_u32 v69, vcc_lo, v74, v12
	v_add_co_ci_u32_e64 v70, null, v75, v13, vcc_lo
	v_add_co_u32 v64, vcc_lo, s12, v64
	v_add_co_ci_u32_e64 v65, null, s13, v65, vcc_lo
	s_and_b32 vcc_lo, exec_lo, s1
	flat_store_dword v[69:70], v71
	s_cbranch_vccnz .LBB35_49
; %bb.48:
	v_add_co_u32 v68, vcc_lo, v64, v0
	v_add_co_ci_u32_e64 v69, null, v65, v1, vcc_lo
	flat_load_dword v68, v[68:69]
	s_waitcnt vmcnt(0) lgkmcnt(0)
	v_mul_f32_e32 v68, s3, v68
.LBB35_49:
	v_mad_i64_i32 v[69:70], null, v67, s2, 0
	v_add_f32_e32 v67, v62, v63
	v_lshlrev_b64 v[69:70], 2, v[69:70]
	v_add_co_u32 v62, vcc_lo, s4, v69
	v_add_co_ci_u32_e64 v63, null, s5, v70, vcc_lo
	v_add_f32_e32 v69, v67, v68
	v_add_co_u32 v67, vcc_lo, v62, v0
	v_add_co_ci_u32_e64 v68, null, v63, v1, vcc_lo
	s_and_b32 vcc_lo, exec_lo, s1
	flat_store_dword v[67:68], v69
	s_cbranch_vccnz .LBB35_51
; %bb.50:
	v_add_co_u32 v66, vcc_lo, v64, v2
	v_add_co_ci_u32_e64 v67, null, v65, v3, vcc_lo
	flat_load_dword v66, v[66:67]
	s_waitcnt vmcnt(0) lgkmcnt(0)
	v_mul_f32_e32 v66, s3, v66
.LBB35_51:
	v_add_f32_e32 v60, v60, v61
	v_add_co_u32 v67, vcc_lo, v62, v2
	v_add_co_ci_u32_e64 v68, null, v63, v3, vcc_lo
	v_add_f32_e32 v66, v60, v66
	v_mov_b32_e32 v60, 0
	v_mov_b32_e32 v61, 0
	s_and_b32 vcc_lo, exec_lo, s1
	flat_store_dword v[67:68], v66
	s_cbranch_vccnz .LBB35_53
; %bb.52:
	v_add_co_u32 v66, vcc_lo, v64, v4
	v_add_co_ci_u32_e64 v67, null, v65, v5, vcc_lo
	flat_load_dword v61, v[66:67]
	s_waitcnt vmcnt(0) lgkmcnt(0)
	v_mul_f32_e32 v61, s3, v61
.LBB35_53:
	v_add_f32_e32 v58, v58, v59
	v_add_f32_e32 v61, v58, v61
	v_add_co_u32 v58, vcc_lo, v62, v4
	v_add_co_ci_u32_e64 v59, null, v63, v5, vcc_lo
	s_and_b32 vcc_lo, exec_lo, s1
	flat_store_dword v[58:59], v61
	s_cbranch_vccnz .LBB35_55
; %bb.54:
	v_add_co_u32 v58, vcc_lo, v64, v6
	v_add_co_ci_u32_e64 v59, null, v65, v7, vcc_lo
	flat_load_dword v58, v[58:59]
	s_waitcnt vmcnt(0) lgkmcnt(0)
	v_mul_f32_e32 v60, s3, v58
.LBB35_55:
	v_add_f32_e32 v56, v56, v57
	v_add_co_u32 v58, vcc_lo, v62, v6
	v_add_co_ci_u32_e64 v59, null, v63, v7, vcc_lo
	v_add_f32_e32 v60, v56, v60
	v_mov_b32_e32 v56, 0
	v_mov_b32_e32 v57, 0
	s_and_b32 vcc_lo, exec_lo, s1
	flat_store_dword v[58:59], v60
	s_cbranch_vccnz .LBB35_57
; %bb.56:
	v_add_co_u32 v57, vcc_lo, v64, v10
	v_add_co_ci_u32_e64 v58, null, v65, v11, vcc_lo
	flat_load_dword v57, v[57:58]
	s_waitcnt vmcnt(0) lgkmcnt(0)
	v_mul_f32_e32 v57, s3, v57
.LBB35_57:
	v_add_f32_e32 v54, v54, v55
	;; [unrolled: 30-line block ×3, first 2 shown]
	v_add_f32_e32 v53, v50, v53
	v_add_co_u32 v50, vcc_lo, v62, v8
	v_add_co_ci_u32_e64 v51, null, v63, v9, vcc_lo
	s_and_b32 vcc_lo, exec_lo, s1
	flat_store_dword v[50:51], v53
	s_cbranch_vccnz .LBB35_63
; %bb.62:
	v_add_co_u32 v50, vcc_lo, v64, v12
	v_add_co_ci_u32_e64 v51, null, v65, v13, vcc_lo
	flat_load_dword v50, v[50:51]
	s_waitcnt vmcnt(0) lgkmcnt(0)
	v_mul_f32_e32 v52, s3, v50
.LBB35_63:
	v_add_nc_u32_e32 v51, 64, v76
	v_add_f32_e32 v55, v48, v49
	v_mov_b32_e32 v50, 0
	v_mad_i64_i32 v[53:54], null, v51, s8, 0
	v_add_f32_e32 v55, v55, v52
	v_mov_b32_e32 v52, 0
	v_lshlrev_b64 v[48:49], 2, v[53:54]
	v_add_co_u32 v53, vcc_lo, v62, v12
	v_add_co_ci_u32_e64 v54, null, v63, v13, vcc_lo
	v_add_co_u32 v48, vcc_lo, s12, v48
	v_add_co_ci_u32_e64 v49, null, s13, v49, vcc_lo
	s_and_b32 vcc_lo, exec_lo, s1
	flat_store_dword v[53:54], v55
	s_cbranch_vccnz .LBB35_65
; %bb.64:
	v_add_co_u32 v52, vcc_lo, v48, v0
	v_add_co_ci_u32_e64 v53, null, v49, v1, vcc_lo
	flat_load_dword v52, v[52:53]
	s_waitcnt vmcnt(0) lgkmcnt(0)
	v_mul_f32_e32 v52, s3, v52
.LBB35_65:
	v_mad_i64_i32 v[53:54], null, v51, s2, 0
	v_add_f32_e32 v51, v46, v47
	v_lshlrev_b64 v[53:54], 2, v[53:54]
	v_add_co_u32 v46, vcc_lo, s4, v53
	v_add_co_ci_u32_e64 v47, null, s5, v54, vcc_lo
	v_add_f32_e32 v53, v51, v52
	v_add_co_u32 v51, vcc_lo, v46, v0
	v_add_co_ci_u32_e64 v52, null, v47, v1, vcc_lo
	s_and_b32 vcc_lo, exec_lo, s1
	flat_store_dword v[51:52], v53
	s_cbranch_vccnz .LBB35_67
; %bb.66:
	v_add_co_u32 v50, vcc_lo, v48, v2
	v_add_co_ci_u32_e64 v51, null, v49, v3, vcc_lo
	flat_load_dword v50, v[50:51]
	s_waitcnt vmcnt(0) lgkmcnt(0)
	v_mul_f32_e32 v50, s3, v50
.LBB35_67:
	v_add_f32_e32 v44, v44, v45
	v_add_co_u32 v51, vcc_lo, v46, v2
	v_add_co_ci_u32_e64 v52, null, v47, v3, vcc_lo
	v_add_f32_e32 v50, v44, v50
	v_mov_b32_e32 v44, 0
	v_mov_b32_e32 v45, 0
	s_and_b32 vcc_lo, exec_lo, s1
	flat_store_dword v[51:52], v50
	s_cbranch_vccnz .LBB35_69
; %bb.68:
	v_add_co_u32 v50, vcc_lo, v48, v4
	v_add_co_ci_u32_e64 v51, null, v49, v5, vcc_lo
	flat_load_dword v45, v[50:51]
	s_waitcnt vmcnt(0) lgkmcnt(0)
	v_mul_f32_e32 v45, s3, v45
.LBB35_69:
	v_add_f32_e32 v42, v42, v43
	v_add_f32_e32 v45, v42, v45
	v_add_co_u32 v42, vcc_lo, v46, v4
	v_add_co_ci_u32_e64 v43, null, v47, v5, vcc_lo
	s_and_b32 vcc_lo, exec_lo, s1
	flat_store_dword v[42:43], v45
	s_cbranch_vccnz .LBB35_71
; %bb.70:
	v_add_co_u32 v42, vcc_lo, v48, v6
	v_add_co_ci_u32_e64 v43, null, v49, v7, vcc_lo
	flat_load_dword v42, v[42:43]
	s_waitcnt vmcnt(0) lgkmcnt(0)
	v_mul_f32_e32 v44, s3, v42
.LBB35_71:
	v_add_f32_e32 v40, v40, v41
	v_add_co_u32 v42, vcc_lo, v46, v6
	v_add_co_ci_u32_e64 v43, null, v47, v7, vcc_lo
	v_add_f32_e32 v44, v40, v44
	v_mov_b32_e32 v40, 0
	v_mov_b32_e32 v41, 0
	s_and_b32 vcc_lo, exec_lo, s1
	flat_store_dword v[42:43], v44
	s_cbranch_vccnz .LBB35_73
; %bb.72:
	v_add_co_u32 v41, vcc_lo, v48, v10
	v_add_co_ci_u32_e64 v42, null, v49, v11, vcc_lo
	flat_load_dword v41, v[41:42]
	s_waitcnt vmcnt(0) lgkmcnt(0)
	v_mul_f32_e32 v41, s3, v41
.LBB35_73:
	v_add_f32_e32 v38, v38, v39
	;; [unrolled: 30-line block ×3, first 2 shown]
	v_add_f32_e32 v37, v34, v37
	v_add_co_u32 v34, vcc_lo, v46, v8
	v_add_co_ci_u32_e64 v35, null, v47, v9, vcc_lo
	s_and_b32 vcc_lo, exec_lo, s1
	flat_store_dword v[34:35], v37
	s_cbranch_vccnz .LBB35_79
; %bb.78:
	v_add_co_u32 v34, vcc_lo, v48, v12
	v_add_co_ci_u32_e64 v35, null, v49, v13, vcc_lo
	flat_load_dword v34, v[34:35]
	s_waitcnt vmcnt(0) lgkmcnt(0)
	v_mul_f32_e32 v36, s3, v34
.LBB35_79:
	v_add_nc_u32_e32 v35, 0x60, v76
	v_add_f32_e32 v39, v32, v33
	v_mov_b32_e32 v34, 0
	v_mad_i64_i32 v[37:38], null, v35, s8, 0
	v_add_f32_e32 v39, v39, v36
	v_mov_b32_e32 v36, 0
	v_lshlrev_b64 v[32:33], 2, v[37:38]
	v_add_co_u32 v37, vcc_lo, v46, v12
	v_add_co_ci_u32_e64 v38, null, v47, v13, vcc_lo
	v_add_co_u32 v32, vcc_lo, s12, v32
	v_add_co_ci_u32_e64 v33, null, s13, v33, vcc_lo
	s_and_b32 vcc_lo, exec_lo, s1
	flat_store_dword v[37:38], v39
	s_cbranch_vccnz .LBB35_81
; %bb.80:
	v_add_co_u32 v36, vcc_lo, v32, v0
	v_add_co_ci_u32_e64 v37, null, v33, v1, vcc_lo
	flat_load_dword v36, v[36:37]
	s_waitcnt vmcnt(0) lgkmcnt(0)
	v_mul_f32_e32 v36, s3, v36
.LBB35_81:
	v_mad_i64_i32 v[37:38], null, v35, s2, 0
	v_add_f32_e32 v35, v30, v31
	v_add_f32_e32 v35, v35, v36
	v_lshlrev_b64 v[37:38], 2, v[37:38]
	v_add_co_u32 v30, vcc_lo, s4, v37
	v_add_co_ci_u32_e64 v31, null, s5, v38, vcc_lo
	v_add_co_u32 v0, vcc_lo, v30, v0
	v_add_co_ci_u32_e64 v1, null, v31, v1, vcc_lo
	s_and_b32 vcc_lo, exec_lo, s1
	flat_store_dword v[0:1], v35
	s_cbranch_vccnz .LBB35_83
; %bb.82:
	v_add_co_u32 v0, vcc_lo, v32, v2
	v_add_co_ci_u32_e64 v1, null, v33, v3, vcc_lo
	flat_load_dword v0, v[0:1]
	s_waitcnt vmcnt(0) lgkmcnt(0)
	v_mul_f32_e32 v34, s3, v0
.LBB35_83:
	v_add_f32_e32 v0, v28, v29
	v_add_co_u32 v2, vcc_lo, v30, v2
	v_add_co_ci_u32_e64 v3, null, v31, v3, vcc_lo
	v_add_f32_e32 v28, v0, v34
	v_mov_b32_e32 v0, 0
	v_mov_b32_e32 v1, 0
	s_and_b32 vcc_lo, exec_lo, s1
	flat_store_dword v[2:3], v28
	s_cbranch_vccnz .LBB35_85
; %bb.84:
	v_add_co_u32 v1, vcc_lo, v32, v4
	v_add_co_ci_u32_e64 v2, null, v33, v5, vcc_lo
	flat_load_dword v1, v[1:2]
	s_waitcnt vmcnt(0) lgkmcnt(0)
	v_mul_f32_e32 v1, s3, v1
.LBB35_85:
	v_add_f32_e32 v2, v26, v27
	v_add_f32_e32 v3, v2, v1
	v_add_co_u32 v1, vcc_lo, v30, v4
	v_add_co_ci_u32_e64 v2, null, v31, v5, vcc_lo
	s_and_b32 vcc_lo, exec_lo, s1
	flat_store_dword v[1:2], v3
	s_cbranch_vccnz .LBB35_87
; %bb.86:
	v_add_co_u32 v0, vcc_lo, v32, v6
	v_add_co_ci_u32_e64 v1, null, v33, v7, vcc_lo
	flat_load_dword v0, v[0:1]
	s_waitcnt vmcnt(0) lgkmcnt(0)
	v_mul_f32_e32 v0, s3, v0
.LBB35_87:
	v_add_f32_e32 v1, v24, v25
	v_add_co_u32 v2, vcc_lo, v30, v6
	v_add_co_ci_u32_e64 v3, null, v31, v7, vcc_lo
	v_add_f32_e32 v4, v1, v0
	v_mov_b32_e32 v0, 0
	v_mov_b32_e32 v1, 0
	s_and_b32 vcc_lo, exec_lo, s1
	flat_store_dword v[2:3], v4
	s_cbranch_vccnz .LBB35_89
; %bb.88:
	v_add_co_u32 v1, vcc_lo, v32, v10
	v_add_co_ci_u32_e64 v2, null, v33, v11, vcc_lo
	flat_load_dword v1, v[1:2]
	s_waitcnt vmcnt(0) lgkmcnt(0)
	v_mul_f32_e32 v1, s3, v1
.LBB35_89:
	v_add_f32_e32 v2, v22, v23
	v_add_f32_e32 v3, v2, v1
	v_add_co_u32 v1, vcc_lo, v30, v10
	v_add_co_ci_u32_e64 v2, null, v31, v11, vcc_lo
	s_and_b32 vcc_lo, exec_lo, s1
	flat_store_dword v[1:2], v3
	s_cbranch_vccnz .LBB35_91
; %bb.90:
	v_add_co_u32 v0, vcc_lo, v32, v14
	v_add_co_ci_u32_e64 v1, null, v33, v15, vcc_lo
	flat_load_dword v0, v[0:1]
	s_waitcnt vmcnt(0) lgkmcnt(0)
	v_mul_f32_e32 v0, s3, v0
.LBB35_91:
	v_add_f32_e32 v3, v20, v21
	v_add_co_u32 v1, vcc_lo, v30, v14
	v_add_co_ci_u32_e64 v2, null, v31, v15, vcc_lo
	v_add_f32_e32 v3, v3, v0
	v_add_f32_e32 v0, v18, v19
	s_mov_b32 s1, -1
	s_mov_b32 vcc_lo, s0
	flat_store_dword v[1:2], v3
	s_cbranch_vccz .LBB35_93
; %bb.92:
	v_add_co_u32 v1, vcc_lo, v30, v8
	v_add_f32_e32 v3, 0, v0
	v_add_co_ci_u32_e64 v2, null, v31, v9, vcc_lo
	s_mov_b32 s1, 0
	flat_store_dword v[1:2], v3
.LBB35_93:
	v_mov_b32_e32 v1, 0
	s_andn2_b32 vcc_lo, exec_lo, s1
	s_cbranch_vccnz .LBB35_95
; %bb.94:
	v_add_co_u32 v1, vcc_lo, v32, v8
	v_add_co_ci_u32_e64 v2, null, v33, v9, vcc_lo
	flat_load_dword v3, v[1:2]
	v_add_co_u32 v1, vcc_lo, v30, v8
	v_add_co_ci_u32_e64 v2, null, v31, v9, vcc_lo
	s_waitcnt vmcnt(0) lgkmcnt(0)
	v_fmac_f32_e32 v0, s3, v3
	v_add_co_u32 v3, vcc_lo, v32, v12
	v_add_co_ci_u32_e64 v4, null, v33, v13, vcc_lo
	flat_store_dword v[1:2], v0
	flat_load_dword v0, v[3:4]
	s_waitcnt vmcnt(0) lgkmcnt(0)
	v_mul_f32_e32 v1, s3, v0
.LBB35_95:
	v_add_f32_e32 v0, v16, v17
	v_add_f32_e32 v2, v0, v1
	v_add_co_u32 v0, vcc_lo, v30, v12
	v_add_co_ci_u32_e64 v1, null, v31, v13, vcc_lo
	flat_store_dword v[0:1], v2
	s_endpgm
	.section	.rodata,"a",@progbits
	.p2align	6, 0x0
	.amdhsa_kernel _ZN12_GLOBAL__N_120geam_min_plus_kernelIf15HIP_vector_typeIfLj2EES2_Li8ELi32ELi64ELi128ELi4ELi4ELi64ELi4ELi64ELc84ELc78ELb0ELb0ELb0EfKPKfKPfEEviiiT16_PT17_ilSA_ilS8_SA_ilPT18_ili26rocblas_geam_ex_operation_
		.amdhsa_group_segment_fixed_size 6144
		.amdhsa_private_segment_fixed_size 0
		.amdhsa_kernarg_size 128
		.amdhsa_user_sgpr_count 6
		.amdhsa_user_sgpr_private_segment_buffer 1
		.amdhsa_user_sgpr_dispatch_ptr 0
		.amdhsa_user_sgpr_queue_ptr 0
		.amdhsa_user_sgpr_kernarg_segment_ptr 1
		.amdhsa_user_sgpr_dispatch_id 0
		.amdhsa_user_sgpr_flat_scratch_init 0
		.amdhsa_user_sgpr_private_segment_size 0
		.amdhsa_wavefront_size32 1
		.amdhsa_uses_dynamic_stack 0
		.amdhsa_system_sgpr_private_segment_wavefront_offset 0
		.amdhsa_system_sgpr_workgroup_id_x 1
		.amdhsa_system_sgpr_workgroup_id_y 0
		.amdhsa_system_sgpr_workgroup_id_z 1
		.amdhsa_system_sgpr_workgroup_info 0
		.amdhsa_system_vgpr_workitem_id 1
		.amdhsa_next_free_vgpr 151
		.amdhsa_next_free_sgpr 24
		.amdhsa_reserve_vcc 1
		.amdhsa_reserve_flat_scratch 1
		.amdhsa_float_round_mode_32 0
		.amdhsa_float_round_mode_16_64 0
		.amdhsa_float_denorm_mode_32 3
		.amdhsa_float_denorm_mode_16_64 3
		.amdhsa_dx10_clamp 1
		.amdhsa_ieee_mode 1
		.amdhsa_fp16_overflow 0
		.amdhsa_workgroup_processor_mode 1
		.amdhsa_memory_ordered 1
		.amdhsa_forward_progress 1
		.amdhsa_shared_vgpr_count 0
		.amdhsa_exception_fp_ieee_invalid_op 0
		.amdhsa_exception_fp_denorm_src 0
		.amdhsa_exception_fp_ieee_div_zero 0
		.amdhsa_exception_fp_ieee_overflow 0
		.amdhsa_exception_fp_ieee_underflow 0
		.amdhsa_exception_fp_ieee_inexact 0
		.amdhsa_exception_int_div_zero 0
	.end_amdhsa_kernel
	.section	.text._ZN12_GLOBAL__N_120geam_min_plus_kernelIf15HIP_vector_typeIfLj2EES2_Li8ELi32ELi64ELi128ELi4ELi4ELi64ELi4ELi64ELc84ELc78ELb0ELb0ELb0EfKPKfKPfEEviiiT16_PT17_ilSA_ilS8_SA_ilPT18_ili26rocblas_geam_ex_operation_,"axG",@progbits,_ZN12_GLOBAL__N_120geam_min_plus_kernelIf15HIP_vector_typeIfLj2EES2_Li8ELi32ELi64ELi128ELi4ELi4ELi64ELi4ELi64ELc84ELc78ELb0ELb0ELb0EfKPKfKPfEEviiiT16_PT17_ilSA_ilS8_SA_ilPT18_ili26rocblas_geam_ex_operation_,comdat
.Lfunc_end35:
	.size	_ZN12_GLOBAL__N_120geam_min_plus_kernelIf15HIP_vector_typeIfLj2EES2_Li8ELi32ELi64ELi128ELi4ELi4ELi64ELi4ELi64ELc84ELc78ELb0ELb0ELb0EfKPKfKPfEEviiiT16_PT17_ilSA_ilS8_SA_ilPT18_ili26rocblas_geam_ex_operation_, .Lfunc_end35-_ZN12_GLOBAL__N_120geam_min_plus_kernelIf15HIP_vector_typeIfLj2EES2_Li8ELi32ELi64ELi128ELi4ELi4ELi64ELi4ELi64ELc84ELc78ELb0ELb0ELb0EfKPKfKPfEEviiiT16_PT17_ilSA_ilS8_SA_ilPT18_ili26rocblas_geam_ex_operation_
                                        ; -- End function
	.set _ZN12_GLOBAL__N_120geam_min_plus_kernelIf15HIP_vector_typeIfLj2EES2_Li8ELi32ELi64ELi128ELi4ELi4ELi64ELi4ELi64ELc84ELc78ELb0ELb0ELb0EfKPKfKPfEEviiiT16_PT17_ilSA_ilS8_SA_ilPT18_ili26rocblas_geam_ex_operation_.num_vgpr, 151
	.set _ZN12_GLOBAL__N_120geam_min_plus_kernelIf15HIP_vector_typeIfLj2EES2_Li8ELi32ELi64ELi128ELi4ELi4ELi64ELi4ELi64ELc84ELc78ELb0ELb0ELb0EfKPKfKPfEEviiiT16_PT17_ilSA_ilS8_SA_ilPT18_ili26rocblas_geam_ex_operation_.num_agpr, 0
	.set _ZN12_GLOBAL__N_120geam_min_plus_kernelIf15HIP_vector_typeIfLj2EES2_Li8ELi32ELi64ELi128ELi4ELi4ELi64ELi4ELi64ELc84ELc78ELb0ELb0ELb0EfKPKfKPfEEviiiT16_PT17_ilSA_ilS8_SA_ilPT18_ili26rocblas_geam_ex_operation_.numbered_sgpr, 24
	.set _ZN12_GLOBAL__N_120geam_min_plus_kernelIf15HIP_vector_typeIfLj2EES2_Li8ELi32ELi64ELi128ELi4ELi4ELi64ELi4ELi64ELc84ELc78ELb0ELb0ELb0EfKPKfKPfEEviiiT16_PT17_ilSA_ilS8_SA_ilPT18_ili26rocblas_geam_ex_operation_.num_named_barrier, 0
	.set _ZN12_GLOBAL__N_120geam_min_plus_kernelIf15HIP_vector_typeIfLj2EES2_Li8ELi32ELi64ELi128ELi4ELi4ELi64ELi4ELi64ELc84ELc78ELb0ELb0ELb0EfKPKfKPfEEviiiT16_PT17_ilSA_ilS8_SA_ilPT18_ili26rocblas_geam_ex_operation_.private_seg_size, 0
	.set _ZN12_GLOBAL__N_120geam_min_plus_kernelIf15HIP_vector_typeIfLj2EES2_Li8ELi32ELi64ELi128ELi4ELi4ELi64ELi4ELi64ELc84ELc78ELb0ELb0ELb0EfKPKfKPfEEviiiT16_PT17_ilSA_ilS8_SA_ilPT18_ili26rocblas_geam_ex_operation_.uses_vcc, 1
	.set _ZN12_GLOBAL__N_120geam_min_plus_kernelIf15HIP_vector_typeIfLj2EES2_Li8ELi32ELi64ELi128ELi4ELi4ELi64ELi4ELi64ELc84ELc78ELb0ELb0ELb0EfKPKfKPfEEviiiT16_PT17_ilSA_ilS8_SA_ilPT18_ili26rocblas_geam_ex_operation_.uses_flat_scratch, 1
	.set _ZN12_GLOBAL__N_120geam_min_plus_kernelIf15HIP_vector_typeIfLj2EES2_Li8ELi32ELi64ELi128ELi4ELi4ELi64ELi4ELi64ELc84ELc78ELb0ELb0ELb0EfKPKfKPfEEviiiT16_PT17_ilSA_ilS8_SA_ilPT18_ili26rocblas_geam_ex_operation_.has_dyn_sized_stack, 0
	.set _ZN12_GLOBAL__N_120geam_min_plus_kernelIf15HIP_vector_typeIfLj2EES2_Li8ELi32ELi64ELi128ELi4ELi4ELi64ELi4ELi64ELc84ELc78ELb0ELb0ELb0EfKPKfKPfEEviiiT16_PT17_ilSA_ilS8_SA_ilPT18_ili26rocblas_geam_ex_operation_.has_recursion, 0
	.set _ZN12_GLOBAL__N_120geam_min_plus_kernelIf15HIP_vector_typeIfLj2EES2_Li8ELi32ELi64ELi128ELi4ELi4ELi64ELi4ELi64ELc84ELc78ELb0ELb0ELb0EfKPKfKPfEEviiiT16_PT17_ilSA_ilS8_SA_ilPT18_ili26rocblas_geam_ex_operation_.has_indirect_call, 0
	.section	.AMDGPU.csdata,"",@progbits
; Kernel info:
; codeLenInByte = 7676
; TotalNumSgprs: 26
; NumVgprs: 151
; ScratchSize: 0
; MemoryBound: 0
; FloatMode: 240
; IeeeMode: 1
; LDSByteSize: 6144 bytes/workgroup (compile time only)
; SGPRBlocks: 0
; VGPRBlocks: 18
; NumSGPRsForWavesPerEU: 26
; NumVGPRsForWavesPerEU: 151
; Occupancy: 6
; WaveLimiterHint : 1
; COMPUTE_PGM_RSRC2:SCRATCH_EN: 0
; COMPUTE_PGM_RSRC2:USER_SGPR: 6
; COMPUTE_PGM_RSRC2:TRAP_HANDLER: 0
; COMPUTE_PGM_RSRC2:TGID_X_EN: 1
; COMPUTE_PGM_RSRC2:TGID_Y_EN: 0
; COMPUTE_PGM_RSRC2:TGID_Z_EN: 1
; COMPUTE_PGM_RSRC2:TIDIG_COMP_CNT: 1
	.section	.text._ZN12_GLOBAL__N_120geam_min_plus_kernelIf15HIP_vector_typeIfLj2EES2_Li8ELi32ELi64ELi128ELi4ELi4ELi64ELi4ELi64ELc84ELc78ELb0ELb1ELb0EPKfKS4_KPfEEviiiT16_PT17_ilSA_ilS8_SA_ilPT18_ili26rocblas_geam_ex_operation_,"axG",@progbits,_ZN12_GLOBAL__N_120geam_min_plus_kernelIf15HIP_vector_typeIfLj2EES2_Li8ELi32ELi64ELi128ELi4ELi4ELi64ELi4ELi64ELc84ELc78ELb0ELb1ELb0EPKfKS4_KPfEEviiiT16_PT17_ilSA_ilS8_SA_ilPT18_ili26rocblas_geam_ex_operation_,comdat
	.globl	_ZN12_GLOBAL__N_120geam_min_plus_kernelIf15HIP_vector_typeIfLj2EES2_Li8ELi32ELi64ELi128ELi4ELi4ELi64ELi4ELi64ELc84ELc78ELb0ELb1ELb0EPKfKS4_KPfEEviiiT16_PT17_ilSA_ilS8_SA_ilPT18_ili26rocblas_geam_ex_operation_ ; -- Begin function _ZN12_GLOBAL__N_120geam_min_plus_kernelIf15HIP_vector_typeIfLj2EES2_Li8ELi32ELi64ELi128ELi4ELi4ELi64ELi4ELi64ELc84ELc78ELb0ELb1ELb0EPKfKS4_KPfEEviiiT16_PT17_ilSA_ilS8_SA_ilPT18_ili26rocblas_geam_ex_operation_
	.p2align	8
	.type	_ZN12_GLOBAL__N_120geam_min_plus_kernelIf15HIP_vector_typeIfLj2EES2_Li8ELi32ELi64ELi128ELi4ELi4ELi64ELi4ELi64ELc84ELc78ELb0ELb1ELb0EPKfKS4_KPfEEviiiT16_PT17_ilSA_ilS8_SA_ilPT18_ili26rocblas_geam_ex_operation_,@function
_ZN12_GLOBAL__N_120geam_min_plus_kernelIf15HIP_vector_typeIfLj2EES2_Li8ELi32ELi64ELi128ELi4ELi4ELi64ELi4ELi64ELc84ELc78ELb0ELb1ELb0EPKfKS4_KPfEEviiiT16_PT17_ilSA_ilS8_SA_ilPT18_ili26rocblas_geam_ex_operation_: ; @_ZN12_GLOBAL__N_120geam_min_plus_kernelIf15HIP_vector_typeIfLj2EES2_Li8ELi32ELi64ELi128ELi4ELi4ELi64ELi4ELi64ELc84ELc78ELb0ELb1ELb0EPKfKS4_KPfEEviiiT16_PT17_ilSA_ilS8_SA_ilPT18_ili26rocblas_geam_ex_operation_
; %bb.0:
	s_clause 0x1
	s_load_dwordx4 s[12:15], s[4:5], 0x10
	s_load_dwordx4 s[0:3], s[4:5], 0x28
	s_mov_b32 s20, s7
	s_mov_b32 s21, 0
	s_mov_b64 s[18:19], 0
	s_lshl_b64 s[16:17], s[20:21], 2
	s_waitcnt lgkmcnt(0)
	s_add_u32 s8, s12, s16
	s_addc_u32 s9, s13, s17
	s_load_dword s23, s[8:9], 0x0
	s_clause 0x1
	s_load_dwordx4 s[8:11], s[4:5], 0x40
	s_load_dwordx2 s[12:13], s[4:5], 0x50
	s_waitcnt lgkmcnt(0)
	v_cmp_eq_f32_e64 s7, s23, 0
	v_cmp_neq_f32_e64 s24, s23, 0
	s_add_u32 s10, s10, s16
	s_addc_u32 s11, s11, s17
	s_mov_b64 s[16:17], 0
	s_and_b32 vcc_lo, exec_lo, s7
	s_cbranch_vccnz .LBB36_2
; %bb.1:
	s_lshl_b64 s[18:19], s[20:21], 3
	s_add_u32 s14, s14, s18
	s_addc_u32 s15, s15, s19
	s_lshl_b64 s[0:1], s[0:1], 2
	s_load_dwordx2 s[14:15], s[14:15], 0x0
	s_waitcnt lgkmcnt(0)
	s_add_u32 s18, s14, s0
	s_addc_u32 s19, s15, s1
.LBB36_2:
	s_load_dword s22, s[10:11], 0x0
	s_andn2_b32 vcc_lo, exec_lo, s24
	s_cbranch_vccnz .LBB36_4
; %bb.3:
	s_lshl_b64 s[0:1], s[20:21], 3
	s_add_u32 s0, s2, s0
	s_addc_u32 s1, s3, s1
	s_lshl_b64 s[2:3], s[8:9], 2
	s_load_dwordx2 s[0:1], s[0:1], 0x0
	s_waitcnt lgkmcnt(0)
	s_add_u32 s16, s0, s2
	s_addc_u32 s17, s1, s3
.LBB36_4:
	s_load_dwordx4 s[0:3], s[4:5], 0x60
	s_waitcnt lgkmcnt(0)
	v_cmp_eq_f32_e64 s8, s22, 0
	v_cmp_neq_f32_e64 s7, s22, 0
	s_and_b32 vcc_lo, exec_lo, s8
	s_cbranch_vccnz .LBB36_6
; %bb.5:
	s_lshl_b64 s[8:9], s[20:21], 3
	s_add_u32 s8, s12, s8
	s_addc_u32 s9, s13, s9
	s_lshl_b64 s[0:1], s[0:1], 2
	s_load_dwordx2 s[8:9], s[8:9], 0x0
	s_waitcnt lgkmcnt(0)
	s_add_u32 s10, s8, s0
	s_addc_u32 s11, s9, s1
	s_branch .LBB36_7
.LBB36_6:
	s_mov_b64 s[10:11], 0
.LBB36_7:
	s_clause 0x1
	s_load_dwordx4 s[12:15], s[4:5], 0x0
	s_load_dword s26, s[4:5], 0x20
	s_lshl_b64 s[0:1], s[20:21], 3
	v_and_b32_e32 v72, 3, v0
	s_add_u32 s8, s2, s0
	s_addc_u32 s9, s3, s1
	v_mov_b32_e32 v8, 0
	v_mov_b32_e32 v9, 0
	v_lshlrev_b32_e32 v4, 2, v72
	s_waitcnt lgkmcnt(0)
	s_add_i32 s0, s12, -1
	v_cmp_gt_i32_e32 vcc_lo, s14, v72
	s_ashr_i32 s1, s0, 31
	s_lshr_b32 s1, s1, 26
	s_add_i32 s0, s0, s1
	s_ashr_i32 s0, s0, 6
	s_add_i32 s2, s0, 1
	s_not_b32 s0, s0
	v_cvt_f32_u32_e32 v2, s2
	v_rcp_iflag_f32_e32 v2, v2
	v_mul_f32_e32 v2, 0x4f7ffffe, v2
	v_cvt_u32_f32_e32 v2, v2
	v_readfirstlane_b32 s1, v2
	v_lshl_add_u32 v2, v1, 3, v0
	s_mul_i32 s0, s0, s1
	v_lshrrev_b32_e32 v3, 2, v2
	s_mul_hi_u32 s0, s1, s0
	s_add_i32 s1, s1, s0
	s_mul_hi_u32 s0, s6, s1
	s_mul_i32 s1, s0, s2
	s_add_i32 s3, s0, 1
	s_sub_i32 s1, s6, s1
	s_sub_i32 s15, s1, s2
	s_cmp_ge_u32 s1, s2
	s_cselect_b32 s0, s3, s0
	s_cselect_b32 s1, s15, s1
	s_add_i32 s3, s0, 1
	s_cmp_ge_u32 s1, s2
	s_cselect_b32 s1, s3, s0
	s_mul_i32 s0, s1, s2
	s_sub_i32 s0, s6, s0
	s_lshl_b32 s6, s0, 6
	v_add_nc_u32_e32 v2, s6, v3
	v_cmp_gt_i32_e64 s0, s12, v2
	s_and_b32 s2, vcc_lo, s0
	s_and_b32 s3, s24, s2
	s_and_saveexec_b32 s2, s3
	s_cbranch_execz .LBB36_9
; %bb.8:
	v_mad_i64_i32 v[5:6], null, v2, s26, 0
	v_lshlrev_b64 v[5:6], 2, v[5:6]
	v_add_co_u32 v5, vcc_lo, s18, v5
	v_add_co_ci_u32_e64 v6, null, s19, v6, vcc_lo
	v_add_co_u32 v5, vcc_lo, v5, v4
	v_add_co_ci_u32_e64 v6, null, 0, v6, vcc_lo
	flat_load_dword v5, v[5:6]
	s_waitcnt vmcnt(0) lgkmcnt(0)
	v_mul_f32_e32 v9, s23, v5
.LBB36_9:
	s_or_b32 exec_lo, exec_lo, s2
	s_add_i32 s20, s14, -1
	s_load_dword s27, s[4:5], 0x38
	v_min_i32_e32 v6, s20, v72
	s_lshl_b32 s15, s1, 7
	v_cmp_le_i32_e32 vcc_lo, s14, v72
	v_add_nc_u32_e32 v5, s15, v3
	s_xor_b32 s3, s24, -1
	v_ashrrev_i32_e32 v7, 31, v6
	v_cmp_le_i32_e64 s1, s13, v5
	v_lshlrev_b64 v[6:7], 2, v[6:7]
	s_or_b32 s21, s1, s3
	s_nor_b32 s1, vcc_lo, s21
	v_add_co_u32 v11, s2, s16, v6
	v_add_co_ci_u32_e64 v12, null, s17, v7, s2
	s_and_saveexec_b32 s2, s1
	s_cbranch_execz .LBB36_11
; %bb.10:
	s_waitcnt lgkmcnt(0)
	v_mad_i64_i32 v[6:7], null, v5, s27, 0
	v_lshlrev_b64 v[6:7], 2, v[6:7]
	v_add_co_u32 v6, s1, v11, v6
	v_add_co_ci_u32_e64 v7, null, v12, v7, s1
	flat_load_dword v6, v[6:7]
	s_waitcnt vmcnt(0) lgkmcnt(0)
	v_mul_f32_e32 v8, s23, v6
.LBB36_11:
	s_or_b32 exec_lo, exec_lo, s2
	v_add_nc_u32_e32 v6, 64, v5
	v_mov_b32_e32 v7, 0
	v_mov_b32_e32 v10, 0
	v_cmp_le_i32_e64 s1, s13, v6
	s_or_b32 s25, s1, s3
	s_nor_b32 s2, vcc_lo, s25
	s_and_saveexec_b32 s1, s2
	s_cbranch_execz .LBB36_13
; %bb.12:
	s_waitcnt lgkmcnt(0)
	v_mad_i64_i32 v[13:14], null, v6, s27, 0
	v_lshlrev_b64 v[13:14], 2, v[13:14]
	v_add_co_u32 v10, vcc_lo, v11, v13
	v_add_co_ci_u32_e64 v11, null, v12, v14, vcc_lo
	flat_load_dword v10, v[10:11]
	s_waitcnt vmcnt(0) lgkmcnt(0)
	v_mul_f32_e32 v10, s23, v10
.LBB36_13:
	s_or_b32 exec_lo, exec_lo, s1
	v_or_b32_e32 v11, 4, v72
	v_cmp_gt_i32_e32 vcc_lo, s14, v11
	s_and_b32 s1, vcc_lo, s0
	s_and_b32 s2, s24, s1
	s_and_saveexec_b32 s1, s2
	s_cbranch_execz .LBB36_15
; %bb.14:
	v_mad_i64_i32 v[12:13], null, v2, s26, 0
	v_lshlrev_b64 v[12:13], 2, v[12:13]
	v_add_co_u32 v7, vcc_lo, s18, v12
	v_add_co_ci_u32_e64 v13, null, s19, v13, vcc_lo
	v_add_co_u32 v12, vcc_lo, v7, v4
	v_add_co_ci_u32_e64 v13, null, 0, v13, vcc_lo
	flat_load_dword v7, v[12:13] offset:16
	s_waitcnt vmcnt(0) lgkmcnt(0)
	v_mul_f32_e32 v7, s23, v7
.LBB36_15:
	s_or_b32 exec_lo, exec_lo, s1
	v_min_i32_e32 v12, s20, v11
	v_cmp_le_i32_e32 vcc_lo, s14, v11
	v_mov_b32_e32 v79, 0
	v_mov_b32_e32 v80, 0
	v_ashrrev_i32_e32 v13, 31, v12
	v_lshlrev_b64 v[12:13], 2, v[12:13]
	v_add_co_u32 v11, s1, s16, v12
	v_add_co_ci_u32_e64 v12, null, s17, v13, s1
	s_nor_b32 s1, vcc_lo, s21
	s_and_saveexec_b32 s2, s1
	s_cbranch_execz .LBB36_17
; %bb.16:
	s_waitcnt lgkmcnt(0)
	v_mad_i64_i32 v[13:14], null, v5, s27, 0
	v_lshlrev_b64 v[13:14], 2, v[13:14]
	v_add_co_u32 v13, s1, v11, v13
	v_add_co_ci_u32_e64 v14, null, v12, v14, s1
	flat_load_dword v13, v[13:14]
	s_waitcnt vmcnt(0) lgkmcnt(0)
	v_mul_f32_e32 v80, s23, v13
.LBB36_17:
	s_or_b32 exec_lo, exec_lo, s2
	s_load_dwordx2 s[2:3], s[8:9], 0x0
	s_nor_b32 s8, vcc_lo, s25
	s_and_saveexec_b32 s1, s8
	s_cbranch_execz .LBB36_19
; %bb.18:
	s_waitcnt lgkmcnt(0)
	v_mad_i64_i32 v[13:14], null, v6, s27, 0
	v_lshlrev_b64 v[13:14], 2, v[13:14]
	v_add_co_u32 v11, vcc_lo, v11, v13
	v_add_co_ci_u32_e64 v12, null, v12, v14, vcc_lo
	flat_load_dword v11, v[11:12]
	s_waitcnt vmcnt(0) lgkmcnt(0)
	v_mul_f32_e32 v79, s23, v11
.LBB36_19:
	s_or_b32 exec_lo, exec_lo, s1
	v_lshlrev_b32_e32 v11, 4, v3
	v_mov_b32_e32 v70, 0
	v_lshl_or_b32 v74, v0, 4, 0x1000
	v_lshlrev_b32_e32 v75, 4, v1
	s_mov_b32 s8, 0
	v_lshl_or_b32 v73, v72, 2, v11
	v_mov_b32_e32 v71, v70
	v_mov_b32_e32 v68, v70
	;; [unrolled: 1-line block ×4, first 2 shown]
	v_add_nc_u32_e32 v76, 0x1000, v73
	ds_write_b32 v73, v9 offset:4096
	ds_write2st64_b32 v73, v8, v10 offset1:4
	v_mov_b32_e32 v8, v70
	v_mov_b32_e32 v9, v70
	;; [unrolled: 1-line block ×59, first 2 shown]
	s_mov_b32 s1, -1
	s_waitcnt lgkmcnt(0)
	s_barrier
	buffer_gl0_inv
.LBB36_20:                              ; =>This Inner Loop Header: Depth=1
	s_lshl_b32 s8, s8, 2
	v_cndmask_b32_e64 v77, 0, 1, s1
	v_add_nc_u32_e32 v78, s8, v74
	v_add_nc_u32_e32 v101, s8, v75
	s_mov_b32 s1, 0
	s_mov_b32 s8, 2
	v_cmp_ne_u32_e32 vcc_lo, 1, v77
	ds_read2_b64 v[81:84], v78 offset1:16
	ds_read2_b64 v[85:88], v78 offset0:32 offset1:48
	ds_read2_b64 v[89:92], v78 offset0:64 offset1:80
	;; [unrolled: 1-line block ×3, first 2 shown]
	ds_read2st64_b64 v[97:100], v101 offset1:1
	ds_read2st64_b64 v[101:104], v101 offset0:2 offset1:3
	s_and_b32 vcc_lo, exec_lo, vcc_lo
	s_waitcnt lgkmcnt(5)
	v_max_f32_e32 v77, v81, v81
	v_max_f32_e32 v78, v82, v82
	v_max_f32_e32 v81, v83, v83
	v_max_f32_e32 v82, v84, v84
	s_waitcnt lgkmcnt(4)
	v_max_f32_e32 v83, v85, v85
	v_max_f32_e32 v84, v86, v86
	v_max_f32_e32 v85, v87, v87
	v_max_f32_e32 v86, v88, v88
	;; [unrolled: 5-line block ×6, first 2 shown]
	v_min_f32_e32 v103, v77, v95
	v_min_f32_e32 v104, v81, v95
	;; [unrolled: 1-line block ×64, first 2 shown]
	v_add_f32_e32 v71, v71, v101
	v_add_f32_e32 v70, v70, v103
	;; [unrolled: 1-line block ×64, first 2 shown]
	s_cbranch_vccz .LBB36_20
; %bb.21:
	v_lshl_or_b32 v3, v3, 4, v4
	v_lshl_add_u32 v77, v0, 4, 0x1400
	v_lshl_add_u32 v78, v1, 4, 0x800
	s_cmp_lt_i32 s14, 9
	ds_write_b32 v3, v7 offset:5120
	ds_write2st64_b32 v3, v80, v79 offset0:8 offset1:12
	s_waitcnt lgkmcnt(0)
	s_barrier
	buffer_gl0_inv
	s_cbranch_scc1 .LBB36_40
; %bb.22:
	v_mad_i64_i32 v[79:80], null, v2, s26, 0
	v_mad_i64_i32 v[4:5], null, v5, s27, 0
	;; [unrolled: 1-line block ×3, first 2 shown]
	s_add_i32 s8, s14, -8
	s_mov_b32 s9, 8
	v_lshlrev_b64 v[81:82], 2, v[79:80]
	v_add_nc_u32_e32 v79, 0x1400, v3
	v_add_nc_u32_e32 v80, 0x800, v3
	v_lshlrev_b64 v[2:3], 2, v[4:5]
	v_lshlrev_b64 v[4:5], 2, v[6:7]
	v_mov_b32_e32 v7, 0
	v_add_co_u32 v81, vcc_lo, s18, v81
	v_add_co_ci_u32_e64 v82, null, s19, v82, vcc_lo
	s_mov_b32 s18, 0
.LBB36_23:                              ; =>This Loop Header: Depth=1
                                        ;     Child Loop BB36_30 Depth 2
                                        ;     Child Loop BB36_38 Depth 2
	v_or_b32_e32 v6, s9, v72
	v_mov_b32_e32 v83, 0
	v_cmp_gt_i32_e32 vcc_lo, s14, v6
	s_and_b32 s1, vcc_lo, s0
	s_and_b32 s19, s24, s1
	s_and_saveexec_b32 s1, s19
	s_cbranch_execz .LBB36_25
; %bb.24:                               ;   in Loop: Header=BB36_23 Depth=1
	v_lshlrev_b64 v[83:84], 2, v[6:7]
	v_add_co_u32 v83, vcc_lo, v81, v83
	v_add_co_ci_u32_e64 v84, null, v82, v84, vcc_lo
	flat_load_dword v83, v[83:84]
	s_waitcnt vmcnt(0) lgkmcnt(0)
	v_mul_f32_e32 v83, s23, v83
.LBB36_25:                              ;   in Loop: Header=BB36_23 Depth=1
	s_or_b32 exec_lo, exec_lo, s1
	v_min_i32_e32 v84, s20, v6
	v_cmp_le_i32_e32 vcc_lo, s14, v6
	v_ashrrev_i32_e32 v85, 31, v84
	v_lshlrev_b64 v[86:87], 2, v[84:85]
	v_mov_b32_e32 v84, 0
	v_mov_b32_e32 v85, 0
	v_add_co_u32 v86, s1, s16, v86
	v_add_co_ci_u32_e64 v87, null, s17, v87, s1
	s_nor_b32 s1, s21, vcc_lo
	s_and_saveexec_b32 s19, s1
	s_cbranch_execz .LBB36_27
; %bb.26:                               ;   in Loop: Header=BB36_23 Depth=1
	v_add_co_u32 v88, s1, v86, v2
	v_add_co_ci_u32_e64 v89, null, v87, v3, s1
	flat_load_dword v85, v[88:89]
	s_waitcnt vmcnt(0) lgkmcnt(0)
	v_mul_f32_e32 v85, s23, v85
.LBB36_27:                              ;   in Loop: Header=BB36_23 Depth=1
	s_or_b32 exec_lo, exec_lo, s19
	s_nor_b32 s19, s25, vcc_lo
	s_and_saveexec_b32 s1, s19
	s_cbranch_execz .LBB36_29
; %bb.28:                               ;   in Loop: Header=BB36_23 Depth=1
	v_add_co_u32 v86, vcc_lo, v86, v4
	v_add_co_ci_u32_e64 v87, null, v87, v5, vcc_lo
	flat_load_dword v84, v[86:87]
	s_waitcnt vmcnt(0) lgkmcnt(0)
	v_mul_f32_e32 v84, s23, v84
.LBB36_29:                              ;   in Loop: Header=BB36_23 Depth=1
	s_or_b32 exec_lo, exec_lo, s1
	s_mov_b32 s19, 0
	s_mov_b32 s1, -1
.LBB36_30:                              ;   Parent Loop BB36_23 Depth=1
                                        ; =>  This Inner Loop Header: Depth=2
	s_lshl_b32 s19, s19, 2
	v_cndmask_b32_e64 v86, 0, 1, s1
	v_add_nc_u32_e32 v106, s19, v78
	v_add_nc_u32_e32 v102, s19, v77
	s_mov_b32 s1, 0
	s_mov_b32 s19, 2
	v_cmp_ne_u32_e32 vcc_lo, 1, v86
	ds_read2st64_b64 v[86:89], v106 offset1:1
	ds_read2_b64 v[90:93], v102 offset1:16
	ds_read2_b64 v[94:97], v102 offset0:32 offset1:48
	ds_read2_b64 v[98:101], v102 offset0:64 offset1:80
	ds_read2_b64 v[102:105], v102 offset0:96 offset1:112
	ds_read2st64_b64 v[106:109], v106 offset0:2 offset1:3
	s_and_b32 vcc_lo, exec_lo, vcc_lo
	s_waitcnt lgkmcnt(5)
	v_max_f32_e32 v86, v86, v86
	s_waitcnt lgkmcnt(4)
	v_max_f32_e32 v90, v90, v90
	v_max_f32_e32 v87, v87, v87
	;; [unrolled: 1-line block ×5, first 2 shown]
	s_waitcnt lgkmcnt(3)
	v_max_f32_e32 v94, v94, v94
	v_max_f32_e32 v95, v95, v95
	v_max_f32_e32 v96, v96, v96
	v_max_f32_e32 v97, v97, v97
	s_waitcnt lgkmcnt(2)
	v_max_f32_e32 v98, v98, v98
	v_max_f32_e32 v99, v99, v99
	v_max_f32_e32 v100, v100, v100
	v_max_f32_e32 v101, v101, v101
	;; [unrolled: 5-line block ×3, first 2 shown]
	v_max_f32_e32 v88, v88, v88
	v_max_f32_e32 v89, v89, v89
	s_waitcnt lgkmcnt(0)
	v_max_f32_e32 v106, v106, v106
	v_max_f32_e32 v107, v107, v107
	;; [unrolled: 1-line block ×4, first 2 shown]
	v_min_f32_e32 v110, v90, v86
	v_min_f32_e32 v111, v91, v87
	;; [unrolled: 1-line block ×64, first 2 shown]
	v_add_f32_e32 v71, v71, v111
	v_add_f32_e32 v70, v70, v110
	;; [unrolled: 1-line block ×64, first 2 shown]
	s_cbranch_vccz .LBB36_30
; %bb.31:                               ;   in Loop: Header=BB36_23 Depth=1
	v_or_b32_e32 v86, 4, v6
	ds_write_b32 v76, v83
	ds_write2st64_b32 v73, v85, v84 offset1:4
	v_mov_b32_e32 v83, 0
	v_mov_b32_e32 v84, 0
	v_cmp_gt_i32_e32 vcc_lo, s14, v86
	s_waitcnt lgkmcnt(0)
	s_barrier
	buffer_gl0_inv
	s_and_b32 s1, vcc_lo, s0
	s_and_b32 s19, s24, s1
	s_and_saveexec_b32 s1, s19
	s_cbranch_execz .LBB36_33
; %bb.32:                               ;   in Loop: Header=BB36_23 Depth=1
	v_lshlrev_b64 v[84:85], 2, v[6:7]
	v_add_co_u32 v84, vcc_lo, v81, v84
	v_add_co_ci_u32_e64 v85, null, v82, v85, vcc_lo
	flat_load_dword v6, v[84:85] offset:16
	s_waitcnt vmcnt(0) lgkmcnt(0)
	v_mul_f32_e32 v84, s23, v6
.LBB36_33:                              ;   in Loop: Header=BB36_23 Depth=1
	s_or_b32 exec_lo, exec_lo, s1
	v_min_i32_e32 v87, s20, v86
	v_cmp_le_i32_e32 vcc_lo, s14, v86
	v_ashrrev_i32_e32 v88, 31, v87
	v_lshlrev_b64 v[87:88], 2, v[87:88]
	v_add_co_u32 v85, s1, s16, v87
	v_add_co_ci_u32_e64 v86, null, s17, v88, s1
	s_nor_b32 s1, s21, vcc_lo
	s_and_saveexec_b32 s19, s1
	s_cbranch_execz .LBB36_35
; %bb.34:                               ;   in Loop: Header=BB36_23 Depth=1
	v_add_co_u32 v87, s1, v85, v2
	v_add_co_ci_u32_e64 v88, null, v86, v3, s1
	flat_load_dword v6, v[87:88]
	s_waitcnt vmcnt(0) lgkmcnt(0)
	v_mul_f32_e32 v83, s23, v6
.LBB36_35:                              ;   in Loop: Header=BB36_23 Depth=1
	s_or_b32 exec_lo, exec_lo, s19
	v_mov_b32_e32 v6, 0
	s_nor_b32 s19, s25, vcc_lo
	s_and_saveexec_b32 s1, s19
	s_cbranch_execz .LBB36_37
; %bb.36:                               ;   in Loop: Header=BB36_23 Depth=1
	v_add_co_u32 v85, vcc_lo, v85, v4
	v_add_co_ci_u32_e64 v86, null, v86, v5, vcc_lo
	flat_load_dword v6, v[85:86]
	s_waitcnt vmcnt(0) lgkmcnt(0)
	v_mul_f32_e32 v6, s23, v6
.LBB36_37:                              ;   in Loop: Header=BB36_23 Depth=1
	s_or_b32 exec_lo, exec_lo, s1
	s_mov_b32 s19, 0
	s_mov_b32 s1, -1
.LBB36_38:                              ;   Parent Loop BB36_23 Depth=1
                                        ; =>  This Inner Loop Header: Depth=2
	s_lshl_b32 s19, s19, 2
	v_cndmask_b32_e64 v85, 0, 1, s1
	v_add_nc_u32_e32 v105, s19, v75
	v_add_nc_u32_e32 v101, s19, v74
	s_mov_b32 s1, 0
	s_mov_b32 s19, 2
	v_cmp_ne_u32_e32 vcc_lo, 1, v85
	ds_read2st64_b64 v[85:88], v105 offset1:1
	ds_read2_b64 v[89:92], v101 offset1:16
	ds_read2_b64 v[93:96], v101 offset0:32 offset1:48
	ds_read2_b64 v[97:100], v101 offset0:64 offset1:80
	;; [unrolled: 1-line block ×3, first 2 shown]
	ds_read2st64_b64 v[105:108], v105 offset0:2 offset1:3
	s_and_b32 vcc_lo, exec_lo, vcc_lo
	s_waitcnt lgkmcnt(5)
	v_max_f32_e32 v85, v85, v85
	s_waitcnt lgkmcnt(4)
	v_max_f32_e32 v89, v89, v89
	v_max_f32_e32 v86, v86, v86
	;; [unrolled: 1-line block ×5, first 2 shown]
	s_waitcnt lgkmcnt(3)
	v_max_f32_e32 v93, v93, v93
	v_max_f32_e32 v94, v94, v94
	v_max_f32_e32 v95, v95, v95
	v_max_f32_e32 v96, v96, v96
	s_waitcnt lgkmcnt(2)
	v_max_f32_e32 v97, v97, v97
	v_max_f32_e32 v98, v98, v98
	v_max_f32_e32 v99, v99, v99
	v_max_f32_e32 v100, v100, v100
	;; [unrolled: 5-line block ×3, first 2 shown]
	v_max_f32_e32 v87, v87, v87
	v_max_f32_e32 v88, v88, v88
	s_waitcnt lgkmcnt(0)
	v_max_f32_e32 v105, v105, v105
	v_max_f32_e32 v106, v106, v106
	;; [unrolled: 1-line block ×4, first 2 shown]
	v_min_f32_e32 v109, v89, v85
	v_min_f32_e32 v110, v90, v86
	;; [unrolled: 1-line block ×64, first 2 shown]
	v_add_f32_e32 v71, v71, v110
	v_add_f32_e32 v70, v70, v109
	;; [unrolled: 1-line block ×64, first 2 shown]
	s_cbranch_vccz .LBB36_38
; %bb.39:                               ;   in Loop: Header=BB36_23 Depth=1
	s_add_i32 s18, s18, 8
	s_add_i32 s9, s9, 8
	s_cmp_ge_i32 s18, s8
	ds_write_b32 v79, v84
	ds_write2st64_b32 v80, v83, v6 offset1:4
	s_waitcnt lgkmcnt(0)
	s_barrier
	buffer_gl0_inv
	s_cbranch_scc0 .LBB36_23
.LBB36_40:
	s_mov_b32 s0, -1
.LBB36_41:                              ; =>This Inner Loop Header: Depth=1
	s_lshl_b32 s1, s1, 2
	v_cndmask_b32_e64 v2, 0, 1, s0
	v_add_nc_u32_e32 v6, s1, v78
	v_add_nc_u32_e32 v7, s1, v77
	s_mov_b32 s0, 0
	s_mov_b32 s1, 2
	v_cmp_ne_u32_e32 vcc_lo, 1, v2
	ds_read2st64_b64 v[2:5], v6 offset1:1
	ds_read2_b64 v[72:75], v7 offset1:16
	ds_read2_b64 v[79:82], v7 offset0:32 offset1:48
	ds_read2_b64 v[83:86], v7 offset0:64 offset1:80
	;; [unrolled: 1-line block ×3, first 2 shown]
	ds_read2st64_b64 v[91:94], v6 offset0:2 offset1:3
	s_and_b32 vcc_lo, exec_lo, vcc_lo
	s_waitcnt lgkmcnt(5)
	v_max_f32_e32 v2, v2, v2
	s_waitcnt lgkmcnt(4)
	v_max_f32_e32 v6, v72, v72
	v_max_f32_e32 v3, v3, v3
	;; [unrolled: 1-line block ×5, first 2 shown]
	s_waitcnt lgkmcnt(3)
	v_max_f32_e32 v74, v79, v79
	v_max_f32_e32 v75, v80, v80
	v_max_f32_e32 v76, v81, v81
	v_max_f32_e32 v79, v82, v82
	s_waitcnt lgkmcnt(2)
	v_max_f32_e32 v80, v83, v83
	v_max_f32_e32 v81, v84, v84
	v_max_f32_e32 v82, v85, v85
	v_max_f32_e32 v83, v86, v86
	;; [unrolled: 5-line block ×3, first 2 shown]
	v_max_f32_e32 v4, v4, v4
	v_max_f32_e32 v5, v5, v5
	s_waitcnt lgkmcnt(0)
	v_max_f32_e32 v88, v91, v91
	v_max_f32_e32 v89, v92, v92
	;; [unrolled: 1-line block ×4, first 2 shown]
	v_min_f32_e32 v92, v6, v2
	v_min_f32_e32 v93, v7, v3
	;; [unrolled: 1-line block ×64, first 2 shown]
	v_add_f32_e32 v71, v71, v93
	v_add_f32_e32 v70, v70, v92
	;; [unrolled: 1-line block ×64, first 2 shown]
	s_cbranch_vccz .LBB36_41
; %bb.42:
	s_clause 0x2
	s_load_dword s14, s[4:5], 0x58
	s_load_dword s9, s[4:5], 0x70
	s_load_dwordx2 s[4:5], s[4:5], 0x78
	v_add_nc_u32_e32 v73, s15, v1
	v_add_nc_u32_e32 v0, s6, v0
	v_cndmask_b32_e64 v72, 0, 1, s7
	v_cmp_gt_i32_e64 s8, s13, v73
	v_cmp_gt_i32_e64 s0, s12, v0
	s_waitcnt lgkmcnt(0)
	v_mad_i64_i32 v[1:2], null, v73, s14, 0
	v_mad_i64_i32 v[3:4], null, v73, s9, 0
	s_lshl_b64 s[4:5], s[4:5], 2
	s_add_u32 s15, s2, s4
	s_addc_u32 s16, s3, s5
	v_lshlrev_b64 v[5:6], 2, v[1:2]
	v_ashrrev_i32_e32 v1, 31, v0
	v_lshlrev_b64 v[2:3], 2, v[3:4]
	s_and_b32 s2, s0, s8
	v_add_co_u32 v76, vcc_lo, s10, v5
	v_add_co_ci_u32_e64 v77, null, s11, v6, vcc_lo
	v_add_co_u32 v74, vcc_lo, s15, v2
	v_add_co_ci_u32_e64 v75, null, s16, v3, vcc_lo
	s_and_saveexec_b32 s1, s2
	s_cbranch_execz .LBB36_47
; %bb.43:
	v_lshlrev_b64 v[2:3], 2, v[0:1]
	s_andn2_b32 vcc_lo, exec_lo, s7
	s_cbranch_vccnz .LBB36_45
; %bb.44:
	v_add_co_u32 v4, vcc_lo, v76, v2
	v_add_co_ci_u32_e64 v5, null, v77, v3, vcc_lo
	flat_load_dword v4, v[4:5]
	s_waitcnt vmcnt(0) lgkmcnt(0)
	v_mul_f32_e32 v4, s22, v4
	s_branch .LBB36_46
.LBB36_45:
	v_mov_b32_e32 v4, 0
.LBB36_46:
	v_add_f32_e32 v5, v70, v71
	v_add_co_u32 v2, vcc_lo, v74, v2
	v_add_co_ci_u32_e64 v3, null, v75, v3, vcc_lo
	v_add_f32_e32 v4, v5, v4
	flat_store_dword v[2:3], v4
.LBB36_47:
	s_or_b32 exec_lo, exec_lo, s1
	v_add_nc_u32_e32 v2, 8, v0
	v_cmp_gt_i32_e64 s1, s12, v2
	v_ashrrev_i32_e32 v3, 31, v2
	s_and_b32 s3, s1, s8
	s_and_saveexec_b32 s2, s3
	s_cbranch_execz .LBB36_52
; %bb.48:
	v_cmp_ne_u32_e32 vcc_lo, 1, v72
	v_lshlrev_b64 v[4:5], 2, v[2:3]
	s_cbranch_vccnz .LBB36_50
; %bb.49:
	v_add_co_u32 v6, vcc_lo, v76, v4
	v_add_co_ci_u32_e64 v7, null, v77, v5, vcc_lo
	flat_load_dword v6, v[6:7]
	s_waitcnt vmcnt(0) lgkmcnt(0)
	v_mul_f32_e32 v6, s22, v6
	s_branch .LBB36_51
.LBB36_50:
	v_mov_b32_e32 v6, 0
.LBB36_51:
	v_add_f32_e32 v7, v68, v69
	v_add_co_u32 v4, vcc_lo, v74, v4
	v_add_co_ci_u32_e64 v5, null, v75, v5, vcc_lo
	v_add_f32_e32 v6, v7, v6
	flat_store_dword v[4:5], v6
.LBB36_52:
	s_or_b32 exec_lo, exec_lo, s2
	v_add_nc_u32_e32 v4, 16, v0
	v_cmp_gt_i32_e64 s2, s12, v4
	v_ashrrev_i32_e32 v5, 31, v4
	s_and_b32 s4, s2, s8
	s_and_saveexec_b32 s3, s4
	s_cbranch_execz .LBB36_57
; %bb.53:
	v_cmp_ne_u32_e32 vcc_lo, 1, v72
	v_lshlrev_b64 v[6:7], 2, v[4:5]
	s_cbranch_vccnz .LBB36_55
; %bb.54:
	v_add_co_u32 v68, vcc_lo, v76, v6
	v_add_co_ci_u32_e64 v69, null, v77, v7, vcc_lo
	flat_load_dword v68, v[68:69]
	s_waitcnt vmcnt(0) lgkmcnt(0)
	v_mul_f32_e32 v68, s22, v68
	s_branch .LBB36_56
.LBB36_55:
	v_mov_b32_e32 v68, 0
.LBB36_56:
	v_add_f32_e32 v8, v8, v9
	v_add_co_u32 v6, vcc_lo, v74, v6
	v_add_co_ci_u32_e64 v7, null, v75, v7, vcc_lo
	v_add_f32_e32 v8, v8, v68
	flat_store_dword v[6:7], v8
.LBB36_57:
	;; [unrolled: 27-line block ×7, first 2 shown]
	s_or_b32 exec_lo, exec_lo, s8
	v_add_nc_u32_e32 v68, 32, v73
	v_mad_i64_i32 v[16:17], null, v68, s14, 0
	v_mad_i64_i32 v[66:67], null, v68, s9, 0
	v_cmp_gt_i32_e64 s8, s13, v68
	v_lshlrev_b64 v[16:17], 2, v[16:17]
	s_and_b32 s17, s0, s8
	v_lshlrev_b64 v[66:67], 2, v[66:67]
	v_add_co_u32 v68, vcc_lo, s10, v16
	v_add_co_ci_u32_e64 v69, null, s11, v17, vcc_lo
	v_add_co_u32 v66, vcc_lo, s15, v66
	v_add_co_ci_u32_e64 v67, null, s16, v67, vcc_lo
	s_and_saveexec_b32 s12, s17
	s_cbranch_execnz .LBB36_90
; %bb.83:
	s_or_b32 exec_lo, exec_lo, s12
	s_and_b32 s17, s1, s8
	s_and_saveexec_b32 s12, s17
	s_cbranch_execnz .LBB36_94
.LBB36_84:
	s_or_b32 exec_lo, exec_lo, s12
	s_and_b32 s17, s2, s8
	s_and_saveexec_b32 s12, s17
	s_cbranch_execnz .LBB36_98
.LBB36_85:
	s_or_b32 exec_lo, exec_lo, s12
	s_and_b32 s17, s3, s8
	s_and_saveexec_b32 s12, s17
	s_cbranch_execnz .LBB36_102
.LBB36_86:
	s_or_b32 exec_lo, exec_lo, s12
	s_and_b32 s17, s4, s8
	s_and_saveexec_b32 s12, s17
	s_cbranch_execnz .LBB36_106
.LBB36_87:
	s_or_b32 exec_lo, exec_lo, s12
	s_and_b32 s17, s5, s8
	s_and_saveexec_b32 s12, s17
	s_cbranch_execnz .LBB36_110
.LBB36_88:
	s_or_b32 exec_lo, exec_lo, s12
	s_and_b32 s17, s6, s8
	s_and_saveexec_b32 s12, s17
	s_cbranch_execnz .LBB36_114
.LBB36_89:
	s_or_b32 exec_lo, exec_lo, s12
	s_and_b32 s12, s7, s8
	s_and_saveexec_b32 s8, s12
	s_cbranch_execnz .LBB36_118
	s_branch .LBB36_122
.LBB36_90:
	v_cmp_ne_u32_e32 vcc_lo, 1, v72
	v_lshlrev_b64 v[16:17], 2, v[0:1]
	s_cbranch_vccnz .LBB36_92
; %bb.91:
	v_add_co_u32 v70, vcc_lo, v68, v16
	v_add_co_ci_u32_e64 v71, null, v69, v17, vcc_lo
	flat_load_dword v70, v[70:71]
	s_waitcnt vmcnt(0) lgkmcnt(0)
	v_mul_f32_e32 v70, s22, v70
	s_branch .LBB36_93
.LBB36_92:
	v_mov_b32_e32 v70, 0
.LBB36_93:
	v_add_f32_e32 v64, v64, v65
	v_add_co_u32 v16, vcc_lo, v66, v16
	v_add_co_ci_u32_e64 v17, null, v67, v17, vcc_lo
	v_add_f32_e32 v64, v64, v70
	flat_store_dword v[16:17], v64
	s_or_b32 exec_lo, exec_lo, s12
	s_and_b32 s17, s1, s8
	s_and_saveexec_b32 s12, s17
	s_cbranch_execz .LBB36_84
.LBB36_94:
	v_cmp_ne_u32_e32 vcc_lo, 1, v72
	v_lshlrev_b64 v[16:17], 2, v[2:3]
	s_cbranch_vccnz .LBB36_96
; %bb.95:
	v_add_co_u32 v64, vcc_lo, v68, v16
	v_add_co_ci_u32_e64 v65, null, v69, v17, vcc_lo
	flat_load_dword v64, v[64:65]
	s_waitcnt vmcnt(0) lgkmcnt(0)
	v_mul_f32_e32 v64, s22, v64
	s_branch .LBB36_97
.LBB36_96:
	v_mov_b32_e32 v64, 0
.LBB36_97:
	v_add_f32_e32 v62, v62, v63
	v_add_co_u32 v16, vcc_lo, v66, v16
	v_add_co_ci_u32_e64 v17, null, v67, v17, vcc_lo
	v_add_f32_e32 v62, v62, v64
	flat_store_dword v[16:17], v62
	s_or_b32 exec_lo, exec_lo, s12
	s_and_b32 s17, s2, s8
	s_and_saveexec_b32 s12, s17
	s_cbranch_execz .LBB36_85
.LBB36_98:
	v_cmp_ne_u32_e32 vcc_lo, 1, v72
	v_lshlrev_b64 v[16:17], 2, v[4:5]
	s_cbranch_vccnz .LBB36_100
; %bb.99:
	v_add_co_u32 v62, vcc_lo, v68, v16
	v_add_co_ci_u32_e64 v63, null, v69, v17, vcc_lo
	flat_load_dword v62, v[62:63]
	s_waitcnt vmcnt(0) lgkmcnt(0)
	v_mul_f32_e32 v62, s22, v62
	s_branch .LBB36_101
.LBB36_100:
	v_mov_b32_e32 v62, 0
.LBB36_101:
	v_add_f32_e32 v60, v60, v61
	v_add_co_u32 v16, vcc_lo, v66, v16
	v_add_co_ci_u32_e64 v17, null, v67, v17, vcc_lo
	v_add_f32_e32 v60, v60, v62
	flat_store_dword v[16:17], v60
	s_or_b32 exec_lo, exec_lo, s12
	s_and_b32 s17, s3, s8
	s_and_saveexec_b32 s12, s17
	s_cbranch_execz .LBB36_86
.LBB36_102:
	v_cmp_ne_u32_e32 vcc_lo, 1, v72
	v_lshlrev_b64 v[16:17], 2, v[6:7]
	s_cbranch_vccnz .LBB36_104
; %bb.103:
	v_add_co_u32 v60, vcc_lo, v68, v16
	v_add_co_ci_u32_e64 v61, null, v69, v17, vcc_lo
	flat_load_dword v60, v[60:61]
	s_waitcnt vmcnt(0) lgkmcnt(0)
	v_mul_f32_e32 v60, s22, v60
	s_branch .LBB36_105
.LBB36_104:
	v_mov_b32_e32 v60, 0
.LBB36_105:
	v_add_f32_e32 v58, v58, v59
	v_add_co_u32 v16, vcc_lo, v66, v16
	v_add_co_ci_u32_e64 v17, null, v67, v17, vcc_lo
	v_add_f32_e32 v58, v58, v60
	flat_store_dword v[16:17], v58
	s_or_b32 exec_lo, exec_lo, s12
	s_and_b32 s17, s4, s8
	s_and_saveexec_b32 s12, s17
	s_cbranch_execz .LBB36_87
.LBB36_106:
	v_cmp_ne_u32_e32 vcc_lo, 1, v72
	v_lshlrev_b64 v[16:17], 2, v[8:9]
	s_cbranch_vccnz .LBB36_108
; %bb.107:
	v_add_co_u32 v58, vcc_lo, v68, v16
	v_add_co_ci_u32_e64 v59, null, v69, v17, vcc_lo
	flat_load_dword v58, v[58:59]
	s_waitcnt vmcnt(0) lgkmcnt(0)
	v_mul_f32_e32 v58, s22, v58
	s_branch .LBB36_109
.LBB36_108:
	v_mov_b32_e32 v58, 0
.LBB36_109:
	v_add_f32_e32 v56, v56, v57
	v_add_co_u32 v16, vcc_lo, v66, v16
	v_add_co_ci_u32_e64 v17, null, v67, v17, vcc_lo
	v_add_f32_e32 v56, v56, v58
	flat_store_dword v[16:17], v56
	s_or_b32 exec_lo, exec_lo, s12
	s_and_b32 s17, s5, s8
	s_and_saveexec_b32 s12, s17
	s_cbranch_execz .LBB36_88
.LBB36_110:
	v_cmp_ne_u32_e32 vcc_lo, 1, v72
	v_lshlrev_b64 v[16:17], 2, v[10:11]
	s_cbranch_vccnz .LBB36_112
; %bb.111:
	v_add_co_u32 v56, vcc_lo, v68, v16
	v_add_co_ci_u32_e64 v57, null, v69, v17, vcc_lo
	flat_load_dword v56, v[56:57]
	s_waitcnt vmcnt(0) lgkmcnt(0)
	v_mul_f32_e32 v56, s22, v56
	s_branch .LBB36_113
.LBB36_112:
	v_mov_b32_e32 v56, 0
.LBB36_113:
	v_add_f32_e32 v54, v54, v55
	v_add_co_u32 v16, vcc_lo, v66, v16
	v_add_co_ci_u32_e64 v17, null, v67, v17, vcc_lo
	v_add_f32_e32 v54, v54, v56
	flat_store_dword v[16:17], v54
	s_or_b32 exec_lo, exec_lo, s12
	s_and_b32 s17, s6, s8
	s_and_saveexec_b32 s12, s17
	s_cbranch_execz .LBB36_89
.LBB36_114:
	v_cmp_ne_u32_e32 vcc_lo, 1, v72
	v_lshlrev_b64 v[16:17], 2, v[12:13]
	s_cbranch_vccnz .LBB36_116
; %bb.115:
	v_add_co_u32 v54, vcc_lo, v68, v16
	v_add_co_ci_u32_e64 v55, null, v69, v17, vcc_lo
	flat_load_dword v54, v[54:55]
	s_waitcnt vmcnt(0) lgkmcnt(0)
	v_mul_f32_e32 v54, s22, v54
	s_branch .LBB36_117
.LBB36_116:
	v_mov_b32_e32 v54, 0
.LBB36_117:
	v_add_f32_e32 v52, v52, v53
	v_add_co_u32 v16, vcc_lo, v66, v16
	v_add_co_ci_u32_e64 v17, null, v67, v17, vcc_lo
	v_add_f32_e32 v52, v52, v54
	flat_store_dword v[16:17], v52
	s_or_b32 exec_lo, exec_lo, s12
	s_and_b32 s12, s7, s8
	s_and_saveexec_b32 s8, s12
	s_cbranch_execz .LBB36_122
.LBB36_118:
	v_cmp_ne_u32_e32 vcc_lo, 1, v72
	v_lshlrev_b64 v[16:17], 2, v[14:15]
	s_cbranch_vccnz .LBB36_120
; %bb.119:
	v_add_co_u32 v52, vcc_lo, v68, v16
	v_add_co_ci_u32_e64 v53, null, v69, v17, vcc_lo
	flat_load_dword v52, v[52:53]
	s_waitcnt vmcnt(0) lgkmcnt(0)
	v_mul_f32_e32 v52, s22, v52
	s_branch .LBB36_121
.LBB36_120:
	v_mov_b32_e32 v52, 0
.LBB36_121:
	v_add_f32_e32 v50, v50, v51
	v_add_co_u32 v16, vcc_lo, v66, v16
	v_add_co_ci_u32_e64 v17, null, v67, v17, vcc_lo
	v_add_f32_e32 v50, v50, v52
	flat_store_dword v[16:17], v50
.LBB36_122:
	s_or_b32 exec_lo, exec_lo, s8
	v_add_nc_u32_e32 v52, 64, v73
	v_mad_i64_i32 v[16:17], null, v52, s14, 0
	v_mad_i64_i32 v[50:51], null, v52, s9, 0
	v_cmp_gt_i32_e64 s8, s13, v52
	v_lshlrev_b64 v[16:17], 2, v[16:17]
	s_and_b32 s17, s0, s8
	v_lshlrev_b64 v[50:51], 2, v[50:51]
	v_add_co_u32 v52, vcc_lo, s10, v16
	v_add_co_ci_u32_e64 v53, null, s11, v17, vcc_lo
	v_add_co_u32 v50, vcc_lo, s15, v50
	v_add_co_ci_u32_e64 v51, null, s16, v51, vcc_lo
	s_and_saveexec_b32 s12, s17
	s_cbranch_execnz .LBB36_130
; %bb.123:
	s_or_b32 exec_lo, exec_lo, s12
	s_and_b32 s17, s1, s8
	s_and_saveexec_b32 s12, s17
	s_cbranch_execnz .LBB36_134
.LBB36_124:
	s_or_b32 exec_lo, exec_lo, s12
	s_and_b32 s17, s2, s8
	s_and_saveexec_b32 s12, s17
	s_cbranch_execnz .LBB36_138
.LBB36_125:
	s_or_b32 exec_lo, exec_lo, s12
	s_and_b32 s17, s3, s8
	s_and_saveexec_b32 s12, s17
	s_cbranch_execnz .LBB36_142
.LBB36_126:
	s_or_b32 exec_lo, exec_lo, s12
	s_and_b32 s17, s4, s8
	s_and_saveexec_b32 s12, s17
	s_cbranch_execnz .LBB36_146
.LBB36_127:
	s_or_b32 exec_lo, exec_lo, s12
	s_and_b32 s17, s5, s8
	s_and_saveexec_b32 s12, s17
	s_cbranch_execnz .LBB36_150
.LBB36_128:
	s_or_b32 exec_lo, exec_lo, s12
	s_and_b32 s17, s6, s8
	s_and_saveexec_b32 s12, s17
	s_cbranch_execnz .LBB36_154
.LBB36_129:
	s_or_b32 exec_lo, exec_lo, s12
	s_and_b32 s12, s7, s8
	s_and_saveexec_b32 s8, s12
	s_cbranch_execnz .LBB36_158
	s_branch .LBB36_162
.LBB36_130:
	v_cmp_ne_u32_e32 vcc_lo, 1, v72
	v_lshlrev_b64 v[16:17], 2, v[0:1]
	s_cbranch_vccnz .LBB36_132
; %bb.131:
	v_add_co_u32 v54, vcc_lo, v52, v16
	v_add_co_ci_u32_e64 v55, null, v53, v17, vcc_lo
	flat_load_dword v54, v[54:55]
	s_waitcnt vmcnt(0) lgkmcnt(0)
	v_mul_f32_e32 v54, s22, v54
	s_branch .LBB36_133
.LBB36_132:
	v_mov_b32_e32 v54, 0
.LBB36_133:
	v_add_f32_e32 v48, v48, v49
	v_add_co_u32 v16, vcc_lo, v50, v16
	v_add_co_ci_u32_e64 v17, null, v51, v17, vcc_lo
	v_add_f32_e32 v48, v48, v54
	flat_store_dword v[16:17], v48
	s_or_b32 exec_lo, exec_lo, s12
	s_and_b32 s17, s1, s8
	s_and_saveexec_b32 s12, s17
	s_cbranch_execz .LBB36_124
.LBB36_134:
	v_cmp_ne_u32_e32 vcc_lo, 1, v72
	v_lshlrev_b64 v[16:17], 2, v[2:3]
	s_cbranch_vccnz .LBB36_136
; %bb.135:
	v_add_co_u32 v48, vcc_lo, v52, v16
	v_add_co_ci_u32_e64 v49, null, v53, v17, vcc_lo
	flat_load_dword v48, v[48:49]
	s_waitcnt vmcnt(0) lgkmcnt(0)
	v_mul_f32_e32 v48, s22, v48
	s_branch .LBB36_137
.LBB36_136:
	v_mov_b32_e32 v48, 0
.LBB36_137:
	v_add_f32_e32 v46, v46, v47
	v_add_co_u32 v16, vcc_lo, v50, v16
	v_add_co_ci_u32_e64 v17, null, v51, v17, vcc_lo
	v_add_f32_e32 v46, v46, v48
	flat_store_dword v[16:17], v46
	s_or_b32 exec_lo, exec_lo, s12
	s_and_b32 s17, s2, s8
	s_and_saveexec_b32 s12, s17
	s_cbranch_execz .LBB36_125
.LBB36_138:
	v_cmp_ne_u32_e32 vcc_lo, 1, v72
	v_lshlrev_b64 v[16:17], 2, v[4:5]
	s_cbranch_vccnz .LBB36_140
; %bb.139:
	v_add_co_u32 v46, vcc_lo, v52, v16
	v_add_co_ci_u32_e64 v47, null, v53, v17, vcc_lo
	flat_load_dword v46, v[46:47]
	s_waitcnt vmcnt(0) lgkmcnt(0)
	v_mul_f32_e32 v46, s22, v46
	s_branch .LBB36_141
.LBB36_140:
	v_mov_b32_e32 v46, 0
.LBB36_141:
	v_add_f32_e32 v44, v44, v45
	v_add_co_u32 v16, vcc_lo, v50, v16
	v_add_co_ci_u32_e64 v17, null, v51, v17, vcc_lo
	v_add_f32_e32 v44, v44, v46
	flat_store_dword v[16:17], v44
	s_or_b32 exec_lo, exec_lo, s12
	s_and_b32 s17, s3, s8
	s_and_saveexec_b32 s12, s17
	s_cbranch_execz .LBB36_126
.LBB36_142:
	v_cmp_ne_u32_e32 vcc_lo, 1, v72
	v_lshlrev_b64 v[16:17], 2, v[6:7]
	s_cbranch_vccnz .LBB36_144
; %bb.143:
	v_add_co_u32 v44, vcc_lo, v52, v16
	v_add_co_ci_u32_e64 v45, null, v53, v17, vcc_lo
	flat_load_dword v44, v[44:45]
	s_waitcnt vmcnt(0) lgkmcnt(0)
	v_mul_f32_e32 v44, s22, v44
	s_branch .LBB36_145
.LBB36_144:
	v_mov_b32_e32 v44, 0
.LBB36_145:
	v_add_f32_e32 v42, v42, v43
	v_add_co_u32 v16, vcc_lo, v50, v16
	v_add_co_ci_u32_e64 v17, null, v51, v17, vcc_lo
	v_add_f32_e32 v42, v42, v44
	flat_store_dword v[16:17], v42
	s_or_b32 exec_lo, exec_lo, s12
	s_and_b32 s17, s4, s8
	s_and_saveexec_b32 s12, s17
	s_cbranch_execz .LBB36_127
.LBB36_146:
	v_cmp_ne_u32_e32 vcc_lo, 1, v72
	v_lshlrev_b64 v[16:17], 2, v[8:9]
	s_cbranch_vccnz .LBB36_148
; %bb.147:
	v_add_co_u32 v42, vcc_lo, v52, v16
	v_add_co_ci_u32_e64 v43, null, v53, v17, vcc_lo
	flat_load_dword v42, v[42:43]
	s_waitcnt vmcnt(0) lgkmcnt(0)
	v_mul_f32_e32 v42, s22, v42
	s_branch .LBB36_149
.LBB36_148:
	v_mov_b32_e32 v42, 0
.LBB36_149:
	v_add_f32_e32 v40, v40, v41
	v_add_co_u32 v16, vcc_lo, v50, v16
	v_add_co_ci_u32_e64 v17, null, v51, v17, vcc_lo
	v_add_f32_e32 v40, v40, v42
	flat_store_dword v[16:17], v40
	s_or_b32 exec_lo, exec_lo, s12
	s_and_b32 s17, s5, s8
	s_and_saveexec_b32 s12, s17
	s_cbranch_execz .LBB36_128
.LBB36_150:
	v_cmp_ne_u32_e32 vcc_lo, 1, v72
	v_lshlrev_b64 v[16:17], 2, v[10:11]
	s_cbranch_vccnz .LBB36_152
; %bb.151:
	v_add_co_u32 v40, vcc_lo, v52, v16
	v_add_co_ci_u32_e64 v41, null, v53, v17, vcc_lo
	flat_load_dword v40, v[40:41]
	s_waitcnt vmcnt(0) lgkmcnt(0)
	v_mul_f32_e32 v40, s22, v40
	s_branch .LBB36_153
.LBB36_152:
	v_mov_b32_e32 v40, 0
.LBB36_153:
	v_add_f32_e32 v38, v38, v39
	v_add_co_u32 v16, vcc_lo, v50, v16
	v_add_co_ci_u32_e64 v17, null, v51, v17, vcc_lo
	v_add_f32_e32 v38, v38, v40
	flat_store_dword v[16:17], v38
	s_or_b32 exec_lo, exec_lo, s12
	s_and_b32 s17, s6, s8
	s_and_saveexec_b32 s12, s17
	s_cbranch_execz .LBB36_129
.LBB36_154:
	v_cmp_ne_u32_e32 vcc_lo, 1, v72
	v_lshlrev_b64 v[16:17], 2, v[12:13]
	s_cbranch_vccnz .LBB36_156
; %bb.155:
	v_add_co_u32 v38, vcc_lo, v52, v16
	v_add_co_ci_u32_e64 v39, null, v53, v17, vcc_lo
	flat_load_dword v38, v[38:39]
	s_waitcnt vmcnt(0) lgkmcnt(0)
	v_mul_f32_e32 v38, s22, v38
	s_branch .LBB36_157
.LBB36_156:
	v_mov_b32_e32 v38, 0
.LBB36_157:
	v_add_f32_e32 v36, v36, v37
	v_add_co_u32 v16, vcc_lo, v50, v16
	v_add_co_ci_u32_e64 v17, null, v51, v17, vcc_lo
	v_add_f32_e32 v36, v36, v38
	flat_store_dword v[16:17], v36
	s_or_b32 exec_lo, exec_lo, s12
	s_and_b32 s12, s7, s8
	s_and_saveexec_b32 s8, s12
	s_cbranch_execz .LBB36_162
.LBB36_158:
	v_cmp_ne_u32_e32 vcc_lo, 1, v72
	v_lshlrev_b64 v[16:17], 2, v[14:15]
	s_cbranch_vccnz .LBB36_160
; %bb.159:
	v_add_co_u32 v36, vcc_lo, v52, v16
	v_add_co_ci_u32_e64 v37, null, v53, v17, vcc_lo
	flat_load_dword v36, v[36:37]
	s_waitcnt vmcnt(0) lgkmcnt(0)
	v_mul_f32_e32 v36, s22, v36
	s_branch .LBB36_161
.LBB36_160:
	v_mov_b32_e32 v36, 0
.LBB36_161:
	v_add_f32_e32 v34, v34, v35
	v_add_co_u32 v16, vcc_lo, v50, v16
	v_add_co_ci_u32_e64 v17, null, v51, v17, vcc_lo
	v_add_f32_e32 v34, v34, v36
	flat_store_dword v[16:17], v34
.LBB36_162:
	s_or_b32 exec_lo, exec_lo, s8
	v_add_nc_u32_e32 v36, 0x60, v73
	v_mad_i64_i32 v[16:17], null, v36, s14, 0
	v_mad_i64_i32 v[34:35], null, v36, s9, 0
	v_cmp_gt_i32_e64 s8, s13, v36
	v_lshlrev_b64 v[16:17], 2, v[16:17]
	s_and_b32 s9, s0, s8
	v_lshlrev_b64 v[36:37], 2, v[34:35]
	v_add_co_u32 v34, vcc_lo, s10, v16
	v_add_co_ci_u32_e64 v35, null, s11, v17, vcc_lo
	v_add_co_u32 v16, vcc_lo, s15, v36
	v_add_co_ci_u32_e64 v17, null, s16, v37, vcc_lo
	s_and_saveexec_b32 s0, s9
	s_cbranch_execnz .LBB36_171
; %bb.163:
	s_or_b32 exec_lo, exec_lo, s0
	s_and_b32 s1, s1, s8
	s_and_saveexec_b32 s0, s1
	s_cbranch_execnz .LBB36_175
.LBB36_164:
	s_or_b32 exec_lo, exec_lo, s0
	s_and_b32 s1, s2, s8
	s_and_saveexec_b32 s0, s1
	s_cbranch_execnz .LBB36_179
.LBB36_165:
	s_or_b32 exec_lo, exec_lo, s0
	s_and_b32 s1, s3, s8
	s_and_saveexec_b32 s0, s1
	s_cbranch_execnz .LBB36_183
.LBB36_166:
	s_or_b32 exec_lo, exec_lo, s0
	s_and_b32 s1, s4, s8
	s_and_saveexec_b32 s0, s1
	s_cbranch_execnz .LBB36_187
.LBB36_167:
	s_or_b32 exec_lo, exec_lo, s0
	s_and_b32 s1, s5, s8
	s_and_saveexec_b32 s0, s1
	s_cbranch_execnz .LBB36_191
.LBB36_168:
	s_or_b32 exec_lo, exec_lo, s0
	s_and_b32 s1, s6, s8
	s_and_saveexec_b32 s0, s1
	s_cbranch_execnz .LBB36_195
.LBB36_169:
	s_or_b32 exec_lo, exec_lo, s0
	s_and_b32 s0, s7, s8
	s_and_saveexec_b32 s1, s0
	s_cbranch_execnz .LBB36_199
.LBB36_170:
	s_endpgm
.LBB36_171:
	v_cmp_ne_u32_e32 vcc_lo, 1, v72
	v_lshlrev_b64 v[0:1], 2, v[0:1]
	s_cbranch_vccnz .LBB36_173
; %bb.172:
	v_add_co_u32 v36, vcc_lo, v34, v0
	v_add_co_ci_u32_e64 v37, null, v35, v1, vcc_lo
	flat_load_dword v36, v[36:37]
	s_waitcnt vmcnt(0) lgkmcnt(0)
	v_mul_f32_e32 v36, s22, v36
	s_branch .LBB36_174
.LBB36_173:
	v_mov_b32_e32 v36, 0
.LBB36_174:
	v_add_f32_e32 v32, v32, v33
	v_add_co_u32 v0, vcc_lo, v16, v0
	v_add_co_ci_u32_e64 v1, null, v17, v1, vcc_lo
	v_add_f32_e32 v32, v32, v36
	flat_store_dword v[0:1], v32
	s_or_b32 exec_lo, exec_lo, s0
	s_and_b32 s1, s1, s8
	s_and_saveexec_b32 s0, s1
	s_cbranch_execz .LBB36_164
.LBB36_175:
	v_cmp_ne_u32_e32 vcc_lo, 1, v72
	v_lshlrev_b64 v[0:1], 2, v[2:3]
	s_cbranch_vccnz .LBB36_177
; %bb.176:
	v_add_co_u32 v2, vcc_lo, v34, v0
	v_add_co_ci_u32_e64 v3, null, v35, v1, vcc_lo
	flat_load_dword v2, v[2:3]
	s_waitcnt vmcnt(0) lgkmcnt(0)
	v_mul_f32_e32 v2, s22, v2
	s_branch .LBB36_178
.LBB36_177:
	v_mov_b32_e32 v2, 0
.LBB36_178:
	v_add_f32_e32 v3, v30, v31
	v_add_co_u32 v0, vcc_lo, v16, v0
	v_add_co_ci_u32_e64 v1, null, v17, v1, vcc_lo
	v_add_f32_e32 v2, v3, v2
	flat_store_dword v[0:1], v2
	s_or_b32 exec_lo, exec_lo, s0
	s_and_b32 s1, s2, s8
	s_and_saveexec_b32 s0, s1
	s_cbranch_execz .LBB36_165
.LBB36_179:
	v_cmp_ne_u32_e32 vcc_lo, 1, v72
	v_lshlrev_b64 v[0:1], 2, v[4:5]
	s_cbranch_vccnz .LBB36_181
; %bb.180:
	v_add_co_u32 v2, vcc_lo, v34, v0
	v_add_co_ci_u32_e64 v3, null, v35, v1, vcc_lo
	flat_load_dword v2, v[2:3]
	s_waitcnt vmcnt(0) lgkmcnt(0)
	v_mul_f32_e32 v2, s22, v2
	s_branch .LBB36_182
.LBB36_181:
	v_mov_b32_e32 v2, 0
.LBB36_182:
	v_add_f32_e32 v3, v28, v29
	v_add_co_u32 v0, vcc_lo, v16, v0
	v_add_co_ci_u32_e64 v1, null, v17, v1, vcc_lo
	v_add_f32_e32 v2, v3, v2
	flat_store_dword v[0:1], v2
	s_or_b32 exec_lo, exec_lo, s0
	s_and_b32 s1, s3, s8
	s_and_saveexec_b32 s0, s1
	s_cbranch_execz .LBB36_166
.LBB36_183:
	v_cmp_ne_u32_e32 vcc_lo, 1, v72
	v_lshlrev_b64 v[0:1], 2, v[6:7]
	s_cbranch_vccnz .LBB36_185
; %bb.184:
	v_add_co_u32 v2, vcc_lo, v34, v0
	v_add_co_ci_u32_e64 v3, null, v35, v1, vcc_lo
	flat_load_dword v2, v[2:3]
	s_waitcnt vmcnt(0) lgkmcnt(0)
	v_mul_f32_e32 v2, s22, v2
	s_branch .LBB36_186
.LBB36_185:
	v_mov_b32_e32 v2, 0
.LBB36_186:
	v_add_f32_e32 v3, v26, v27
	v_add_co_u32 v0, vcc_lo, v16, v0
	v_add_co_ci_u32_e64 v1, null, v17, v1, vcc_lo
	v_add_f32_e32 v2, v3, v2
	flat_store_dword v[0:1], v2
	s_or_b32 exec_lo, exec_lo, s0
	s_and_b32 s1, s4, s8
	s_and_saveexec_b32 s0, s1
	s_cbranch_execz .LBB36_167
.LBB36_187:
	v_cmp_ne_u32_e32 vcc_lo, 1, v72
	v_lshlrev_b64 v[0:1], 2, v[8:9]
	s_cbranch_vccnz .LBB36_189
; %bb.188:
	v_add_co_u32 v2, vcc_lo, v34, v0
	v_add_co_ci_u32_e64 v3, null, v35, v1, vcc_lo
	flat_load_dword v2, v[2:3]
	s_waitcnt vmcnt(0) lgkmcnt(0)
	v_mul_f32_e32 v2, s22, v2
	s_branch .LBB36_190
.LBB36_189:
	v_mov_b32_e32 v2, 0
.LBB36_190:
	v_add_f32_e32 v3, v24, v25
	v_add_co_u32 v0, vcc_lo, v16, v0
	v_add_co_ci_u32_e64 v1, null, v17, v1, vcc_lo
	v_add_f32_e32 v2, v3, v2
	flat_store_dword v[0:1], v2
	s_or_b32 exec_lo, exec_lo, s0
	s_and_b32 s1, s5, s8
	s_and_saveexec_b32 s0, s1
	s_cbranch_execz .LBB36_168
.LBB36_191:
	v_cmp_ne_u32_e32 vcc_lo, 1, v72
	v_lshlrev_b64 v[0:1], 2, v[10:11]
	s_cbranch_vccnz .LBB36_193
; %bb.192:
	v_add_co_u32 v2, vcc_lo, v34, v0
	v_add_co_ci_u32_e64 v3, null, v35, v1, vcc_lo
	flat_load_dword v2, v[2:3]
	s_waitcnt vmcnt(0) lgkmcnt(0)
	v_mul_f32_e32 v2, s22, v2
	s_branch .LBB36_194
.LBB36_193:
	v_mov_b32_e32 v2, 0
.LBB36_194:
	v_add_f32_e32 v3, v22, v23
	v_add_co_u32 v0, vcc_lo, v16, v0
	v_add_co_ci_u32_e64 v1, null, v17, v1, vcc_lo
	v_add_f32_e32 v2, v3, v2
	flat_store_dword v[0:1], v2
	s_or_b32 exec_lo, exec_lo, s0
	s_and_b32 s1, s6, s8
	s_and_saveexec_b32 s0, s1
	s_cbranch_execz .LBB36_169
.LBB36_195:
	v_cmp_ne_u32_e32 vcc_lo, 1, v72
	v_lshlrev_b64 v[0:1], 2, v[12:13]
	s_cbranch_vccnz .LBB36_197
; %bb.196:
	v_add_co_u32 v2, vcc_lo, v34, v0
	v_add_co_ci_u32_e64 v3, null, v35, v1, vcc_lo
	flat_load_dword v2, v[2:3]
	s_waitcnt vmcnt(0) lgkmcnt(0)
	v_mul_f32_e32 v2, s22, v2
	s_branch .LBB36_198
.LBB36_197:
	v_mov_b32_e32 v2, 0
.LBB36_198:
	v_add_f32_e32 v3, v20, v21
	v_add_co_u32 v0, vcc_lo, v16, v0
	v_add_co_ci_u32_e64 v1, null, v17, v1, vcc_lo
	v_add_f32_e32 v2, v3, v2
	flat_store_dword v[0:1], v2
	s_or_b32 exec_lo, exec_lo, s0
	s_and_b32 s0, s7, s8
	s_and_saveexec_b32 s1, s0
	s_cbranch_execz .LBB36_170
.LBB36_199:
	v_cmp_ne_u32_e32 vcc_lo, 1, v72
	v_lshlrev_b64 v[0:1], 2, v[14:15]
	s_cbranch_vccnz .LBB36_201
; %bb.200:
	v_add_co_u32 v2, vcc_lo, v34, v0
	v_add_co_ci_u32_e64 v3, null, v35, v1, vcc_lo
	flat_load_dword v2, v[2:3]
	s_waitcnt vmcnt(0) lgkmcnt(0)
	v_mul_f32_e32 v2, s22, v2
	s_branch .LBB36_202
.LBB36_201:
	v_mov_b32_e32 v2, 0
.LBB36_202:
	v_add_f32_e32 v3, v18, v19
	v_add_co_u32 v0, vcc_lo, v16, v0
	v_add_co_ci_u32_e64 v1, null, v17, v1, vcc_lo
	v_add_f32_e32 v2, v3, v2
	flat_store_dword v[0:1], v2
	s_endpgm
	.section	.rodata,"a",@progbits
	.p2align	6, 0x0
	.amdhsa_kernel _ZN12_GLOBAL__N_120geam_min_plus_kernelIf15HIP_vector_typeIfLj2EES2_Li8ELi32ELi64ELi128ELi4ELi4ELi64ELi4ELi64ELc84ELc78ELb0ELb1ELb0EPKfKS4_KPfEEviiiT16_PT17_ilSA_ilS8_SA_ilPT18_ili26rocblas_geam_ex_operation_
		.amdhsa_group_segment_fixed_size 6144
		.amdhsa_private_segment_fixed_size 0
		.amdhsa_kernarg_size 136
		.amdhsa_user_sgpr_count 6
		.amdhsa_user_sgpr_private_segment_buffer 1
		.amdhsa_user_sgpr_dispatch_ptr 0
		.amdhsa_user_sgpr_queue_ptr 0
		.amdhsa_user_sgpr_kernarg_segment_ptr 1
		.amdhsa_user_sgpr_dispatch_id 0
		.amdhsa_user_sgpr_flat_scratch_init 0
		.amdhsa_user_sgpr_private_segment_size 0
		.amdhsa_wavefront_size32 1
		.amdhsa_uses_dynamic_stack 0
		.amdhsa_system_sgpr_private_segment_wavefront_offset 0
		.amdhsa_system_sgpr_workgroup_id_x 1
		.amdhsa_system_sgpr_workgroup_id_y 0
		.amdhsa_system_sgpr_workgroup_id_z 1
		.amdhsa_system_sgpr_workgroup_info 0
		.amdhsa_system_vgpr_workitem_id 1
		.amdhsa_next_free_vgpr 152
		.amdhsa_next_free_sgpr 28
		.amdhsa_reserve_vcc 1
		.amdhsa_reserve_flat_scratch 0
		.amdhsa_float_round_mode_32 0
		.amdhsa_float_round_mode_16_64 0
		.amdhsa_float_denorm_mode_32 3
		.amdhsa_float_denorm_mode_16_64 3
		.amdhsa_dx10_clamp 1
		.amdhsa_ieee_mode 1
		.amdhsa_fp16_overflow 0
		.amdhsa_workgroup_processor_mode 1
		.amdhsa_memory_ordered 1
		.amdhsa_forward_progress 1
		.amdhsa_shared_vgpr_count 0
		.amdhsa_exception_fp_ieee_invalid_op 0
		.amdhsa_exception_fp_denorm_src 0
		.amdhsa_exception_fp_ieee_div_zero 0
		.amdhsa_exception_fp_ieee_overflow 0
		.amdhsa_exception_fp_ieee_underflow 0
		.amdhsa_exception_fp_ieee_inexact 0
		.amdhsa_exception_int_div_zero 0
	.end_amdhsa_kernel
	.section	.text._ZN12_GLOBAL__N_120geam_min_plus_kernelIf15HIP_vector_typeIfLj2EES2_Li8ELi32ELi64ELi128ELi4ELi4ELi64ELi4ELi64ELc84ELc78ELb0ELb1ELb0EPKfKS4_KPfEEviiiT16_PT17_ilSA_ilS8_SA_ilPT18_ili26rocblas_geam_ex_operation_,"axG",@progbits,_ZN12_GLOBAL__N_120geam_min_plus_kernelIf15HIP_vector_typeIfLj2EES2_Li8ELi32ELi64ELi128ELi4ELi4ELi64ELi4ELi64ELc84ELc78ELb0ELb1ELb0EPKfKS4_KPfEEviiiT16_PT17_ilSA_ilS8_SA_ilPT18_ili26rocblas_geam_ex_operation_,comdat
.Lfunc_end36:
	.size	_ZN12_GLOBAL__N_120geam_min_plus_kernelIf15HIP_vector_typeIfLj2EES2_Li8ELi32ELi64ELi128ELi4ELi4ELi64ELi4ELi64ELc84ELc78ELb0ELb1ELb0EPKfKS4_KPfEEviiiT16_PT17_ilSA_ilS8_SA_ilPT18_ili26rocblas_geam_ex_operation_, .Lfunc_end36-_ZN12_GLOBAL__N_120geam_min_plus_kernelIf15HIP_vector_typeIfLj2EES2_Li8ELi32ELi64ELi128ELi4ELi4ELi64ELi4ELi64ELc84ELc78ELb0ELb1ELb0EPKfKS4_KPfEEviiiT16_PT17_ilSA_ilS8_SA_ilPT18_ili26rocblas_geam_ex_operation_
                                        ; -- End function
	.set _ZN12_GLOBAL__N_120geam_min_plus_kernelIf15HIP_vector_typeIfLj2EES2_Li8ELi32ELi64ELi128ELi4ELi4ELi64ELi4ELi64ELc84ELc78ELb0ELb1ELb0EPKfKS4_KPfEEviiiT16_PT17_ilSA_ilS8_SA_ilPT18_ili26rocblas_geam_ex_operation_.num_vgpr, 152
	.set _ZN12_GLOBAL__N_120geam_min_plus_kernelIf15HIP_vector_typeIfLj2EES2_Li8ELi32ELi64ELi128ELi4ELi4ELi64ELi4ELi64ELc84ELc78ELb0ELb1ELb0EPKfKS4_KPfEEviiiT16_PT17_ilSA_ilS8_SA_ilPT18_ili26rocblas_geam_ex_operation_.num_agpr, 0
	.set _ZN12_GLOBAL__N_120geam_min_plus_kernelIf15HIP_vector_typeIfLj2EES2_Li8ELi32ELi64ELi128ELi4ELi4ELi64ELi4ELi64ELc84ELc78ELb0ELb1ELb0EPKfKS4_KPfEEviiiT16_PT17_ilSA_ilS8_SA_ilPT18_ili26rocblas_geam_ex_operation_.numbered_sgpr, 28
	.set _ZN12_GLOBAL__N_120geam_min_plus_kernelIf15HIP_vector_typeIfLj2EES2_Li8ELi32ELi64ELi128ELi4ELi4ELi64ELi4ELi64ELc84ELc78ELb0ELb1ELb0EPKfKS4_KPfEEviiiT16_PT17_ilSA_ilS8_SA_ilPT18_ili26rocblas_geam_ex_operation_.num_named_barrier, 0
	.set _ZN12_GLOBAL__N_120geam_min_plus_kernelIf15HIP_vector_typeIfLj2EES2_Li8ELi32ELi64ELi128ELi4ELi4ELi64ELi4ELi64ELc84ELc78ELb0ELb1ELb0EPKfKS4_KPfEEviiiT16_PT17_ilSA_ilS8_SA_ilPT18_ili26rocblas_geam_ex_operation_.private_seg_size, 0
	.set _ZN12_GLOBAL__N_120geam_min_plus_kernelIf15HIP_vector_typeIfLj2EES2_Li8ELi32ELi64ELi128ELi4ELi4ELi64ELi4ELi64ELc84ELc78ELb0ELb1ELb0EPKfKS4_KPfEEviiiT16_PT17_ilSA_ilS8_SA_ilPT18_ili26rocblas_geam_ex_operation_.uses_vcc, 1
	.set _ZN12_GLOBAL__N_120geam_min_plus_kernelIf15HIP_vector_typeIfLj2EES2_Li8ELi32ELi64ELi128ELi4ELi4ELi64ELi4ELi64ELc84ELc78ELb0ELb1ELb0EPKfKS4_KPfEEviiiT16_PT17_ilSA_ilS8_SA_ilPT18_ili26rocblas_geam_ex_operation_.uses_flat_scratch, 0
	.set _ZN12_GLOBAL__N_120geam_min_plus_kernelIf15HIP_vector_typeIfLj2EES2_Li8ELi32ELi64ELi128ELi4ELi4ELi64ELi4ELi64ELc84ELc78ELb0ELb1ELb0EPKfKS4_KPfEEviiiT16_PT17_ilSA_ilS8_SA_ilPT18_ili26rocblas_geam_ex_operation_.has_dyn_sized_stack, 0
	.set _ZN12_GLOBAL__N_120geam_min_plus_kernelIf15HIP_vector_typeIfLj2EES2_Li8ELi32ELi64ELi128ELi4ELi4ELi64ELi4ELi64ELc84ELc78ELb0ELb1ELb0EPKfKS4_KPfEEviiiT16_PT17_ilSA_ilS8_SA_ilPT18_ili26rocblas_geam_ex_operation_.has_recursion, 0
	.set _ZN12_GLOBAL__N_120geam_min_plus_kernelIf15HIP_vector_typeIfLj2EES2_Li8ELi32ELi64ELi128ELi4ELi4ELi64ELi4ELi64ELc84ELc78ELb0ELb1ELb0EPKfKS4_KPfEEviiiT16_PT17_ilSA_ilS8_SA_ilPT18_ili26rocblas_geam_ex_operation_.has_indirect_call, 0
	.section	.AMDGPU.csdata,"",@progbits
; Kernel info:
; codeLenInByte = 9148
; TotalNumSgprs: 30
; NumVgprs: 152
; ScratchSize: 0
; MemoryBound: 0
; FloatMode: 240
; IeeeMode: 1
; LDSByteSize: 6144 bytes/workgroup (compile time only)
; SGPRBlocks: 0
; VGPRBlocks: 18
; NumSGPRsForWavesPerEU: 30
; NumVGPRsForWavesPerEU: 152
; Occupancy: 6
; WaveLimiterHint : 1
; COMPUTE_PGM_RSRC2:SCRATCH_EN: 0
; COMPUTE_PGM_RSRC2:USER_SGPR: 6
; COMPUTE_PGM_RSRC2:TRAP_HANDLER: 0
; COMPUTE_PGM_RSRC2:TGID_X_EN: 1
; COMPUTE_PGM_RSRC2:TGID_Y_EN: 0
; COMPUTE_PGM_RSRC2:TGID_Z_EN: 1
; COMPUTE_PGM_RSRC2:TIDIG_COMP_CNT: 1
	.section	.text._ZN12_GLOBAL__N_120geam_min_plus_kernelIf15HIP_vector_typeIfLj2EES2_Li8ELi32ELi64ELi128ELi4ELi4ELi64ELi4ELi64ELc84ELc78ELb1ELb1ELb0EfKPKfKPfEEviiiT16_PT17_ilSA_ilS8_SA_ilPT18_ili26rocblas_geam_ex_operation_,"axG",@progbits,_ZN12_GLOBAL__N_120geam_min_plus_kernelIf15HIP_vector_typeIfLj2EES2_Li8ELi32ELi64ELi128ELi4ELi4ELi64ELi4ELi64ELc84ELc78ELb1ELb1ELb0EfKPKfKPfEEviiiT16_PT17_ilSA_ilS8_SA_ilPT18_ili26rocblas_geam_ex_operation_,comdat
	.globl	_ZN12_GLOBAL__N_120geam_min_plus_kernelIf15HIP_vector_typeIfLj2EES2_Li8ELi32ELi64ELi128ELi4ELi4ELi64ELi4ELi64ELc84ELc78ELb1ELb1ELb0EfKPKfKPfEEviiiT16_PT17_ilSA_ilS8_SA_ilPT18_ili26rocblas_geam_ex_operation_ ; -- Begin function _ZN12_GLOBAL__N_120geam_min_plus_kernelIf15HIP_vector_typeIfLj2EES2_Li8ELi32ELi64ELi128ELi4ELi4ELi64ELi4ELi64ELc84ELc78ELb1ELb1ELb0EfKPKfKPfEEviiiT16_PT17_ilSA_ilS8_SA_ilPT18_ili26rocblas_geam_ex_operation_
	.p2align	8
	.type	_ZN12_GLOBAL__N_120geam_min_plus_kernelIf15HIP_vector_typeIfLj2EES2_Li8ELi32ELi64ELi128ELi4ELi4ELi64ELi4ELi64ELc84ELc78ELb1ELb1ELb0EfKPKfKPfEEviiiT16_PT17_ilSA_ilS8_SA_ilPT18_ili26rocblas_geam_ex_operation_,@function
_ZN12_GLOBAL__N_120geam_min_plus_kernelIf15HIP_vector_typeIfLj2EES2_Li8ELi32ELi64ELi128ELi4ELi4ELi64ELi4ELi64ELc84ELc78ELb1ELb1ELb0EfKPKfKPfEEviiiT16_PT17_ilSA_ilS8_SA_ilPT18_ili26rocblas_geam_ex_operation_: ; @_ZN12_GLOBAL__N_120geam_min_plus_kernelIf15HIP_vector_typeIfLj2EES2_Li8ELi32ELi64ELi128ELi4ELi4ELi64ELi4ELi64ELc84ELc78ELb1ELb1ELb0EfKPKfKPfEEviiiT16_PT17_ilSA_ilS8_SA_ilPT18_ili26rocblas_geam_ex_operation_
; %bb.0:
	s_clause 0x1
	s_load_dwordx4 s[12:15], s[4:5], 0x0
	s_load_dwordx4 s[0:3], s[4:5], 0x20
	s_mov_b32 s18, s7
	s_mov_b32 s19, 0
	s_waitcnt lgkmcnt(0)
	v_cmp_eq_f32_e64 s7, s15, 0
	s_and_b32 vcc_lo, exec_lo, s7
	s_cbranch_vccnz .LBB37_3
; %bb.1:
	s_load_dwordx2 s[8:9], s[4:5], 0x10
	s_lshl_b64 s[10:11], s[18:19], 3
	s_waitcnt lgkmcnt(0)
	s_add_u32 s8, s8, s10
	s_addc_u32 s9, s9, s11
	s_lshl_b64 s[0:1], s[0:1], 2
	s_load_dwordx2 s[8:9], s[8:9], 0x0
	s_waitcnt lgkmcnt(0)
	s_add_u32 s16, s8, s0
	s_addc_u32 s17, s9, s1
	s_andn2_b32 vcc_lo, exec_lo, s7
	s_cbranch_vccnz .LBB37_4
.LBB37_2:
	s_mov_b32 s21, 0
	s_mov_b32 s20, s18
	;; [unrolled: 1-line block ×3, first 2 shown]
	s_mov_b64 s[10:11], 0
	s_andn2_b32 vcc_lo, exec_lo, s0
	s_mov_b64 s[8:9], 0
	s_cbranch_vccz .LBB37_5
	s_branch .LBB37_6
.LBB37_3:
	s_mov_b64 s[16:17], 0
	s_andn2_b32 vcc_lo, exec_lo, s7
	s_cbranch_vccz .LBB37_2
.LBB37_4:
	s_mov_b64 s[20:21], s[18:19]
	s_mov_b64 s[10:11], 0
	;; [unrolled: 1-line block ×3, first 2 shown]
.LBB37_5:
	s_lshl_b64 s[0:1], s[18:19], 3
	s_load_dwordx2 s[8:9], s[4:5], 0x38
	s_add_u32 s0, s2, s0
	s_addc_u32 s1, s3, s1
	s_load_dwordx2 s[0:1], s[0:1], 0x0
	s_waitcnt lgkmcnt(0)
	s_lshl_b64 s[2:3], s[8:9], 2
	s_add_u32 s8, s0, s2
	s_addc_u32 s9, s1, s3
.LBB37_6:
	s_clause 0x1
	s_load_dword s15, s[4:5], 0x40
	s_load_dwordx4 s[0:3], s[4:5], 0x58
	s_waitcnt lgkmcnt(0)
	v_cmp_eq_f32_e64 s7, s15, 0
	v_cmp_neq_f32_e64 s22, s15, 0
	s_and_b32 vcc_lo, exec_lo, s7
	s_cbranch_vccnz .LBB37_8
; %bb.7:
	s_load_dwordx2 s[10:11], s[4:5], 0x48
	s_lshl_b64 s[18:19], s[20:21], 3
	s_waitcnt lgkmcnt(0)
	s_add_u32 s10, s10, s18
	s_addc_u32 s11, s11, s19
	s_lshl_b64 s[0:1], s[0:1], 2
	s_load_dwordx2 s[10:11], s[10:11], 0x0
	s_waitcnt lgkmcnt(0)
	s_add_u32 s10, s10, s0
	s_addc_u32 s11, s11, s1
.LBB37_8:
	s_lshl_b64 s[0:1], s[20:21], 3
	s_load_dword s23, s[4:5], 0x18
	s_add_u32 s18, s2, s0
	s_addc_u32 s19, s3, s1
	s_add_i32 s0, s12, -1
	v_and_b32_e32 v74, 3, v0
	s_ashr_i32 s1, s0, 31
                                        ; implicit-def: $vgpr10
	s_lshr_b32 s1, s1, 26
	s_add_i32 s0, s0, s1
	v_cmp_le_i32_e32 vcc_lo, s14, v74
	s_ashr_i32 s0, s0, 6
	v_lshlrev_b32_e32 v4, 2, v74
	s_add_i32 s1, s0, 1
	s_not_b32 s0, s0
	v_cvt_f32_u32_e32 v2, s1
	v_rcp_iflag_f32_e32 v2, v2
	v_mul_f32_e32 v2, 0x4f7ffffe, v2
	v_cvt_u32_f32_e32 v2, v2
	v_readfirstlane_b32 s2, v2
	v_lshl_add_u32 v2, v1, 3, v0
	s_mul_i32 s0, s0, s2
	v_lshrrev_b32_e32 v3, 2, v2
	s_mul_hi_u32 s0, s2, s0
	s_add_i32 s2, s2, s0
	s_mul_hi_u32 s0, s6, s2
	s_mul_i32 s2, s0, s1
	s_add_i32 s3, s0, 1
	s_sub_i32 s2, s6, s2
	s_sub_i32 s7, s2, s1
	s_cmp_ge_u32 s2, s1
	s_cselect_b32 s0, s3, s0
	s_cselect_b32 s2, s7, s2
	s_add_i32 s3, s0, 1
	s_cmp_ge_u32 s2, s1
	s_cselect_b32 s2, s3, s0
	s_mul_i32 s0, s2, s1
	s_sub_i32 s0, s6, s0
	s_lshl_b32 s20, s0, 6
	v_add_nc_u32_e32 v2, s20, v3
	v_cmp_le_i32_e64 s0, s12, v2
	s_nor_b32 s1, vcc_lo, s0
	s_and_saveexec_b32 s3, s1
	s_xor_b32 s3, exec_lo, s3
	s_cbranch_execz .LBB37_10
; %bb.9:
	s_waitcnt lgkmcnt(0)
	v_mad_i64_i32 v[5:6], null, v2, s23, 0
	v_lshlrev_b64 v[5:6], 2, v[5:6]
	v_add_co_u32 v5, s1, s16, v5
	v_add_co_ci_u32_e64 v6, null, s17, v6, s1
	v_add_co_u32 v5, s1, v5, v4
	v_add_co_ci_u32_e64 v6, null, 0, v6, s1
	flat_load_dword v10, v[5:6]
.LBB37_10:
	s_andn2_saveexec_b32 s1, s3
	s_cbranch_execz .LBB37_12
; %bb.11:
	s_waitcnt vmcnt(0) lgkmcnt(0)
	v_mov_b32_e32 v10, 0
.LBB37_12:
	s_or_b32 exec_lo, exec_lo, s1
	s_load_dword s24, s[4:5], 0x30
	s_lshl_b32 s21, s2, 7
	v_lshlrev_b32_e32 v6, 2, v74
	v_add_nc_u32_e32 v5, s21, v3
	v_mov_b32_e32 v11, 0
	v_mov_b32_e32 v12, 0
	v_add_co_u32 v7, s2, s8, v6
	v_cmp_le_i32_e64 s1, s13, v5
	v_add_co_ci_u32_e64 v8, null, s9, 0, s2
	s_nor_b32 s2, vcc_lo, s1
	s_and_saveexec_b32 s3, s2
	s_cbranch_execz .LBB37_14
; %bb.13:
	s_waitcnt lgkmcnt(0)
	v_mad_i64_i32 v[12:13], null, v5, s24, 0
	v_lshlrev_b64 v[12:13], 2, v[12:13]
	v_add_co_u32 v12, s2, v7, v12
	v_add_co_ci_u32_e64 v13, null, v8, v13, s2
	flat_load_dword v12, v[12:13]
.LBB37_14:
	s_or_b32 exec_lo, exec_lo, s3
	v_add_nc_u32_e32 v6, 64, v5
	v_cmp_le_i32_e64 s2, s13, v6
	s_nor_b32 s6, vcc_lo, s2
	s_and_saveexec_b32 s3, s6
	s_cbranch_execz .LBB37_16
; %bb.15:
	s_waitcnt lgkmcnt(0)
	v_mad_i64_i32 v[13:14], null, v6, s24, 0
	v_lshlrev_b64 v[13:14], 2, v[13:14]
	v_add_co_u32 v7, vcc_lo, v7, v13
	v_add_co_ci_u32_e64 v8, null, v8, v14, vcc_lo
	flat_load_dword v11, v[7:8]
.LBB37_16:
	s_or_b32 exec_lo, exec_lo, s3
	v_or_b32_e32 v8, 4, v74
                                        ; implicit-def: $vgpr7
	v_cmp_le_i32_e32 vcc_lo, s14, v8
	s_nor_b32 s3, vcc_lo, s0
	s_and_saveexec_b32 s6, s3
	s_xor_b32 s6, exec_lo, s6
	s_cbranch_execz .LBB37_18
; %bb.17:
	s_waitcnt lgkmcnt(0)
	v_mad_i64_i32 v[13:14], null, v2, s23, 0
	v_lshlrev_b64 v[13:14], 2, v[13:14]
	v_add_co_u32 v7, s3, s16, v13
	v_add_co_ci_u32_e64 v9, null, s17, v14, s3
	v_add_co_u32 v13, s3, v7, v4
	v_add_co_ci_u32_e64 v14, null, 0, v9, s3
	flat_load_dword v7, v[13:14] offset:16
.LBB37_18:
	s_andn2_saveexec_b32 s3, s6
	s_cbranch_execz .LBB37_20
; %bb.19:
	s_waitcnt vmcnt(0) lgkmcnt(0)
	v_mov_b32_e32 v7, 0
.LBB37_20:
	s_or_b32 exec_lo, exec_lo, s3
	v_lshlrev_b32_e32 v9, 2, v8
	v_mov_b32_e32 v8, 0
	v_add_co_u32 v13, s3, s8, v9
	v_add_co_ci_u32_e64 v14, null, s9, 0, s3
	v_mov_b32_e32 v9, 0
	s_nor_b32 s3, vcc_lo, s1
	s_and_saveexec_b32 s6, s3
	s_cbranch_execz .LBB37_22
; %bb.21:
	s_waitcnt lgkmcnt(0)
	v_mad_i64_i32 v[15:16], null, v5, s24, 0
	v_lshlrev_b64 v[15:16], 2, v[15:16]
	v_add_co_u32 v15, s3, v13, v15
	v_add_co_ci_u32_e64 v16, null, v14, v16, s3
	flat_load_dword v9, v[15:16]
.LBB37_22:
	s_or_b32 exec_lo, exec_lo, s6
	s_load_dwordx2 s[6:7], s[18:19], 0x0
	s_nor_b32 s18, vcc_lo, s2
	s_and_saveexec_b32 s3, s18
	s_cbranch_execz .LBB37_24
; %bb.23:
	s_waitcnt lgkmcnt(0)
	v_mad_i64_i32 v[15:16], null, v6, s24, 0
	v_lshlrev_b64 v[15:16], 2, v[15:16]
	v_add_co_u32 v13, vcc_lo, v13, v15
	v_add_co_ci_u32_e64 v14, null, v14, v16, vcc_lo
	flat_load_dword v8, v[13:14]
.LBB37_24:
	s_or_b32 exec_lo, exec_lo, s3
	v_lshlrev_b32_e32 v13, 4, v3
	v_mov_b32_e32 v72, 0
	v_lshl_or_b32 v76, v0, 4, 0x1000
	v_lshlrev_b32_e32 v77, 4, v1
	s_mov_b32 s18, 0
	v_lshl_or_b32 v75, v74, 2, v13
	v_mov_b32_e32 v73, v72
	v_mov_b32_e32 v70, v72
	;; [unrolled: 1-line block ×4, first 2 shown]
	v_add_nc_u32_e32 v78, 0x1000, v75
	s_waitcnt vmcnt(0) lgkmcnt(0)
	ds_write_b32 v75, v10 offset:4096
	ds_write2st64_b32 v75, v12, v11 offset1:4
	v_mov_b32_e32 v69, v72
	v_mov_b32_e32 v10, v72
	;; [unrolled: 1-line block ×59, first 2 shown]
	s_mov_b32 s3, -1
	s_waitcnt lgkmcnt(0)
	s_barrier
	buffer_gl0_inv
.LBB37_25:                              ; =>This Inner Loop Header: Depth=1
	s_lshl_b32 s18, s18, 2
	v_cndmask_b32_e64 v79, 0, 1, s3
	v_add_nc_u32_e32 v91, s18, v76
	v_add_nc_u32_e32 v99, s18, v77
	s_mov_b32 s3, 0
	s_mov_b32 s18, 2
	v_cmp_ne_u32_e32 vcc_lo, 1, v79
	ds_read2_b64 v[79:82], v91 offset1:16
	ds_read2_b64 v[83:86], v91 offset0:32 offset1:48
	ds_read2_b64 v[87:90], v91 offset0:64 offset1:80
	;; [unrolled: 1-line block ×3, first 2 shown]
	ds_read2st64_b64 v[95:98], v99 offset1:1
	ds_read2st64_b64 v[99:102], v99 offset0:2 offset1:3
	s_and_b32 vcc_lo, exec_lo, vcc_lo
	s_waitcnt lgkmcnt(5)
	v_max_f32_e32 v79, v79, v79
	v_max_f32_e32 v80, v80, v80
	v_max_f32_e32 v81, v81, v81
	v_max_f32_e32 v82, v82, v82
	s_waitcnt lgkmcnt(4)
	v_max_f32_e32 v83, v83, v83
	v_max_f32_e32 v84, v84, v84
	v_max_f32_e32 v85, v85, v85
	v_max_f32_e32 v86, v86, v86
	;; [unrolled: 5-line block ×6, first 2 shown]
	v_min_f32_e32 v103, v79, v95
	v_min_f32_e32 v104, v81, v95
	;; [unrolled: 1-line block ×64, first 2 shown]
	v_add_f32_e32 v73, v73, v101
	v_add_f32_e32 v72, v72, v103
	;; [unrolled: 1-line block ×64, first 2 shown]
	s_cbranch_vccz .LBB37_25
; %bb.26:
	v_lshl_or_b32 v3, v3, 4, v4
	v_lshl_add_u32 v79, v0, 4, 0x1400
	v_lshl_add_u32 v80, v1, 4, 0x800
	s_cmp_lt_i32 s14, 9
	ds_write_b32 v3, v7 offset:5120
	ds_write2st64_b32 v3, v9, v8 offset0:8 offset1:12
	s_waitcnt lgkmcnt(0)
	s_barrier
	buffer_gl0_inv
	s_cbranch_scc1 .LBB37_45
; %bb.27:
	v_mad_i64_i32 v[7:8], null, v2, s23, 0
	v_mad_i64_i32 v[4:5], null, v5, s24, 0
	v_mad_i64_i32 v[83:84], null, v6, s24, 0
	v_add_nc_u32_e32 v81, 0x1400, v3
	v_add_nc_u32_e32 v82, 0x800, v3
	v_lshlrev_b64 v[6:7], 2, v[7:8]
	s_mov_b32 s18, 0
	v_lshlrev_b64 v[2:3], 2, v[4:5]
	v_lshlrev_b64 v[4:5], 2, v[83:84]
	v_add_co_u32 v83, vcc_lo, s16, v6
	v_add_co_ci_u32_e64 v84, null, s17, v7, vcc_lo
	v_mov_b32_e32 v7, 0
	s_add_i32 s16, s14, -8
	s_mov_b32 s17, 8
.LBB37_28:                              ; =>This Loop Header: Depth=1
                                        ;     Child Loop BB37_35 Depth 2
                                        ;     Child Loop BB37_43 Depth 2
	v_or_b32_e32 v6, s17, v74
	v_mov_b32_e32 v87, v7
	v_cmp_le_i32_e32 vcc_lo, s14, v6
	v_lshlrev_b64 v[8:9], 2, v[6:7]
	s_nor_b32 s3, vcc_lo, s0
	s_and_saveexec_b32 s19, s3
	s_cbranch_execz .LBB37_30
; %bb.29:                               ;   in Loop: Header=BB37_28 Depth=1
	v_add_co_u32 v85, s3, v83, v8
	v_add_co_ci_u32_e64 v86, null, v84, v9, s3
	flat_load_dword v87, v[85:86]
.LBB37_30:                              ;   in Loop: Header=BB37_28 Depth=1
	s_or_b32 exec_lo, exec_lo, s19
	v_add_co_u32 v85, s3, s8, v8
	v_add_co_ci_u32_e64 v86, null, s9, v9, s3
	v_mov_b32_e32 v88, 0
	v_mov_b32_e32 v89, 0
	s_nor_b32 s3, s1, vcc_lo
	s_and_saveexec_b32 s19, s3
	s_cbranch_execz .LBB37_32
; %bb.31:                               ;   in Loop: Header=BB37_28 Depth=1
	v_add_co_u32 v89, s3, v85, v2
	v_add_co_ci_u32_e64 v90, null, v86, v3, s3
	flat_load_dword v89, v[89:90]
.LBB37_32:                              ;   in Loop: Header=BB37_28 Depth=1
	s_or_b32 exec_lo, exec_lo, s19
	s_nor_b32 s19, s2, vcc_lo
	s_and_saveexec_b32 s3, s19
	s_cbranch_execz .LBB37_34
; %bb.33:                               ;   in Loop: Header=BB37_28 Depth=1
	v_add_co_u32 v90, vcc_lo, v85, v4
	v_add_co_ci_u32_e64 v91, null, v86, v5, vcc_lo
	flat_load_dword v88, v[90:91]
.LBB37_34:                              ;   in Loop: Header=BB37_28 Depth=1
	s_or_b32 exec_lo, exec_lo, s3
	s_mov_b32 s19, 0
	s_mov_b32 s3, -1
.LBB37_35:                              ;   Parent Loop BB37_28 Depth=1
                                        ; =>  This Inner Loop Header: Depth=2
	s_lshl_b32 s19, s19, 2
	v_cndmask_b32_e64 v90, 0, 1, s3
	v_add_nc_u32_e32 v110, s19, v80
	v_add_nc_u32_e32 v106, s19, v79
	s_mov_b32 s3, 0
	s_mov_b32 s19, 2
	v_cmp_ne_u32_e32 vcc_lo, 1, v90
	ds_read2st64_b64 v[90:93], v110 offset1:1
	ds_read2_b64 v[94:97], v106 offset1:16
	ds_read2_b64 v[98:101], v106 offset0:32 offset1:48
	ds_read2_b64 v[102:105], v106 offset0:64 offset1:80
	;; [unrolled: 1-line block ×3, first 2 shown]
	ds_read2st64_b64 v[110:113], v110 offset0:2 offset1:3
	s_and_b32 vcc_lo, exec_lo, vcc_lo
	s_waitcnt lgkmcnt(5)
	v_max_f32_e32 v90, v90, v90
	s_waitcnt lgkmcnt(4)
	v_max_f32_e32 v94, v94, v94
	v_max_f32_e32 v91, v91, v91
	;; [unrolled: 1-line block ×5, first 2 shown]
	s_waitcnt lgkmcnt(3)
	v_max_f32_e32 v98, v98, v98
	v_max_f32_e32 v99, v99, v99
	v_max_f32_e32 v100, v100, v100
	v_max_f32_e32 v101, v101, v101
	s_waitcnt lgkmcnt(2)
	v_max_f32_e32 v102, v102, v102
	v_max_f32_e32 v103, v103, v103
	v_max_f32_e32 v104, v104, v104
	v_max_f32_e32 v105, v105, v105
	;; [unrolled: 5-line block ×3, first 2 shown]
	v_max_f32_e32 v92, v92, v92
	v_max_f32_e32 v93, v93, v93
	s_waitcnt lgkmcnt(0)
	v_max_f32_e32 v110, v110, v110
	v_max_f32_e32 v111, v111, v111
	;; [unrolled: 1-line block ×4, first 2 shown]
	v_min_f32_e32 v114, v94, v90
	v_min_f32_e32 v115, v95, v91
	;; [unrolled: 1-line block ×64, first 2 shown]
	v_add_f32_e32 v73, v73, v115
	v_add_f32_e32 v72, v72, v114
	;; [unrolled: 1-line block ×64, first 2 shown]
	s_cbranch_vccz .LBB37_35
; %bb.36:                               ;   in Loop: Header=BB37_28 Depth=1
	v_or_b32_e32 v6, 4, v6
	s_waitcnt vmcnt(0)
	ds_write_b32 v78, v87
	ds_write2st64_b32 v75, v89, v88 offset1:4
	v_mov_b32_e32 v87, 0
	s_waitcnt lgkmcnt(0)
	s_barrier
	v_cmp_le_i32_e32 vcc_lo, s14, v6
	v_mov_b32_e32 v6, 0
	buffer_gl0_inv
	s_nor_b32 s3, vcc_lo, s0
	s_and_saveexec_b32 s19, s3
	s_cbranch_execz .LBB37_38
; %bb.37:                               ;   in Loop: Header=BB37_28 Depth=1
	v_add_co_u32 v8, s3, v83, v8
	v_add_co_ci_u32_e64 v9, null, v84, v9, s3
	flat_load_dword v87, v[8:9] offset:16
.LBB37_38:                              ;   in Loop: Header=BB37_28 Depth=1
	s_or_b32 exec_lo, exec_lo, s19
	s_nor_b32 s3, s1, vcc_lo
	s_and_saveexec_b32 s19, s3
	s_cbranch_execz .LBB37_40
; %bb.39:                               ;   in Loop: Header=BB37_28 Depth=1
	v_add_co_u32 v8, s3, v85, v2
	v_add_co_ci_u32_e64 v9, null, v86, v3, s3
	flat_load_dword v6, v[8:9] offset:16
.LBB37_40:                              ;   in Loop: Header=BB37_28 Depth=1
	s_or_b32 exec_lo, exec_lo, s19
	v_mov_b32_e32 v8, 0
	s_nor_b32 s19, s2, vcc_lo
	s_and_saveexec_b32 s3, s19
	s_cbranch_execz .LBB37_42
; %bb.41:                               ;   in Loop: Header=BB37_28 Depth=1
	v_add_co_u32 v8, vcc_lo, v85, v4
	v_add_co_ci_u32_e64 v9, null, v86, v5, vcc_lo
	flat_load_dword v8, v[8:9] offset:16
.LBB37_42:                              ;   in Loop: Header=BB37_28 Depth=1
	s_or_b32 exec_lo, exec_lo, s3
	s_mov_b32 s19, 0
	s_mov_b32 s3, -1
.LBB37_43:                              ;   Parent Loop BB37_28 Depth=1
                                        ; =>  This Inner Loop Header: Depth=2
	s_lshl_b32 s19, s19, 2
	v_cndmask_b32_e64 v9, 0, 1, s3
	v_add_nc_u32_e32 v85, s19, v77
	v_add_nc_u32_e32 v86, s19, v76
	s_mov_b32 s3, 0
	s_mov_b32 s19, 2
	v_cmp_ne_u32_e32 vcc_lo, 1, v9
	ds_read2st64_b64 v[88:91], v85 offset1:1
	ds_read2_b64 v[92:95], v86 offset1:16
	ds_read2_b64 v[96:99], v86 offset0:32 offset1:48
	ds_read2_b64 v[100:103], v86 offset0:64 offset1:80
	;; [unrolled: 1-line block ×3, first 2 shown]
	ds_read2st64_b64 v[108:111], v85 offset0:2 offset1:3
	s_and_b32 vcc_lo, exec_lo, vcc_lo
	s_waitcnt lgkmcnt(5)
	v_max_f32_e32 v9, v88, v88
	s_waitcnt lgkmcnt(4)
	v_max_f32_e32 v85, v92, v92
	v_max_f32_e32 v86, v89, v89
	;; [unrolled: 1-line block ×5, first 2 shown]
	s_waitcnt lgkmcnt(3)
	v_max_f32_e32 v93, v96, v96
	v_max_f32_e32 v94, v97, v97
	v_max_f32_e32 v95, v98, v98
	v_max_f32_e32 v96, v99, v99
	s_waitcnt lgkmcnt(2)
	v_max_f32_e32 v97, v100, v100
	v_max_f32_e32 v98, v101, v101
	v_max_f32_e32 v99, v102, v102
	v_max_f32_e32 v100, v103, v103
	;; [unrolled: 5-line block ×3, first 2 shown]
	v_max_f32_e32 v90, v90, v90
	v_max_f32_e32 v91, v91, v91
	s_waitcnt lgkmcnt(0)
	v_max_f32_e32 v105, v108, v108
	v_max_f32_e32 v106, v109, v109
	;; [unrolled: 1-line block ×4, first 2 shown]
	v_min_f32_e32 v109, v85, v9
	v_min_f32_e32 v110, v88, v86
	;; [unrolled: 1-line block ×64, first 2 shown]
	v_add_f32_e32 v73, v73, v110
	v_add_f32_e32 v72, v72, v109
	;; [unrolled: 1-line block ×64, first 2 shown]
	s_cbranch_vccz .LBB37_43
; %bb.44:                               ;   in Loop: Header=BB37_28 Depth=1
	s_add_i32 s18, s18, 8
	s_add_i32 s17, s17, 8
	s_cmp_ge_i32 s18, s16
	s_waitcnt vmcnt(0)
	ds_write_b32 v81, v87
	ds_write2st64_b32 v82, v6, v8 offset1:4
	s_waitcnt lgkmcnt(0)
	s_barrier
	buffer_gl0_inv
	s_cbranch_scc0 .LBB37_28
.LBB37_45:
	s_mov_b32 s1, 0
	s_mov_b32 s0, -1
.LBB37_46:                              ; =>This Inner Loop Header: Depth=1
	s_lshl_b32 s1, s1, 2
	v_cndmask_b32_e64 v2, 0, 1, s0
	v_add_nc_u32_e32 v78, s1, v80
	v_add_nc_u32_e32 v85, s1, v79
	s_mov_b32 s0, 0
	s_mov_b32 s1, 2
	v_cmp_ne_u32_e32 vcc_lo, 1, v2
	ds_read2st64_b64 v[2:5], v78 offset1:1
	ds_read2_b64 v[6:9], v85 offset1:16
	ds_read2_b64 v[74:77], v85 offset0:32 offset1:48
	ds_read2_b64 v[81:84], v85 offset0:64 offset1:80
	;; [unrolled: 1-line block ×3, first 2 shown]
	ds_read2st64_b64 v[89:92], v78 offset0:2 offset1:3
	s_and_b32 vcc_lo, exec_lo, vcc_lo
	s_waitcnt lgkmcnt(5)
	v_max_f32_e32 v2, v2, v2
	s_waitcnt lgkmcnt(4)
	v_max_f32_e32 v6, v6, v6
	v_max_f32_e32 v3, v3, v3
	;; [unrolled: 1-line block ×5, first 2 shown]
	s_waitcnt lgkmcnt(3)
	v_max_f32_e32 v74, v74, v74
	v_max_f32_e32 v75, v75, v75
	v_max_f32_e32 v76, v76, v76
	v_max_f32_e32 v77, v77, v77
	s_waitcnt lgkmcnt(2)
	v_max_f32_e32 v78, v81, v81
	v_max_f32_e32 v81, v82, v82
	v_max_f32_e32 v82, v83, v83
	v_max_f32_e32 v83, v84, v84
	s_waitcnt lgkmcnt(1)
	v_max_f32_e32 v84, v85, v85
	v_max_f32_e32 v85, v86, v86
	v_max_f32_e32 v86, v87, v87
	v_max_f32_e32 v87, v88, v88
	v_max_f32_e32 v4, v4, v4
	v_max_f32_e32 v5, v5, v5
	s_waitcnt lgkmcnt(0)
	v_max_f32_e32 v88, v89, v89
	v_max_f32_e32 v89, v90, v90
	;; [unrolled: 1-line block ×4, first 2 shown]
	v_min_f32_e32 v92, v6, v2
	v_min_f32_e32 v93, v7, v3
	;; [unrolled: 1-line block ×64, first 2 shown]
	v_add_f32_e32 v73, v73, v93
	v_add_f32_e32 v72, v72, v92
	;; [unrolled: 1-line block ×64, first 2 shown]
	s_cbranch_vccz .LBB37_46
; %bb.47:
	s_clause 0x2
	s_load_dword s14, s[4:5], 0x50
	s_load_dword s9, s[4:5], 0x68
	s_load_dwordx2 s[2:3], s[4:5], 0x70
	v_add_nc_u32_e32 v75, s21, v1
	v_add_nc_u32_e32 v0, s20, v0
	v_cndmask_b32_e64 v74, 0, 1, s22
	v_cmp_gt_i32_e64 s8, s13, v75
	v_cmp_gt_i32_e64 s0, s12, v0
	s_waitcnt lgkmcnt(0)
	v_mad_i64_i32 v[1:2], null, v75, s14, 0
	v_mad_i64_i32 v[3:4], null, v75, s9, 0
	s_lshl_b64 s[2:3], s[2:3], 2
	s_add_u32 s16, s6, s2
	s_addc_u32 s17, s7, s3
	v_lshlrev_b64 v[5:6], 2, v[1:2]
	v_ashrrev_i32_e32 v1, 31, v0
	v_lshlrev_b64 v[2:3], 2, v[3:4]
	s_and_b32 s2, s0, s8
	v_add_co_u32 v78, vcc_lo, s10, v5
	v_add_co_ci_u32_e64 v79, null, s11, v6, vcc_lo
	v_add_co_u32 v76, vcc_lo, s16, v2
	v_add_co_ci_u32_e64 v77, null, s17, v3, vcc_lo
	s_and_saveexec_b32 s1, s2
	s_cbranch_execz .LBB37_52
; %bb.48:
	v_lshlrev_b64 v[2:3], 2, v[0:1]
	s_andn2_b32 vcc_lo, exec_lo, s22
	s_cbranch_vccnz .LBB37_50
; %bb.49:
	v_add_co_u32 v4, vcc_lo, v78, v2
	v_add_co_ci_u32_e64 v5, null, v79, v3, vcc_lo
	flat_load_dword v4, v[4:5]
	s_waitcnt vmcnt(0) lgkmcnt(0)
	v_mul_f32_e32 v4, s15, v4
	s_branch .LBB37_51
.LBB37_50:
	v_mov_b32_e32 v4, 0
.LBB37_51:
	v_add_f32_e32 v5, v72, v73
	v_add_co_u32 v2, vcc_lo, v76, v2
	v_add_co_ci_u32_e64 v3, null, v77, v3, vcc_lo
	v_add_f32_e32 v4, v5, v4
	flat_store_dword v[2:3], v4
.LBB37_52:
	s_or_b32 exec_lo, exec_lo, s1
	v_add_nc_u32_e32 v2, 8, v0
	v_cmp_gt_i32_e64 s1, s12, v2
	v_ashrrev_i32_e32 v3, 31, v2
	s_and_b32 s3, s1, s8
	s_and_saveexec_b32 s2, s3
	s_cbranch_execz .LBB37_57
; %bb.53:
	v_cmp_ne_u32_e32 vcc_lo, 1, v74
	v_lshlrev_b64 v[4:5], 2, v[2:3]
	s_cbranch_vccnz .LBB37_55
; %bb.54:
	v_add_co_u32 v6, vcc_lo, v78, v4
	v_add_co_ci_u32_e64 v7, null, v79, v5, vcc_lo
	flat_load_dword v6, v[6:7]
	s_waitcnt vmcnt(0) lgkmcnt(0)
	v_mul_f32_e32 v6, s15, v6
	s_branch .LBB37_56
.LBB37_55:
	v_mov_b32_e32 v6, 0
.LBB37_56:
	v_add_f32_e32 v7, v70, v71
	v_add_co_u32 v4, vcc_lo, v76, v4
	v_add_co_ci_u32_e64 v5, null, v77, v5, vcc_lo
	v_add_f32_e32 v6, v7, v6
	flat_store_dword v[4:5], v6
.LBB37_57:
	s_or_b32 exec_lo, exec_lo, s2
	v_add_nc_u32_e32 v4, 16, v0
	v_cmp_gt_i32_e64 s2, s12, v4
	v_ashrrev_i32_e32 v5, 31, v4
	s_and_b32 s4, s2, s8
	s_and_saveexec_b32 s3, s4
	s_cbranch_execz .LBB37_62
; %bb.58:
	v_cmp_ne_u32_e32 vcc_lo, 1, v74
	v_lshlrev_b64 v[6:7], 2, v[4:5]
	s_cbranch_vccnz .LBB37_60
; %bb.59:
	v_add_co_u32 v8, vcc_lo, v78, v6
	v_add_co_ci_u32_e64 v9, null, v79, v7, vcc_lo
	flat_load_dword v8, v[8:9]
	s_waitcnt vmcnt(0) lgkmcnt(0)
	v_mul_f32_e32 v8, s15, v8
	s_branch .LBB37_61
.LBB37_60:
	v_mov_b32_e32 v8, 0
.LBB37_61:
	v_add_f32_e32 v9, v68, v69
	v_add_co_u32 v6, vcc_lo, v76, v6
	v_add_co_ci_u32_e64 v7, null, v77, v7, vcc_lo
	v_add_f32_e32 v8, v9, v8
	flat_store_dword v[6:7], v8
.LBB37_62:
	;; [unrolled: 27-line block ×7, first 2 shown]
	s_or_b32 exec_lo, exec_lo, s8
	v_add_nc_u32_e32 v68, 32, v75
	v_mad_i64_i32 v[16:17], null, v68, s14, 0
	v_mad_i64_i32 v[66:67], null, v68, s9, 0
	v_cmp_gt_i32_e64 s8, s13, v68
	v_lshlrev_b64 v[16:17], 2, v[16:17]
	s_and_b32 s18, s0, s8
	v_lshlrev_b64 v[66:67], 2, v[66:67]
	v_add_co_u32 v68, vcc_lo, s10, v16
	v_add_co_ci_u32_e64 v69, null, s11, v17, vcc_lo
	v_add_co_u32 v66, vcc_lo, s16, v66
	v_add_co_ci_u32_e64 v67, null, s17, v67, vcc_lo
	s_and_saveexec_b32 s12, s18
	s_cbranch_execnz .LBB37_95
; %bb.88:
	s_or_b32 exec_lo, exec_lo, s12
	s_and_b32 s18, s1, s8
	s_and_saveexec_b32 s12, s18
	s_cbranch_execnz .LBB37_99
.LBB37_89:
	s_or_b32 exec_lo, exec_lo, s12
	s_and_b32 s18, s2, s8
	s_and_saveexec_b32 s12, s18
	s_cbranch_execnz .LBB37_103
.LBB37_90:
	s_or_b32 exec_lo, exec_lo, s12
	s_and_b32 s18, s3, s8
	s_and_saveexec_b32 s12, s18
	s_cbranch_execnz .LBB37_107
.LBB37_91:
	s_or_b32 exec_lo, exec_lo, s12
	s_and_b32 s18, s4, s8
	s_and_saveexec_b32 s12, s18
	s_cbranch_execnz .LBB37_111
.LBB37_92:
	s_or_b32 exec_lo, exec_lo, s12
	s_and_b32 s18, s5, s8
	s_and_saveexec_b32 s12, s18
	s_cbranch_execnz .LBB37_115
.LBB37_93:
	s_or_b32 exec_lo, exec_lo, s12
	s_and_b32 s18, s6, s8
	s_and_saveexec_b32 s12, s18
	s_cbranch_execnz .LBB37_119
.LBB37_94:
	s_or_b32 exec_lo, exec_lo, s12
	s_and_b32 s12, s7, s8
	s_and_saveexec_b32 s8, s12
	s_cbranch_execnz .LBB37_123
	s_branch .LBB37_127
.LBB37_95:
	v_cmp_ne_u32_e32 vcc_lo, 1, v74
	v_lshlrev_b64 v[16:17], 2, v[0:1]
	s_cbranch_vccnz .LBB37_97
; %bb.96:
	v_add_co_u32 v70, vcc_lo, v68, v16
	v_add_co_ci_u32_e64 v71, null, v69, v17, vcc_lo
	flat_load_dword v70, v[70:71]
	s_waitcnt vmcnt(0) lgkmcnt(0)
	v_mul_f32_e32 v70, s15, v70
	s_branch .LBB37_98
.LBB37_97:
	v_mov_b32_e32 v70, 0
.LBB37_98:
	v_add_f32_e32 v64, v64, v65
	v_add_co_u32 v16, vcc_lo, v66, v16
	v_add_co_ci_u32_e64 v17, null, v67, v17, vcc_lo
	v_add_f32_e32 v64, v64, v70
	flat_store_dword v[16:17], v64
	s_or_b32 exec_lo, exec_lo, s12
	s_and_b32 s18, s1, s8
	s_and_saveexec_b32 s12, s18
	s_cbranch_execz .LBB37_89
.LBB37_99:
	v_cmp_ne_u32_e32 vcc_lo, 1, v74
	v_lshlrev_b64 v[16:17], 2, v[2:3]
	s_cbranch_vccnz .LBB37_101
; %bb.100:
	v_add_co_u32 v64, vcc_lo, v68, v16
	v_add_co_ci_u32_e64 v65, null, v69, v17, vcc_lo
	flat_load_dword v64, v[64:65]
	s_waitcnt vmcnt(0) lgkmcnt(0)
	v_mul_f32_e32 v64, s15, v64
	s_branch .LBB37_102
.LBB37_101:
	v_mov_b32_e32 v64, 0
.LBB37_102:
	v_add_f32_e32 v62, v62, v63
	v_add_co_u32 v16, vcc_lo, v66, v16
	v_add_co_ci_u32_e64 v17, null, v67, v17, vcc_lo
	v_add_f32_e32 v62, v62, v64
	flat_store_dword v[16:17], v62
	s_or_b32 exec_lo, exec_lo, s12
	s_and_b32 s18, s2, s8
	s_and_saveexec_b32 s12, s18
	s_cbranch_execz .LBB37_90
.LBB37_103:
	v_cmp_ne_u32_e32 vcc_lo, 1, v74
	v_lshlrev_b64 v[16:17], 2, v[4:5]
	s_cbranch_vccnz .LBB37_105
; %bb.104:
	v_add_co_u32 v62, vcc_lo, v68, v16
	v_add_co_ci_u32_e64 v63, null, v69, v17, vcc_lo
	flat_load_dword v62, v[62:63]
	s_waitcnt vmcnt(0) lgkmcnt(0)
	v_mul_f32_e32 v62, s15, v62
	s_branch .LBB37_106
.LBB37_105:
	v_mov_b32_e32 v62, 0
.LBB37_106:
	v_add_f32_e32 v60, v60, v61
	v_add_co_u32 v16, vcc_lo, v66, v16
	v_add_co_ci_u32_e64 v17, null, v67, v17, vcc_lo
	v_add_f32_e32 v60, v60, v62
	flat_store_dword v[16:17], v60
	s_or_b32 exec_lo, exec_lo, s12
	s_and_b32 s18, s3, s8
	s_and_saveexec_b32 s12, s18
	s_cbranch_execz .LBB37_91
.LBB37_107:
	v_cmp_ne_u32_e32 vcc_lo, 1, v74
	v_lshlrev_b64 v[16:17], 2, v[6:7]
	s_cbranch_vccnz .LBB37_109
; %bb.108:
	v_add_co_u32 v60, vcc_lo, v68, v16
	v_add_co_ci_u32_e64 v61, null, v69, v17, vcc_lo
	flat_load_dword v60, v[60:61]
	s_waitcnt vmcnt(0) lgkmcnt(0)
	v_mul_f32_e32 v60, s15, v60
	s_branch .LBB37_110
.LBB37_109:
	v_mov_b32_e32 v60, 0
.LBB37_110:
	v_add_f32_e32 v58, v58, v59
	v_add_co_u32 v16, vcc_lo, v66, v16
	v_add_co_ci_u32_e64 v17, null, v67, v17, vcc_lo
	v_add_f32_e32 v58, v58, v60
	flat_store_dword v[16:17], v58
	s_or_b32 exec_lo, exec_lo, s12
	s_and_b32 s18, s4, s8
	s_and_saveexec_b32 s12, s18
	s_cbranch_execz .LBB37_92
.LBB37_111:
	v_cmp_ne_u32_e32 vcc_lo, 1, v74
	v_lshlrev_b64 v[16:17], 2, v[8:9]
	s_cbranch_vccnz .LBB37_113
; %bb.112:
	v_add_co_u32 v58, vcc_lo, v68, v16
	v_add_co_ci_u32_e64 v59, null, v69, v17, vcc_lo
	flat_load_dword v58, v[58:59]
	s_waitcnt vmcnt(0) lgkmcnt(0)
	v_mul_f32_e32 v58, s15, v58
	s_branch .LBB37_114
.LBB37_113:
	v_mov_b32_e32 v58, 0
.LBB37_114:
	v_add_f32_e32 v56, v56, v57
	v_add_co_u32 v16, vcc_lo, v66, v16
	v_add_co_ci_u32_e64 v17, null, v67, v17, vcc_lo
	v_add_f32_e32 v56, v56, v58
	flat_store_dword v[16:17], v56
	s_or_b32 exec_lo, exec_lo, s12
	s_and_b32 s18, s5, s8
	s_and_saveexec_b32 s12, s18
	s_cbranch_execz .LBB37_93
.LBB37_115:
	v_cmp_ne_u32_e32 vcc_lo, 1, v74
	v_lshlrev_b64 v[16:17], 2, v[10:11]
	s_cbranch_vccnz .LBB37_117
; %bb.116:
	v_add_co_u32 v56, vcc_lo, v68, v16
	v_add_co_ci_u32_e64 v57, null, v69, v17, vcc_lo
	flat_load_dword v56, v[56:57]
	s_waitcnt vmcnt(0) lgkmcnt(0)
	v_mul_f32_e32 v56, s15, v56
	s_branch .LBB37_118
.LBB37_117:
	v_mov_b32_e32 v56, 0
.LBB37_118:
	v_add_f32_e32 v54, v54, v55
	v_add_co_u32 v16, vcc_lo, v66, v16
	v_add_co_ci_u32_e64 v17, null, v67, v17, vcc_lo
	v_add_f32_e32 v54, v54, v56
	flat_store_dword v[16:17], v54
	s_or_b32 exec_lo, exec_lo, s12
	s_and_b32 s18, s6, s8
	s_and_saveexec_b32 s12, s18
	s_cbranch_execz .LBB37_94
.LBB37_119:
	v_cmp_ne_u32_e32 vcc_lo, 1, v74
	v_lshlrev_b64 v[16:17], 2, v[12:13]
	s_cbranch_vccnz .LBB37_121
; %bb.120:
	v_add_co_u32 v54, vcc_lo, v68, v16
	v_add_co_ci_u32_e64 v55, null, v69, v17, vcc_lo
	flat_load_dword v54, v[54:55]
	s_waitcnt vmcnt(0) lgkmcnt(0)
	v_mul_f32_e32 v54, s15, v54
	s_branch .LBB37_122
.LBB37_121:
	v_mov_b32_e32 v54, 0
.LBB37_122:
	v_add_f32_e32 v52, v52, v53
	v_add_co_u32 v16, vcc_lo, v66, v16
	v_add_co_ci_u32_e64 v17, null, v67, v17, vcc_lo
	v_add_f32_e32 v52, v52, v54
	flat_store_dword v[16:17], v52
	s_or_b32 exec_lo, exec_lo, s12
	s_and_b32 s12, s7, s8
	s_and_saveexec_b32 s8, s12
	s_cbranch_execz .LBB37_127
.LBB37_123:
	v_cmp_ne_u32_e32 vcc_lo, 1, v74
	v_lshlrev_b64 v[16:17], 2, v[14:15]
	s_cbranch_vccnz .LBB37_125
; %bb.124:
	v_add_co_u32 v52, vcc_lo, v68, v16
	v_add_co_ci_u32_e64 v53, null, v69, v17, vcc_lo
	flat_load_dword v52, v[52:53]
	s_waitcnt vmcnt(0) lgkmcnt(0)
	v_mul_f32_e32 v52, s15, v52
	s_branch .LBB37_126
.LBB37_125:
	v_mov_b32_e32 v52, 0
.LBB37_126:
	v_add_f32_e32 v50, v50, v51
	v_add_co_u32 v16, vcc_lo, v66, v16
	v_add_co_ci_u32_e64 v17, null, v67, v17, vcc_lo
	v_add_f32_e32 v50, v50, v52
	flat_store_dword v[16:17], v50
.LBB37_127:
	s_or_b32 exec_lo, exec_lo, s8
	v_add_nc_u32_e32 v52, 64, v75
	v_mad_i64_i32 v[16:17], null, v52, s14, 0
	v_mad_i64_i32 v[50:51], null, v52, s9, 0
	v_cmp_gt_i32_e64 s8, s13, v52
	v_lshlrev_b64 v[16:17], 2, v[16:17]
	s_and_b32 s18, s0, s8
	v_lshlrev_b64 v[50:51], 2, v[50:51]
	v_add_co_u32 v52, vcc_lo, s10, v16
	v_add_co_ci_u32_e64 v53, null, s11, v17, vcc_lo
	v_add_co_u32 v50, vcc_lo, s16, v50
	v_add_co_ci_u32_e64 v51, null, s17, v51, vcc_lo
	s_and_saveexec_b32 s12, s18
	s_cbranch_execnz .LBB37_135
; %bb.128:
	s_or_b32 exec_lo, exec_lo, s12
	s_and_b32 s18, s1, s8
	s_and_saveexec_b32 s12, s18
	s_cbranch_execnz .LBB37_139
.LBB37_129:
	s_or_b32 exec_lo, exec_lo, s12
	s_and_b32 s18, s2, s8
	s_and_saveexec_b32 s12, s18
	s_cbranch_execnz .LBB37_143
.LBB37_130:
	s_or_b32 exec_lo, exec_lo, s12
	s_and_b32 s18, s3, s8
	s_and_saveexec_b32 s12, s18
	s_cbranch_execnz .LBB37_147
.LBB37_131:
	s_or_b32 exec_lo, exec_lo, s12
	s_and_b32 s18, s4, s8
	s_and_saveexec_b32 s12, s18
	s_cbranch_execnz .LBB37_151
.LBB37_132:
	s_or_b32 exec_lo, exec_lo, s12
	s_and_b32 s18, s5, s8
	s_and_saveexec_b32 s12, s18
	s_cbranch_execnz .LBB37_155
.LBB37_133:
	s_or_b32 exec_lo, exec_lo, s12
	s_and_b32 s18, s6, s8
	s_and_saveexec_b32 s12, s18
	s_cbranch_execnz .LBB37_159
.LBB37_134:
	s_or_b32 exec_lo, exec_lo, s12
	s_and_b32 s12, s7, s8
	s_and_saveexec_b32 s8, s12
	s_cbranch_execnz .LBB37_163
	s_branch .LBB37_167
.LBB37_135:
	v_cmp_ne_u32_e32 vcc_lo, 1, v74
	v_lshlrev_b64 v[16:17], 2, v[0:1]
	s_cbranch_vccnz .LBB37_137
; %bb.136:
	v_add_co_u32 v54, vcc_lo, v52, v16
	v_add_co_ci_u32_e64 v55, null, v53, v17, vcc_lo
	flat_load_dword v54, v[54:55]
	s_waitcnt vmcnt(0) lgkmcnt(0)
	v_mul_f32_e32 v54, s15, v54
	s_branch .LBB37_138
.LBB37_137:
	v_mov_b32_e32 v54, 0
.LBB37_138:
	v_add_f32_e32 v48, v48, v49
	v_add_co_u32 v16, vcc_lo, v50, v16
	v_add_co_ci_u32_e64 v17, null, v51, v17, vcc_lo
	v_add_f32_e32 v48, v48, v54
	flat_store_dword v[16:17], v48
	s_or_b32 exec_lo, exec_lo, s12
	s_and_b32 s18, s1, s8
	s_and_saveexec_b32 s12, s18
	s_cbranch_execz .LBB37_129
.LBB37_139:
	v_cmp_ne_u32_e32 vcc_lo, 1, v74
	v_lshlrev_b64 v[16:17], 2, v[2:3]
	s_cbranch_vccnz .LBB37_141
; %bb.140:
	v_add_co_u32 v48, vcc_lo, v52, v16
	v_add_co_ci_u32_e64 v49, null, v53, v17, vcc_lo
	flat_load_dword v48, v[48:49]
	s_waitcnt vmcnt(0) lgkmcnt(0)
	v_mul_f32_e32 v48, s15, v48
	s_branch .LBB37_142
.LBB37_141:
	v_mov_b32_e32 v48, 0
.LBB37_142:
	v_add_f32_e32 v46, v46, v47
	v_add_co_u32 v16, vcc_lo, v50, v16
	v_add_co_ci_u32_e64 v17, null, v51, v17, vcc_lo
	v_add_f32_e32 v46, v46, v48
	flat_store_dword v[16:17], v46
	s_or_b32 exec_lo, exec_lo, s12
	s_and_b32 s18, s2, s8
	s_and_saveexec_b32 s12, s18
	s_cbranch_execz .LBB37_130
.LBB37_143:
	v_cmp_ne_u32_e32 vcc_lo, 1, v74
	v_lshlrev_b64 v[16:17], 2, v[4:5]
	s_cbranch_vccnz .LBB37_145
; %bb.144:
	v_add_co_u32 v46, vcc_lo, v52, v16
	v_add_co_ci_u32_e64 v47, null, v53, v17, vcc_lo
	flat_load_dword v46, v[46:47]
	s_waitcnt vmcnt(0) lgkmcnt(0)
	v_mul_f32_e32 v46, s15, v46
	s_branch .LBB37_146
.LBB37_145:
	v_mov_b32_e32 v46, 0
.LBB37_146:
	v_add_f32_e32 v44, v44, v45
	v_add_co_u32 v16, vcc_lo, v50, v16
	v_add_co_ci_u32_e64 v17, null, v51, v17, vcc_lo
	v_add_f32_e32 v44, v44, v46
	flat_store_dword v[16:17], v44
	s_or_b32 exec_lo, exec_lo, s12
	s_and_b32 s18, s3, s8
	s_and_saveexec_b32 s12, s18
	s_cbranch_execz .LBB37_131
.LBB37_147:
	v_cmp_ne_u32_e32 vcc_lo, 1, v74
	v_lshlrev_b64 v[16:17], 2, v[6:7]
	s_cbranch_vccnz .LBB37_149
; %bb.148:
	v_add_co_u32 v44, vcc_lo, v52, v16
	v_add_co_ci_u32_e64 v45, null, v53, v17, vcc_lo
	flat_load_dword v44, v[44:45]
	s_waitcnt vmcnt(0) lgkmcnt(0)
	v_mul_f32_e32 v44, s15, v44
	s_branch .LBB37_150
.LBB37_149:
	v_mov_b32_e32 v44, 0
.LBB37_150:
	v_add_f32_e32 v42, v42, v43
	v_add_co_u32 v16, vcc_lo, v50, v16
	v_add_co_ci_u32_e64 v17, null, v51, v17, vcc_lo
	v_add_f32_e32 v42, v42, v44
	flat_store_dword v[16:17], v42
	s_or_b32 exec_lo, exec_lo, s12
	s_and_b32 s18, s4, s8
	s_and_saveexec_b32 s12, s18
	s_cbranch_execz .LBB37_132
.LBB37_151:
	v_cmp_ne_u32_e32 vcc_lo, 1, v74
	v_lshlrev_b64 v[16:17], 2, v[8:9]
	s_cbranch_vccnz .LBB37_153
; %bb.152:
	v_add_co_u32 v42, vcc_lo, v52, v16
	v_add_co_ci_u32_e64 v43, null, v53, v17, vcc_lo
	flat_load_dword v42, v[42:43]
	s_waitcnt vmcnt(0) lgkmcnt(0)
	v_mul_f32_e32 v42, s15, v42
	s_branch .LBB37_154
.LBB37_153:
	v_mov_b32_e32 v42, 0
.LBB37_154:
	v_add_f32_e32 v40, v40, v41
	v_add_co_u32 v16, vcc_lo, v50, v16
	v_add_co_ci_u32_e64 v17, null, v51, v17, vcc_lo
	v_add_f32_e32 v40, v40, v42
	flat_store_dword v[16:17], v40
	s_or_b32 exec_lo, exec_lo, s12
	s_and_b32 s18, s5, s8
	s_and_saveexec_b32 s12, s18
	s_cbranch_execz .LBB37_133
.LBB37_155:
	v_cmp_ne_u32_e32 vcc_lo, 1, v74
	v_lshlrev_b64 v[16:17], 2, v[10:11]
	s_cbranch_vccnz .LBB37_157
; %bb.156:
	v_add_co_u32 v40, vcc_lo, v52, v16
	v_add_co_ci_u32_e64 v41, null, v53, v17, vcc_lo
	flat_load_dword v40, v[40:41]
	s_waitcnt vmcnt(0) lgkmcnt(0)
	v_mul_f32_e32 v40, s15, v40
	s_branch .LBB37_158
.LBB37_157:
	v_mov_b32_e32 v40, 0
.LBB37_158:
	v_add_f32_e32 v38, v38, v39
	v_add_co_u32 v16, vcc_lo, v50, v16
	v_add_co_ci_u32_e64 v17, null, v51, v17, vcc_lo
	v_add_f32_e32 v38, v38, v40
	flat_store_dword v[16:17], v38
	s_or_b32 exec_lo, exec_lo, s12
	s_and_b32 s18, s6, s8
	s_and_saveexec_b32 s12, s18
	s_cbranch_execz .LBB37_134
.LBB37_159:
	v_cmp_ne_u32_e32 vcc_lo, 1, v74
	v_lshlrev_b64 v[16:17], 2, v[12:13]
	s_cbranch_vccnz .LBB37_161
; %bb.160:
	v_add_co_u32 v38, vcc_lo, v52, v16
	v_add_co_ci_u32_e64 v39, null, v53, v17, vcc_lo
	flat_load_dword v38, v[38:39]
	s_waitcnt vmcnt(0) lgkmcnt(0)
	v_mul_f32_e32 v38, s15, v38
	s_branch .LBB37_162
.LBB37_161:
	v_mov_b32_e32 v38, 0
.LBB37_162:
	v_add_f32_e32 v36, v36, v37
	v_add_co_u32 v16, vcc_lo, v50, v16
	v_add_co_ci_u32_e64 v17, null, v51, v17, vcc_lo
	v_add_f32_e32 v36, v36, v38
	flat_store_dword v[16:17], v36
	s_or_b32 exec_lo, exec_lo, s12
	s_and_b32 s12, s7, s8
	s_and_saveexec_b32 s8, s12
	s_cbranch_execz .LBB37_167
.LBB37_163:
	v_cmp_ne_u32_e32 vcc_lo, 1, v74
	v_lshlrev_b64 v[16:17], 2, v[14:15]
	s_cbranch_vccnz .LBB37_165
; %bb.164:
	v_add_co_u32 v36, vcc_lo, v52, v16
	v_add_co_ci_u32_e64 v37, null, v53, v17, vcc_lo
	flat_load_dword v36, v[36:37]
	s_waitcnt vmcnt(0) lgkmcnt(0)
	v_mul_f32_e32 v36, s15, v36
	s_branch .LBB37_166
.LBB37_165:
	v_mov_b32_e32 v36, 0
.LBB37_166:
	v_add_f32_e32 v34, v34, v35
	v_add_co_u32 v16, vcc_lo, v50, v16
	v_add_co_ci_u32_e64 v17, null, v51, v17, vcc_lo
	v_add_f32_e32 v34, v34, v36
	flat_store_dword v[16:17], v34
.LBB37_167:
	s_or_b32 exec_lo, exec_lo, s8
	v_add_nc_u32_e32 v36, 0x60, v75
	v_mad_i64_i32 v[16:17], null, v36, s14, 0
	v_mad_i64_i32 v[34:35], null, v36, s9, 0
	v_cmp_gt_i32_e64 s8, s13, v36
	v_lshlrev_b64 v[16:17], 2, v[16:17]
	s_and_b32 s9, s0, s8
	v_lshlrev_b64 v[36:37], 2, v[34:35]
	v_add_co_u32 v34, vcc_lo, s10, v16
	v_add_co_ci_u32_e64 v35, null, s11, v17, vcc_lo
	v_add_co_u32 v16, vcc_lo, s16, v36
	v_add_co_ci_u32_e64 v17, null, s17, v37, vcc_lo
	s_and_saveexec_b32 s0, s9
	s_cbranch_execnz .LBB37_176
; %bb.168:
	s_or_b32 exec_lo, exec_lo, s0
	s_and_b32 s1, s1, s8
	s_and_saveexec_b32 s0, s1
	s_cbranch_execnz .LBB37_180
.LBB37_169:
	s_or_b32 exec_lo, exec_lo, s0
	s_and_b32 s1, s2, s8
	s_and_saveexec_b32 s0, s1
	s_cbranch_execnz .LBB37_184
.LBB37_170:
	s_or_b32 exec_lo, exec_lo, s0
	s_and_b32 s1, s3, s8
	s_and_saveexec_b32 s0, s1
	s_cbranch_execnz .LBB37_188
.LBB37_171:
	s_or_b32 exec_lo, exec_lo, s0
	s_and_b32 s1, s4, s8
	s_and_saveexec_b32 s0, s1
	s_cbranch_execnz .LBB37_192
.LBB37_172:
	s_or_b32 exec_lo, exec_lo, s0
	s_and_b32 s1, s5, s8
	s_and_saveexec_b32 s0, s1
	s_cbranch_execnz .LBB37_196
.LBB37_173:
	s_or_b32 exec_lo, exec_lo, s0
	s_and_b32 s1, s6, s8
	s_and_saveexec_b32 s0, s1
	s_cbranch_execnz .LBB37_200
.LBB37_174:
	s_or_b32 exec_lo, exec_lo, s0
	s_and_b32 s0, s7, s8
	s_and_saveexec_b32 s1, s0
	s_cbranch_execnz .LBB37_204
.LBB37_175:
	s_endpgm
.LBB37_176:
	v_cmp_ne_u32_e32 vcc_lo, 1, v74
	v_lshlrev_b64 v[0:1], 2, v[0:1]
	s_cbranch_vccnz .LBB37_178
; %bb.177:
	v_add_co_u32 v36, vcc_lo, v34, v0
	v_add_co_ci_u32_e64 v37, null, v35, v1, vcc_lo
	flat_load_dword v36, v[36:37]
	s_waitcnt vmcnt(0) lgkmcnt(0)
	v_mul_f32_e32 v36, s15, v36
	s_branch .LBB37_179
.LBB37_178:
	v_mov_b32_e32 v36, 0
.LBB37_179:
	v_add_f32_e32 v32, v32, v33
	v_add_co_u32 v0, vcc_lo, v16, v0
	v_add_co_ci_u32_e64 v1, null, v17, v1, vcc_lo
	v_add_f32_e32 v32, v32, v36
	flat_store_dword v[0:1], v32
	s_or_b32 exec_lo, exec_lo, s0
	s_and_b32 s1, s1, s8
	s_and_saveexec_b32 s0, s1
	s_cbranch_execz .LBB37_169
.LBB37_180:
	v_cmp_ne_u32_e32 vcc_lo, 1, v74
	v_lshlrev_b64 v[0:1], 2, v[2:3]
	s_cbranch_vccnz .LBB37_182
; %bb.181:
	v_add_co_u32 v2, vcc_lo, v34, v0
	v_add_co_ci_u32_e64 v3, null, v35, v1, vcc_lo
	flat_load_dword v2, v[2:3]
	s_waitcnt vmcnt(0) lgkmcnt(0)
	v_mul_f32_e32 v2, s15, v2
	s_branch .LBB37_183
.LBB37_182:
	v_mov_b32_e32 v2, 0
.LBB37_183:
	v_add_f32_e32 v3, v30, v31
	v_add_co_u32 v0, vcc_lo, v16, v0
	v_add_co_ci_u32_e64 v1, null, v17, v1, vcc_lo
	v_add_f32_e32 v2, v3, v2
	flat_store_dword v[0:1], v2
	s_or_b32 exec_lo, exec_lo, s0
	s_and_b32 s1, s2, s8
	s_and_saveexec_b32 s0, s1
	s_cbranch_execz .LBB37_170
.LBB37_184:
	v_cmp_ne_u32_e32 vcc_lo, 1, v74
	v_lshlrev_b64 v[0:1], 2, v[4:5]
	s_cbranch_vccnz .LBB37_186
; %bb.185:
	v_add_co_u32 v2, vcc_lo, v34, v0
	v_add_co_ci_u32_e64 v3, null, v35, v1, vcc_lo
	flat_load_dword v2, v[2:3]
	s_waitcnt vmcnt(0) lgkmcnt(0)
	v_mul_f32_e32 v2, s15, v2
	s_branch .LBB37_187
.LBB37_186:
	v_mov_b32_e32 v2, 0
.LBB37_187:
	v_add_f32_e32 v3, v28, v29
	v_add_co_u32 v0, vcc_lo, v16, v0
	v_add_co_ci_u32_e64 v1, null, v17, v1, vcc_lo
	v_add_f32_e32 v2, v3, v2
	flat_store_dword v[0:1], v2
	s_or_b32 exec_lo, exec_lo, s0
	s_and_b32 s1, s3, s8
	s_and_saveexec_b32 s0, s1
	s_cbranch_execz .LBB37_171
.LBB37_188:
	v_cmp_ne_u32_e32 vcc_lo, 1, v74
	v_lshlrev_b64 v[0:1], 2, v[6:7]
	s_cbranch_vccnz .LBB37_190
; %bb.189:
	v_add_co_u32 v2, vcc_lo, v34, v0
	v_add_co_ci_u32_e64 v3, null, v35, v1, vcc_lo
	flat_load_dword v2, v[2:3]
	s_waitcnt vmcnt(0) lgkmcnt(0)
	v_mul_f32_e32 v2, s15, v2
	s_branch .LBB37_191
.LBB37_190:
	v_mov_b32_e32 v2, 0
.LBB37_191:
	v_add_f32_e32 v3, v26, v27
	v_add_co_u32 v0, vcc_lo, v16, v0
	v_add_co_ci_u32_e64 v1, null, v17, v1, vcc_lo
	v_add_f32_e32 v2, v3, v2
	flat_store_dword v[0:1], v2
	s_or_b32 exec_lo, exec_lo, s0
	s_and_b32 s1, s4, s8
	s_and_saveexec_b32 s0, s1
	s_cbranch_execz .LBB37_172
.LBB37_192:
	v_cmp_ne_u32_e32 vcc_lo, 1, v74
	v_lshlrev_b64 v[0:1], 2, v[8:9]
	s_cbranch_vccnz .LBB37_194
; %bb.193:
	v_add_co_u32 v2, vcc_lo, v34, v0
	v_add_co_ci_u32_e64 v3, null, v35, v1, vcc_lo
	flat_load_dword v2, v[2:3]
	s_waitcnt vmcnt(0) lgkmcnt(0)
	v_mul_f32_e32 v2, s15, v2
	s_branch .LBB37_195
.LBB37_194:
	v_mov_b32_e32 v2, 0
.LBB37_195:
	v_add_f32_e32 v3, v24, v25
	v_add_co_u32 v0, vcc_lo, v16, v0
	v_add_co_ci_u32_e64 v1, null, v17, v1, vcc_lo
	v_add_f32_e32 v2, v3, v2
	flat_store_dword v[0:1], v2
	s_or_b32 exec_lo, exec_lo, s0
	s_and_b32 s1, s5, s8
	s_and_saveexec_b32 s0, s1
	s_cbranch_execz .LBB37_173
.LBB37_196:
	v_cmp_ne_u32_e32 vcc_lo, 1, v74
	v_lshlrev_b64 v[0:1], 2, v[10:11]
	s_cbranch_vccnz .LBB37_198
; %bb.197:
	v_add_co_u32 v2, vcc_lo, v34, v0
	v_add_co_ci_u32_e64 v3, null, v35, v1, vcc_lo
	flat_load_dword v2, v[2:3]
	s_waitcnt vmcnt(0) lgkmcnt(0)
	v_mul_f32_e32 v2, s15, v2
	s_branch .LBB37_199
.LBB37_198:
	v_mov_b32_e32 v2, 0
.LBB37_199:
	v_add_f32_e32 v3, v22, v23
	v_add_co_u32 v0, vcc_lo, v16, v0
	v_add_co_ci_u32_e64 v1, null, v17, v1, vcc_lo
	v_add_f32_e32 v2, v3, v2
	flat_store_dword v[0:1], v2
	s_or_b32 exec_lo, exec_lo, s0
	s_and_b32 s1, s6, s8
	s_and_saveexec_b32 s0, s1
	s_cbranch_execz .LBB37_174
.LBB37_200:
	v_cmp_ne_u32_e32 vcc_lo, 1, v74
	v_lshlrev_b64 v[0:1], 2, v[12:13]
	s_cbranch_vccnz .LBB37_202
; %bb.201:
	v_add_co_u32 v2, vcc_lo, v34, v0
	v_add_co_ci_u32_e64 v3, null, v35, v1, vcc_lo
	flat_load_dword v2, v[2:3]
	s_waitcnt vmcnt(0) lgkmcnt(0)
	v_mul_f32_e32 v2, s15, v2
	s_branch .LBB37_203
.LBB37_202:
	v_mov_b32_e32 v2, 0
.LBB37_203:
	v_add_f32_e32 v3, v20, v21
	v_add_co_u32 v0, vcc_lo, v16, v0
	v_add_co_ci_u32_e64 v1, null, v17, v1, vcc_lo
	v_add_f32_e32 v2, v3, v2
	flat_store_dword v[0:1], v2
	s_or_b32 exec_lo, exec_lo, s0
	s_and_b32 s0, s7, s8
	s_and_saveexec_b32 s1, s0
	s_cbranch_execz .LBB37_175
.LBB37_204:
	v_cmp_ne_u32_e32 vcc_lo, 1, v74
	v_lshlrev_b64 v[0:1], 2, v[14:15]
	s_cbranch_vccnz .LBB37_206
; %bb.205:
	v_add_co_u32 v2, vcc_lo, v34, v0
	v_add_co_ci_u32_e64 v3, null, v35, v1, vcc_lo
	flat_load_dword v2, v[2:3]
	s_waitcnt vmcnt(0) lgkmcnt(0)
	v_mul_f32_e32 v2, s15, v2
	s_branch .LBB37_207
.LBB37_206:
	v_mov_b32_e32 v2, 0
.LBB37_207:
	v_add_f32_e32 v3, v18, v19
	v_add_co_u32 v0, vcc_lo, v16, v0
	v_add_co_ci_u32_e64 v1, null, v17, v1, vcc_lo
	v_add_f32_e32 v2, v3, v2
	flat_store_dword v[0:1], v2
	s_endpgm
	.section	.rodata,"a",@progbits
	.p2align	6, 0x0
	.amdhsa_kernel _ZN12_GLOBAL__N_120geam_min_plus_kernelIf15HIP_vector_typeIfLj2EES2_Li8ELi32ELi64ELi128ELi4ELi4ELi64ELi4ELi64ELc84ELc78ELb1ELb1ELb0EfKPKfKPfEEviiiT16_PT17_ilSA_ilS8_SA_ilPT18_ili26rocblas_geam_ex_operation_
		.amdhsa_group_segment_fixed_size 6144
		.amdhsa_private_segment_fixed_size 0
		.amdhsa_kernarg_size 128
		.amdhsa_user_sgpr_count 6
		.amdhsa_user_sgpr_private_segment_buffer 1
		.amdhsa_user_sgpr_dispatch_ptr 0
		.amdhsa_user_sgpr_queue_ptr 0
		.amdhsa_user_sgpr_kernarg_segment_ptr 1
		.amdhsa_user_sgpr_dispatch_id 0
		.amdhsa_user_sgpr_flat_scratch_init 0
		.amdhsa_user_sgpr_private_segment_size 0
		.amdhsa_wavefront_size32 1
		.amdhsa_uses_dynamic_stack 0
		.amdhsa_system_sgpr_private_segment_wavefront_offset 0
		.amdhsa_system_sgpr_workgroup_id_x 1
		.amdhsa_system_sgpr_workgroup_id_y 0
		.amdhsa_system_sgpr_workgroup_id_z 1
		.amdhsa_system_sgpr_workgroup_info 0
		.amdhsa_system_vgpr_workitem_id 1
		.amdhsa_next_free_vgpr 156
		.amdhsa_next_free_sgpr 25
		.amdhsa_reserve_vcc 1
		.amdhsa_reserve_flat_scratch 0
		.amdhsa_float_round_mode_32 0
		.amdhsa_float_round_mode_16_64 0
		.amdhsa_float_denorm_mode_32 3
		.amdhsa_float_denorm_mode_16_64 3
		.amdhsa_dx10_clamp 1
		.amdhsa_ieee_mode 1
		.amdhsa_fp16_overflow 0
		.amdhsa_workgroup_processor_mode 1
		.amdhsa_memory_ordered 1
		.amdhsa_forward_progress 1
		.amdhsa_shared_vgpr_count 0
		.amdhsa_exception_fp_ieee_invalid_op 0
		.amdhsa_exception_fp_denorm_src 0
		.amdhsa_exception_fp_ieee_div_zero 0
		.amdhsa_exception_fp_ieee_overflow 0
		.amdhsa_exception_fp_ieee_underflow 0
		.amdhsa_exception_fp_ieee_inexact 0
		.amdhsa_exception_int_div_zero 0
	.end_amdhsa_kernel
	.section	.text._ZN12_GLOBAL__N_120geam_min_plus_kernelIf15HIP_vector_typeIfLj2EES2_Li8ELi32ELi64ELi128ELi4ELi4ELi64ELi4ELi64ELc84ELc78ELb1ELb1ELb0EfKPKfKPfEEviiiT16_PT17_ilSA_ilS8_SA_ilPT18_ili26rocblas_geam_ex_operation_,"axG",@progbits,_ZN12_GLOBAL__N_120geam_min_plus_kernelIf15HIP_vector_typeIfLj2EES2_Li8ELi32ELi64ELi128ELi4ELi4ELi64ELi4ELi64ELc84ELc78ELb1ELb1ELb0EfKPKfKPfEEviiiT16_PT17_ilSA_ilS8_SA_ilPT18_ili26rocblas_geam_ex_operation_,comdat
.Lfunc_end37:
	.size	_ZN12_GLOBAL__N_120geam_min_plus_kernelIf15HIP_vector_typeIfLj2EES2_Li8ELi32ELi64ELi128ELi4ELi4ELi64ELi4ELi64ELc84ELc78ELb1ELb1ELb0EfKPKfKPfEEviiiT16_PT17_ilSA_ilS8_SA_ilPT18_ili26rocblas_geam_ex_operation_, .Lfunc_end37-_ZN12_GLOBAL__N_120geam_min_plus_kernelIf15HIP_vector_typeIfLj2EES2_Li8ELi32ELi64ELi128ELi4ELi4ELi64ELi4ELi64ELc84ELc78ELb1ELb1ELb0EfKPKfKPfEEviiiT16_PT17_ilSA_ilS8_SA_ilPT18_ili26rocblas_geam_ex_operation_
                                        ; -- End function
	.set _ZN12_GLOBAL__N_120geam_min_plus_kernelIf15HIP_vector_typeIfLj2EES2_Li8ELi32ELi64ELi128ELi4ELi4ELi64ELi4ELi64ELc84ELc78ELb1ELb1ELb0EfKPKfKPfEEviiiT16_PT17_ilSA_ilS8_SA_ilPT18_ili26rocblas_geam_ex_operation_.num_vgpr, 156
	.set _ZN12_GLOBAL__N_120geam_min_plus_kernelIf15HIP_vector_typeIfLj2EES2_Li8ELi32ELi64ELi128ELi4ELi4ELi64ELi4ELi64ELc84ELc78ELb1ELb1ELb0EfKPKfKPfEEviiiT16_PT17_ilSA_ilS8_SA_ilPT18_ili26rocblas_geam_ex_operation_.num_agpr, 0
	.set _ZN12_GLOBAL__N_120geam_min_plus_kernelIf15HIP_vector_typeIfLj2EES2_Li8ELi32ELi64ELi128ELi4ELi4ELi64ELi4ELi64ELc84ELc78ELb1ELb1ELb0EfKPKfKPfEEviiiT16_PT17_ilSA_ilS8_SA_ilPT18_ili26rocblas_geam_ex_operation_.numbered_sgpr, 25
	.set _ZN12_GLOBAL__N_120geam_min_plus_kernelIf15HIP_vector_typeIfLj2EES2_Li8ELi32ELi64ELi128ELi4ELi4ELi64ELi4ELi64ELc84ELc78ELb1ELb1ELb0EfKPKfKPfEEviiiT16_PT17_ilSA_ilS8_SA_ilPT18_ili26rocblas_geam_ex_operation_.num_named_barrier, 0
	.set _ZN12_GLOBAL__N_120geam_min_plus_kernelIf15HIP_vector_typeIfLj2EES2_Li8ELi32ELi64ELi128ELi4ELi4ELi64ELi4ELi64ELc84ELc78ELb1ELb1ELb0EfKPKfKPfEEviiiT16_PT17_ilSA_ilS8_SA_ilPT18_ili26rocblas_geam_ex_operation_.private_seg_size, 0
	.set _ZN12_GLOBAL__N_120geam_min_plus_kernelIf15HIP_vector_typeIfLj2EES2_Li8ELi32ELi64ELi128ELi4ELi4ELi64ELi4ELi64ELc84ELc78ELb1ELb1ELb0EfKPKfKPfEEviiiT16_PT17_ilSA_ilS8_SA_ilPT18_ili26rocblas_geam_ex_operation_.uses_vcc, 1
	.set _ZN12_GLOBAL__N_120geam_min_plus_kernelIf15HIP_vector_typeIfLj2EES2_Li8ELi32ELi64ELi128ELi4ELi4ELi64ELi4ELi64ELc84ELc78ELb1ELb1ELb0EfKPKfKPfEEviiiT16_PT17_ilSA_ilS8_SA_ilPT18_ili26rocblas_geam_ex_operation_.uses_flat_scratch, 0
	.set _ZN12_GLOBAL__N_120geam_min_plus_kernelIf15HIP_vector_typeIfLj2EES2_Li8ELi32ELi64ELi128ELi4ELi4ELi64ELi4ELi64ELc84ELc78ELb1ELb1ELb0EfKPKfKPfEEviiiT16_PT17_ilSA_ilS8_SA_ilPT18_ili26rocblas_geam_ex_operation_.has_dyn_sized_stack, 0
	.set _ZN12_GLOBAL__N_120geam_min_plus_kernelIf15HIP_vector_typeIfLj2EES2_Li8ELi32ELi64ELi128ELi4ELi4ELi64ELi4ELi64ELc84ELc78ELb1ELb1ELb0EfKPKfKPfEEviiiT16_PT17_ilSA_ilS8_SA_ilPT18_ili26rocblas_geam_ex_operation_.has_recursion, 0
	.set _ZN12_GLOBAL__N_120geam_min_plus_kernelIf15HIP_vector_typeIfLj2EES2_Li8ELi32ELi64ELi128ELi4ELi4ELi64ELi4ELi64ELc84ELc78ELb1ELb1ELb0EfKPKfKPfEEviiiT16_PT17_ilSA_ilS8_SA_ilPT18_ili26rocblas_geam_ex_operation_.has_indirect_call, 0
	.section	.AMDGPU.csdata,"",@progbits
; Kernel info:
; codeLenInByte = 8980
; TotalNumSgprs: 27
; NumVgprs: 156
; ScratchSize: 0
; MemoryBound: 0
; FloatMode: 240
; IeeeMode: 1
; LDSByteSize: 6144 bytes/workgroup (compile time only)
; SGPRBlocks: 0
; VGPRBlocks: 19
; NumSGPRsForWavesPerEU: 27
; NumVGPRsForWavesPerEU: 156
; Occupancy: 6
; WaveLimiterHint : 1
; COMPUTE_PGM_RSRC2:SCRATCH_EN: 0
; COMPUTE_PGM_RSRC2:USER_SGPR: 6
; COMPUTE_PGM_RSRC2:TRAP_HANDLER: 0
; COMPUTE_PGM_RSRC2:TGID_X_EN: 1
; COMPUTE_PGM_RSRC2:TGID_Y_EN: 0
; COMPUTE_PGM_RSRC2:TGID_Z_EN: 1
; COMPUTE_PGM_RSRC2:TIDIG_COMP_CNT: 1
	.section	.text._ZN12_GLOBAL__N_120geam_min_plus_kernelIf15HIP_vector_typeIfLj2EES2_Li8ELi32ELi64ELi128ELi4ELi4ELi64ELi4ELi64ELc84ELc78ELb0ELb1ELb0EfKPKfKPfEEviiiT16_PT17_ilSA_ilS8_SA_ilPT18_ili26rocblas_geam_ex_operation_,"axG",@progbits,_ZN12_GLOBAL__N_120geam_min_plus_kernelIf15HIP_vector_typeIfLj2EES2_Li8ELi32ELi64ELi128ELi4ELi4ELi64ELi4ELi64ELc84ELc78ELb0ELb1ELb0EfKPKfKPfEEviiiT16_PT17_ilSA_ilS8_SA_ilPT18_ili26rocblas_geam_ex_operation_,comdat
	.globl	_ZN12_GLOBAL__N_120geam_min_plus_kernelIf15HIP_vector_typeIfLj2EES2_Li8ELi32ELi64ELi128ELi4ELi4ELi64ELi4ELi64ELc84ELc78ELb0ELb1ELb0EfKPKfKPfEEviiiT16_PT17_ilSA_ilS8_SA_ilPT18_ili26rocblas_geam_ex_operation_ ; -- Begin function _ZN12_GLOBAL__N_120geam_min_plus_kernelIf15HIP_vector_typeIfLj2EES2_Li8ELi32ELi64ELi128ELi4ELi4ELi64ELi4ELi64ELc84ELc78ELb0ELb1ELb0EfKPKfKPfEEviiiT16_PT17_ilSA_ilS8_SA_ilPT18_ili26rocblas_geam_ex_operation_
	.p2align	8
	.type	_ZN12_GLOBAL__N_120geam_min_plus_kernelIf15HIP_vector_typeIfLj2EES2_Li8ELi32ELi64ELi128ELi4ELi4ELi64ELi4ELi64ELc84ELc78ELb0ELb1ELb0EfKPKfKPfEEviiiT16_PT17_ilSA_ilS8_SA_ilPT18_ili26rocblas_geam_ex_operation_,@function
_ZN12_GLOBAL__N_120geam_min_plus_kernelIf15HIP_vector_typeIfLj2EES2_Li8ELi32ELi64ELi128ELi4ELi4ELi64ELi4ELi64ELc84ELc78ELb0ELb1ELb0EfKPKfKPfEEviiiT16_PT17_ilSA_ilS8_SA_ilPT18_ili26rocblas_geam_ex_operation_: ; @_ZN12_GLOBAL__N_120geam_min_plus_kernelIf15HIP_vector_typeIfLj2EES2_Li8ELi32ELi64ELi128ELi4ELi4ELi64ELi4ELi64ELc84ELc78ELb0ELb1ELb0EfKPKfKPfEEviiiT16_PT17_ilSA_ilS8_SA_ilPT18_ili26rocblas_geam_ex_operation_
; %bb.0:
	s_clause 0x1
	s_load_dwordx4 s[12:15], s[4:5], 0x0
	s_load_dwordx4 s[0:3], s[4:5], 0x20
	s_mov_b32 s18, s7
	s_mov_b32 s19, 0
	s_waitcnt lgkmcnt(0)
	v_cmp_eq_f32_e64 s7, s15, 0
	v_cmp_neq_f32_e64 s23, s15, 0
	s_and_b32 vcc_lo, exec_lo, s7
	s_cbranch_vccnz .LBB38_3
; %bb.1:
	s_load_dwordx2 s[8:9], s[4:5], 0x10
	s_lshl_b64 s[10:11], s[18:19], 3
	s_waitcnt lgkmcnt(0)
	s_add_u32 s8, s8, s10
	s_addc_u32 s9, s9, s11
	s_lshl_b64 s[0:1], s[0:1], 2
	s_load_dwordx2 s[8:9], s[8:9], 0x0
	s_waitcnt lgkmcnt(0)
	s_add_u32 s16, s8, s0
	s_addc_u32 s17, s9, s1
	s_andn2_b32 vcc_lo, exec_lo, s7
	s_cbranch_vccnz .LBB38_4
.LBB38_2:
	s_mov_b32 s21, 0
	s_mov_b32 s20, s18
	s_mov_b32 s0, s21
	s_mov_b64 s[10:11], 0
	s_andn2_b32 vcc_lo, exec_lo, s0
	s_mov_b64 s[8:9], 0
	s_cbranch_vccz .LBB38_5
	s_branch .LBB38_6
.LBB38_3:
	s_mov_b64 s[16:17], 0
	s_andn2_b32 vcc_lo, exec_lo, s7
	s_cbranch_vccz .LBB38_2
.LBB38_4:
	s_mov_b64 s[20:21], s[18:19]
	s_mov_b64 s[10:11], 0
	;; [unrolled: 1-line block ×3, first 2 shown]
.LBB38_5:
	s_lshl_b64 s[0:1], s[18:19], 3
	s_load_dwordx2 s[8:9], s[4:5], 0x38
	s_add_u32 s0, s2, s0
	s_addc_u32 s1, s3, s1
	s_load_dwordx2 s[0:1], s[0:1], 0x0
	s_waitcnt lgkmcnt(0)
	s_lshl_b64 s[2:3], s[8:9], 2
	s_add_u32 s8, s0, s2
	s_addc_u32 s9, s1, s3
.LBB38_6:
	s_clause 0x1
	s_load_dword s22, s[4:5], 0x40
	s_load_dwordx4 s[0:3], s[4:5], 0x58
	s_waitcnt lgkmcnt(0)
	v_cmp_eq_f32_e64 s18, s22, 0
	v_cmp_neq_f32_e64 s7, s22, 0
	s_and_b32 vcc_lo, exec_lo, s18
	s_cbranch_vccnz .LBB38_8
; %bb.7:
	s_load_dwordx2 s[10:11], s[4:5], 0x48
	s_lshl_b64 s[18:19], s[20:21], 3
	s_waitcnt lgkmcnt(0)
	s_add_u32 s10, s10, s18
	s_addc_u32 s11, s11, s19
	s_lshl_b64 s[0:1], s[0:1], 2
	s_load_dwordx2 s[10:11], s[10:11], 0x0
	s_waitcnt lgkmcnt(0)
	s_add_u32 s10, s10, s0
	s_addc_u32 s11, s11, s1
.LBB38_8:
	s_lshl_b64 s[0:1], s[20:21], 3
	s_load_dword s26, s[4:5], 0x18
	s_add_u32 s18, s2, s0
	s_addc_u32 s19, s3, s1
	s_add_i32 s0, s12, -1
	v_and_b32_e32 v72, 3, v0
	s_ashr_i32 s1, s0, 31
	v_mov_b32_e32 v8, 0
	s_lshr_b32 s1, s1, 26
	v_mov_b32_e32 v9, 0
	s_add_i32 s0, s0, s1
	v_cmp_gt_i32_e32 vcc_lo, s14, v72
	s_ashr_i32 s0, s0, 6
	v_lshlrev_b32_e32 v4, 2, v72
	s_add_i32 s2, s0, 1
	s_not_b32 s0, s0
	v_cvt_f32_u32_e32 v2, s2
	v_rcp_iflag_f32_e32 v2, v2
	v_mul_f32_e32 v2, 0x4f7ffffe, v2
	v_cvt_u32_f32_e32 v2, v2
	v_readfirstlane_b32 s1, v2
	v_lshl_add_u32 v2, v1, 3, v0
	s_mul_i32 s0, s0, s1
	v_lshrrev_b32_e32 v3, 2, v2
	s_mul_hi_u32 s0, s1, s0
	s_add_i32 s1, s1, s0
	s_mul_hi_u32 s0, s6, s1
	s_mul_i32 s1, s0, s2
	s_add_i32 s3, s0, 1
	s_sub_i32 s1, s6, s1
	s_sub_i32 s20, s1, s2
	s_cmp_ge_u32 s1, s2
	s_cselect_b32 s0, s3, s0
	s_cselect_b32 s1, s20, s1
	s_add_i32 s3, s0, 1
	s_cmp_ge_u32 s1, s2
	s_cselect_b32 s1, s3, s0
	s_mul_i32 s0, s1, s2
	s_sub_i32 s0, s6, s0
	s_lshl_b32 s6, s0, 6
	v_add_nc_u32_e32 v2, s6, v3
	v_cmp_gt_i32_e64 s0, s12, v2
	s_and_b32 s2, vcc_lo, s0
	s_and_b32 s3, s23, s2
	s_and_saveexec_b32 s2, s3
	s_cbranch_execz .LBB38_10
; %bb.9:
	s_waitcnt lgkmcnt(0)
	v_mad_i64_i32 v[5:6], null, v2, s26, 0
	v_lshlrev_b64 v[5:6], 2, v[5:6]
	v_add_co_u32 v5, vcc_lo, s16, v5
	v_add_co_ci_u32_e64 v6, null, s17, v6, vcc_lo
	v_add_co_u32 v5, vcc_lo, v5, v4
	v_add_co_ci_u32_e64 v6, null, 0, v6, vcc_lo
	flat_load_dword v5, v[5:6]
	s_waitcnt vmcnt(0) lgkmcnt(0)
	v_mul_f32_e32 v9, s15, v5
.LBB38_10:
	s_or_b32 exec_lo, exec_lo, s2
	s_add_i32 s21, s14, -1
	s_load_dword s27, s[4:5], 0x30
	v_min_i32_e32 v6, s21, v72
	s_lshl_b32 s20, s1, 7
	v_cmp_le_i32_e32 vcc_lo, s14, v72
	v_add_nc_u32_e32 v5, s20, v3
	s_xor_b32 s3, s23, -1
	v_ashrrev_i32_e32 v7, 31, v6
	v_cmp_le_i32_e64 s1, s13, v5
	v_lshlrev_b64 v[6:7], 2, v[6:7]
	s_or_b32 s24, s1, s3
	s_nor_b32 s1, vcc_lo, s24
	v_add_co_u32 v11, s2, s8, v6
	v_add_co_ci_u32_e64 v12, null, s9, v7, s2
	s_and_saveexec_b32 s2, s1
	s_cbranch_execz .LBB38_12
; %bb.11:
	s_waitcnt lgkmcnt(0)
	v_mad_i64_i32 v[6:7], null, v5, s27, 0
	v_lshlrev_b64 v[6:7], 2, v[6:7]
	v_add_co_u32 v6, s1, v11, v6
	v_add_co_ci_u32_e64 v7, null, v12, v7, s1
	flat_load_dword v6, v[6:7]
	s_waitcnt vmcnt(0) lgkmcnt(0)
	v_mul_f32_e32 v8, s15, v6
.LBB38_12:
	s_or_b32 exec_lo, exec_lo, s2
	v_add_nc_u32_e32 v6, 64, v5
	v_mov_b32_e32 v7, 0
	v_mov_b32_e32 v10, 0
	v_cmp_le_i32_e64 s1, s13, v6
	s_or_b32 s25, s1, s3
	s_nor_b32 s2, vcc_lo, s25
	s_and_saveexec_b32 s1, s2
	s_cbranch_execz .LBB38_14
; %bb.13:
	s_waitcnt lgkmcnt(0)
	v_mad_i64_i32 v[13:14], null, v6, s27, 0
	v_lshlrev_b64 v[13:14], 2, v[13:14]
	v_add_co_u32 v10, vcc_lo, v11, v13
	v_add_co_ci_u32_e64 v11, null, v12, v14, vcc_lo
	flat_load_dword v10, v[10:11]
	s_waitcnt vmcnt(0) lgkmcnt(0)
	v_mul_f32_e32 v10, s15, v10
.LBB38_14:
	s_or_b32 exec_lo, exec_lo, s1
	v_or_b32_e32 v11, 4, v72
	v_cmp_gt_i32_e32 vcc_lo, s14, v11
	s_and_b32 s1, vcc_lo, s0
	s_and_b32 s2, s23, s1
	s_and_saveexec_b32 s1, s2
	s_cbranch_execz .LBB38_16
; %bb.15:
	s_waitcnt lgkmcnt(0)
	v_mad_i64_i32 v[12:13], null, v2, s26, 0
	v_lshlrev_b64 v[12:13], 2, v[12:13]
	v_add_co_u32 v7, vcc_lo, s16, v12
	v_add_co_ci_u32_e64 v13, null, s17, v13, vcc_lo
	v_add_co_u32 v12, vcc_lo, v7, v4
	v_add_co_ci_u32_e64 v13, null, 0, v13, vcc_lo
	flat_load_dword v7, v[12:13] offset:16
	s_waitcnt vmcnt(0) lgkmcnt(0)
	v_mul_f32_e32 v7, s15, v7
.LBB38_16:
	s_or_b32 exec_lo, exec_lo, s1
	v_min_i32_e32 v12, s21, v11
	v_cmp_le_i32_e32 vcc_lo, s14, v11
	v_mov_b32_e32 v79, 0
	v_mov_b32_e32 v80, 0
	v_ashrrev_i32_e32 v13, 31, v12
	v_lshlrev_b64 v[12:13], 2, v[12:13]
	v_add_co_u32 v11, s1, s8, v12
	v_add_co_ci_u32_e64 v12, null, s9, v13, s1
	s_nor_b32 s1, vcc_lo, s24
	s_and_saveexec_b32 s2, s1
	s_cbranch_execz .LBB38_18
; %bb.17:
	s_waitcnt lgkmcnt(0)
	v_mad_i64_i32 v[13:14], null, v5, s27, 0
	v_lshlrev_b64 v[13:14], 2, v[13:14]
	v_add_co_u32 v13, s1, v11, v13
	v_add_co_ci_u32_e64 v14, null, v12, v14, s1
	flat_load_dword v13, v[13:14]
	s_waitcnt vmcnt(0) lgkmcnt(0)
	v_mul_f32_e32 v80, s15, v13
.LBB38_18:
	s_or_b32 exec_lo, exec_lo, s2
	s_load_dwordx2 s[2:3], s[18:19], 0x0
	s_nor_b32 s18, vcc_lo, s25
	s_and_saveexec_b32 s1, s18
	s_cbranch_execz .LBB38_20
; %bb.19:
	s_waitcnt lgkmcnt(0)
	v_mad_i64_i32 v[13:14], null, v6, s27, 0
	v_lshlrev_b64 v[13:14], 2, v[13:14]
	v_add_co_u32 v11, vcc_lo, v11, v13
	v_add_co_ci_u32_e64 v12, null, v12, v14, vcc_lo
	flat_load_dword v11, v[11:12]
	s_waitcnt vmcnt(0) lgkmcnt(0)
	v_mul_f32_e32 v79, s15, v11
.LBB38_20:
	s_or_b32 exec_lo, exec_lo, s1
	v_lshlrev_b32_e32 v11, 4, v3
	v_mov_b32_e32 v70, 0
	v_lshl_or_b32 v74, v0, 4, 0x1000
	v_lshlrev_b32_e32 v75, 4, v1
	s_mov_b32 s18, 0
	v_lshl_or_b32 v73, v72, 2, v11
	v_mov_b32_e32 v71, v70
	v_mov_b32_e32 v68, v70
	;; [unrolled: 1-line block ×4, first 2 shown]
	v_add_nc_u32_e32 v76, 0x1000, v73
	ds_write_b32 v73, v9 offset:4096
	ds_write2st64_b32 v73, v8, v10 offset1:4
	v_mov_b32_e32 v8, v70
	v_mov_b32_e32 v9, v70
	;; [unrolled: 1-line block ×59, first 2 shown]
	s_mov_b32 s1, -1
	s_waitcnt lgkmcnt(0)
	s_barrier
	buffer_gl0_inv
.LBB38_21:                              ; =>This Inner Loop Header: Depth=1
	s_lshl_b32 s18, s18, 2
	v_cndmask_b32_e64 v77, 0, 1, s1
	v_add_nc_u32_e32 v78, s18, v74
	v_add_nc_u32_e32 v101, s18, v75
	s_mov_b32 s1, 0
	s_mov_b32 s18, 2
	v_cmp_ne_u32_e32 vcc_lo, 1, v77
	ds_read2_b64 v[81:84], v78 offset1:16
	ds_read2_b64 v[85:88], v78 offset0:32 offset1:48
	ds_read2_b64 v[89:92], v78 offset0:64 offset1:80
	;; [unrolled: 1-line block ×3, first 2 shown]
	ds_read2st64_b64 v[97:100], v101 offset1:1
	ds_read2st64_b64 v[101:104], v101 offset0:2 offset1:3
	s_and_b32 vcc_lo, exec_lo, vcc_lo
	s_waitcnt lgkmcnt(5)
	v_max_f32_e32 v77, v81, v81
	v_max_f32_e32 v78, v82, v82
	v_max_f32_e32 v81, v83, v83
	v_max_f32_e32 v82, v84, v84
	s_waitcnt lgkmcnt(4)
	v_max_f32_e32 v83, v85, v85
	v_max_f32_e32 v84, v86, v86
	v_max_f32_e32 v85, v87, v87
	v_max_f32_e32 v86, v88, v88
	;; [unrolled: 5-line block ×6, first 2 shown]
	v_min_f32_e32 v103, v77, v95
	v_min_f32_e32 v104, v81, v95
	;; [unrolled: 1-line block ×64, first 2 shown]
	v_add_f32_e32 v71, v71, v101
	v_add_f32_e32 v70, v70, v103
	;; [unrolled: 1-line block ×64, first 2 shown]
	s_cbranch_vccz .LBB38_21
; %bb.22:
	v_lshl_or_b32 v3, v3, 4, v4
	v_lshl_add_u32 v77, v0, 4, 0x1400
	v_lshl_add_u32 v78, v1, 4, 0x800
	s_cmp_lt_i32 s14, 9
	ds_write_b32 v3, v7 offset:5120
	ds_write2st64_b32 v3, v80, v79 offset0:8 offset1:12
	s_waitcnt lgkmcnt(0)
	s_barrier
	buffer_gl0_inv
	s_cbranch_scc1 .LBB38_41
; %bb.23:
	v_mad_i64_i32 v[79:80], null, v2, s26, 0
	v_mad_i64_i32 v[4:5], null, v5, s27, 0
	;; [unrolled: 1-line block ×3, first 2 shown]
	s_mov_b32 s18, 0
	v_lshlrev_b64 v[81:82], 2, v[79:80]
	v_add_nc_u32_e32 v79, 0x1400, v3
	v_add_nc_u32_e32 v80, 0x800, v3
	v_lshlrev_b64 v[2:3], 2, v[4:5]
	v_lshlrev_b64 v[4:5], 2, v[6:7]
	v_mov_b32_e32 v7, 0
	v_add_co_u32 v81, vcc_lo, s16, v81
	v_add_co_ci_u32_e64 v82, null, s17, v82, vcc_lo
	s_add_i32 s16, s14, -8
	s_mov_b32 s17, 8
.LBB38_24:                              ; =>This Loop Header: Depth=1
                                        ;     Child Loop BB38_31 Depth 2
                                        ;     Child Loop BB38_39 Depth 2
	v_or_b32_e32 v6, s17, v72
	v_mov_b32_e32 v83, 0
	v_cmp_gt_i32_e32 vcc_lo, s14, v6
	s_and_b32 s1, vcc_lo, s0
	s_and_b32 s19, s23, s1
	s_and_saveexec_b32 s1, s19
	s_cbranch_execz .LBB38_26
; %bb.25:                               ;   in Loop: Header=BB38_24 Depth=1
	v_lshlrev_b64 v[83:84], 2, v[6:7]
	v_add_co_u32 v83, vcc_lo, v81, v83
	v_add_co_ci_u32_e64 v84, null, v82, v84, vcc_lo
	flat_load_dword v83, v[83:84]
	s_waitcnt vmcnt(0) lgkmcnt(0)
	v_mul_f32_e32 v83, s15, v83
.LBB38_26:                              ;   in Loop: Header=BB38_24 Depth=1
	s_or_b32 exec_lo, exec_lo, s1
	v_min_i32_e32 v84, s21, v6
	v_cmp_le_i32_e32 vcc_lo, s14, v6
	v_ashrrev_i32_e32 v85, 31, v84
	v_lshlrev_b64 v[86:87], 2, v[84:85]
	v_mov_b32_e32 v84, 0
	v_mov_b32_e32 v85, 0
	v_add_co_u32 v86, s1, s8, v86
	v_add_co_ci_u32_e64 v87, null, s9, v87, s1
	s_nor_b32 s1, s24, vcc_lo
	s_and_saveexec_b32 s19, s1
	s_cbranch_execz .LBB38_28
; %bb.27:                               ;   in Loop: Header=BB38_24 Depth=1
	v_add_co_u32 v88, s1, v86, v2
	v_add_co_ci_u32_e64 v89, null, v87, v3, s1
	flat_load_dword v85, v[88:89]
	s_waitcnt vmcnt(0) lgkmcnt(0)
	v_mul_f32_e32 v85, s15, v85
.LBB38_28:                              ;   in Loop: Header=BB38_24 Depth=1
	s_or_b32 exec_lo, exec_lo, s19
	s_nor_b32 s19, s25, vcc_lo
	s_and_saveexec_b32 s1, s19
	s_cbranch_execz .LBB38_30
; %bb.29:                               ;   in Loop: Header=BB38_24 Depth=1
	v_add_co_u32 v86, vcc_lo, v86, v4
	v_add_co_ci_u32_e64 v87, null, v87, v5, vcc_lo
	flat_load_dword v84, v[86:87]
	s_waitcnt vmcnt(0) lgkmcnt(0)
	v_mul_f32_e32 v84, s15, v84
.LBB38_30:                              ;   in Loop: Header=BB38_24 Depth=1
	s_or_b32 exec_lo, exec_lo, s1
	s_mov_b32 s19, 0
	s_mov_b32 s1, -1
.LBB38_31:                              ;   Parent Loop BB38_24 Depth=1
                                        ; =>  This Inner Loop Header: Depth=2
	s_lshl_b32 s19, s19, 2
	v_cndmask_b32_e64 v86, 0, 1, s1
	v_add_nc_u32_e32 v106, s19, v78
	v_add_nc_u32_e32 v102, s19, v77
	s_mov_b32 s1, 0
	s_mov_b32 s19, 2
	v_cmp_ne_u32_e32 vcc_lo, 1, v86
	ds_read2st64_b64 v[86:89], v106 offset1:1
	ds_read2_b64 v[90:93], v102 offset1:16
	ds_read2_b64 v[94:97], v102 offset0:32 offset1:48
	ds_read2_b64 v[98:101], v102 offset0:64 offset1:80
	;; [unrolled: 1-line block ×3, first 2 shown]
	ds_read2st64_b64 v[106:109], v106 offset0:2 offset1:3
	s_and_b32 vcc_lo, exec_lo, vcc_lo
	s_waitcnt lgkmcnt(5)
	v_max_f32_e32 v86, v86, v86
	s_waitcnt lgkmcnt(4)
	v_max_f32_e32 v90, v90, v90
	v_max_f32_e32 v87, v87, v87
	;; [unrolled: 1-line block ×5, first 2 shown]
	s_waitcnt lgkmcnt(3)
	v_max_f32_e32 v94, v94, v94
	v_max_f32_e32 v95, v95, v95
	v_max_f32_e32 v96, v96, v96
	v_max_f32_e32 v97, v97, v97
	s_waitcnt lgkmcnt(2)
	v_max_f32_e32 v98, v98, v98
	v_max_f32_e32 v99, v99, v99
	v_max_f32_e32 v100, v100, v100
	v_max_f32_e32 v101, v101, v101
	;; [unrolled: 5-line block ×3, first 2 shown]
	v_max_f32_e32 v88, v88, v88
	v_max_f32_e32 v89, v89, v89
	s_waitcnt lgkmcnt(0)
	v_max_f32_e32 v106, v106, v106
	v_max_f32_e32 v107, v107, v107
	;; [unrolled: 1-line block ×4, first 2 shown]
	v_min_f32_e32 v110, v90, v86
	v_min_f32_e32 v111, v91, v87
	;; [unrolled: 1-line block ×64, first 2 shown]
	v_add_f32_e32 v71, v71, v111
	v_add_f32_e32 v70, v70, v110
	;; [unrolled: 1-line block ×64, first 2 shown]
	s_cbranch_vccz .LBB38_31
; %bb.32:                               ;   in Loop: Header=BB38_24 Depth=1
	v_or_b32_e32 v86, 4, v6
	ds_write_b32 v76, v83
	ds_write2st64_b32 v73, v85, v84 offset1:4
	v_mov_b32_e32 v83, 0
	v_mov_b32_e32 v84, 0
	v_cmp_gt_i32_e32 vcc_lo, s14, v86
	s_waitcnt lgkmcnt(0)
	s_barrier
	buffer_gl0_inv
	s_and_b32 s1, vcc_lo, s0
	s_and_b32 s19, s23, s1
	s_and_saveexec_b32 s1, s19
	s_cbranch_execz .LBB38_34
; %bb.33:                               ;   in Loop: Header=BB38_24 Depth=1
	v_lshlrev_b64 v[84:85], 2, v[6:7]
	v_add_co_u32 v84, vcc_lo, v81, v84
	v_add_co_ci_u32_e64 v85, null, v82, v85, vcc_lo
	flat_load_dword v6, v[84:85] offset:16
	s_waitcnt vmcnt(0) lgkmcnt(0)
	v_mul_f32_e32 v84, s15, v6
.LBB38_34:                              ;   in Loop: Header=BB38_24 Depth=1
	s_or_b32 exec_lo, exec_lo, s1
	v_min_i32_e32 v87, s21, v86
	v_cmp_le_i32_e32 vcc_lo, s14, v86
	v_ashrrev_i32_e32 v88, 31, v87
	v_lshlrev_b64 v[87:88], 2, v[87:88]
	v_add_co_u32 v85, s1, s8, v87
	v_add_co_ci_u32_e64 v86, null, s9, v88, s1
	s_nor_b32 s1, s24, vcc_lo
	s_and_saveexec_b32 s19, s1
	s_cbranch_execz .LBB38_36
; %bb.35:                               ;   in Loop: Header=BB38_24 Depth=1
	v_add_co_u32 v87, s1, v85, v2
	v_add_co_ci_u32_e64 v88, null, v86, v3, s1
	flat_load_dword v6, v[87:88]
	s_waitcnt vmcnt(0) lgkmcnt(0)
	v_mul_f32_e32 v83, s15, v6
.LBB38_36:                              ;   in Loop: Header=BB38_24 Depth=1
	s_or_b32 exec_lo, exec_lo, s19
	v_mov_b32_e32 v6, 0
	s_nor_b32 s19, s25, vcc_lo
	s_and_saveexec_b32 s1, s19
	s_cbranch_execz .LBB38_38
; %bb.37:                               ;   in Loop: Header=BB38_24 Depth=1
	v_add_co_u32 v85, vcc_lo, v85, v4
	v_add_co_ci_u32_e64 v86, null, v86, v5, vcc_lo
	flat_load_dword v6, v[85:86]
	s_waitcnt vmcnt(0) lgkmcnt(0)
	v_mul_f32_e32 v6, s15, v6
.LBB38_38:                              ;   in Loop: Header=BB38_24 Depth=1
	s_or_b32 exec_lo, exec_lo, s1
	s_mov_b32 s19, 0
	s_mov_b32 s1, -1
.LBB38_39:                              ;   Parent Loop BB38_24 Depth=1
                                        ; =>  This Inner Loop Header: Depth=2
	s_lshl_b32 s19, s19, 2
	v_cndmask_b32_e64 v85, 0, 1, s1
	v_add_nc_u32_e32 v105, s19, v75
	v_add_nc_u32_e32 v101, s19, v74
	s_mov_b32 s1, 0
	s_mov_b32 s19, 2
	v_cmp_ne_u32_e32 vcc_lo, 1, v85
	ds_read2st64_b64 v[85:88], v105 offset1:1
	ds_read2_b64 v[89:92], v101 offset1:16
	ds_read2_b64 v[93:96], v101 offset0:32 offset1:48
	ds_read2_b64 v[97:100], v101 offset0:64 offset1:80
	;; [unrolled: 1-line block ×3, first 2 shown]
	ds_read2st64_b64 v[105:108], v105 offset0:2 offset1:3
	s_and_b32 vcc_lo, exec_lo, vcc_lo
	s_waitcnt lgkmcnt(5)
	v_max_f32_e32 v85, v85, v85
	s_waitcnt lgkmcnt(4)
	v_max_f32_e32 v89, v89, v89
	v_max_f32_e32 v86, v86, v86
	;; [unrolled: 1-line block ×5, first 2 shown]
	s_waitcnt lgkmcnt(3)
	v_max_f32_e32 v93, v93, v93
	v_max_f32_e32 v94, v94, v94
	v_max_f32_e32 v95, v95, v95
	v_max_f32_e32 v96, v96, v96
	s_waitcnt lgkmcnt(2)
	v_max_f32_e32 v97, v97, v97
	v_max_f32_e32 v98, v98, v98
	v_max_f32_e32 v99, v99, v99
	v_max_f32_e32 v100, v100, v100
	;; [unrolled: 5-line block ×3, first 2 shown]
	v_max_f32_e32 v87, v87, v87
	v_max_f32_e32 v88, v88, v88
	s_waitcnt lgkmcnt(0)
	v_max_f32_e32 v105, v105, v105
	v_max_f32_e32 v106, v106, v106
	;; [unrolled: 1-line block ×4, first 2 shown]
	v_min_f32_e32 v109, v89, v85
	v_min_f32_e32 v110, v90, v86
	;; [unrolled: 1-line block ×64, first 2 shown]
	v_add_f32_e32 v71, v71, v110
	v_add_f32_e32 v70, v70, v109
	v_add_f32_e32 v69, v69, v112
	v_add_f32_e32 v68, v68, v111
	v_add_f32_e32 v9, v9, v114
	v_add_f32_e32 v8, v8, v113
	v_add_f32_e32 v11, v11, v116
	v_add_f32_e32 v10, v10, v115
	v_add_f32_e32 v13, v13, v118
	v_add_f32_e32 v12, v12, v117
	v_add_f32_e32 v15, v15, v120
	v_add_f32_e32 v14, v14, v119
	v_add_f32_e32 v17, v17, v122
	v_add_f32_e32 v16, v16, v121
	v_add_f32_e32 v67, v67, v86
	v_add_f32_e32 v66, v66, v85
	v_add_f32_e32 v65, v65, v124
	v_add_f32_e32 v64, v64, v123
	v_add_f32_e32 v63, v63, v126
	v_add_f32_e32 v62, v62, v125
	v_add_f32_e32 v61, v61, v128
	v_add_f32_e32 v60, v60, v127
	v_add_f32_e32 v59, v59, v130
	v_add_f32_e32 v58, v58, v129
	v_add_f32_e32 v57, v57, v132
	v_add_f32_e32 v56, v56, v131
	v_add_f32_e32 v55, v55, v134
	v_add_f32_e32 v54, v54, v133
	v_add_f32_e32 v53, v53, v136
	v_add_f32_e32 v52, v52, v135
	v_add_f32_e32 v51, v51, v88
	v_add_f32_e32 v50, v50, v87
	v_add_f32_e32 v49, v49, v138
	v_add_f32_e32 v48, v48, v137
	v_add_f32_e32 v47, v47, v140
	v_add_f32_e32 v46, v46, v139
	v_add_f32_e32 v45, v45, v142
	v_add_f32_e32 v44, v44, v141
	v_add_f32_e32 v43, v43, v144
	v_add_f32_e32 v42, v42, v143
	v_add_f32_e32 v41, v41, v146
	v_add_f32_e32 v40, v40, v145
	v_add_f32_e32 v39, v39, v148
	v_add_f32_e32 v38, v38, v147
	v_add_f32_e32 v37, v37, v150
	v_add_f32_e32 v36, v36, v149
	v_add_f32_e32 v35, v35, v106
	v_add_f32_e32 v34, v34, v105
	v_add_f32_e32 v33, v33, v90
	v_add_f32_e32 v32, v32, v89
	v_add_f32_e32 v31, v31, v92
	v_add_f32_e32 v30, v30, v91
	v_add_f32_e32 v29, v29, v94
	v_add_f32_e32 v28, v28, v93
	v_add_f32_e32 v27, v27, v96
	v_add_f32_e32 v26, v26, v95
	v_add_f32_e32 v25, v25, v98
	v_add_f32_e32 v24, v24, v97
	v_add_f32_e32 v23, v23, v100
	v_add_f32_e32 v22, v22, v99
	v_add_f32_e32 v21, v21, v102
	v_add_f32_e32 v20, v20, v101
	v_add_f32_e32 v19, v19, v104
	v_add_f32_e32 v18, v18, v103
	s_cbranch_vccz .LBB38_39
; %bb.40:                               ;   in Loop: Header=BB38_24 Depth=1
	s_add_i32 s18, s18, 8
	s_add_i32 s17, s17, 8
	s_cmp_ge_i32 s18, s16
	ds_write_b32 v79, v84
	ds_write2st64_b32 v80, v83, v6 offset1:4
	s_waitcnt lgkmcnt(0)
	s_barrier
	buffer_gl0_inv
	s_cbranch_scc0 .LBB38_24
.LBB38_41:
	s_mov_b32 s0, -1
.LBB38_42:                              ; =>This Inner Loop Header: Depth=1
	s_lshl_b32 s1, s1, 2
	v_cndmask_b32_e64 v2, 0, 1, s0
	v_add_nc_u32_e32 v6, s1, v78
	v_add_nc_u32_e32 v7, s1, v77
	s_mov_b32 s0, 0
	s_mov_b32 s1, 2
	v_cmp_ne_u32_e32 vcc_lo, 1, v2
	ds_read2st64_b64 v[2:5], v6 offset1:1
	ds_read2_b64 v[72:75], v7 offset1:16
	ds_read2_b64 v[79:82], v7 offset0:32 offset1:48
	ds_read2_b64 v[83:86], v7 offset0:64 offset1:80
	ds_read2_b64 v[87:90], v7 offset0:96 offset1:112
	ds_read2st64_b64 v[91:94], v6 offset0:2 offset1:3
	s_and_b32 vcc_lo, exec_lo, vcc_lo
	s_waitcnt lgkmcnt(5)
	v_max_f32_e32 v2, v2, v2
	s_waitcnt lgkmcnt(4)
	v_max_f32_e32 v6, v72, v72
	v_max_f32_e32 v3, v3, v3
	;; [unrolled: 1-line block ×5, first 2 shown]
	s_waitcnt lgkmcnt(3)
	v_max_f32_e32 v74, v79, v79
	v_max_f32_e32 v75, v80, v80
	v_max_f32_e32 v76, v81, v81
	v_max_f32_e32 v79, v82, v82
	s_waitcnt lgkmcnt(2)
	v_max_f32_e32 v80, v83, v83
	v_max_f32_e32 v81, v84, v84
	v_max_f32_e32 v82, v85, v85
	v_max_f32_e32 v83, v86, v86
	;; [unrolled: 5-line block ×3, first 2 shown]
	v_max_f32_e32 v4, v4, v4
	v_max_f32_e32 v5, v5, v5
	s_waitcnt lgkmcnt(0)
	v_max_f32_e32 v88, v91, v91
	v_max_f32_e32 v89, v92, v92
	v_max_f32_e32 v90, v93, v93
	v_max_f32_e32 v91, v94, v94
	v_min_f32_e32 v92, v6, v2
	v_min_f32_e32 v93, v7, v3
	;; [unrolled: 1-line block ×64, first 2 shown]
	v_add_f32_e32 v71, v71, v93
	v_add_f32_e32 v70, v70, v92
	;; [unrolled: 1-line block ×64, first 2 shown]
	s_cbranch_vccz .LBB38_42
; %bb.43:
	s_clause 0x2
	s_load_dword s14, s[4:5], 0x50
	s_load_dword s9, s[4:5], 0x68
	s_load_dwordx2 s[4:5], s[4:5], 0x70
	v_add_nc_u32_e32 v73, s20, v1
	v_add_nc_u32_e32 v0, s6, v0
	v_cndmask_b32_e64 v72, 0, 1, s7
	v_cmp_gt_i32_e64 s8, s13, v73
	v_cmp_gt_i32_e64 s0, s12, v0
	s_waitcnt lgkmcnt(0)
	v_mad_i64_i32 v[1:2], null, v73, s14, 0
	v_mad_i64_i32 v[3:4], null, v73, s9, 0
	s_lshl_b64 s[4:5], s[4:5], 2
	s_add_u32 s15, s2, s4
	s_addc_u32 s16, s3, s5
	v_lshlrev_b64 v[5:6], 2, v[1:2]
	v_ashrrev_i32_e32 v1, 31, v0
	v_lshlrev_b64 v[2:3], 2, v[3:4]
	s_and_b32 s2, s0, s8
	v_add_co_u32 v76, vcc_lo, s10, v5
	v_add_co_ci_u32_e64 v77, null, s11, v6, vcc_lo
	v_add_co_u32 v74, vcc_lo, s15, v2
	v_add_co_ci_u32_e64 v75, null, s16, v3, vcc_lo
	s_and_saveexec_b32 s1, s2
	s_cbranch_execz .LBB38_48
; %bb.44:
	v_lshlrev_b64 v[2:3], 2, v[0:1]
	s_andn2_b32 vcc_lo, exec_lo, s7
	s_cbranch_vccnz .LBB38_46
; %bb.45:
	v_add_co_u32 v4, vcc_lo, v76, v2
	v_add_co_ci_u32_e64 v5, null, v77, v3, vcc_lo
	flat_load_dword v4, v[4:5]
	s_waitcnt vmcnt(0) lgkmcnt(0)
	v_mul_f32_e32 v4, s22, v4
	s_branch .LBB38_47
.LBB38_46:
	v_mov_b32_e32 v4, 0
.LBB38_47:
	v_add_f32_e32 v5, v70, v71
	v_add_co_u32 v2, vcc_lo, v74, v2
	v_add_co_ci_u32_e64 v3, null, v75, v3, vcc_lo
	v_add_f32_e32 v4, v5, v4
	flat_store_dword v[2:3], v4
.LBB38_48:
	s_or_b32 exec_lo, exec_lo, s1
	v_add_nc_u32_e32 v2, 8, v0
	v_cmp_gt_i32_e64 s1, s12, v2
	v_ashrrev_i32_e32 v3, 31, v2
	s_and_b32 s3, s1, s8
	s_and_saveexec_b32 s2, s3
	s_cbranch_execz .LBB38_53
; %bb.49:
	v_cmp_ne_u32_e32 vcc_lo, 1, v72
	v_lshlrev_b64 v[4:5], 2, v[2:3]
	s_cbranch_vccnz .LBB38_51
; %bb.50:
	v_add_co_u32 v6, vcc_lo, v76, v4
	v_add_co_ci_u32_e64 v7, null, v77, v5, vcc_lo
	flat_load_dword v6, v[6:7]
	s_waitcnt vmcnt(0) lgkmcnt(0)
	v_mul_f32_e32 v6, s22, v6
	s_branch .LBB38_52
.LBB38_51:
	v_mov_b32_e32 v6, 0
.LBB38_52:
	v_add_f32_e32 v7, v68, v69
	v_add_co_u32 v4, vcc_lo, v74, v4
	v_add_co_ci_u32_e64 v5, null, v75, v5, vcc_lo
	v_add_f32_e32 v6, v7, v6
	flat_store_dword v[4:5], v6
.LBB38_53:
	s_or_b32 exec_lo, exec_lo, s2
	v_add_nc_u32_e32 v4, 16, v0
	v_cmp_gt_i32_e64 s2, s12, v4
	v_ashrrev_i32_e32 v5, 31, v4
	s_and_b32 s4, s2, s8
	s_and_saveexec_b32 s3, s4
	s_cbranch_execz .LBB38_58
; %bb.54:
	v_cmp_ne_u32_e32 vcc_lo, 1, v72
	v_lshlrev_b64 v[6:7], 2, v[4:5]
	s_cbranch_vccnz .LBB38_56
; %bb.55:
	v_add_co_u32 v68, vcc_lo, v76, v6
	v_add_co_ci_u32_e64 v69, null, v77, v7, vcc_lo
	flat_load_dword v68, v[68:69]
	s_waitcnt vmcnt(0) lgkmcnt(0)
	v_mul_f32_e32 v68, s22, v68
	s_branch .LBB38_57
.LBB38_56:
	v_mov_b32_e32 v68, 0
.LBB38_57:
	v_add_f32_e32 v8, v8, v9
	v_add_co_u32 v6, vcc_lo, v74, v6
	v_add_co_ci_u32_e64 v7, null, v75, v7, vcc_lo
	v_add_f32_e32 v8, v8, v68
	flat_store_dword v[6:7], v8
.LBB38_58:
	;; [unrolled: 27-line block ×7, first 2 shown]
	s_or_b32 exec_lo, exec_lo, s8
	v_add_nc_u32_e32 v68, 32, v73
	v_mad_i64_i32 v[16:17], null, v68, s14, 0
	v_mad_i64_i32 v[66:67], null, v68, s9, 0
	v_cmp_gt_i32_e64 s8, s13, v68
	v_lshlrev_b64 v[16:17], 2, v[16:17]
	s_and_b32 s17, s0, s8
	v_lshlrev_b64 v[66:67], 2, v[66:67]
	v_add_co_u32 v68, vcc_lo, s10, v16
	v_add_co_ci_u32_e64 v69, null, s11, v17, vcc_lo
	v_add_co_u32 v66, vcc_lo, s15, v66
	v_add_co_ci_u32_e64 v67, null, s16, v67, vcc_lo
	s_and_saveexec_b32 s12, s17
	s_cbranch_execnz .LBB38_91
; %bb.84:
	s_or_b32 exec_lo, exec_lo, s12
	s_and_b32 s17, s1, s8
	s_and_saveexec_b32 s12, s17
	s_cbranch_execnz .LBB38_95
.LBB38_85:
	s_or_b32 exec_lo, exec_lo, s12
	s_and_b32 s17, s2, s8
	s_and_saveexec_b32 s12, s17
	s_cbranch_execnz .LBB38_99
.LBB38_86:
	s_or_b32 exec_lo, exec_lo, s12
	s_and_b32 s17, s3, s8
	s_and_saveexec_b32 s12, s17
	s_cbranch_execnz .LBB38_103
.LBB38_87:
	s_or_b32 exec_lo, exec_lo, s12
	s_and_b32 s17, s4, s8
	s_and_saveexec_b32 s12, s17
	s_cbranch_execnz .LBB38_107
.LBB38_88:
	s_or_b32 exec_lo, exec_lo, s12
	s_and_b32 s17, s5, s8
	s_and_saveexec_b32 s12, s17
	s_cbranch_execnz .LBB38_111
.LBB38_89:
	s_or_b32 exec_lo, exec_lo, s12
	s_and_b32 s17, s6, s8
	s_and_saveexec_b32 s12, s17
	s_cbranch_execnz .LBB38_115
.LBB38_90:
	s_or_b32 exec_lo, exec_lo, s12
	s_and_b32 s12, s7, s8
	s_and_saveexec_b32 s8, s12
	s_cbranch_execnz .LBB38_119
	s_branch .LBB38_123
.LBB38_91:
	v_cmp_ne_u32_e32 vcc_lo, 1, v72
	v_lshlrev_b64 v[16:17], 2, v[0:1]
	s_cbranch_vccnz .LBB38_93
; %bb.92:
	v_add_co_u32 v70, vcc_lo, v68, v16
	v_add_co_ci_u32_e64 v71, null, v69, v17, vcc_lo
	flat_load_dword v70, v[70:71]
	s_waitcnt vmcnt(0) lgkmcnt(0)
	v_mul_f32_e32 v70, s22, v70
	s_branch .LBB38_94
.LBB38_93:
	v_mov_b32_e32 v70, 0
.LBB38_94:
	v_add_f32_e32 v64, v64, v65
	v_add_co_u32 v16, vcc_lo, v66, v16
	v_add_co_ci_u32_e64 v17, null, v67, v17, vcc_lo
	v_add_f32_e32 v64, v64, v70
	flat_store_dword v[16:17], v64
	s_or_b32 exec_lo, exec_lo, s12
	s_and_b32 s17, s1, s8
	s_and_saveexec_b32 s12, s17
	s_cbranch_execz .LBB38_85
.LBB38_95:
	v_cmp_ne_u32_e32 vcc_lo, 1, v72
	v_lshlrev_b64 v[16:17], 2, v[2:3]
	s_cbranch_vccnz .LBB38_97
; %bb.96:
	v_add_co_u32 v64, vcc_lo, v68, v16
	v_add_co_ci_u32_e64 v65, null, v69, v17, vcc_lo
	flat_load_dword v64, v[64:65]
	s_waitcnt vmcnt(0) lgkmcnt(0)
	v_mul_f32_e32 v64, s22, v64
	s_branch .LBB38_98
.LBB38_97:
	v_mov_b32_e32 v64, 0
.LBB38_98:
	v_add_f32_e32 v62, v62, v63
	v_add_co_u32 v16, vcc_lo, v66, v16
	v_add_co_ci_u32_e64 v17, null, v67, v17, vcc_lo
	v_add_f32_e32 v62, v62, v64
	flat_store_dword v[16:17], v62
	s_or_b32 exec_lo, exec_lo, s12
	s_and_b32 s17, s2, s8
	s_and_saveexec_b32 s12, s17
	s_cbranch_execz .LBB38_86
.LBB38_99:
	v_cmp_ne_u32_e32 vcc_lo, 1, v72
	v_lshlrev_b64 v[16:17], 2, v[4:5]
	s_cbranch_vccnz .LBB38_101
; %bb.100:
	v_add_co_u32 v62, vcc_lo, v68, v16
	v_add_co_ci_u32_e64 v63, null, v69, v17, vcc_lo
	flat_load_dword v62, v[62:63]
	s_waitcnt vmcnt(0) lgkmcnt(0)
	v_mul_f32_e32 v62, s22, v62
	s_branch .LBB38_102
.LBB38_101:
	v_mov_b32_e32 v62, 0
.LBB38_102:
	v_add_f32_e32 v60, v60, v61
	v_add_co_u32 v16, vcc_lo, v66, v16
	v_add_co_ci_u32_e64 v17, null, v67, v17, vcc_lo
	v_add_f32_e32 v60, v60, v62
	flat_store_dword v[16:17], v60
	s_or_b32 exec_lo, exec_lo, s12
	s_and_b32 s17, s3, s8
	s_and_saveexec_b32 s12, s17
	s_cbranch_execz .LBB38_87
.LBB38_103:
	v_cmp_ne_u32_e32 vcc_lo, 1, v72
	v_lshlrev_b64 v[16:17], 2, v[6:7]
	s_cbranch_vccnz .LBB38_105
; %bb.104:
	v_add_co_u32 v60, vcc_lo, v68, v16
	v_add_co_ci_u32_e64 v61, null, v69, v17, vcc_lo
	flat_load_dword v60, v[60:61]
	s_waitcnt vmcnt(0) lgkmcnt(0)
	v_mul_f32_e32 v60, s22, v60
	s_branch .LBB38_106
.LBB38_105:
	v_mov_b32_e32 v60, 0
.LBB38_106:
	v_add_f32_e32 v58, v58, v59
	v_add_co_u32 v16, vcc_lo, v66, v16
	v_add_co_ci_u32_e64 v17, null, v67, v17, vcc_lo
	v_add_f32_e32 v58, v58, v60
	flat_store_dword v[16:17], v58
	s_or_b32 exec_lo, exec_lo, s12
	s_and_b32 s17, s4, s8
	s_and_saveexec_b32 s12, s17
	s_cbranch_execz .LBB38_88
.LBB38_107:
	v_cmp_ne_u32_e32 vcc_lo, 1, v72
	v_lshlrev_b64 v[16:17], 2, v[8:9]
	s_cbranch_vccnz .LBB38_109
; %bb.108:
	v_add_co_u32 v58, vcc_lo, v68, v16
	v_add_co_ci_u32_e64 v59, null, v69, v17, vcc_lo
	flat_load_dword v58, v[58:59]
	s_waitcnt vmcnt(0) lgkmcnt(0)
	v_mul_f32_e32 v58, s22, v58
	s_branch .LBB38_110
.LBB38_109:
	v_mov_b32_e32 v58, 0
.LBB38_110:
	v_add_f32_e32 v56, v56, v57
	v_add_co_u32 v16, vcc_lo, v66, v16
	v_add_co_ci_u32_e64 v17, null, v67, v17, vcc_lo
	v_add_f32_e32 v56, v56, v58
	flat_store_dword v[16:17], v56
	s_or_b32 exec_lo, exec_lo, s12
	s_and_b32 s17, s5, s8
	s_and_saveexec_b32 s12, s17
	s_cbranch_execz .LBB38_89
.LBB38_111:
	v_cmp_ne_u32_e32 vcc_lo, 1, v72
	v_lshlrev_b64 v[16:17], 2, v[10:11]
	s_cbranch_vccnz .LBB38_113
; %bb.112:
	v_add_co_u32 v56, vcc_lo, v68, v16
	v_add_co_ci_u32_e64 v57, null, v69, v17, vcc_lo
	flat_load_dword v56, v[56:57]
	s_waitcnt vmcnt(0) lgkmcnt(0)
	v_mul_f32_e32 v56, s22, v56
	s_branch .LBB38_114
.LBB38_113:
	v_mov_b32_e32 v56, 0
.LBB38_114:
	v_add_f32_e32 v54, v54, v55
	v_add_co_u32 v16, vcc_lo, v66, v16
	v_add_co_ci_u32_e64 v17, null, v67, v17, vcc_lo
	v_add_f32_e32 v54, v54, v56
	flat_store_dword v[16:17], v54
	s_or_b32 exec_lo, exec_lo, s12
	s_and_b32 s17, s6, s8
	s_and_saveexec_b32 s12, s17
	s_cbranch_execz .LBB38_90
.LBB38_115:
	v_cmp_ne_u32_e32 vcc_lo, 1, v72
	v_lshlrev_b64 v[16:17], 2, v[12:13]
	s_cbranch_vccnz .LBB38_117
; %bb.116:
	v_add_co_u32 v54, vcc_lo, v68, v16
	v_add_co_ci_u32_e64 v55, null, v69, v17, vcc_lo
	flat_load_dword v54, v[54:55]
	s_waitcnt vmcnt(0) lgkmcnt(0)
	v_mul_f32_e32 v54, s22, v54
	s_branch .LBB38_118
.LBB38_117:
	v_mov_b32_e32 v54, 0
.LBB38_118:
	v_add_f32_e32 v52, v52, v53
	v_add_co_u32 v16, vcc_lo, v66, v16
	v_add_co_ci_u32_e64 v17, null, v67, v17, vcc_lo
	v_add_f32_e32 v52, v52, v54
	flat_store_dword v[16:17], v52
	s_or_b32 exec_lo, exec_lo, s12
	s_and_b32 s12, s7, s8
	s_and_saveexec_b32 s8, s12
	s_cbranch_execz .LBB38_123
.LBB38_119:
	v_cmp_ne_u32_e32 vcc_lo, 1, v72
	v_lshlrev_b64 v[16:17], 2, v[14:15]
	s_cbranch_vccnz .LBB38_121
; %bb.120:
	v_add_co_u32 v52, vcc_lo, v68, v16
	v_add_co_ci_u32_e64 v53, null, v69, v17, vcc_lo
	flat_load_dword v52, v[52:53]
	s_waitcnt vmcnt(0) lgkmcnt(0)
	v_mul_f32_e32 v52, s22, v52
	s_branch .LBB38_122
.LBB38_121:
	v_mov_b32_e32 v52, 0
.LBB38_122:
	v_add_f32_e32 v50, v50, v51
	v_add_co_u32 v16, vcc_lo, v66, v16
	v_add_co_ci_u32_e64 v17, null, v67, v17, vcc_lo
	v_add_f32_e32 v50, v50, v52
	flat_store_dword v[16:17], v50
.LBB38_123:
	s_or_b32 exec_lo, exec_lo, s8
	v_add_nc_u32_e32 v52, 64, v73
	v_mad_i64_i32 v[16:17], null, v52, s14, 0
	v_mad_i64_i32 v[50:51], null, v52, s9, 0
	v_cmp_gt_i32_e64 s8, s13, v52
	v_lshlrev_b64 v[16:17], 2, v[16:17]
	s_and_b32 s17, s0, s8
	v_lshlrev_b64 v[50:51], 2, v[50:51]
	v_add_co_u32 v52, vcc_lo, s10, v16
	v_add_co_ci_u32_e64 v53, null, s11, v17, vcc_lo
	v_add_co_u32 v50, vcc_lo, s15, v50
	v_add_co_ci_u32_e64 v51, null, s16, v51, vcc_lo
	s_and_saveexec_b32 s12, s17
	s_cbranch_execnz .LBB38_131
; %bb.124:
	s_or_b32 exec_lo, exec_lo, s12
	s_and_b32 s17, s1, s8
	s_and_saveexec_b32 s12, s17
	s_cbranch_execnz .LBB38_135
.LBB38_125:
	s_or_b32 exec_lo, exec_lo, s12
	s_and_b32 s17, s2, s8
	s_and_saveexec_b32 s12, s17
	s_cbranch_execnz .LBB38_139
.LBB38_126:
	s_or_b32 exec_lo, exec_lo, s12
	s_and_b32 s17, s3, s8
	s_and_saveexec_b32 s12, s17
	s_cbranch_execnz .LBB38_143
.LBB38_127:
	s_or_b32 exec_lo, exec_lo, s12
	s_and_b32 s17, s4, s8
	s_and_saveexec_b32 s12, s17
	s_cbranch_execnz .LBB38_147
.LBB38_128:
	s_or_b32 exec_lo, exec_lo, s12
	s_and_b32 s17, s5, s8
	s_and_saveexec_b32 s12, s17
	s_cbranch_execnz .LBB38_151
.LBB38_129:
	s_or_b32 exec_lo, exec_lo, s12
	s_and_b32 s17, s6, s8
	s_and_saveexec_b32 s12, s17
	s_cbranch_execnz .LBB38_155
.LBB38_130:
	s_or_b32 exec_lo, exec_lo, s12
	s_and_b32 s12, s7, s8
	s_and_saveexec_b32 s8, s12
	s_cbranch_execnz .LBB38_159
	s_branch .LBB38_163
.LBB38_131:
	v_cmp_ne_u32_e32 vcc_lo, 1, v72
	v_lshlrev_b64 v[16:17], 2, v[0:1]
	s_cbranch_vccnz .LBB38_133
; %bb.132:
	v_add_co_u32 v54, vcc_lo, v52, v16
	v_add_co_ci_u32_e64 v55, null, v53, v17, vcc_lo
	flat_load_dword v54, v[54:55]
	s_waitcnt vmcnt(0) lgkmcnt(0)
	v_mul_f32_e32 v54, s22, v54
	s_branch .LBB38_134
.LBB38_133:
	v_mov_b32_e32 v54, 0
.LBB38_134:
	v_add_f32_e32 v48, v48, v49
	v_add_co_u32 v16, vcc_lo, v50, v16
	v_add_co_ci_u32_e64 v17, null, v51, v17, vcc_lo
	v_add_f32_e32 v48, v48, v54
	flat_store_dword v[16:17], v48
	s_or_b32 exec_lo, exec_lo, s12
	s_and_b32 s17, s1, s8
	s_and_saveexec_b32 s12, s17
	s_cbranch_execz .LBB38_125
.LBB38_135:
	v_cmp_ne_u32_e32 vcc_lo, 1, v72
	v_lshlrev_b64 v[16:17], 2, v[2:3]
	s_cbranch_vccnz .LBB38_137
; %bb.136:
	v_add_co_u32 v48, vcc_lo, v52, v16
	v_add_co_ci_u32_e64 v49, null, v53, v17, vcc_lo
	flat_load_dword v48, v[48:49]
	s_waitcnt vmcnt(0) lgkmcnt(0)
	v_mul_f32_e32 v48, s22, v48
	s_branch .LBB38_138
.LBB38_137:
	v_mov_b32_e32 v48, 0
.LBB38_138:
	v_add_f32_e32 v46, v46, v47
	v_add_co_u32 v16, vcc_lo, v50, v16
	v_add_co_ci_u32_e64 v17, null, v51, v17, vcc_lo
	v_add_f32_e32 v46, v46, v48
	flat_store_dword v[16:17], v46
	s_or_b32 exec_lo, exec_lo, s12
	s_and_b32 s17, s2, s8
	s_and_saveexec_b32 s12, s17
	s_cbranch_execz .LBB38_126
.LBB38_139:
	v_cmp_ne_u32_e32 vcc_lo, 1, v72
	v_lshlrev_b64 v[16:17], 2, v[4:5]
	s_cbranch_vccnz .LBB38_141
; %bb.140:
	v_add_co_u32 v46, vcc_lo, v52, v16
	v_add_co_ci_u32_e64 v47, null, v53, v17, vcc_lo
	flat_load_dword v46, v[46:47]
	s_waitcnt vmcnt(0) lgkmcnt(0)
	v_mul_f32_e32 v46, s22, v46
	s_branch .LBB38_142
.LBB38_141:
	v_mov_b32_e32 v46, 0
.LBB38_142:
	v_add_f32_e32 v44, v44, v45
	v_add_co_u32 v16, vcc_lo, v50, v16
	v_add_co_ci_u32_e64 v17, null, v51, v17, vcc_lo
	v_add_f32_e32 v44, v44, v46
	flat_store_dword v[16:17], v44
	s_or_b32 exec_lo, exec_lo, s12
	s_and_b32 s17, s3, s8
	s_and_saveexec_b32 s12, s17
	s_cbranch_execz .LBB38_127
.LBB38_143:
	v_cmp_ne_u32_e32 vcc_lo, 1, v72
	v_lshlrev_b64 v[16:17], 2, v[6:7]
	s_cbranch_vccnz .LBB38_145
; %bb.144:
	v_add_co_u32 v44, vcc_lo, v52, v16
	v_add_co_ci_u32_e64 v45, null, v53, v17, vcc_lo
	flat_load_dword v44, v[44:45]
	s_waitcnt vmcnt(0) lgkmcnt(0)
	v_mul_f32_e32 v44, s22, v44
	s_branch .LBB38_146
.LBB38_145:
	v_mov_b32_e32 v44, 0
.LBB38_146:
	v_add_f32_e32 v42, v42, v43
	v_add_co_u32 v16, vcc_lo, v50, v16
	v_add_co_ci_u32_e64 v17, null, v51, v17, vcc_lo
	v_add_f32_e32 v42, v42, v44
	flat_store_dword v[16:17], v42
	s_or_b32 exec_lo, exec_lo, s12
	s_and_b32 s17, s4, s8
	s_and_saveexec_b32 s12, s17
	s_cbranch_execz .LBB38_128
.LBB38_147:
	v_cmp_ne_u32_e32 vcc_lo, 1, v72
	v_lshlrev_b64 v[16:17], 2, v[8:9]
	s_cbranch_vccnz .LBB38_149
; %bb.148:
	v_add_co_u32 v42, vcc_lo, v52, v16
	v_add_co_ci_u32_e64 v43, null, v53, v17, vcc_lo
	flat_load_dword v42, v[42:43]
	s_waitcnt vmcnt(0) lgkmcnt(0)
	v_mul_f32_e32 v42, s22, v42
	s_branch .LBB38_150
.LBB38_149:
	v_mov_b32_e32 v42, 0
.LBB38_150:
	v_add_f32_e32 v40, v40, v41
	v_add_co_u32 v16, vcc_lo, v50, v16
	v_add_co_ci_u32_e64 v17, null, v51, v17, vcc_lo
	v_add_f32_e32 v40, v40, v42
	flat_store_dword v[16:17], v40
	s_or_b32 exec_lo, exec_lo, s12
	s_and_b32 s17, s5, s8
	s_and_saveexec_b32 s12, s17
	s_cbranch_execz .LBB38_129
.LBB38_151:
	v_cmp_ne_u32_e32 vcc_lo, 1, v72
	v_lshlrev_b64 v[16:17], 2, v[10:11]
	s_cbranch_vccnz .LBB38_153
; %bb.152:
	v_add_co_u32 v40, vcc_lo, v52, v16
	v_add_co_ci_u32_e64 v41, null, v53, v17, vcc_lo
	flat_load_dword v40, v[40:41]
	s_waitcnt vmcnt(0) lgkmcnt(0)
	v_mul_f32_e32 v40, s22, v40
	s_branch .LBB38_154
.LBB38_153:
	v_mov_b32_e32 v40, 0
.LBB38_154:
	v_add_f32_e32 v38, v38, v39
	v_add_co_u32 v16, vcc_lo, v50, v16
	v_add_co_ci_u32_e64 v17, null, v51, v17, vcc_lo
	v_add_f32_e32 v38, v38, v40
	flat_store_dword v[16:17], v38
	s_or_b32 exec_lo, exec_lo, s12
	s_and_b32 s17, s6, s8
	s_and_saveexec_b32 s12, s17
	s_cbranch_execz .LBB38_130
.LBB38_155:
	v_cmp_ne_u32_e32 vcc_lo, 1, v72
	v_lshlrev_b64 v[16:17], 2, v[12:13]
	s_cbranch_vccnz .LBB38_157
; %bb.156:
	v_add_co_u32 v38, vcc_lo, v52, v16
	v_add_co_ci_u32_e64 v39, null, v53, v17, vcc_lo
	flat_load_dword v38, v[38:39]
	s_waitcnt vmcnt(0) lgkmcnt(0)
	v_mul_f32_e32 v38, s22, v38
	s_branch .LBB38_158
.LBB38_157:
	v_mov_b32_e32 v38, 0
.LBB38_158:
	v_add_f32_e32 v36, v36, v37
	v_add_co_u32 v16, vcc_lo, v50, v16
	v_add_co_ci_u32_e64 v17, null, v51, v17, vcc_lo
	v_add_f32_e32 v36, v36, v38
	flat_store_dword v[16:17], v36
	s_or_b32 exec_lo, exec_lo, s12
	s_and_b32 s12, s7, s8
	s_and_saveexec_b32 s8, s12
	s_cbranch_execz .LBB38_163
.LBB38_159:
	v_cmp_ne_u32_e32 vcc_lo, 1, v72
	v_lshlrev_b64 v[16:17], 2, v[14:15]
	s_cbranch_vccnz .LBB38_161
; %bb.160:
	v_add_co_u32 v36, vcc_lo, v52, v16
	v_add_co_ci_u32_e64 v37, null, v53, v17, vcc_lo
	flat_load_dword v36, v[36:37]
	s_waitcnt vmcnt(0) lgkmcnt(0)
	v_mul_f32_e32 v36, s22, v36
	s_branch .LBB38_162
.LBB38_161:
	v_mov_b32_e32 v36, 0
.LBB38_162:
	v_add_f32_e32 v34, v34, v35
	v_add_co_u32 v16, vcc_lo, v50, v16
	v_add_co_ci_u32_e64 v17, null, v51, v17, vcc_lo
	v_add_f32_e32 v34, v34, v36
	flat_store_dword v[16:17], v34
.LBB38_163:
	s_or_b32 exec_lo, exec_lo, s8
	v_add_nc_u32_e32 v36, 0x60, v73
	v_mad_i64_i32 v[16:17], null, v36, s14, 0
	v_mad_i64_i32 v[34:35], null, v36, s9, 0
	v_cmp_gt_i32_e64 s8, s13, v36
	v_lshlrev_b64 v[16:17], 2, v[16:17]
	s_and_b32 s9, s0, s8
	v_lshlrev_b64 v[36:37], 2, v[34:35]
	v_add_co_u32 v34, vcc_lo, s10, v16
	v_add_co_ci_u32_e64 v35, null, s11, v17, vcc_lo
	v_add_co_u32 v16, vcc_lo, s15, v36
	v_add_co_ci_u32_e64 v17, null, s16, v37, vcc_lo
	s_and_saveexec_b32 s0, s9
	s_cbranch_execnz .LBB38_172
; %bb.164:
	s_or_b32 exec_lo, exec_lo, s0
	s_and_b32 s1, s1, s8
	s_and_saveexec_b32 s0, s1
	s_cbranch_execnz .LBB38_176
.LBB38_165:
	s_or_b32 exec_lo, exec_lo, s0
	s_and_b32 s1, s2, s8
	s_and_saveexec_b32 s0, s1
	s_cbranch_execnz .LBB38_180
.LBB38_166:
	s_or_b32 exec_lo, exec_lo, s0
	s_and_b32 s1, s3, s8
	s_and_saveexec_b32 s0, s1
	s_cbranch_execnz .LBB38_184
.LBB38_167:
	s_or_b32 exec_lo, exec_lo, s0
	s_and_b32 s1, s4, s8
	s_and_saveexec_b32 s0, s1
	s_cbranch_execnz .LBB38_188
.LBB38_168:
	s_or_b32 exec_lo, exec_lo, s0
	s_and_b32 s1, s5, s8
	s_and_saveexec_b32 s0, s1
	s_cbranch_execnz .LBB38_192
.LBB38_169:
	s_or_b32 exec_lo, exec_lo, s0
	s_and_b32 s1, s6, s8
	s_and_saveexec_b32 s0, s1
	s_cbranch_execnz .LBB38_196
.LBB38_170:
	s_or_b32 exec_lo, exec_lo, s0
	s_and_b32 s0, s7, s8
	s_and_saveexec_b32 s1, s0
	s_cbranch_execnz .LBB38_200
.LBB38_171:
	s_endpgm
.LBB38_172:
	v_cmp_ne_u32_e32 vcc_lo, 1, v72
	v_lshlrev_b64 v[0:1], 2, v[0:1]
	s_cbranch_vccnz .LBB38_174
; %bb.173:
	v_add_co_u32 v36, vcc_lo, v34, v0
	v_add_co_ci_u32_e64 v37, null, v35, v1, vcc_lo
	flat_load_dword v36, v[36:37]
	s_waitcnt vmcnt(0) lgkmcnt(0)
	v_mul_f32_e32 v36, s22, v36
	s_branch .LBB38_175
.LBB38_174:
	v_mov_b32_e32 v36, 0
.LBB38_175:
	v_add_f32_e32 v32, v32, v33
	v_add_co_u32 v0, vcc_lo, v16, v0
	v_add_co_ci_u32_e64 v1, null, v17, v1, vcc_lo
	v_add_f32_e32 v32, v32, v36
	flat_store_dword v[0:1], v32
	s_or_b32 exec_lo, exec_lo, s0
	s_and_b32 s1, s1, s8
	s_and_saveexec_b32 s0, s1
	s_cbranch_execz .LBB38_165
.LBB38_176:
	v_cmp_ne_u32_e32 vcc_lo, 1, v72
	v_lshlrev_b64 v[0:1], 2, v[2:3]
	s_cbranch_vccnz .LBB38_178
; %bb.177:
	v_add_co_u32 v2, vcc_lo, v34, v0
	v_add_co_ci_u32_e64 v3, null, v35, v1, vcc_lo
	flat_load_dword v2, v[2:3]
	s_waitcnt vmcnt(0) lgkmcnt(0)
	v_mul_f32_e32 v2, s22, v2
	s_branch .LBB38_179
.LBB38_178:
	v_mov_b32_e32 v2, 0
.LBB38_179:
	v_add_f32_e32 v3, v30, v31
	v_add_co_u32 v0, vcc_lo, v16, v0
	v_add_co_ci_u32_e64 v1, null, v17, v1, vcc_lo
	v_add_f32_e32 v2, v3, v2
	flat_store_dword v[0:1], v2
	s_or_b32 exec_lo, exec_lo, s0
	s_and_b32 s1, s2, s8
	s_and_saveexec_b32 s0, s1
	s_cbranch_execz .LBB38_166
.LBB38_180:
	v_cmp_ne_u32_e32 vcc_lo, 1, v72
	v_lshlrev_b64 v[0:1], 2, v[4:5]
	s_cbranch_vccnz .LBB38_182
; %bb.181:
	v_add_co_u32 v2, vcc_lo, v34, v0
	v_add_co_ci_u32_e64 v3, null, v35, v1, vcc_lo
	flat_load_dword v2, v[2:3]
	s_waitcnt vmcnt(0) lgkmcnt(0)
	v_mul_f32_e32 v2, s22, v2
	s_branch .LBB38_183
.LBB38_182:
	v_mov_b32_e32 v2, 0
.LBB38_183:
	v_add_f32_e32 v3, v28, v29
	v_add_co_u32 v0, vcc_lo, v16, v0
	v_add_co_ci_u32_e64 v1, null, v17, v1, vcc_lo
	v_add_f32_e32 v2, v3, v2
	flat_store_dword v[0:1], v2
	s_or_b32 exec_lo, exec_lo, s0
	s_and_b32 s1, s3, s8
	s_and_saveexec_b32 s0, s1
	s_cbranch_execz .LBB38_167
.LBB38_184:
	v_cmp_ne_u32_e32 vcc_lo, 1, v72
	v_lshlrev_b64 v[0:1], 2, v[6:7]
	s_cbranch_vccnz .LBB38_186
; %bb.185:
	v_add_co_u32 v2, vcc_lo, v34, v0
	v_add_co_ci_u32_e64 v3, null, v35, v1, vcc_lo
	flat_load_dword v2, v[2:3]
	s_waitcnt vmcnt(0) lgkmcnt(0)
	v_mul_f32_e32 v2, s22, v2
	s_branch .LBB38_187
.LBB38_186:
	v_mov_b32_e32 v2, 0
.LBB38_187:
	v_add_f32_e32 v3, v26, v27
	v_add_co_u32 v0, vcc_lo, v16, v0
	v_add_co_ci_u32_e64 v1, null, v17, v1, vcc_lo
	v_add_f32_e32 v2, v3, v2
	flat_store_dword v[0:1], v2
	s_or_b32 exec_lo, exec_lo, s0
	s_and_b32 s1, s4, s8
	s_and_saveexec_b32 s0, s1
	s_cbranch_execz .LBB38_168
.LBB38_188:
	v_cmp_ne_u32_e32 vcc_lo, 1, v72
	v_lshlrev_b64 v[0:1], 2, v[8:9]
	s_cbranch_vccnz .LBB38_190
; %bb.189:
	v_add_co_u32 v2, vcc_lo, v34, v0
	v_add_co_ci_u32_e64 v3, null, v35, v1, vcc_lo
	flat_load_dword v2, v[2:3]
	s_waitcnt vmcnt(0) lgkmcnt(0)
	v_mul_f32_e32 v2, s22, v2
	s_branch .LBB38_191
.LBB38_190:
	v_mov_b32_e32 v2, 0
.LBB38_191:
	v_add_f32_e32 v3, v24, v25
	v_add_co_u32 v0, vcc_lo, v16, v0
	v_add_co_ci_u32_e64 v1, null, v17, v1, vcc_lo
	v_add_f32_e32 v2, v3, v2
	flat_store_dword v[0:1], v2
	s_or_b32 exec_lo, exec_lo, s0
	s_and_b32 s1, s5, s8
	s_and_saveexec_b32 s0, s1
	s_cbranch_execz .LBB38_169
.LBB38_192:
	v_cmp_ne_u32_e32 vcc_lo, 1, v72
	v_lshlrev_b64 v[0:1], 2, v[10:11]
	s_cbranch_vccnz .LBB38_194
; %bb.193:
	v_add_co_u32 v2, vcc_lo, v34, v0
	v_add_co_ci_u32_e64 v3, null, v35, v1, vcc_lo
	flat_load_dword v2, v[2:3]
	s_waitcnt vmcnt(0) lgkmcnt(0)
	v_mul_f32_e32 v2, s22, v2
	s_branch .LBB38_195
.LBB38_194:
	v_mov_b32_e32 v2, 0
.LBB38_195:
	v_add_f32_e32 v3, v22, v23
	v_add_co_u32 v0, vcc_lo, v16, v0
	v_add_co_ci_u32_e64 v1, null, v17, v1, vcc_lo
	v_add_f32_e32 v2, v3, v2
	flat_store_dword v[0:1], v2
	s_or_b32 exec_lo, exec_lo, s0
	s_and_b32 s1, s6, s8
	s_and_saveexec_b32 s0, s1
	s_cbranch_execz .LBB38_170
.LBB38_196:
	v_cmp_ne_u32_e32 vcc_lo, 1, v72
	v_lshlrev_b64 v[0:1], 2, v[12:13]
	s_cbranch_vccnz .LBB38_198
; %bb.197:
	v_add_co_u32 v2, vcc_lo, v34, v0
	v_add_co_ci_u32_e64 v3, null, v35, v1, vcc_lo
	flat_load_dword v2, v[2:3]
	s_waitcnt vmcnt(0) lgkmcnt(0)
	v_mul_f32_e32 v2, s22, v2
	s_branch .LBB38_199
.LBB38_198:
	v_mov_b32_e32 v2, 0
.LBB38_199:
	v_add_f32_e32 v3, v20, v21
	v_add_co_u32 v0, vcc_lo, v16, v0
	v_add_co_ci_u32_e64 v1, null, v17, v1, vcc_lo
	v_add_f32_e32 v2, v3, v2
	flat_store_dword v[0:1], v2
	s_or_b32 exec_lo, exec_lo, s0
	s_and_b32 s0, s7, s8
	s_and_saveexec_b32 s1, s0
	s_cbranch_execz .LBB38_171
.LBB38_200:
	v_cmp_ne_u32_e32 vcc_lo, 1, v72
	v_lshlrev_b64 v[0:1], 2, v[14:15]
	s_cbranch_vccnz .LBB38_202
; %bb.201:
	v_add_co_u32 v2, vcc_lo, v34, v0
	v_add_co_ci_u32_e64 v3, null, v35, v1, vcc_lo
	flat_load_dword v2, v[2:3]
	s_waitcnt vmcnt(0) lgkmcnt(0)
	v_mul_f32_e32 v2, s22, v2
	s_branch .LBB38_203
.LBB38_202:
	v_mov_b32_e32 v2, 0
.LBB38_203:
	v_add_f32_e32 v3, v18, v19
	v_add_co_u32 v0, vcc_lo, v16, v0
	v_add_co_ci_u32_e64 v1, null, v17, v1, vcc_lo
	v_add_f32_e32 v2, v3, v2
	flat_store_dword v[0:1], v2
	s_endpgm
	.section	.rodata,"a",@progbits
	.p2align	6, 0x0
	.amdhsa_kernel _ZN12_GLOBAL__N_120geam_min_plus_kernelIf15HIP_vector_typeIfLj2EES2_Li8ELi32ELi64ELi128ELi4ELi4ELi64ELi4ELi64ELc84ELc78ELb0ELb1ELb0EfKPKfKPfEEviiiT16_PT17_ilSA_ilS8_SA_ilPT18_ili26rocblas_geam_ex_operation_
		.amdhsa_group_segment_fixed_size 6144
		.amdhsa_private_segment_fixed_size 0
		.amdhsa_kernarg_size 128
		.amdhsa_user_sgpr_count 6
		.amdhsa_user_sgpr_private_segment_buffer 1
		.amdhsa_user_sgpr_dispatch_ptr 0
		.amdhsa_user_sgpr_queue_ptr 0
		.amdhsa_user_sgpr_kernarg_segment_ptr 1
		.amdhsa_user_sgpr_dispatch_id 0
		.amdhsa_user_sgpr_flat_scratch_init 0
		.amdhsa_user_sgpr_private_segment_size 0
		.amdhsa_wavefront_size32 1
		.amdhsa_uses_dynamic_stack 0
		.amdhsa_system_sgpr_private_segment_wavefront_offset 0
		.amdhsa_system_sgpr_workgroup_id_x 1
		.amdhsa_system_sgpr_workgroup_id_y 0
		.amdhsa_system_sgpr_workgroup_id_z 1
		.amdhsa_system_sgpr_workgroup_info 0
		.amdhsa_system_vgpr_workitem_id 1
		.amdhsa_next_free_vgpr 152
		.amdhsa_next_free_sgpr 28
		.amdhsa_reserve_vcc 1
		.amdhsa_reserve_flat_scratch 0
		.amdhsa_float_round_mode_32 0
		.amdhsa_float_round_mode_16_64 0
		.amdhsa_float_denorm_mode_32 3
		.amdhsa_float_denorm_mode_16_64 3
		.amdhsa_dx10_clamp 1
		.amdhsa_ieee_mode 1
		.amdhsa_fp16_overflow 0
		.amdhsa_workgroup_processor_mode 1
		.amdhsa_memory_ordered 1
		.amdhsa_forward_progress 1
		.amdhsa_shared_vgpr_count 0
		.amdhsa_exception_fp_ieee_invalid_op 0
		.amdhsa_exception_fp_denorm_src 0
		.amdhsa_exception_fp_ieee_div_zero 0
		.amdhsa_exception_fp_ieee_overflow 0
		.amdhsa_exception_fp_ieee_underflow 0
		.amdhsa_exception_fp_ieee_inexact 0
		.amdhsa_exception_int_div_zero 0
	.end_amdhsa_kernel
	.section	.text._ZN12_GLOBAL__N_120geam_min_plus_kernelIf15HIP_vector_typeIfLj2EES2_Li8ELi32ELi64ELi128ELi4ELi4ELi64ELi4ELi64ELc84ELc78ELb0ELb1ELb0EfKPKfKPfEEviiiT16_PT17_ilSA_ilS8_SA_ilPT18_ili26rocblas_geam_ex_operation_,"axG",@progbits,_ZN12_GLOBAL__N_120geam_min_plus_kernelIf15HIP_vector_typeIfLj2EES2_Li8ELi32ELi64ELi128ELi4ELi4ELi64ELi4ELi64ELc84ELc78ELb0ELb1ELb0EfKPKfKPfEEviiiT16_PT17_ilSA_ilS8_SA_ilPT18_ili26rocblas_geam_ex_operation_,comdat
.Lfunc_end38:
	.size	_ZN12_GLOBAL__N_120geam_min_plus_kernelIf15HIP_vector_typeIfLj2EES2_Li8ELi32ELi64ELi128ELi4ELi4ELi64ELi4ELi64ELc84ELc78ELb0ELb1ELb0EfKPKfKPfEEviiiT16_PT17_ilSA_ilS8_SA_ilPT18_ili26rocblas_geam_ex_operation_, .Lfunc_end38-_ZN12_GLOBAL__N_120geam_min_plus_kernelIf15HIP_vector_typeIfLj2EES2_Li8ELi32ELi64ELi128ELi4ELi4ELi64ELi4ELi64ELc84ELc78ELb0ELb1ELb0EfKPKfKPfEEviiiT16_PT17_ilSA_ilS8_SA_ilPT18_ili26rocblas_geam_ex_operation_
                                        ; -- End function
	.set _ZN12_GLOBAL__N_120geam_min_plus_kernelIf15HIP_vector_typeIfLj2EES2_Li8ELi32ELi64ELi128ELi4ELi4ELi64ELi4ELi64ELc84ELc78ELb0ELb1ELb0EfKPKfKPfEEviiiT16_PT17_ilSA_ilS8_SA_ilPT18_ili26rocblas_geam_ex_operation_.num_vgpr, 152
	.set _ZN12_GLOBAL__N_120geam_min_plus_kernelIf15HIP_vector_typeIfLj2EES2_Li8ELi32ELi64ELi128ELi4ELi4ELi64ELi4ELi64ELc84ELc78ELb0ELb1ELb0EfKPKfKPfEEviiiT16_PT17_ilSA_ilS8_SA_ilPT18_ili26rocblas_geam_ex_operation_.num_agpr, 0
	.set _ZN12_GLOBAL__N_120geam_min_plus_kernelIf15HIP_vector_typeIfLj2EES2_Li8ELi32ELi64ELi128ELi4ELi4ELi64ELi4ELi64ELc84ELc78ELb0ELb1ELb0EfKPKfKPfEEviiiT16_PT17_ilSA_ilS8_SA_ilPT18_ili26rocblas_geam_ex_operation_.numbered_sgpr, 28
	.set _ZN12_GLOBAL__N_120geam_min_plus_kernelIf15HIP_vector_typeIfLj2EES2_Li8ELi32ELi64ELi128ELi4ELi4ELi64ELi4ELi64ELc84ELc78ELb0ELb1ELb0EfKPKfKPfEEviiiT16_PT17_ilSA_ilS8_SA_ilPT18_ili26rocblas_geam_ex_operation_.num_named_barrier, 0
	.set _ZN12_GLOBAL__N_120geam_min_plus_kernelIf15HIP_vector_typeIfLj2EES2_Li8ELi32ELi64ELi128ELi4ELi4ELi64ELi4ELi64ELc84ELc78ELb0ELb1ELb0EfKPKfKPfEEviiiT16_PT17_ilSA_ilS8_SA_ilPT18_ili26rocblas_geam_ex_operation_.private_seg_size, 0
	.set _ZN12_GLOBAL__N_120geam_min_plus_kernelIf15HIP_vector_typeIfLj2EES2_Li8ELi32ELi64ELi128ELi4ELi4ELi64ELi4ELi64ELc84ELc78ELb0ELb1ELb0EfKPKfKPfEEviiiT16_PT17_ilSA_ilS8_SA_ilPT18_ili26rocblas_geam_ex_operation_.uses_vcc, 1
	.set _ZN12_GLOBAL__N_120geam_min_plus_kernelIf15HIP_vector_typeIfLj2EES2_Li8ELi32ELi64ELi128ELi4ELi4ELi64ELi4ELi64ELc84ELc78ELb0ELb1ELb0EfKPKfKPfEEviiiT16_PT17_ilSA_ilS8_SA_ilPT18_ili26rocblas_geam_ex_operation_.uses_flat_scratch, 0
	.set _ZN12_GLOBAL__N_120geam_min_plus_kernelIf15HIP_vector_typeIfLj2EES2_Li8ELi32ELi64ELi128ELi4ELi4ELi64ELi4ELi64ELc84ELc78ELb0ELb1ELb0EfKPKfKPfEEviiiT16_PT17_ilSA_ilS8_SA_ilPT18_ili26rocblas_geam_ex_operation_.has_dyn_sized_stack, 0
	.set _ZN12_GLOBAL__N_120geam_min_plus_kernelIf15HIP_vector_typeIfLj2EES2_Li8ELi32ELi64ELi128ELi4ELi4ELi64ELi4ELi64ELc84ELc78ELb0ELb1ELb0EfKPKfKPfEEviiiT16_PT17_ilSA_ilS8_SA_ilPT18_ili26rocblas_geam_ex_operation_.has_recursion, 0
	.set _ZN12_GLOBAL__N_120geam_min_plus_kernelIf15HIP_vector_typeIfLj2EES2_Li8ELi32ELi64ELi128ELi4ELi4ELi64ELi4ELi64ELc84ELc78ELb0ELb1ELb0EfKPKfKPfEEviiiT16_PT17_ilSA_ilS8_SA_ilPT18_ili26rocblas_geam_ex_operation_.has_indirect_call, 0
	.section	.AMDGPU.csdata,"",@progbits
; Kernel info:
; codeLenInByte = 9164
; TotalNumSgprs: 30
; NumVgprs: 152
; ScratchSize: 0
; MemoryBound: 0
; FloatMode: 240
; IeeeMode: 1
; LDSByteSize: 6144 bytes/workgroup (compile time only)
; SGPRBlocks: 0
; VGPRBlocks: 18
; NumSGPRsForWavesPerEU: 30
; NumVGPRsForWavesPerEU: 152
; Occupancy: 6
; WaveLimiterHint : 1
; COMPUTE_PGM_RSRC2:SCRATCH_EN: 0
; COMPUTE_PGM_RSRC2:USER_SGPR: 6
; COMPUTE_PGM_RSRC2:TRAP_HANDLER: 0
; COMPUTE_PGM_RSRC2:TGID_X_EN: 1
; COMPUTE_PGM_RSRC2:TGID_Y_EN: 0
; COMPUTE_PGM_RSRC2:TGID_Z_EN: 1
; COMPUTE_PGM_RSRC2:TIDIG_COMP_CNT: 1
	.section	.text._ZN12_GLOBAL__N_120geam_min_plus_kernelIf15HIP_vector_typeIfLj2EES2_Li8ELi32ELi64ELi128ELi4ELi64ELi4ELi64ELi4ELc78ELc84ELb0ELb0ELb0EPKfKS4_KPfEEviiiT16_PT17_ilSA_ilS8_SA_ilPT18_ili26rocblas_geam_ex_operation_,"axG",@progbits,_ZN12_GLOBAL__N_120geam_min_plus_kernelIf15HIP_vector_typeIfLj2EES2_Li8ELi32ELi64ELi128ELi4ELi64ELi4ELi64ELi4ELc78ELc84ELb0ELb0ELb0EPKfKS4_KPfEEviiiT16_PT17_ilSA_ilS8_SA_ilPT18_ili26rocblas_geam_ex_operation_,comdat
	.globl	_ZN12_GLOBAL__N_120geam_min_plus_kernelIf15HIP_vector_typeIfLj2EES2_Li8ELi32ELi64ELi128ELi4ELi64ELi4ELi64ELi4ELc78ELc84ELb0ELb0ELb0EPKfKS4_KPfEEviiiT16_PT17_ilSA_ilS8_SA_ilPT18_ili26rocblas_geam_ex_operation_ ; -- Begin function _ZN12_GLOBAL__N_120geam_min_plus_kernelIf15HIP_vector_typeIfLj2EES2_Li8ELi32ELi64ELi128ELi4ELi64ELi4ELi64ELi4ELc78ELc84ELb0ELb0ELb0EPKfKS4_KPfEEviiiT16_PT17_ilSA_ilS8_SA_ilPT18_ili26rocblas_geam_ex_operation_
	.p2align	8
	.type	_ZN12_GLOBAL__N_120geam_min_plus_kernelIf15HIP_vector_typeIfLj2EES2_Li8ELi32ELi64ELi128ELi4ELi64ELi4ELi64ELi4ELc78ELc84ELb0ELb0ELb0EPKfKS4_KPfEEviiiT16_PT17_ilSA_ilS8_SA_ilPT18_ili26rocblas_geam_ex_operation_,@function
_ZN12_GLOBAL__N_120geam_min_plus_kernelIf15HIP_vector_typeIfLj2EES2_Li8ELi32ELi64ELi128ELi4ELi64ELi4ELi64ELi4ELc78ELc84ELb0ELb0ELb0EPKfKS4_KPfEEviiiT16_PT17_ilSA_ilS8_SA_ilPT18_ili26rocblas_geam_ex_operation_: ; @_ZN12_GLOBAL__N_120geam_min_plus_kernelIf15HIP_vector_typeIfLj2EES2_Li8ELi32ELi64ELi128ELi4ELi64ELi4ELi64ELi4ELc78ELc84ELb0ELb0ELb0EPKfKS4_KPfEEviiiT16_PT17_ilSA_ilS8_SA_ilPT18_ili26rocblas_geam_ex_operation_
; %bb.0:
	s_clause 0x1
	s_load_dwordx4 s[0:3], s[4:5], 0x10
	s_load_dwordx4 s[8:11], s[4:5], 0x28
	s_mov_b32 s18, s7
	s_mov_b32 s19, 0
	s_lshl_b64 s[16:17], s[18:19], 2
	s_waitcnt lgkmcnt(0)
	s_add_u32 s0, s0, s16
	s_addc_u32 s1, s1, s17
	s_load_dword s24, s[0:1], 0x0
	s_clause 0x1
	s_load_dwordx4 s[12:15], s[4:5], 0x40
	s_load_dwordx2 s[20:21], s[4:5], 0x50
	s_waitcnt lgkmcnt(0)
	v_cmp_eq_f32_e64 s1, s24, 0
	s_add_u32 s22, s14, s16
	v_cmp_neq_f32_e64 s0, s24, 0
	s_addc_u32 s23, s15, s17
	s_mov_b64 s[14:15], 0
	s_and_b32 s1, exec_lo, s1
	s_mov_b64 s[16:17], 0
	s_mov_b32 vcc_lo, s1
	s_cbranch_vccnz .LBB39_2
; %bb.1:
	s_lshl_b64 s[16:17], s[18:19], 3
	s_add_u32 s2, s2, s16
	s_addc_u32 s3, s3, s17
	s_lshl_b64 s[8:9], s[8:9], 2
	s_load_dwordx2 s[2:3], s[2:3], 0x0
	s_waitcnt lgkmcnt(0)
	s_add_u32 s16, s2, s8
	s_addc_u32 s17, s3, s9
.LBB39_2:
	s_load_dword s3, s[22:23], 0x0
	v_cndmask_b32_e64 v2, 0, 1, s0
	s_andn2_b32 vcc_lo, exec_lo, s0
	v_cmp_ne_u32_e64 s2, 1, v2
	s_cbranch_vccnz .LBB39_4
; %bb.3:
	s_lshl_b64 s[8:9], s[18:19], 3
	s_add_u32 s8, s10, s8
	s_addc_u32 s9, s11, s9
	s_lshl_b64 s[10:11], s[12:13], 2
	s_load_dwordx2 s[8:9], s[8:9], 0x0
	s_waitcnt lgkmcnt(0)
	s_add_u32 s14, s8, s10
	s_addc_u32 s15, s9, s11
.LBB39_4:
	s_load_dwordx4 s[8:11], s[4:5], 0x60
	s_waitcnt lgkmcnt(0)
	v_cmp_eq_f32_e64 s0, s3, 0
	s_and_b32 s0, exec_lo, s0
	s_mov_b32 vcc_lo, s0
	s_cbranch_vccnz .LBB39_6
; %bb.5:
	s_lshl_b64 s[12:13], s[18:19], 3
	s_add_u32 s12, s20, s12
	s_addc_u32 s13, s21, s13
	s_lshl_b64 s[8:9], s[8:9], 2
	s_load_dwordx2 s[12:13], s[12:13], 0x0
	s_waitcnt lgkmcnt(0)
	s_add_u32 s8, s12, s8
	s_addc_u32 s9, s13, s9
	s_branch .LBB39_7
.LBB39_6:
	s_mov_b64 s[8:9], 0
.LBB39_7:
	s_clause 0x2
	s_load_dword s20, s[4:5], 0x20
	s_load_dword s21, s[4:5], 0x38
	;; [unrolled: 1-line block ×3, first 2 shown]
	s_lshl_b64 s[12:13], s[18:19], 3
	v_lshl_add_u32 v3, v1, 3, v0
	v_mov_b32_e32 v77, 0
	v_mov_b32_e32 v6, 0
	;; [unrolled: 1-line block ×4, first 2 shown]
	v_and_b32_e32 v76, 63, v3
	v_lshrrev_b32_e32 v12, 6, v3
	s_waitcnt lgkmcnt(0)
	s_ashr_i32 s18, s20, 31
	s_ashr_i32 s19, s21, 31
	s_add_u32 s10, s10, s12
	s_addc_u32 s11, s11, s13
	s_add_i32 s7, s7, -1
	s_ashr_i32 s12, s7, 31
	s_lshr_b32 s12, s12, 26
	s_add_i32 s7, s7, s12
	s_ashr_i32 s7, s7, 6
	s_add_i32 s12, s7, 1
	s_not_b32 s7, s7
	v_cvt_f32_u32_e32 v2, s12
	v_rcp_iflag_f32_e32 v2, v2
	v_mul_f32_e32 v2, 0x4f7ffffe, v2
	v_cvt_u32_f32_e32 v2, v2
	v_readfirstlane_b32 s13, v2
	s_mul_i32 s7, s7, s13
	s_mul_hi_u32 s7, s13, s7
	s_add_i32 s13, s13, s7
	s_mul_hi_u32 s7, s6, s13
	s_mul_i32 s13, s7, s12
	s_add_i32 s22, s7, 1
	s_sub_i32 s13, s6, s13
	s_sub_i32 s23, s13, s12
	s_cmp_ge_u32 s13, s12
	s_cselect_b32 s7, s22, s7
	s_cselect_b32 s13, s23, s13
	s_add_i32 s22, s7, 1
	s_cmp_ge_u32 s13, s12
	s_cselect_b32 s7, s22, s7
	s_and_b32 vcc_lo, exec_lo, s2
	s_mul_i32 s12, s7, s12
	s_lshl_b32 s13, s7, 7
	s_sub_i32 s6, s6, s12
	v_or_b32_e32 v2, s13, v76
	s_lshl_b32 s12, s6, 6
	v_or_b32_e32 v4, s12, v76
	v_ashrrev_i32_e32 v3, 31, v2
	v_ashrrev_i32_e32 v5, 31, v4
	s_cbranch_vccnz .LBB39_9
; %bb.8:
	v_mad_i64_i32 v[6:7], null, s20, v12, 0
	v_mad_i64_i32 v[8:9], null, s21, v12, 0
	v_lshlrev_b64 v[10:11], 2, v[4:5]
	v_lshlrev_b64 v[13:14], 2, v[2:3]
	;; [unrolled: 1-line block ×4, first 2 shown]
	v_add_co_u32 v6, vcc_lo, s16, v6
	v_add_co_ci_u32_e64 v7, null, s17, v7, vcc_lo
	v_add_co_u32 v8, vcc_lo, s14, v8
	v_add_co_ci_u32_e64 v9, null, s15, v9, vcc_lo
	;; [unrolled: 2-line block ×4, first 2 shown]
	flat_load_dword v6, v[6:7]
	s_clause 0x1
	flat_load_dword v7, v[8:9]
	flat_load_dword v9, v[8:9] offset:256
	s_waitcnt vmcnt(2) lgkmcnt(2)
	v_mul_f32_e32 v6, s24, v6
	s_waitcnt vmcnt(1) lgkmcnt(1)
	v_mul_f32_e32 v8, s24, v7
	s_waitcnt vmcnt(0) lgkmcnt(0)
	v_mul_f32_e32 v7, s24, v9
.LBB39_9:
	s_load_dwordx2 s[6:7], s[10:11], 0x0
	v_add_nc_u32_e32 v13, 4, v12
	v_mov_b32_e32 v78, 0
	v_mov_b32_e32 v79, 0
	s_and_b32 vcc_lo, exec_lo, s2
	s_cbranch_vccnz .LBB39_11
; %bb.10:
	v_mad_i64_i32 v[9:10], null, s20, v13, 0
	v_mad_i64_i32 v[14:15], null, s21, v13, 0
	v_lshlrev_b64 v[16:17], 2, v[4:5]
	v_lshlrev_b64 v[18:19], 2, v[2:3]
	;; [unrolled: 1-line block ×4, first 2 shown]
	v_add_co_u32 v9, vcc_lo, s16, v9
	v_add_co_ci_u32_e64 v10, null, s17, v10, vcc_lo
	v_add_co_u32 v11, vcc_lo, s14, v14
	v_add_co_ci_u32_e64 v15, null, s15, v15, vcc_lo
	;; [unrolled: 2-line block ×4, first 2 shown]
	flat_load_dword v9, v[9:10]
	s_clause 0x1
	flat_load_dword v10, v[14:15]
	flat_load_dword v11, v[14:15] offset:256
	s_waitcnt vmcnt(2) lgkmcnt(0)
	v_mul_f32_e32 v77, s24, v9
	s_waitcnt vmcnt(1)
	v_mul_f32_e32 v79, s24, v10
	s_waitcnt vmcnt(0)
	v_mul_f32_e32 v78, s24, v11
.LBB39_11:
	v_lshlrev_b32_e32 v9, 4, v76
	v_mov_b32_e32 v70, 0
	v_cmp_neq_f32_e64 s2, s3, 0
	v_lshl_or_b32 v73, v0, 4, 0x1000
	v_lshlrev_b32_e32 v74, 4, v1
	v_lshl_add_u32 v72, v12, 2, v9
	v_mov_b32_e32 v71, v70
	v_mov_b32_e32 v68, v70
	v_mov_b32_e32 v69, v70
	v_mov_b32_e32 v10, v70
	v_or_b32_e32 v75, 0x1000, v72
	ds_write_b32 v72, v6 offset:4096
	ds_write2st64_b32 v72, v8, v7 offset1:4
	v_mov_b32_e32 v6, v70
	v_mov_b32_e32 v7, v70
	;; [unrolled: 1-line block ×59, first 2 shown]
	s_mov_b32 s11, 0
	s_mov_b32 s10, -1
	s_waitcnt lgkmcnt(0)
	s_barrier
	buffer_gl0_inv
.LBB39_12:                              ; =>This Inner Loop Header: Depth=1
	s_lshl_b32 s11, s11, 2
	v_cndmask_b32_e64 v80, 0, 1, s10
	v_add_nc_u32_e32 v92, s11, v73
	v_add_nc_u32_e32 v100, s11, v74
	s_mov_b32 s10, 0
	s_mov_b32 s11, 2
	v_cmp_ne_u32_e32 vcc_lo, 1, v80
	ds_read2_b64 v[80:83], v92 offset1:16
	ds_read2_b64 v[84:87], v92 offset0:32 offset1:48
	ds_read2_b64 v[88:91], v92 offset0:64 offset1:80
	;; [unrolled: 1-line block ×3, first 2 shown]
	ds_read2st64_b64 v[96:99], v100 offset1:1
	ds_read2st64_b64 v[100:103], v100 offset0:2 offset1:3
	s_and_b32 vcc_lo, exec_lo, vcc_lo
	s_waitcnt lgkmcnt(5)
	v_max_f32_e32 v80, v80, v80
	v_max_f32_e32 v81, v81, v81
	v_max_f32_e32 v82, v82, v82
	v_max_f32_e32 v83, v83, v83
	s_waitcnt lgkmcnt(4)
	v_max_f32_e32 v84, v84, v84
	v_max_f32_e32 v85, v85, v85
	v_max_f32_e32 v86, v86, v86
	v_max_f32_e32 v87, v87, v87
	;; [unrolled: 5-line block ×6, first 2 shown]
	v_min_f32_e32 v104, v80, v96
	v_min_f32_e32 v105, v82, v96
	;; [unrolled: 1-line block ×64, first 2 shown]
	v_add_f32_e32 v71, v102, v71
	v_add_f32_e32 v70, v104, v70
	;; [unrolled: 1-line block ×64, first 2 shown]
	s_cbranch_vccz .LBB39_12
; %bb.13:
	s_load_dword s10, s[4:5], 0x8
	v_lshlrev_b32_e32 v80, 2, v12
	v_lshl_add_u32 v80, v76, 4, v80
	v_lshl_add_u32 v76, v0, 4, 0x1400
	ds_write_b32 v80, v77 offset:5120
	ds_write2st64_b32 v80, v79, v78 offset0:8 offset1:12
	v_lshl_add_u32 v77, v1, 4, 0x800
	s_waitcnt lgkmcnt(0)
	s_barrier
	buffer_gl0_inv
	s_cmp_lt_i32 s10, 9
	s_cbranch_scc1 .LBB39_28
; %bb.14:
	v_lshlrev_b64 v[78:79], 2, v[4:5]
	v_lshlrev_b64 v[2:3], 2, v[2:3]
	v_add_nc_u32_e32 v4, 0x1400, v80
	v_or_b32_e32 v5, 0x800, v80
	s_add_i32 s10, s10, -8
	s_mov_b32 s11, 8
	v_add_co_u32 v78, vcc_lo, s16, v78
	v_add_co_ci_u32_e64 v79, null, s17, v79, vcc_lo
	v_add_co_u32 v80, vcc_lo, s14, v2
	v_add_co_ci_u32_e64 v81, null, s15, v3, vcc_lo
	s_mov_b32 s14, 0
.LBB39_15:                              ; =>This Loop Header: Depth=1
                                        ;     Child Loop BB39_20 Depth 2
                                        ;     Child Loop BB39_26 Depth 2
	s_mov_b32 s15, -1
	s_mov_b32 vcc_lo, s1
                                        ; implicit-def: $vgpr2_vgpr3
	s_cbranch_vccz .LBB39_17
; %bb.16:                               ;   in Loop: Header=BB39_15 Depth=1
	v_mov_b32_e32 v2, 0
	s_mov_b32 s15, 0
.LBB39_17:                              ;   in Loop: Header=BB39_15 Depth=1
	v_mov_b32_e32 v3, 0
	v_mov_b32_e32 v82, 0
	s_andn2_b32 vcc_lo, exec_lo, s15
	s_cbranch_vccnz .LBB39_19
; %bb.18:                               ;   in Loop: Header=BB39_15 Depth=1
	v_add_nc_u32_e32 v86, s11, v12
	v_mad_u64_u32 v[2:3], null, v86, s20, 0
	v_mad_u64_u32 v[82:83], null, v86, s21, 0
	;; [unrolled: 1-line block ×4, first 2 shown]
	v_mov_b32_e32 v3, v84
	v_lshlrev_b64 v[2:3], 2, v[2:3]
	v_mov_b32_e32 v83, v85
	v_add_co_u32 v2, vcc_lo, v78, v2
	v_lshlrev_b64 v[82:83], 2, v[82:83]
	v_add_co_ci_u32_e64 v3, null, v79, v3, vcc_lo
	v_add_co_u32 v82, vcc_lo, v80, v82
	v_add_co_ci_u32_e64 v83, null, v81, v83, vcc_lo
	flat_load_dword v2, v[2:3]
	s_clause 0x1
	flat_load_dword v84, v[82:83]
	flat_load_dword v82, v[82:83] offset:256
	s_waitcnt vmcnt(2) lgkmcnt(2)
	v_mul_f32_e32 v3, s24, v2
	s_waitcnt vmcnt(1) lgkmcnt(1)
	v_mul_f32_e32 v2, s24, v84
	;; [unrolled: 2-line block ×3, first 2 shown]
.LBB39_19:                              ;   in Loop: Header=BB39_15 Depth=1
	s_mov_b32 s16, 0
	s_mov_b32 s15, -1
.LBB39_20:                              ;   Parent Loop BB39_15 Depth=1
                                        ; =>  This Inner Loop Header: Depth=2
	s_lshl_b32 s16, s16, 2
	v_cndmask_b32_e64 v83, 0, 1, s15
	v_add_nc_u32_e32 v103, s16, v77
	v_add_nc_u32_e32 v99, s16, v76
	s_mov_b32 s15, 0
	s_mov_b32 s16, 2
	v_cmp_ne_u32_e32 vcc_lo, 1, v83
	ds_read2st64_b64 v[83:86], v103 offset1:1
	ds_read2_b64 v[87:90], v99 offset1:16
	ds_read2_b64 v[91:94], v99 offset0:32 offset1:48
	ds_read2_b64 v[95:98], v99 offset0:64 offset1:80
	;; [unrolled: 1-line block ×3, first 2 shown]
	ds_read2st64_b64 v[103:106], v103 offset0:2 offset1:3
	s_and_b32 vcc_lo, exec_lo, vcc_lo
	s_waitcnt lgkmcnt(5)
	v_max_f32_e32 v83, v83, v83
	s_waitcnt lgkmcnt(4)
	v_max_f32_e32 v87, v87, v87
	v_max_f32_e32 v84, v84, v84
	;; [unrolled: 1-line block ×5, first 2 shown]
	s_waitcnt lgkmcnt(3)
	v_max_f32_e32 v91, v91, v91
	v_max_f32_e32 v92, v92, v92
	v_max_f32_e32 v93, v93, v93
	v_max_f32_e32 v94, v94, v94
	s_waitcnt lgkmcnt(2)
	v_max_f32_e32 v95, v95, v95
	v_max_f32_e32 v96, v96, v96
	v_max_f32_e32 v97, v97, v97
	v_max_f32_e32 v98, v98, v98
	;; [unrolled: 5-line block ×3, first 2 shown]
	v_max_f32_e32 v85, v85, v85
	v_max_f32_e32 v86, v86, v86
	s_waitcnt lgkmcnt(0)
	v_max_f32_e32 v103, v103, v103
	v_max_f32_e32 v104, v104, v104
	;; [unrolled: 1-line block ×4, first 2 shown]
	v_min_f32_e32 v107, v87, v83
	v_min_f32_e32 v108, v88, v84
	;; [unrolled: 1-line block ×64, first 2 shown]
	v_add_f32_e32 v71, v108, v71
	v_add_f32_e32 v70, v107, v70
	;; [unrolled: 1-line block ×64, first 2 shown]
	s_cbranch_vccz .LBB39_20
; %bb.21:                               ;   in Loop: Header=BB39_15 Depth=1
	s_mov_b32 s15, -1
	s_mov_b32 vcc_lo, s1
	ds_write_b32 v75, v3
	ds_write2st64_b32 v72, v2, v82 offset1:4
	s_waitcnt lgkmcnt(0)
	s_barrier
	buffer_gl0_inv
                                        ; implicit-def: $vgpr2_vgpr3
	s_cbranch_vccz .LBB39_23
; %bb.22:                               ;   in Loop: Header=BB39_15 Depth=1
	v_mov_b32_e32 v2, 0
	s_mov_b32 s15, 0
.LBB39_23:                              ;   in Loop: Header=BB39_15 Depth=1
	v_mov_b32_e32 v3, 0
	v_mov_b32_e32 v82, 0
	s_andn2_b32 vcc_lo, exec_lo, s15
	s_cbranch_vccnz .LBB39_25
; %bb.24:                               ;   in Loop: Header=BB39_15 Depth=1
	v_add_nc_u32_e32 v86, s11, v13
	v_mad_u64_u32 v[2:3], null, v86, s20, 0
	v_mad_u64_u32 v[82:83], null, v86, s21, 0
	;; [unrolled: 1-line block ×4, first 2 shown]
	v_mov_b32_e32 v3, v84
	v_lshlrev_b64 v[2:3], 2, v[2:3]
	v_mov_b32_e32 v83, v85
	v_add_co_u32 v2, vcc_lo, v78, v2
	v_lshlrev_b64 v[82:83], 2, v[82:83]
	v_add_co_ci_u32_e64 v3, null, v79, v3, vcc_lo
	v_add_co_u32 v82, vcc_lo, v80, v82
	v_add_co_ci_u32_e64 v83, null, v81, v83, vcc_lo
	flat_load_dword v2, v[2:3]
	s_clause 0x1
	flat_load_dword v84, v[82:83]
	flat_load_dword v82, v[82:83] offset:256
	s_waitcnt vmcnt(2) lgkmcnt(2)
	v_mul_f32_e32 v3, s24, v2
	s_waitcnt vmcnt(1) lgkmcnt(1)
	v_mul_f32_e32 v2, s24, v84
	;; [unrolled: 2-line block ×3, first 2 shown]
.LBB39_25:                              ;   in Loop: Header=BB39_15 Depth=1
	s_mov_b32 s16, 0
	s_mov_b32 s15, -1
.LBB39_26:                              ;   Parent Loop BB39_15 Depth=1
                                        ; =>  This Inner Loop Header: Depth=2
	s_lshl_b32 s16, s16, 2
	v_cndmask_b32_e64 v83, 0, 1, s15
	v_add_nc_u32_e32 v103, s16, v74
	v_add_nc_u32_e32 v99, s16, v73
	s_mov_b32 s15, 0
	s_mov_b32 s16, 2
	v_cmp_ne_u32_e32 vcc_lo, 1, v83
	ds_read2st64_b64 v[83:86], v103 offset1:1
	ds_read2_b64 v[87:90], v99 offset1:16
	ds_read2_b64 v[91:94], v99 offset0:32 offset1:48
	ds_read2_b64 v[95:98], v99 offset0:64 offset1:80
	;; [unrolled: 1-line block ×3, first 2 shown]
	ds_read2st64_b64 v[103:106], v103 offset0:2 offset1:3
	s_and_b32 vcc_lo, exec_lo, vcc_lo
	s_waitcnt lgkmcnt(5)
	v_max_f32_e32 v83, v83, v83
	s_waitcnt lgkmcnt(4)
	v_max_f32_e32 v87, v87, v87
	v_max_f32_e32 v84, v84, v84
	;; [unrolled: 1-line block ×5, first 2 shown]
	s_waitcnt lgkmcnt(3)
	v_max_f32_e32 v91, v91, v91
	v_max_f32_e32 v92, v92, v92
	v_max_f32_e32 v93, v93, v93
	v_max_f32_e32 v94, v94, v94
	s_waitcnt lgkmcnt(2)
	v_max_f32_e32 v95, v95, v95
	v_max_f32_e32 v96, v96, v96
	v_max_f32_e32 v97, v97, v97
	v_max_f32_e32 v98, v98, v98
	s_waitcnt lgkmcnt(1)
	v_max_f32_e32 v99, v99, v99
	v_max_f32_e32 v100, v100, v100
	v_max_f32_e32 v101, v101, v101
	v_max_f32_e32 v102, v102, v102
	v_max_f32_e32 v85, v85, v85
	v_max_f32_e32 v86, v86, v86
	s_waitcnt lgkmcnt(0)
	v_max_f32_e32 v103, v103, v103
	v_max_f32_e32 v104, v104, v104
	;; [unrolled: 1-line block ×4, first 2 shown]
	v_min_f32_e32 v107, v87, v83
	v_min_f32_e32 v108, v88, v84
	;; [unrolled: 1-line block ×64, first 2 shown]
	v_add_f32_e32 v71, v108, v71
	v_add_f32_e32 v70, v107, v70
	;; [unrolled: 1-line block ×64, first 2 shown]
	s_cbranch_vccz .LBB39_26
; %bb.27:                               ;   in Loop: Header=BB39_15 Depth=1
	s_add_i32 s14, s14, 8
	s_add_i32 s11, s11, 8
	s_cmp_ge_i32 s14, s10
	ds_write_b32 v4, v3
	ds_write2st64_b32 v5, v2, v82 offset1:4
	s_waitcnt lgkmcnt(0)
	s_barrier
	buffer_gl0_inv
	s_cbranch_scc0 .LBB39_15
.LBB39_28:
	s_mov_b32 s10, 0
	s_mov_b32 s1, -1
.LBB39_29:                              ; =>This Inner Loop Header: Depth=1
	s_lshl_b32 s10, s10, 2
	v_cndmask_b32_e64 v2, 0, 1, s1
	v_add_nc_u32_e32 v12, s10, v77
	v_add_nc_u32_e32 v13, s10, v76
	s_mov_b32 s1, 0
	s_mov_b32 s10, 2
	v_cmp_ne_u32_e32 vcc_lo, 1, v2
	ds_read2st64_b64 v[2:5], v12 offset1:1
	ds_read2_b64 v[72:75], v13 offset1:16
	ds_read2_b64 v[78:81], v13 offset0:32 offset1:48
	ds_read2_b64 v[82:85], v13 offset0:64 offset1:80
	;; [unrolled: 1-line block ×3, first 2 shown]
	ds_read2st64_b64 v[90:93], v12 offset0:2 offset1:3
	s_and_b32 vcc_lo, exec_lo, vcc_lo
	s_waitcnt lgkmcnt(5)
	v_max_f32_e32 v2, v2, v2
	s_waitcnt lgkmcnt(4)
	v_max_f32_e32 v12, v72, v72
	v_max_f32_e32 v3, v3, v3
	;; [unrolled: 1-line block ×5, first 2 shown]
	s_waitcnt lgkmcnt(3)
	v_max_f32_e32 v74, v78, v78
	v_max_f32_e32 v75, v79, v79
	v_max_f32_e32 v78, v80, v80
	v_max_f32_e32 v79, v81, v81
	s_waitcnt lgkmcnt(2)
	v_max_f32_e32 v80, v82, v82
	v_max_f32_e32 v81, v83, v83
	v_max_f32_e32 v82, v84, v84
	v_max_f32_e32 v83, v85, v85
	;; [unrolled: 5-line block ×3, first 2 shown]
	v_max_f32_e32 v4, v4, v4
	v_max_f32_e32 v5, v5, v5
	s_waitcnt lgkmcnt(0)
	v_max_f32_e32 v88, v90, v90
	v_max_f32_e32 v89, v91, v91
	v_max_f32_e32 v90, v92, v92
	v_max_f32_e32 v91, v93, v93
	v_min_f32_e32 v92, v12, v2
	v_min_f32_e32 v93, v13, v3
	;; [unrolled: 1-line block ×64, first 2 shown]
	v_add_f32_e32 v71, v93, v71
	v_add_f32_e32 v70, v92, v70
	;; [unrolled: 1-line block ×64, first 2 shown]
	s_cbranch_vccz .LBB39_29
; %bb.30:
	s_load_dword s10, s[4:5], 0x58
	v_add_nc_u32_e32 v72, s13, v1
	v_add_nc_u32_e32 v12, s12, v0
	v_cndmask_b32_e64 v0, 0, 1, s2
	v_mov_b32_e32 v4, 0
	v_ashrrev_i32_e32 v13, 31, v12
	v_cmp_ne_u32_e64 s1, 1, v0
	s_waitcnt lgkmcnt(0)
	v_mad_i64_i32 v[1:2], null, v72, s10, 0
	v_lshlrev_b64 v[2:3], 2, v[1:2]
	v_lshlrev_b64 v[0:1], 2, v[12:13]
	v_add_co_u32 v73, vcc_lo, s8, v2
	v_add_co_ci_u32_e64 v74, null, s9, v3, vcc_lo
	v_mov_b32_e32 v2, 0
	s_andn2_b32 vcc_lo, exec_lo, s2
	s_cbranch_vccnz .LBB39_32
; %bb.31:
	v_add_co_u32 v2, vcc_lo, v73, v0
	v_add_co_ci_u32_e64 v3, null, v74, v1, vcc_lo
	flat_load_dword v2, v[2:3]
	s_waitcnt vmcnt(0) lgkmcnt(0)
	v_mul_f32_e32 v2, s3, v2
.LBB39_32:
	s_clause 0x1
	s_load_dword s2, s[4:5], 0x70
	s_load_dwordx2 s[4:5], s[4:5], 0x78
	v_add_f32_e32 v3, v70, v71
	v_add_nc_u32_e32 v77, 8, v12
	v_add_f32_e32 v5, v3, v2
	v_ashrrev_i32_e32 v78, 31, v77
	v_lshlrev_b64 v[2:3], 2, v[77:78]
	s_waitcnt lgkmcnt(0)
	v_mad_i64_i32 v[75:76], null, v72, s2, 0
	s_lshl_b64 s[4:5], s[4:5], 2
	s_add_u32 s4, s6, s4
	s_addc_u32 s5, s7, s5
	v_lshlrev_b64 v[70:71], 2, v[75:76]
	v_add_co_u32 v70, vcc_lo, s4, v70
	v_add_co_ci_u32_e64 v71, null, s5, v71, vcc_lo
	v_add_co_u32 v75, vcc_lo, v70, v0
	v_add_co_ci_u32_e64 v76, null, v71, v1, vcc_lo
	s_and_b32 vcc_lo, exec_lo, s1
	flat_store_dword v[75:76], v5
	s_cbranch_vccnz .LBB39_34
; %bb.33:
	v_add_co_u32 v4, vcc_lo, v73, v2
	v_add_co_ci_u32_e64 v5, null, v74, v3, vcc_lo
	flat_load_dword v4, v[4:5]
	s_waitcnt vmcnt(0) lgkmcnt(0)
	v_mul_f32_e32 v4, s3, v4
.LBB39_34:
	v_add_nc_u32_e32 v75, 16, v12
	v_add_f32_e32 v5, v68, v69
	v_add_co_u32 v77, vcc_lo, v70, v2
	v_add_co_ci_u32_e64 v78, null, v71, v3, vcc_lo
	v_ashrrev_i32_e32 v76, 31, v75
	v_add_f32_e32 v69, v5, v4
	v_mov_b32_e32 v13, 0
	v_mov_b32_e32 v68, 0
	s_and_b32 vcc_lo, exec_lo, s1
	v_lshlrev_b64 v[4:5], 2, v[75:76]
	flat_store_dword v[77:78], v69
	s_cbranch_vccnz .LBB39_36
; %bb.35:
	v_add_co_u32 v68, vcc_lo, v73, v4
	v_add_co_ci_u32_e64 v69, null, v74, v5, vcc_lo
	flat_load_dword v68, v[68:69]
	s_waitcnt vmcnt(0) lgkmcnt(0)
	v_mul_f32_e32 v68, s3, v68
.LBB39_36:
	v_add_nc_u32_e32 v75, 24, v12
	v_add_f32_e32 v6, v6, v7
	v_ashrrev_i32_e32 v76, 31, v75
	v_add_f32_e32 v77, v6, v68
	v_add_co_u32 v68, vcc_lo, v70, v4
	v_add_co_ci_u32_e64 v69, null, v71, v5, vcc_lo
	v_lshlrev_b64 v[6:7], 2, v[75:76]
	s_and_b32 vcc_lo, exec_lo, s1
	flat_store_dword v[68:69], v77
	s_cbranch_vccnz .LBB39_38
; %bb.37:
	v_add_co_u32 v68, vcc_lo, v73, v6
	v_add_co_ci_u32_e64 v69, null, v74, v7, vcc_lo
	flat_load_dword v13, v[68:69]
	s_waitcnt vmcnt(0) lgkmcnt(0)
	v_mul_f32_e32 v13, s3, v13
.LBB39_38:
	v_add_nc_u32_e32 v68, 32, v12
	v_add_f32_e32 v10, v10, v11
	v_add_co_u32 v75, vcc_lo, v70, v6
	v_add_co_ci_u32_e64 v76, null, v71, v7, vcc_lo
	v_ashrrev_i32_e32 v69, 31, v68
	v_add_f32_e32 v77, v10, v13
	v_mov_b32_e32 v13, 0
	s_and_b32 vcc_lo, exec_lo, s1
	v_lshlrev_b64 v[10:11], 2, v[68:69]
	v_mov_b32_e32 v68, 0
	flat_store_dword v[75:76], v77
	s_cbranch_vccnz .LBB39_40
; %bb.39:
	v_add_co_u32 v68, vcc_lo, v73, v10
	v_add_co_ci_u32_e64 v69, null, v74, v11, vcc_lo
	flat_load_dword v68, v[68:69]
	s_waitcnt vmcnt(0) lgkmcnt(0)
	v_mul_f32_e32 v68, s3, v68
.LBB39_40:
	v_add_nc_u32_e32 v75, 40, v12
	v_add_f32_e32 v14, v14, v15
	v_ashrrev_i32_e32 v76, 31, v75
	v_add_f32_e32 v77, v14, v68
	v_add_co_u32 v68, vcc_lo, v70, v10
	v_add_co_ci_u32_e64 v69, null, v71, v11, vcc_lo
	v_lshlrev_b64 v[14:15], 2, v[75:76]
	s_and_b32 vcc_lo, exec_lo, s1
	flat_store_dword v[68:69], v77
	s_cbranch_vccnz .LBB39_42
; %bb.41:
	v_add_co_u32 v68, vcc_lo, v73, v14
	v_add_co_ci_u32_e64 v69, null, v74, v15, vcc_lo
	flat_load_dword v13, v[68:69]
	s_waitcnt vmcnt(0) lgkmcnt(0)
	v_mul_f32_e32 v13, s3, v13
.LBB39_42:
	v_add_nc_u32_e32 v75, 48, v12
	v_add_f32_e32 v8, v8, v9
	v_add_co_u32 v77, vcc_lo, v70, v14
	v_add_co_ci_u32_e64 v78, null, v71, v15, vcc_lo
	v_ashrrev_i32_e32 v76, 31, v75
	v_add_f32_e32 v69, v8, v13
	v_mov_b32_e32 v68, 0
	v_mov_b32_e32 v13, 0
	s_and_b32 vcc_lo, exec_lo, s1
	v_lshlrev_b64 v[8:9], 2, v[75:76]
	flat_store_dword v[77:78], v69
	s_cbranch_vccnz .LBB39_44
; %bb.43:
	v_add_co_u32 v75, vcc_lo, v73, v8
	v_add_co_ci_u32_e64 v76, null, v74, v9, vcc_lo
	flat_load_dword v13, v[75:76]
	s_waitcnt vmcnt(0) lgkmcnt(0)
	v_mul_f32_e32 v13, s3, v13
.LBB39_44:
	v_add_nc_u32_e32 v75, 56, v12
	v_add_f32_e32 v12, v66, v67
	v_add_co_u32 v66, vcc_lo, v70, v8
	v_add_co_ci_u32_e64 v67, null, v71, v9, vcc_lo
	v_ashrrev_i32_e32 v76, 31, v75
	v_add_f32_e32 v69, v12, v13
	s_and_b32 vcc_lo, exec_lo, s1
	v_lshlrev_b64 v[12:13], 2, v[75:76]
	flat_store_dword v[66:67], v69
	s_cbranch_vccnz .LBB39_46
; %bb.45:
	v_add_co_u32 v66, vcc_lo, v73, v12
	v_add_co_ci_u32_e64 v67, null, v74, v13, vcc_lo
	flat_load_dword v66, v[66:67]
	s_waitcnt vmcnt(0) lgkmcnt(0)
	v_mul_f32_e32 v68, s3, v66
.LBB39_46:
	v_add_nc_u32_e32 v67, 32, v72
	v_add_f32_e32 v75, v64, v65
	v_add_co_u32 v69, vcc_lo, v70, v12
	v_add_co_ci_u32_e64 v70, null, v71, v13, vcc_lo
	v_mad_i64_i32 v[73:74], null, v67, s10, 0
	v_mov_b32_e32 v66, 0
	v_add_f32_e32 v71, v75, v68
	v_mov_b32_e32 v68, 0
	flat_store_dword v[69:70], v71
	v_lshlrev_b64 v[64:65], 2, v[73:74]
	v_add_co_u32 v64, vcc_lo, s8, v64
	v_add_co_ci_u32_e64 v65, null, s9, v65, vcc_lo
	s_and_b32 vcc_lo, exec_lo, s1
	s_cbranch_vccnz .LBB39_48
; %bb.47:
	v_add_co_u32 v68, vcc_lo, v64, v0
	v_add_co_ci_u32_e64 v69, null, v65, v1, vcc_lo
	flat_load_dword v68, v[68:69]
	s_waitcnt vmcnt(0) lgkmcnt(0)
	v_mul_f32_e32 v68, s3, v68
.LBB39_48:
	v_mad_i64_i32 v[69:70], null, v67, s2, 0
	v_add_f32_e32 v67, v62, v63
	v_lshlrev_b64 v[69:70], 2, v[69:70]
	v_add_co_u32 v62, vcc_lo, s4, v69
	v_add_co_ci_u32_e64 v63, null, s5, v70, vcc_lo
	v_add_f32_e32 v69, v67, v68
	v_add_co_u32 v67, vcc_lo, v62, v0
	v_add_co_ci_u32_e64 v68, null, v63, v1, vcc_lo
	s_and_b32 vcc_lo, exec_lo, s1
	flat_store_dword v[67:68], v69
	s_cbranch_vccnz .LBB39_50
; %bb.49:
	v_add_co_u32 v66, vcc_lo, v64, v2
	v_add_co_ci_u32_e64 v67, null, v65, v3, vcc_lo
	flat_load_dword v66, v[66:67]
	s_waitcnt vmcnt(0) lgkmcnt(0)
	v_mul_f32_e32 v66, s3, v66
.LBB39_50:
	v_add_f32_e32 v60, v60, v61
	v_add_co_u32 v67, vcc_lo, v62, v2
	v_add_co_ci_u32_e64 v68, null, v63, v3, vcc_lo
	v_add_f32_e32 v66, v60, v66
	v_mov_b32_e32 v60, 0
	v_mov_b32_e32 v61, 0
	s_and_b32 vcc_lo, exec_lo, s1
	flat_store_dword v[67:68], v66
	s_cbranch_vccnz .LBB39_52
; %bb.51:
	v_add_co_u32 v66, vcc_lo, v64, v4
	v_add_co_ci_u32_e64 v67, null, v65, v5, vcc_lo
	flat_load_dword v61, v[66:67]
	s_waitcnt vmcnt(0) lgkmcnt(0)
	v_mul_f32_e32 v61, s3, v61
.LBB39_52:
	v_add_f32_e32 v58, v58, v59
	v_add_f32_e32 v61, v58, v61
	v_add_co_u32 v58, vcc_lo, v62, v4
	v_add_co_ci_u32_e64 v59, null, v63, v5, vcc_lo
	s_and_b32 vcc_lo, exec_lo, s1
	flat_store_dword v[58:59], v61
	s_cbranch_vccnz .LBB39_54
; %bb.53:
	v_add_co_u32 v58, vcc_lo, v64, v6
	v_add_co_ci_u32_e64 v59, null, v65, v7, vcc_lo
	flat_load_dword v58, v[58:59]
	s_waitcnt vmcnt(0) lgkmcnt(0)
	v_mul_f32_e32 v60, s3, v58
.LBB39_54:
	v_add_f32_e32 v56, v56, v57
	v_add_co_u32 v58, vcc_lo, v62, v6
	v_add_co_ci_u32_e64 v59, null, v63, v7, vcc_lo
	v_add_f32_e32 v60, v56, v60
	v_mov_b32_e32 v56, 0
	v_mov_b32_e32 v57, 0
	s_and_b32 vcc_lo, exec_lo, s1
	flat_store_dword v[58:59], v60
	s_cbranch_vccnz .LBB39_56
; %bb.55:
	v_add_co_u32 v57, vcc_lo, v64, v10
	v_add_co_ci_u32_e64 v58, null, v65, v11, vcc_lo
	flat_load_dword v57, v[57:58]
	s_waitcnt vmcnt(0) lgkmcnt(0)
	v_mul_f32_e32 v57, s3, v57
.LBB39_56:
	v_add_f32_e32 v54, v54, v55
	;; [unrolled: 30-line block ×3, first 2 shown]
	v_add_f32_e32 v53, v50, v53
	v_add_co_u32 v50, vcc_lo, v62, v8
	v_add_co_ci_u32_e64 v51, null, v63, v9, vcc_lo
	s_and_b32 vcc_lo, exec_lo, s1
	flat_store_dword v[50:51], v53
	s_cbranch_vccnz .LBB39_62
; %bb.61:
	v_add_co_u32 v50, vcc_lo, v64, v12
	v_add_co_ci_u32_e64 v51, null, v65, v13, vcc_lo
	flat_load_dword v50, v[50:51]
	s_waitcnt vmcnt(0) lgkmcnt(0)
	v_mul_f32_e32 v52, s3, v50
.LBB39_62:
	v_add_nc_u32_e32 v51, 64, v72
	v_add_f32_e32 v55, v48, v49
	v_mov_b32_e32 v50, 0
	v_mad_i64_i32 v[53:54], null, v51, s10, 0
	v_add_f32_e32 v55, v55, v52
	v_mov_b32_e32 v52, 0
	v_lshlrev_b64 v[48:49], 2, v[53:54]
	v_add_co_u32 v53, vcc_lo, v62, v12
	v_add_co_ci_u32_e64 v54, null, v63, v13, vcc_lo
	v_add_co_u32 v48, vcc_lo, s8, v48
	v_add_co_ci_u32_e64 v49, null, s9, v49, vcc_lo
	s_and_b32 vcc_lo, exec_lo, s1
	flat_store_dword v[53:54], v55
	s_cbranch_vccnz .LBB39_64
; %bb.63:
	v_add_co_u32 v52, vcc_lo, v48, v0
	v_add_co_ci_u32_e64 v53, null, v49, v1, vcc_lo
	flat_load_dword v52, v[52:53]
	s_waitcnt vmcnt(0) lgkmcnt(0)
	v_mul_f32_e32 v52, s3, v52
.LBB39_64:
	v_mad_i64_i32 v[53:54], null, v51, s2, 0
	v_add_f32_e32 v51, v46, v47
	v_lshlrev_b64 v[53:54], 2, v[53:54]
	v_add_co_u32 v46, vcc_lo, s4, v53
	v_add_co_ci_u32_e64 v47, null, s5, v54, vcc_lo
	v_add_f32_e32 v53, v51, v52
	v_add_co_u32 v51, vcc_lo, v46, v0
	v_add_co_ci_u32_e64 v52, null, v47, v1, vcc_lo
	s_and_b32 vcc_lo, exec_lo, s1
	flat_store_dword v[51:52], v53
	s_cbranch_vccnz .LBB39_66
; %bb.65:
	v_add_co_u32 v50, vcc_lo, v48, v2
	v_add_co_ci_u32_e64 v51, null, v49, v3, vcc_lo
	flat_load_dword v50, v[50:51]
	s_waitcnt vmcnt(0) lgkmcnt(0)
	v_mul_f32_e32 v50, s3, v50
.LBB39_66:
	v_add_f32_e32 v44, v44, v45
	v_add_co_u32 v51, vcc_lo, v46, v2
	v_add_co_ci_u32_e64 v52, null, v47, v3, vcc_lo
	v_add_f32_e32 v50, v44, v50
	v_mov_b32_e32 v44, 0
	v_mov_b32_e32 v45, 0
	s_and_b32 vcc_lo, exec_lo, s1
	flat_store_dword v[51:52], v50
	s_cbranch_vccnz .LBB39_68
; %bb.67:
	v_add_co_u32 v50, vcc_lo, v48, v4
	v_add_co_ci_u32_e64 v51, null, v49, v5, vcc_lo
	flat_load_dword v45, v[50:51]
	s_waitcnt vmcnt(0) lgkmcnt(0)
	v_mul_f32_e32 v45, s3, v45
.LBB39_68:
	v_add_f32_e32 v42, v42, v43
	v_add_f32_e32 v45, v42, v45
	v_add_co_u32 v42, vcc_lo, v46, v4
	v_add_co_ci_u32_e64 v43, null, v47, v5, vcc_lo
	s_and_b32 vcc_lo, exec_lo, s1
	flat_store_dword v[42:43], v45
	s_cbranch_vccnz .LBB39_70
; %bb.69:
	v_add_co_u32 v42, vcc_lo, v48, v6
	v_add_co_ci_u32_e64 v43, null, v49, v7, vcc_lo
	flat_load_dword v42, v[42:43]
	s_waitcnt vmcnt(0) lgkmcnt(0)
	v_mul_f32_e32 v44, s3, v42
.LBB39_70:
	v_add_f32_e32 v40, v40, v41
	v_add_co_u32 v42, vcc_lo, v46, v6
	v_add_co_ci_u32_e64 v43, null, v47, v7, vcc_lo
	v_add_f32_e32 v44, v40, v44
	v_mov_b32_e32 v40, 0
	v_mov_b32_e32 v41, 0
	s_and_b32 vcc_lo, exec_lo, s1
	flat_store_dword v[42:43], v44
	s_cbranch_vccnz .LBB39_72
; %bb.71:
	v_add_co_u32 v41, vcc_lo, v48, v10
	v_add_co_ci_u32_e64 v42, null, v49, v11, vcc_lo
	flat_load_dword v41, v[41:42]
	s_waitcnt vmcnt(0) lgkmcnt(0)
	v_mul_f32_e32 v41, s3, v41
.LBB39_72:
	v_add_f32_e32 v38, v38, v39
	;; [unrolled: 30-line block ×3, first 2 shown]
	v_add_f32_e32 v37, v34, v37
	v_add_co_u32 v34, vcc_lo, v46, v8
	v_add_co_ci_u32_e64 v35, null, v47, v9, vcc_lo
	s_and_b32 vcc_lo, exec_lo, s1
	flat_store_dword v[34:35], v37
	s_cbranch_vccnz .LBB39_78
; %bb.77:
	v_add_co_u32 v34, vcc_lo, v48, v12
	v_add_co_ci_u32_e64 v35, null, v49, v13, vcc_lo
	flat_load_dword v34, v[34:35]
	s_waitcnt vmcnt(0) lgkmcnt(0)
	v_mul_f32_e32 v36, s3, v34
.LBB39_78:
	v_add_nc_u32_e32 v35, 0x60, v72
	v_add_f32_e32 v39, v32, v33
	v_mov_b32_e32 v34, 0
	v_mad_i64_i32 v[37:38], null, v35, s10, 0
	v_add_f32_e32 v39, v39, v36
	v_mov_b32_e32 v36, 0
	v_lshlrev_b64 v[32:33], 2, v[37:38]
	v_add_co_u32 v37, vcc_lo, v46, v12
	v_add_co_ci_u32_e64 v38, null, v47, v13, vcc_lo
	v_add_co_u32 v32, vcc_lo, s8, v32
	v_add_co_ci_u32_e64 v33, null, s9, v33, vcc_lo
	s_and_b32 vcc_lo, exec_lo, s1
	flat_store_dword v[37:38], v39
	s_cbranch_vccnz .LBB39_80
; %bb.79:
	v_add_co_u32 v36, vcc_lo, v32, v0
	v_add_co_ci_u32_e64 v37, null, v33, v1, vcc_lo
	flat_load_dword v36, v[36:37]
	s_waitcnt vmcnt(0) lgkmcnt(0)
	v_mul_f32_e32 v36, s3, v36
.LBB39_80:
	v_mad_i64_i32 v[37:38], null, v35, s2, 0
	v_add_f32_e32 v35, v30, v31
	v_add_f32_e32 v35, v35, v36
	v_lshlrev_b64 v[37:38], 2, v[37:38]
	v_add_co_u32 v30, vcc_lo, s4, v37
	v_add_co_ci_u32_e64 v31, null, s5, v38, vcc_lo
	v_add_co_u32 v0, vcc_lo, v30, v0
	v_add_co_ci_u32_e64 v1, null, v31, v1, vcc_lo
	s_and_b32 vcc_lo, exec_lo, s1
	flat_store_dword v[0:1], v35
	s_cbranch_vccnz .LBB39_82
; %bb.81:
	v_add_co_u32 v0, vcc_lo, v32, v2
	v_add_co_ci_u32_e64 v1, null, v33, v3, vcc_lo
	flat_load_dword v0, v[0:1]
	s_waitcnt vmcnt(0) lgkmcnt(0)
	v_mul_f32_e32 v34, s3, v0
.LBB39_82:
	v_add_f32_e32 v0, v28, v29
	v_add_co_u32 v2, vcc_lo, v30, v2
	v_add_co_ci_u32_e64 v3, null, v31, v3, vcc_lo
	v_add_f32_e32 v28, v0, v34
	v_mov_b32_e32 v0, 0
	v_mov_b32_e32 v1, 0
	s_and_b32 vcc_lo, exec_lo, s1
	flat_store_dword v[2:3], v28
	s_cbranch_vccnz .LBB39_84
; %bb.83:
	v_add_co_u32 v1, vcc_lo, v32, v4
	v_add_co_ci_u32_e64 v2, null, v33, v5, vcc_lo
	flat_load_dword v1, v[1:2]
	s_waitcnt vmcnt(0) lgkmcnt(0)
	v_mul_f32_e32 v1, s3, v1
.LBB39_84:
	v_add_f32_e32 v2, v26, v27
	v_add_f32_e32 v3, v2, v1
	v_add_co_u32 v1, vcc_lo, v30, v4
	v_add_co_ci_u32_e64 v2, null, v31, v5, vcc_lo
	s_and_b32 vcc_lo, exec_lo, s1
	flat_store_dword v[1:2], v3
	s_cbranch_vccnz .LBB39_86
; %bb.85:
	v_add_co_u32 v0, vcc_lo, v32, v6
	v_add_co_ci_u32_e64 v1, null, v33, v7, vcc_lo
	flat_load_dword v0, v[0:1]
	s_waitcnt vmcnt(0) lgkmcnt(0)
	v_mul_f32_e32 v0, s3, v0
.LBB39_86:
	v_add_f32_e32 v1, v24, v25
	v_add_co_u32 v2, vcc_lo, v30, v6
	v_add_co_ci_u32_e64 v3, null, v31, v7, vcc_lo
	v_add_f32_e32 v4, v1, v0
	v_mov_b32_e32 v0, 0
	v_mov_b32_e32 v1, 0
	s_and_b32 vcc_lo, exec_lo, s1
	flat_store_dword v[2:3], v4
	s_cbranch_vccnz .LBB39_88
; %bb.87:
	v_add_co_u32 v1, vcc_lo, v32, v10
	v_add_co_ci_u32_e64 v2, null, v33, v11, vcc_lo
	flat_load_dword v1, v[1:2]
	s_waitcnt vmcnt(0) lgkmcnt(0)
	v_mul_f32_e32 v1, s3, v1
.LBB39_88:
	v_add_f32_e32 v2, v22, v23
	v_add_f32_e32 v3, v2, v1
	v_add_co_u32 v1, vcc_lo, v30, v10
	v_add_co_ci_u32_e64 v2, null, v31, v11, vcc_lo
	s_and_b32 vcc_lo, exec_lo, s1
	flat_store_dword v[1:2], v3
	s_cbranch_vccnz .LBB39_90
; %bb.89:
	v_add_co_u32 v0, vcc_lo, v32, v14
	v_add_co_ci_u32_e64 v1, null, v33, v15, vcc_lo
	flat_load_dword v0, v[0:1]
	s_waitcnt vmcnt(0) lgkmcnt(0)
	v_mul_f32_e32 v0, s3, v0
.LBB39_90:
	v_add_f32_e32 v3, v20, v21
	v_add_co_u32 v1, vcc_lo, v30, v14
	v_add_co_ci_u32_e64 v2, null, v31, v15, vcc_lo
	v_add_f32_e32 v3, v3, v0
	v_add_f32_e32 v0, v18, v19
	s_mov_b32 s1, -1
	s_mov_b32 vcc_lo, s0
	flat_store_dword v[1:2], v3
	s_cbranch_vccz .LBB39_92
; %bb.91:
	v_add_co_u32 v1, vcc_lo, v30, v8
	v_add_f32_e32 v3, 0, v0
	v_add_co_ci_u32_e64 v2, null, v31, v9, vcc_lo
	s_mov_b32 s1, 0
	flat_store_dword v[1:2], v3
.LBB39_92:
	v_mov_b32_e32 v1, 0
	s_andn2_b32 vcc_lo, exec_lo, s1
	s_cbranch_vccnz .LBB39_94
; %bb.93:
	v_add_co_u32 v1, vcc_lo, v32, v8
	v_add_co_ci_u32_e64 v2, null, v33, v9, vcc_lo
	flat_load_dword v3, v[1:2]
	v_add_co_u32 v1, vcc_lo, v30, v8
	v_add_co_ci_u32_e64 v2, null, v31, v9, vcc_lo
	s_waitcnt vmcnt(0) lgkmcnt(0)
	v_fmac_f32_e32 v0, s3, v3
	v_add_co_u32 v3, vcc_lo, v32, v12
	v_add_co_ci_u32_e64 v4, null, v33, v13, vcc_lo
	flat_store_dword v[1:2], v0
	flat_load_dword v0, v[3:4]
	s_waitcnt vmcnt(0) lgkmcnt(0)
	v_mul_f32_e32 v1, s3, v0
.LBB39_94:
	v_add_f32_e32 v0, v16, v17
	v_add_f32_e32 v2, v0, v1
	v_add_co_u32 v0, vcc_lo, v30, v12
	v_add_co_ci_u32_e64 v1, null, v31, v13, vcc_lo
	flat_store_dword v[0:1], v2
	s_endpgm
	.section	.rodata,"a",@progbits
	.p2align	6, 0x0
	.amdhsa_kernel _ZN12_GLOBAL__N_120geam_min_plus_kernelIf15HIP_vector_typeIfLj2EES2_Li8ELi32ELi64ELi128ELi4ELi64ELi4ELi64ELi4ELc78ELc84ELb0ELb0ELb0EPKfKS4_KPfEEviiiT16_PT17_ilSA_ilS8_SA_ilPT18_ili26rocblas_geam_ex_operation_
		.amdhsa_group_segment_fixed_size 6144
		.amdhsa_private_segment_fixed_size 0
		.amdhsa_kernarg_size 136
		.amdhsa_user_sgpr_count 6
		.amdhsa_user_sgpr_private_segment_buffer 1
		.amdhsa_user_sgpr_dispatch_ptr 0
		.amdhsa_user_sgpr_queue_ptr 0
		.amdhsa_user_sgpr_kernarg_segment_ptr 1
		.amdhsa_user_sgpr_dispatch_id 0
		.amdhsa_user_sgpr_flat_scratch_init 0
		.amdhsa_user_sgpr_private_segment_size 0
		.amdhsa_wavefront_size32 1
		.amdhsa_uses_dynamic_stack 0
		.amdhsa_system_sgpr_private_segment_wavefront_offset 0
		.amdhsa_system_sgpr_workgroup_id_x 1
		.amdhsa_system_sgpr_workgroup_id_y 0
		.amdhsa_system_sgpr_workgroup_id_z 1
		.amdhsa_system_sgpr_workgroup_info 0
		.amdhsa_system_vgpr_workitem_id 1
		.amdhsa_next_free_vgpr 149
		.amdhsa_next_free_sgpr 25
		.amdhsa_reserve_vcc 1
		.amdhsa_reserve_flat_scratch 1
		.amdhsa_float_round_mode_32 0
		.amdhsa_float_round_mode_16_64 0
		.amdhsa_float_denorm_mode_32 3
		.amdhsa_float_denorm_mode_16_64 3
		.amdhsa_dx10_clamp 1
		.amdhsa_ieee_mode 1
		.amdhsa_fp16_overflow 0
		.amdhsa_workgroup_processor_mode 1
		.amdhsa_memory_ordered 1
		.amdhsa_forward_progress 1
		.amdhsa_shared_vgpr_count 0
		.amdhsa_exception_fp_ieee_invalid_op 0
		.amdhsa_exception_fp_denorm_src 0
		.amdhsa_exception_fp_ieee_div_zero 0
		.amdhsa_exception_fp_ieee_overflow 0
		.amdhsa_exception_fp_ieee_underflow 0
		.amdhsa_exception_fp_ieee_inexact 0
		.amdhsa_exception_int_div_zero 0
	.end_amdhsa_kernel
	.section	.text._ZN12_GLOBAL__N_120geam_min_plus_kernelIf15HIP_vector_typeIfLj2EES2_Li8ELi32ELi64ELi128ELi4ELi64ELi4ELi64ELi4ELc78ELc84ELb0ELb0ELb0EPKfKS4_KPfEEviiiT16_PT17_ilSA_ilS8_SA_ilPT18_ili26rocblas_geam_ex_operation_,"axG",@progbits,_ZN12_GLOBAL__N_120geam_min_plus_kernelIf15HIP_vector_typeIfLj2EES2_Li8ELi32ELi64ELi128ELi4ELi64ELi4ELi64ELi4ELc78ELc84ELb0ELb0ELb0EPKfKS4_KPfEEviiiT16_PT17_ilSA_ilS8_SA_ilPT18_ili26rocblas_geam_ex_operation_,comdat
.Lfunc_end39:
	.size	_ZN12_GLOBAL__N_120geam_min_plus_kernelIf15HIP_vector_typeIfLj2EES2_Li8ELi32ELi64ELi128ELi4ELi64ELi4ELi64ELi4ELc78ELc84ELb0ELb0ELb0EPKfKS4_KPfEEviiiT16_PT17_ilSA_ilS8_SA_ilPT18_ili26rocblas_geam_ex_operation_, .Lfunc_end39-_ZN12_GLOBAL__N_120geam_min_plus_kernelIf15HIP_vector_typeIfLj2EES2_Li8ELi32ELi64ELi128ELi4ELi64ELi4ELi64ELi4ELc78ELc84ELb0ELb0ELb0EPKfKS4_KPfEEviiiT16_PT17_ilSA_ilS8_SA_ilPT18_ili26rocblas_geam_ex_operation_
                                        ; -- End function
	.set _ZN12_GLOBAL__N_120geam_min_plus_kernelIf15HIP_vector_typeIfLj2EES2_Li8ELi32ELi64ELi128ELi4ELi64ELi4ELi64ELi4ELc78ELc84ELb0ELb0ELb0EPKfKS4_KPfEEviiiT16_PT17_ilSA_ilS8_SA_ilPT18_ili26rocblas_geam_ex_operation_.num_vgpr, 149
	.set _ZN12_GLOBAL__N_120geam_min_plus_kernelIf15HIP_vector_typeIfLj2EES2_Li8ELi32ELi64ELi128ELi4ELi64ELi4ELi64ELi4ELc78ELc84ELb0ELb0ELb0EPKfKS4_KPfEEviiiT16_PT17_ilSA_ilS8_SA_ilPT18_ili26rocblas_geam_ex_operation_.num_agpr, 0
	.set _ZN12_GLOBAL__N_120geam_min_plus_kernelIf15HIP_vector_typeIfLj2EES2_Li8ELi32ELi64ELi128ELi4ELi64ELi4ELi64ELi4ELc78ELc84ELb0ELb0ELb0EPKfKS4_KPfEEviiiT16_PT17_ilSA_ilS8_SA_ilPT18_ili26rocblas_geam_ex_operation_.numbered_sgpr, 25
	.set _ZN12_GLOBAL__N_120geam_min_plus_kernelIf15HIP_vector_typeIfLj2EES2_Li8ELi32ELi64ELi128ELi4ELi64ELi4ELi64ELi4ELc78ELc84ELb0ELb0ELb0EPKfKS4_KPfEEviiiT16_PT17_ilSA_ilS8_SA_ilPT18_ili26rocblas_geam_ex_operation_.num_named_barrier, 0
	.set _ZN12_GLOBAL__N_120geam_min_plus_kernelIf15HIP_vector_typeIfLj2EES2_Li8ELi32ELi64ELi128ELi4ELi64ELi4ELi64ELi4ELc78ELc84ELb0ELb0ELb0EPKfKS4_KPfEEviiiT16_PT17_ilSA_ilS8_SA_ilPT18_ili26rocblas_geam_ex_operation_.private_seg_size, 0
	.set _ZN12_GLOBAL__N_120geam_min_plus_kernelIf15HIP_vector_typeIfLj2EES2_Li8ELi32ELi64ELi128ELi4ELi64ELi4ELi64ELi4ELc78ELc84ELb0ELb0ELb0EPKfKS4_KPfEEviiiT16_PT17_ilSA_ilS8_SA_ilPT18_ili26rocblas_geam_ex_operation_.uses_vcc, 1
	.set _ZN12_GLOBAL__N_120geam_min_plus_kernelIf15HIP_vector_typeIfLj2EES2_Li8ELi32ELi64ELi128ELi4ELi64ELi4ELi64ELi4ELc78ELc84ELb0ELb0ELb0EPKfKS4_KPfEEviiiT16_PT17_ilSA_ilS8_SA_ilPT18_ili26rocblas_geam_ex_operation_.uses_flat_scratch, 1
	.set _ZN12_GLOBAL__N_120geam_min_plus_kernelIf15HIP_vector_typeIfLj2EES2_Li8ELi32ELi64ELi128ELi4ELi64ELi4ELi64ELi4ELc78ELc84ELb0ELb0ELb0EPKfKS4_KPfEEviiiT16_PT17_ilSA_ilS8_SA_ilPT18_ili26rocblas_geam_ex_operation_.has_dyn_sized_stack, 0
	.set _ZN12_GLOBAL__N_120geam_min_plus_kernelIf15HIP_vector_typeIfLj2EES2_Li8ELi32ELi64ELi128ELi4ELi64ELi4ELi64ELi4ELc78ELc84ELb0ELb0ELb0EPKfKS4_KPfEEviiiT16_PT17_ilSA_ilS8_SA_ilPT18_ili26rocblas_geam_ex_operation_.has_recursion, 0
	.set _ZN12_GLOBAL__N_120geam_min_plus_kernelIf15HIP_vector_typeIfLj2EES2_Li8ELi32ELi64ELi128ELi4ELi64ELi4ELi64ELi4ELc78ELc84ELb0ELb0ELb0EPKfKS4_KPfEEviiiT16_PT17_ilSA_ilS8_SA_ilPT18_ili26rocblas_geam_ex_operation_.has_indirect_call, 0
	.section	.AMDGPU.csdata,"",@progbits
; Kernel info:
; codeLenInByte = 7664
; TotalNumSgprs: 27
; NumVgprs: 149
; ScratchSize: 0
; MemoryBound: 0
; FloatMode: 240
; IeeeMode: 1
; LDSByteSize: 6144 bytes/workgroup (compile time only)
; SGPRBlocks: 0
; VGPRBlocks: 18
; NumSGPRsForWavesPerEU: 27
; NumVGPRsForWavesPerEU: 149
; Occupancy: 6
; WaveLimiterHint : 1
; COMPUTE_PGM_RSRC2:SCRATCH_EN: 0
; COMPUTE_PGM_RSRC2:USER_SGPR: 6
; COMPUTE_PGM_RSRC2:TRAP_HANDLER: 0
; COMPUTE_PGM_RSRC2:TGID_X_EN: 1
; COMPUTE_PGM_RSRC2:TGID_Y_EN: 0
; COMPUTE_PGM_RSRC2:TGID_Z_EN: 1
; COMPUTE_PGM_RSRC2:TIDIG_COMP_CNT: 1
	.section	.text._ZN12_GLOBAL__N_120geam_min_plus_kernelIf15HIP_vector_typeIfLj2EES2_Li8ELi32ELi64ELi128ELi4ELi64ELi4ELi64ELi4ELc78ELc84ELb1ELb0ELb0EfKPKfKPfEEviiiT16_PT17_ilSA_ilS8_SA_ilPT18_ili26rocblas_geam_ex_operation_,"axG",@progbits,_ZN12_GLOBAL__N_120geam_min_plus_kernelIf15HIP_vector_typeIfLj2EES2_Li8ELi32ELi64ELi128ELi4ELi64ELi4ELi64ELi4ELc78ELc84ELb1ELb0ELb0EfKPKfKPfEEviiiT16_PT17_ilSA_ilS8_SA_ilPT18_ili26rocblas_geam_ex_operation_,comdat
	.globl	_ZN12_GLOBAL__N_120geam_min_plus_kernelIf15HIP_vector_typeIfLj2EES2_Li8ELi32ELi64ELi128ELi4ELi64ELi4ELi64ELi4ELc78ELc84ELb1ELb0ELb0EfKPKfKPfEEviiiT16_PT17_ilSA_ilS8_SA_ilPT18_ili26rocblas_geam_ex_operation_ ; -- Begin function _ZN12_GLOBAL__N_120geam_min_plus_kernelIf15HIP_vector_typeIfLj2EES2_Li8ELi32ELi64ELi128ELi4ELi64ELi4ELi64ELi4ELc78ELc84ELb1ELb0ELb0EfKPKfKPfEEviiiT16_PT17_ilSA_ilS8_SA_ilPT18_ili26rocblas_geam_ex_operation_
	.p2align	8
	.type	_ZN12_GLOBAL__N_120geam_min_plus_kernelIf15HIP_vector_typeIfLj2EES2_Li8ELi32ELi64ELi128ELi4ELi64ELi4ELi64ELi4ELc78ELc84ELb1ELb0ELb0EfKPKfKPfEEviiiT16_PT17_ilSA_ilS8_SA_ilPT18_ili26rocblas_geam_ex_operation_,@function
_ZN12_GLOBAL__N_120geam_min_plus_kernelIf15HIP_vector_typeIfLj2EES2_Li8ELi32ELi64ELi128ELi4ELi64ELi4ELi64ELi4ELc78ELc84ELb1ELb0ELb0EfKPKfKPfEEviiiT16_PT17_ilSA_ilS8_SA_ilPT18_ili26rocblas_geam_ex_operation_: ; @_ZN12_GLOBAL__N_120geam_min_plus_kernelIf15HIP_vector_typeIfLj2EES2_Li8ELi32ELi64ELi128ELi4ELi64ELi4ELi64ELi4ELc78ELc84ELb1ELb0ELb0EfKPKfKPfEEviiiT16_PT17_ilSA_ilS8_SA_ilPT18_ili26rocblas_geam_ex_operation_
; %bb.0:
	s_clause 0x1
	s_load_dwordx2 s[14:15], s[4:5], 0x8
	s_load_dwordx4 s[0:3], s[4:5], 0x20
	s_mov_b32 s8, s7
	s_mov_b32 s9, 0
	s_waitcnt lgkmcnt(0)
	v_cmp_eq_f32_e64 s7, s15, 0
	s_and_b32 vcc_lo, exec_lo, s7
	s_cbranch_vccnz .LBB40_3
; %bb.1:
	s_load_dwordx2 s[10:11], s[4:5], 0x10
	s_lshl_b64 s[12:13], s[8:9], 3
	s_waitcnt lgkmcnt(0)
	s_add_u32 s10, s10, s12
	s_addc_u32 s11, s11, s13
	s_lshl_b64 s[0:1], s[0:1], 2
	s_load_dwordx2 s[10:11], s[10:11], 0x0
	s_waitcnt lgkmcnt(0)
	s_add_u32 s16, s10, s0
	s_addc_u32 s17, s11, s1
	s_andn2_b32 vcc_lo, exec_lo, s7
	s_cbranch_vccnz .LBB40_4
.LBB40_2:
	s_mov_b32 s21, 0
	s_mov_b32 s20, s8
	;; [unrolled: 1-line block ×3, first 2 shown]
	s_mov_b64 s[12:13], 0
	s_andn2_b32 vcc_lo, exec_lo, s0
	s_mov_b64 s[18:19], 0
	s_cbranch_vccz .LBB40_5
	s_branch .LBB40_6
.LBB40_3:
	s_mov_b64 s[16:17], 0
	s_andn2_b32 vcc_lo, exec_lo, s7
	s_cbranch_vccz .LBB40_2
.LBB40_4:
	s_mov_b64 s[20:21], s[8:9]
	s_mov_b64 s[12:13], 0
	;; [unrolled: 1-line block ×3, first 2 shown]
.LBB40_5:
	s_lshl_b64 s[0:1], s[8:9], 3
	s_load_dwordx2 s[8:9], s[4:5], 0x38
	s_add_u32 s0, s2, s0
	s_addc_u32 s1, s3, s1
	s_load_dwordx2 s[0:1], s[0:1], 0x0
	s_waitcnt lgkmcnt(0)
	s_lshl_b64 s[2:3], s[8:9], 2
	s_add_u32 s18, s0, s2
	s_addc_u32 s19, s1, s3
.LBB40_6:
	s_clause 0x1
	s_load_dword s7, s[4:5], 0x40
	s_load_dwordx4 s[8:11], s[4:5], 0x58
	s_mov_b32 s22, 0
	s_waitcnt lgkmcnt(0)
	v_cmp_eq_f32_e64 s0, s7, 0
	s_and_b32 s0, exec_lo, s0
	s_mov_b32 vcc_lo, s0
	s_cbranch_vccnz .LBB40_8
; %bb.7:
	s_load_dwordx2 s[2:3], s[4:5], 0x48
	s_lshl_b64 s[12:13], s[20:21], 3
	s_waitcnt lgkmcnt(0)
	s_add_u32 s2, s2, s12
	s_addc_u32 s3, s3, s13
	s_lshl_b64 s[8:9], s[8:9], 2
	s_load_dwordx2 s[2:3], s[2:3], 0x0
	s_waitcnt lgkmcnt(0)
	s_add_u32 s12, s2, s8
	s_addc_u32 s13, s3, s9
.LBB40_8:
	s_clause 0x2
	s_load_dword s9, s[4:5], 0x18
	s_load_dword s15, s[4:5], 0x30
	;; [unrolled: 1-line block ×3, first 2 shown]
	s_lshl_b64 s[2:3], s[20:21], 3
	v_lshl_add_u32 v3, v1, 3, v0
	v_mov_b32_e32 v70, 0
	v_lshl_or_b32 v72, v0, 4, 0x1000
	v_lshlrev_b32_e32 v73, 4, v1
	v_lshrrev_b32_e32 v12, 6, v3
	v_and_b32_e32 v74, 63, v3
	v_mov_b32_e32 v71, v70
	v_mov_b32_e32 v68, v70
	;; [unrolled: 1-line block ×3, first 2 shown]
	v_add_nc_u32_e32 v13, 4, v12
	v_mov_b32_e32 v66, v70
	v_mov_b32_e32 v67, v70
	;; [unrolled: 1-line block ×5, first 2 shown]
	s_waitcnt lgkmcnt(0)
	s_ashr_i32 s20, s9, 31
	s_ashr_i32 s21, s15, 31
	s_add_u32 s2, s10, s2
	s_addc_u32 s3, s11, s3
	s_add_i32 s1, s1, -1
	v_mad_i64_i32 v[4:5], null, s15, v12, 0
	s_ashr_i32 s8, s1, 31
	v_mad_i64_i32 v[6:7], null, s15, v13, 0
	s_lshr_b32 s8, s8, 26
	v_mad_i64_i32 v[8:9], null, s9, v13, 0
	s_add_i32 s1, s1, s8
	v_lshlrev_b64 v[4:5], 2, v[4:5]
	s_ashr_i32 s1, s1, 6
	v_lshlrev_b64 v[6:7], 2, v[6:7]
	s_add_i32 s8, s1, 1
	s_not_b32 s1, s1
	v_cvt_f32_u32_e32 v2, s8
	v_lshlrev_b64 v[8:9], 2, v[8:9]
	v_mov_b32_e32 v63, v70
	v_mov_b32_e32 v60, v70
	;; [unrolled: 1-line block ×3, first 2 shown]
	v_rcp_iflag_f32_e32 v2, v2
	v_mov_b32_e32 v58, v70
	v_mov_b32_e32 v59, v70
	;; [unrolled: 1-line block ×9, first 2 shown]
	v_mul_f32_e32 v2, 0x4f7ffffe, v2
	v_mov_b32_e32 v51, v70
	v_mov_b32_e32 v48, v70
	;; [unrolled: 1-line block ×4, first 2 shown]
	v_cvt_u32_f32_e32 v2, v2
	v_mov_b32_e32 v47, v70
	v_mov_b32_e32 v44, v70
	;; [unrolled: 1-line block ×4, first 2 shown]
	v_readfirstlane_b32 s10, v2
	v_mad_i64_i32 v[2:3], null, s9, v12, 0
	v_mov_b32_e32 v43, v70
	v_mov_b32_e32 v40, v70
	s_mul_i32 s1, s1, s10
	v_mov_b32_e32 v41, v70
	s_mul_hi_u32 s1, s10, s1
	v_mov_b32_e32 v38, v70
	s_add_i32 s10, s10, s1
	v_lshlrev_b64 v[2:3], 2, v[2:3]
	s_mul_hi_u32 s1, s6, s10
	v_mov_b32_e32 v39, v70
	s_mul_i32 s10, s1, s8
	s_add_i32 s11, s1, 1
	s_sub_i32 s10, s6, s10
	v_add_co_u32 v10, vcc_lo, s16, v2
	s_sub_i32 s23, s10, s8
	s_cmp_ge_u32 s10, s8
	v_add_co_ci_u32_e64 v11, null, s17, v3, vcc_lo
	s_cselect_b32 s1, s11, s1
	s_cselect_b32 s10, s23, s10
	s_add_i32 s11, s1, 1
	s_cmp_ge_u32 s10, s8
	v_add_co_u32 v14, vcc_lo, s18, v4
	s_cselect_b32 s1, s11, s1
	v_add_co_ci_u32_e64 v15, null, s19, v5, vcc_lo
	s_mul_i32 s10, s1, s8
	s_lshl_b32 s8, s1, 7
	s_sub_i32 s1, s6, s10
	v_or_b32_e32 v2, s8, v74
	s_lshl_b32 s1, s1, 6
	v_add_co_u32 v16, vcc_lo, s18, v6
	v_or_b32_e32 v4, s1, v74
	v_ashrrev_i32_e32 v3, 31, v2
	v_add_co_ci_u32_e64 v17, null, s19, v7, vcc_lo
	v_add_co_u32 v18, vcc_lo, s16, v8
	v_ashrrev_i32_e32 v5, 31, v4
	v_lshlrev_b64 v[2:3], 2, v[2:3]
	v_add_co_ci_u32_e64 v19, null, s17, v9, vcc_lo
	v_cmp_neq_f32_e64 s6, s7, 0
	v_lshlrev_b64 v[4:5], 2, v[4:5]
	v_mov_b32_e32 v36, v70
	v_add_co_u32 v6, vcc_lo, v14, v2
	v_add_co_ci_u32_e64 v7, null, v15, v3, vcc_lo
	v_add_co_u32 v8, vcc_lo, v16, v2
	v_add_co_ci_u32_e64 v9, null, v17, v3, vcc_lo
	;; [unrolled: 2-line block ×4, first 2 shown]
	s_clause 0x1
	flat_load_dword v75, v[6:7]
	flat_load_dword v81, v[6:7] offset:256
	flat_load_dword v82, v[10:11]
	s_clause 0x1
	flat_load_dword v78, v[8:9]
	flat_load_dword v79, v[8:9] offset:256
	flat_load_dword v80, v[14:15]
	s_load_dwordx2 s[2:3], s[2:3], 0x0
	v_lshlrev_b32_e32 v16, 4, v74
	v_mov_b32_e32 v6, v70
	v_mov_b32_e32 v7, v70
	;; [unrolled: 1-line block ×4, first 2 shown]
	v_lshl_add_u32 v76, v12, 2, v16
	v_mov_b32_e32 v14, v70
	v_mov_b32_e32 v15, v70
	v_mov_b32_e32 v8, v70
	v_mov_b32_e32 v9, v70
	v_mov_b32_e32 v37, v70
	v_mov_b32_e32 v34, v70
	v_mov_b32_e32 v35, v70
	v_mov_b32_e32 v32, v70
	v_mov_b32_e32 v33, v70
	v_mov_b32_e32 v30, v70
	v_mov_b32_e32 v31, v70
	v_mov_b32_e32 v28, v70
	v_mov_b32_e32 v29, v70
	v_mov_b32_e32 v26, v70
	v_mov_b32_e32 v27, v70
	v_mov_b32_e32 v24, v70
	v_mov_b32_e32 v25, v70
	v_mov_b32_e32 v22, v70
	v_mov_b32_e32 v23, v70
	v_mov_b32_e32 v20, v70
	v_mov_b32_e32 v21, v70
	v_mov_b32_e32 v18, v70
	v_mov_b32_e32 v19, v70
	v_mov_b32_e32 v16, v70
	v_mov_b32_e32 v17, v70
	v_or_b32_e32 v77, 0x1000, v76
	s_mov_b32 s10, -1
	s_waitcnt vmcnt(4) lgkmcnt(0)
	ds_write2st64_b32 v76, v75, v81 offset1:4
	s_waitcnt vmcnt(3)
	ds_write_b32 v76, v82 offset:4096
	s_waitcnt vmcnt(0) lgkmcnt(0)
	s_barrier
	buffer_gl0_inv
.LBB40_9:                               ; =>This Inner Loop Header: Depth=1
	s_lshl_b32 s11, s22, 2
	v_cndmask_b32_e64 v75, 0, 1, s10
	v_add_nc_u32_e32 v93, s11, v72
	v_add_nc_u32_e32 v101, s11, v73
	s_mov_b32 s10, 0
	s_mov_b32 s22, 2
	v_cmp_ne_u32_e32 vcc_lo, 1, v75
	ds_read2_b64 v[81:84], v93 offset1:16
	ds_read2_b64 v[85:88], v93 offset0:32 offset1:48
	ds_read2_b64 v[89:92], v93 offset0:64 offset1:80
	;; [unrolled: 1-line block ×3, first 2 shown]
	ds_read2st64_b64 v[97:100], v101 offset1:1
	ds_read2st64_b64 v[101:104], v101 offset0:2 offset1:3
	s_and_b32 vcc_lo, exec_lo, vcc_lo
	s_waitcnt lgkmcnt(5)
	v_max_f32_e32 v75, v81, v81
	v_max_f32_e32 v81, v82, v82
	v_max_f32_e32 v82, v83, v83
	v_max_f32_e32 v83, v84, v84
	s_waitcnt lgkmcnt(4)
	v_max_f32_e32 v84, v85, v85
	v_max_f32_e32 v85, v86, v86
	v_max_f32_e32 v86, v87, v87
	v_max_f32_e32 v87, v88, v88
	;; [unrolled: 5-line block ×6, first 2 shown]
	v_min_f32_e32 v104, v75, v96
	v_min_f32_e32 v105, v82, v96
	;; [unrolled: 1-line block ×64, first 2 shown]
	v_add_f32_e32 v71, v102, v71
	v_add_f32_e32 v70, v104, v70
	;; [unrolled: 1-line block ×64, first 2 shown]
	s_cbranch_vccz .LBB40_9
; %bb.10:
	v_lshlrev_b32_e32 v75, 2, v12
	s_cmp_lt_i32 s14, 9
	v_lshl_add_u32 v81, v74, 4, v75
	v_lshl_add_u32 v74, v0, 4, 0x1400
	;; [unrolled: 1-line block ×3, first 2 shown]
	ds_write_b32 v81, v80 offset:5120
	ds_write2st64_b32 v81, v78, v79 offset0:8 offset1:12
	s_waitcnt lgkmcnt(0)
	s_barrier
	buffer_gl0_inv
	s_cbranch_scc1 .LBB40_17
; %bb.11:
	v_add_co_u32 v4, vcc_lo, s16, v4
	v_add_co_ci_u32_e64 v5, null, s17, v5, vcc_lo
	v_add_co_u32 v2, vcc_lo, s18, v2
	v_add_nc_u32_e32 v78, 0x1400, v81
	v_or_b32_e32 v79, 0x800, v81
	v_add_co_ci_u32_e64 v3, null, s19, v3, vcc_lo
	s_add_i32 s10, s14, -8
	s_mov_b32 s11, 8
	s_mov_b32 s14, 0
.LBB40_12:                              ; =>This Loop Header: Depth=1
                                        ;     Child Loop BB40_13 Depth 2
                                        ;     Child Loop BB40_15 Depth 2
	v_add_nc_u32_e32 v86, s11, v12
	s_mov_b32 s16, -1
	s_mov_b32 s17, 0
	v_mad_u64_u32 v[80:81], null, v86, s9, 0
	v_mad_u64_u32 v[82:83], null, v86, s15, 0
	v_mad_u64_u32 v[84:85], null, v86, s20, v[81:82]
	v_mad_u64_u32 v[85:86], null, v86, s21, v[83:84]
	v_mov_b32_e32 v81, v84
	v_lshlrev_b64 v[80:81], 2, v[80:81]
	v_mov_b32_e32 v83, v85
	v_add_co_u32 v80, vcc_lo, v4, v80
	v_lshlrev_b64 v[82:83], 2, v[82:83]
	v_add_co_ci_u32_e64 v81, null, v5, v81, vcc_lo
	v_add_co_u32 v82, vcc_lo, v2, v82
	v_add_co_ci_u32_e64 v83, null, v3, v83, vcc_lo
	flat_load_dword v80, v[80:81]
	s_clause 0x1
	flat_load_dword v81, v[82:83]
	flat_load_dword v82, v[82:83] offset:256
.LBB40_13:                              ;   Parent Loop BB40_12 Depth=1
                                        ; =>  This Inner Loop Header: Depth=2
	s_lshl_b32 s17, s17, 2
	v_cndmask_b32_e64 v83, 0, 1, s16
	v_add_nc_u32_e32 v103, s17, v75
	v_add_nc_u32_e32 v99, s17, v74
	s_mov_b32 s16, 0
	s_mov_b32 s17, 2
	v_cmp_ne_u32_e32 vcc_lo, 1, v83
	ds_read2st64_b64 v[83:86], v103 offset1:1
	ds_read2_b64 v[87:90], v99 offset1:16
	ds_read2_b64 v[91:94], v99 offset0:32 offset1:48
	ds_read2_b64 v[95:98], v99 offset0:64 offset1:80
	;; [unrolled: 1-line block ×3, first 2 shown]
	ds_read2st64_b64 v[103:106], v103 offset0:2 offset1:3
	s_and_b32 vcc_lo, exec_lo, vcc_lo
	s_waitcnt lgkmcnt(5)
	v_max_f32_e32 v83, v83, v83
	s_waitcnt lgkmcnt(4)
	v_max_f32_e32 v87, v87, v87
	v_max_f32_e32 v84, v84, v84
	;; [unrolled: 1-line block ×5, first 2 shown]
	s_waitcnt lgkmcnt(3)
	v_max_f32_e32 v91, v91, v91
	v_max_f32_e32 v92, v92, v92
	v_max_f32_e32 v93, v93, v93
	v_max_f32_e32 v94, v94, v94
	s_waitcnt lgkmcnt(2)
	v_max_f32_e32 v95, v95, v95
	v_max_f32_e32 v96, v96, v96
	v_max_f32_e32 v97, v97, v97
	v_max_f32_e32 v98, v98, v98
	s_waitcnt lgkmcnt(1)
	v_max_f32_e32 v99, v99, v99
	v_max_f32_e32 v100, v100, v100
	v_max_f32_e32 v101, v101, v101
	v_max_f32_e32 v102, v102, v102
	v_max_f32_e32 v85, v85, v85
	v_max_f32_e32 v86, v86, v86
	s_waitcnt lgkmcnt(0)
	v_max_f32_e32 v103, v103, v103
	v_max_f32_e32 v104, v104, v104
	;; [unrolled: 1-line block ×4, first 2 shown]
	v_min_f32_e32 v107, v87, v83
	v_min_f32_e32 v108, v88, v84
	;; [unrolled: 1-line block ×64, first 2 shown]
	v_add_f32_e32 v71, v108, v71
	v_add_f32_e32 v70, v107, v70
	;; [unrolled: 1-line block ×64, first 2 shown]
	s_cbranch_vccz .LBB40_13
; %bb.14:                               ;   in Loop: Header=BB40_12 Depth=1
	v_add_nc_u32_e32 v89, s11, v13
	s_waitcnt vmcnt(2)
	ds_write_b32 v77, v80
	s_waitcnt vmcnt(0)
	ds_write2st64_b32 v76, v81, v82 offset1:4
	s_waitcnt lgkmcnt(0)
	s_barrier
	buffer_gl0_inv
	v_mad_u64_u32 v[83:84], null, v89, s9, 0
	v_mad_u64_u32 v[85:86], null, v89, s15, 0
	s_mov_b32 s17, 0
	s_mov_b32 s16, -1
	v_mad_u64_u32 v[87:88], null, v89, s20, v[84:85]
	v_mad_u64_u32 v[88:89], null, v89, s21, v[86:87]
	v_mov_b32_e32 v84, v87
	v_lshlrev_b64 v[83:84], 2, v[83:84]
	v_mov_b32_e32 v86, v88
	v_add_co_u32 v82, vcc_lo, v4, v83
	v_lshlrev_b64 v[80:81], 2, v[85:86]
	v_add_co_ci_u32_e64 v83, null, v5, v84, vcc_lo
	v_add_co_u32 v84, vcc_lo, v2, v80
	v_add_co_ci_u32_e64 v85, null, v3, v81, vcc_lo
	flat_load_dword v80, v[82:83]
	s_clause 0x1
	flat_load_dword v81, v[84:85]
	flat_load_dword v82, v[84:85] offset:256
.LBB40_15:                              ;   Parent Loop BB40_12 Depth=1
                                        ; =>  This Inner Loop Header: Depth=2
	s_lshl_b32 s17, s17, 2
	v_cndmask_b32_e64 v83, 0, 1, s16
	v_add_nc_u32_e32 v103, s17, v73
	v_add_nc_u32_e32 v99, s17, v72
	s_mov_b32 s16, 0
	s_mov_b32 s17, 2
	v_cmp_ne_u32_e32 vcc_lo, 1, v83
	ds_read2st64_b64 v[83:86], v103 offset1:1
	ds_read2_b64 v[87:90], v99 offset1:16
	ds_read2_b64 v[91:94], v99 offset0:32 offset1:48
	ds_read2_b64 v[95:98], v99 offset0:64 offset1:80
	;; [unrolled: 1-line block ×3, first 2 shown]
	ds_read2st64_b64 v[103:106], v103 offset0:2 offset1:3
	s_and_b32 vcc_lo, exec_lo, vcc_lo
	s_waitcnt lgkmcnt(5)
	v_max_f32_e32 v83, v83, v83
	s_waitcnt lgkmcnt(4)
	v_max_f32_e32 v87, v87, v87
	v_max_f32_e32 v84, v84, v84
	;; [unrolled: 1-line block ×5, first 2 shown]
	s_waitcnt lgkmcnt(3)
	v_max_f32_e32 v91, v91, v91
	v_max_f32_e32 v92, v92, v92
	v_max_f32_e32 v93, v93, v93
	v_max_f32_e32 v94, v94, v94
	s_waitcnt lgkmcnt(2)
	v_max_f32_e32 v95, v95, v95
	v_max_f32_e32 v96, v96, v96
	v_max_f32_e32 v97, v97, v97
	v_max_f32_e32 v98, v98, v98
	;; [unrolled: 5-line block ×3, first 2 shown]
	v_max_f32_e32 v85, v85, v85
	v_max_f32_e32 v86, v86, v86
	s_waitcnt lgkmcnt(0)
	v_max_f32_e32 v103, v103, v103
	v_max_f32_e32 v104, v104, v104
	v_max_f32_e32 v105, v105, v105
	v_max_f32_e32 v106, v106, v106
	v_min_f32_e32 v107, v87, v83
	v_min_f32_e32 v108, v88, v84
	v_min_f32_e32 v109, v89, v83
	v_min_f32_e32 v110, v90, v84
	v_min_f32_e32 v111, v91, v83
	v_min_f32_e32 v112, v92, v84
	v_min_f32_e32 v113, v93, v83
	v_min_f32_e32 v114, v94, v84
	v_min_f32_e32 v115, v95, v83
	v_min_f32_e32 v116, v96, v84
	v_min_f32_e32 v117, v97, v83
	v_min_f32_e32 v118, v98, v84
	v_min_f32_e32 v119, v99, v83
	v_min_f32_e32 v120, v100, v84
	v_min_f32_e32 v83, v101, v83
	v_min_f32_e32 v84, v102, v84
	v_min_f32_e32 v121, v87, v85
	v_min_f32_e32 v122, v88, v86
	v_min_f32_e32 v123, v89, v85
	v_min_f32_e32 v124, v90, v86
	v_min_f32_e32 v125, v91, v85
	v_min_f32_e32 v126, v92, v86
	v_min_f32_e32 v127, v93, v85
	v_min_f32_e32 v128, v94, v86
	v_min_f32_e32 v129, v95, v85
	v_min_f32_e32 v130, v96, v86
	v_min_f32_e32 v131, v97, v85
	v_min_f32_e32 v132, v98, v86
	v_min_f32_e32 v133, v99, v85
	v_min_f32_e32 v134, v100, v86
	v_min_f32_e32 v85, v101, v85
	v_min_f32_e32 v86, v102, v86
	v_min_f32_e32 v135, v87, v103
	v_min_f32_e32 v136, v88, v104
	v_min_f32_e32 v137, v89, v103
	v_min_f32_e32 v138, v90, v104
	v_min_f32_e32 v139, v91, v103
	v_min_f32_e32 v140, v92, v104
	v_min_f32_e32 v141, v93, v103
	v_min_f32_e32 v142, v94, v104
	v_min_f32_e32 v143, v95, v103
	v_min_f32_e32 v144, v96, v104
	v_min_f32_e32 v145, v97, v103
	v_min_f32_e32 v146, v98, v104
	v_min_f32_e32 v147, v99, v103
	v_min_f32_e32 v148, v100, v104
	v_min_f32_e32 v103, v101, v103
	v_min_f32_e32 v104, v102, v104
	v_min_f32_e32 v87, v87, v105
	v_min_f32_e32 v88, v88, v106
	v_min_f32_e32 v89, v89, v105
	v_min_f32_e32 v90, v90, v106
	v_min_f32_e32 v91, v91, v105
	v_min_f32_e32 v92, v92, v106
	v_min_f32_e32 v93, v93, v105
	v_min_f32_e32 v94, v94, v106
	v_min_f32_e32 v95, v95, v105
	v_min_f32_e32 v96, v96, v106
	v_min_f32_e32 v97, v97, v105
	v_min_f32_e32 v98, v98, v106
	v_min_f32_e32 v99, v99, v105
	v_min_f32_e32 v100, v100, v106
	v_min_f32_e32 v101, v101, v105
	v_min_f32_e32 v102, v102, v106
	v_add_f32_e32 v71, v108, v71
	v_add_f32_e32 v70, v107, v70
	;; [unrolled: 1-line block ×64, first 2 shown]
	s_cbranch_vccz .LBB40_15
; %bb.16:                               ;   in Loop: Header=BB40_12 Depth=1
	s_add_i32 s14, s14, 8
	s_add_i32 s11, s11, 8
	s_cmp_ge_i32 s14, s10
	s_waitcnt vmcnt(2)
	ds_write_b32 v78, v80
	s_waitcnt vmcnt(0)
	ds_write2st64_b32 v79, v81, v82 offset1:4
	s_waitcnt lgkmcnt(0)
	s_barrier
	buffer_gl0_inv
	s_cbranch_scc0 .LBB40_12
.LBB40_17:
	s_mov_b32 s10, 0
	s_mov_b32 s9, -1
.LBB40_18:                              ; =>This Inner Loop Header: Depth=1
	s_lshl_b32 s10, s10, 2
	v_cndmask_b32_e64 v2, 0, 1, s9
	v_add_nc_u32_e32 v12, s10, v75
	v_add_nc_u32_e32 v13, s10, v74
	s_mov_b32 s9, 0
	s_mov_b32 s10, 2
	v_cmp_ne_u32_e32 vcc_lo, 1, v2
	ds_read2st64_b64 v[2:5], v12 offset1:1
	ds_read2_b64 v[76:79], v13 offset1:16
	ds_read2_b64 v[80:83], v13 offset0:32 offset1:48
	ds_read2_b64 v[84:87], v13 offset0:64 offset1:80
	;; [unrolled: 1-line block ×3, first 2 shown]
	ds_read2st64_b64 v[92:95], v12 offset0:2 offset1:3
	s_and_b32 vcc_lo, exec_lo, vcc_lo
	s_waitcnt lgkmcnt(5)
	v_max_f32_e32 v2, v2, v2
	s_waitcnt lgkmcnt(4)
	v_max_f32_e32 v12, v76, v76
	v_max_f32_e32 v3, v3, v3
	;; [unrolled: 1-line block ×5, first 2 shown]
	s_waitcnt lgkmcnt(3)
	v_max_f32_e32 v76, v80, v80
	v_max_f32_e32 v77, v81, v81
	v_max_f32_e32 v78, v82, v82
	v_max_f32_e32 v79, v83, v83
	s_waitcnt lgkmcnt(2)
	v_max_f32_e32 v80, v84, v84
	v_max_f32_e32 v81, v85, v85
	v_max_f32_e32 v82, v86, v86
	v_max_f32_e32 v83, v87, v87
	;; [unrolled: 5-line block ×3, first 2 shown]
	v_max_f32_e32 v4, v4, v4
	v_max_f32_e32 v5, v5, v5
	s_waitcnt lgkmcnt(0)
	v_max_f32_e32 v88, v92, v92
	v_max_f32_e32 v89, v93, v93
	;; [unrolled: 1-line block ×4, first 2 shown]
	v_min_f32_e32 v92, v12, v2
	v_min_f32_e32 v93, v13, v3
	;; [unrolled: 1-line block ×64, first 2 shown]
	v_add_f32_e32 v71, v93, v71
	v_add_f32_e32 v70, v92, v70
	;; [unrolled: 1-line block ×64, first 2 shown]
	s_cbranch_vccz .LBB40_18
; %bb.19:
	s_load_dword s9, s[4:5], 0x50
	v_add_nc_u32_e32 v72, s8, v1
	v_add_nc_u32_e32 v12, s1, v0
	v_cndmask_b32_e64 v0, 0, 1, s6
	v_mov_b32_e32 v4, 0
	v_ashrrev_i32_e32 v13, 31, v12
	v_cmp_ne_u32_e64 s1, 1, v0
	s_waitcnt lgkmcnt(0)
	v_mad_i64_i32 v[1:2], null, v72, s9, 0
	v_lshlrev_b64 v[2:3], 2, v[1:2]
	v_lshlrev_b64 v[0:1], 2, v[12:13]
	v_add_co_u32 v73, vcc_lo, s12, v2
	v_add_co_ci_u32_e64 v74, null, s13, v3, vcc_lo
	v_mov_b32_e32 v2, 0
	s_andn2_b32 vcc_lo, exec_lo, s6
	s_cbranch_vccnz .LBB40_21
; %bb.20:
	v_add_co_u32 v2, vcc_lo, v73, v0
	v_add_co_ci_u32_e64 v3, null, v74, v1, vcc_lo
	flat_load_dword v2, v[2:3]
	s_waitcnt vmcnt(0) lgkmcnt(0)
	v_mul_f32_e32 v2, s7, v2
.LBB40_21:
	s_clause 0x1
	s_load_dword s6, s[4:5], 0x68
	s_load_dwordx2 s[4:5], s[4:5], 0x70
	v_add_f32_e32 v3, v70, v71
	v_add_nc_u32_e32 v77, 8, v12
	v_add_f32_e32 v5, v3, v2
	v_ashrrev_i32_e32 v78, 31, v77
	v_lshlrev_b64 v[2:3], 2, v[77:78]
	s_waitcnt lgkmcnt(0)
	v_mad_i64_i32 v[75:76], null, v72, s6, 0
	s_lshl_b64 s[4:5], s[4:5], 2
	s_add_u32 s2, s2, s4
	s_addc_u32 s3, s3, s5
	v_lshlrev_b64 v[70:71], 2, v[75:76]
	v_add_co_u32 v70, vcc_lo, s2, v70
	v_add_co_ci_u32_e64 v71, null, s3, v71, vcc_lo
	v_add_co_u32 v75, vcc_lo, v70, v0
	v_add_co_ci_u32_e64 v76, null, v71, v1, vcc_lo
	s_and_b32 vcc_lo, exec_lo, s1
	flat_store_dword v[75:76], v5
	s_cbranch_vccnz .LBB40_23
; %bb.22:
	v_add_co_u32 v4, vcc_lo, v73, v2
	v_add_co_ci_u32_e64 v5, null, v74, v3, vcc_lo
	flat_load_dword v4, v[4:5]
	s_waitcnt vmcnt(0) lgkmcnt(0)
	v_mul_f32_e32 v4, s7, v4
.LBB40_23:
	v_add_nc_u32_e32 v75, 16, v12
	v_add_f32_e32 v5, v68, v69
	v_add_co_u32 v77, vcc_lo, v70, v2
	v_add_co_ci_u32_e64 v78, null, v71, v3, vcc_lo
	v_ashrrev_i32_e32 v76, 31, v75
	v_add_f32_e32 v69, v5, v4
	v_mov_b32_e32 v13, 0
	v_mov_b32_e32 v68, 0
	s_and_b32 vcc_lo, exec_lo, s1
	v_lshlrev_b64 v[4:5], 2, v[75:76]
	flat_store_dword v[77:78], v69
	s_cbranch_vccnz .LBB40_25
; %bb.24:
	v_add_co_u32 v68, vcc_lo, v73, v4
	v_add_co_ci_u32_e64 v69, null, v74, v5, vcc_lo
	flat_load_dword v68, v[68:69]
	s_waitcnt vmcnt(0) lgkmcnt(0)
	v_mul_f32_e32 v68, s7, v68
.LBB40_25:
	v_add_nc_u32_e32 v75, 24, v12
	v_add_f32_e32 v6, v6, v7
	v_ashrrev_i32_e32 v76, 31, v75
	v_add_f32_e32 v77, v6, v68
	v_add_co_u32 v68, vcc_lo, v70, v4
	v_add_co_ci_u32_e64 v69, null, v71, v5, vcc_lo
	v_lshlrev_b64 v[6:7], 2, v[75:76]
	s_and_b32 vcc_lo, exec_lo, s1
	flat_store_dword v[68:69], v77
	s_cbranch_vccnz .LBB40_27
; %bb.26:
	v_add_co_u32 v68, vcc_lo, v73, v6
	v_add_co_ci_u32_e64 v69, null, v74, v7, vcc_lo
	flat_load_dword v13, v[68:69]
	s_waitcnt vmcnt(0) lgkmcnt(0)
	v_mul_f32_e32 v13, s7, v13
.LBB40_27:
	v_add_nc_u32_e32 v68, 32, v12
	v_add_f32_e32 v10, v10, v11
	v_add_co_u32 v75, vcc_lo, v70, v6
	v_add_co_ci_u32_e64 v76, null, v71, v7, vcc_lo
	v_ashrrev_i32_e32 v69, 31, v68
	v_add_f32_e32 v77, v10, v13
	v_mov_b32_e32 v13, 0
	s_and_b32 vcc_lo, exec_lo, s1
	v_lshlrev_b64 v[10:11], 2, v[68:69]
	v_mov_b32_e32 v68, 0
	flat_store_dword v[75:76], v77
	s_cbranch_vccnz .LBB40_29
; %bb.28:
	v_add_co_u32 v68, vcc_lo, v73, v10
	v_add_co_ci_u32_e64 v69, null, v74, v11, vcc_lo
	flat_load_dword v68, v[68:69]
	s_waitcnt vmcnt(0) lgkmcnt(0)
	v_mul_f32_e32 v68, s7, v68
.LBB40_29:
	v_add_nc_u32_e32 v75, 40, v12
	v_add_f32_e32 v14, v14, v15
	v_ashrrev_i32_e32 v76, 31, v75
	v_add_f32_e32 v77, v14, v68
	v_add_co_u32 v68, vcc_lo, v70, v10
	v_add_co_ci_u32_e64 v69, null, v71, v11, vcc_lo
	v_lshlrev_b64 v[14:15], 2, v[75:76]
	s_and_b32 vcc_lo, exec_lo, s1
	flat_store_dword v[68:69], v77
	s_cbranch_vccnz .LBB40_31
; %bb.30:
	v_add_co_u32 v68, vcc_lo, v73, v14
	v_add_co_ci_u32_e64 v69, null, v74, v15, vcc_lo
	flat_load_dword v13, v[68:69]
	s_waitcnt vmcnt(0) lgkmcnt(0)
	v_mul_f32_e32 v13, s7, v13
.LBB40_31:
	v_add_nc_u32_e32 v75, 48, v12
	v_add_f32_e32 v8, v8, v9
	v_add_co_u32 v77, vcc_lo, v70, v14
	v_add_co_ci_u32_e64 v78, null, v71, v15, vcc_lo
	v_ashrrev_i32_e32 v76, 31, v75
	v_add_f32_e32 v69, v8, v13
	v_mov_b32_e32 v68, 0
	v_mov_b32_e32 v13, 0
	s_and_b32 vcc_lo, exec_lo, s1
	v_lshlrev_b64 v[8:9], 2, v[75:76]
	flat_store_dword v[77:78], v69
	s_cbranch_vccnz .LBB40_33
; %bb.32:
	v_add_co_u32 v75, vcc_lo, v73, v8
	v_add_co_ci_u32_e64 v76, null, v74, v9, vcc_lo
	flat_load_dword v13, v[75:76]
	s_waitcnt vmcnt(0) lgkmcnt(0)
	v_mul_f32_e32 v13, s7, v13
.LBB40_33:
	v_add_nc_u32_e32 v75, 56, v12
	v_add_f32_e32 v12, v66, v67
	v_add_co_u32 v66, vcc_lo, v70, v8
	v_add_co_ci_u32_e64 v67, null, v71, v9, vcc_lo
	v_ashrrev_i32_e32 v76, 31, v75
	v_add_f32_e32 v69, v12, v13
	s_and_b32 vcc_lo, exec_lo, s1
	v_lshlrev_b64 v[12:13], 2, v[75:76]
	flat_store_dword v[66:67], v69
	s_cbranch_vccnz .LBB40_35
; %bb.34:
	v_add_co_u32 v66, vcc_lo, v73, v12
	v_add_co_ci_u32_e64 v67, null, v74, v13, vcc_lo
	flat_load_dword v66, v[66:67]
	s_waitcnt vmcnt(0) lgkmcnt(0)
	v_mul_f32_e32 v68, s7, v66
.LBB40_35:
	v_add_nc_u32_e32 v67, 32, v72
	v_add_f32_e32 v75, v64, v65
	v_add_co_u32 v69, vcc_lo, v70, v12
	v_add_co_ci_u32_e64 v70, null, v71, v13, vcc_lo
	v_mad_i64_i32 v[73:74], null, v67, s9, 0
	v_mov_b32_e32 v66, 0
	v_add_f32_e32 v71, v75, v68
	v_mov_b32_e32 v68, 0
	flat_store_dword v[69:70], v71
	v_lshlrev_b64 v[64:65], 2, v[73:74]
	v_add_co_u32 v64, vcc_lo, s12, v64
	v_add_co_ci_u32_e64 v65, null, s13, v65, vcc_lo
	s_and_b32 vcc_lo, exec_lo, s1
	s_cbranch_vccnz .LBB40_37
; %bb.36:
	v_add_co_u32 v68, vcc_lo, v64, v0
	v_add_co_ci_u32_e64 v69, null, v65, v1, vcc_lo
	flat_load_dword v68, v[68:69]
	s_waitcnt vmcnt(0) lgkmcnt(0)
	v_mul_f32_e32 v68, s7, v68
.LBB40_37:
	v_mad_i64_i32 v[69:70], null, v67, s6, 0
	v_add_f32_e32 v67, v62, v63
	v_lshlrev_b64 v[69:70], 2, v[69:70]
	v_add_co_u32 v62, vcc_lo, s2, v69
	v_add_co_ci_u32_e64 v63, null, s3, v70, vcc_lo
	v_add_f32_e32 v69, v67, v68
	v_add_co_u32 v67, vcc_lo, v62, v0
	v_add_co_ci_u32_e64 v68, null, v63, v1, vcc_lo
	s_and_b32 vcc_lo, exec_lo, s1
	flat_store_dword v[67:68], v69
	s_cbranch_vccnz .LBB40_39
; %bb.38:
	v_add_co_u32 v66, vcc_lo, v64, v2
	v_add_co_ci_u32_e64 v67, null, v65, v3, vcc_lo
	flat_load_dword v66, v[66:67]
	s_waitcnt vmcnt(0) lgkmcnt(0)
	v_mul_f32_e32 v66, s7, v66
.LBB40_39:
	v_add_f32_e32 v60, v60, v61
	v_add_co_u32 v67, vcc_lo, v62, v2
	v_add_co_ci_u32_e64 v68, null, v63, v3, vcc_lo
	v_add_f32_e32 v66, v60, v66
	v_mov_b32_e32 v60, 0
	v_mov_b32_e32 v61, 0
	s_and_b32 vcc_lo, exec_lo, s1
	flat_store_dword v[67:68], v66
	s_cbranch_vccnz .LBB40_41
; %bb.40:
	v_add_co_u32 v66, vcc_lo, v64, v4
	v_add_co_ci_u32_e64 v67, null, v65, v5, vcc_lo
	flat_load_dword v61, v[66:67]
	s_waitcnt vmcnt(0) lgkmcnt(0)
	v_mul_f32_e32 v61, s7, v61
.LBB40_41:
	v_add_f32_e32 v58, v58, v59
	v_add_f32_e32 v61, v58, v61
	v_add_co_u32 v58, vcc_lo, v62, v4
	v_add_co_ci_u32_e64 v59, null, v63, v5, vcc_lo
	s_and_b32 vcc_lo, exec_lo, s1
	flat_store_dword v[58:59], v61
	s_cbranch_vccnz .LBB40_43
; %bb.42:
	v_add_co_u32 v58, vcc_lo, v64, v6
	v_add_co_ci_u32_e64 v59, null, v65, v7, vcc_lo
	flat_load_dword v58, v[58:59]
	s_waitcnt vmcnt(0) lgkmcnt(0)
	v_mul_f32_e32 v60, s7, v58
.LBB40_43:
	v_add_f32_e32 v56, v56, v57
	v_add_co_u32 v58, vcc_lo, v62, v6
	v_add_co_ci_u32_e64 v59, null, v63, v7, vcc_lo
	v_add_f32_e32 v60, v56, v60
	v_mov_b32_e32 v56, 0
	v_mov_b32_e32 v57, 0
	s_and_b32 vcc_lo, exec_lo, s1
	flat_store_dword v[58:59], v60
	s_cbranch_vccnz .LBB40_45
; %bb.44:
	v_add_co_u32 v57, vcc_lo, v64, v10
	v_add_co_ci_u32_e64 v58, null, v65, v11, vcc_lo
	flat_load_dword v57, v[57:58]
	s_waitcnt vmcnt(0) lgkmcnt(0)
	v_mul_f32_e32 v57, s7, v57
.LBB40_45:
	v_add_f32_e32 v54, v54, v55
	;; [unrolled: 30-line block ×3, first 2 shown]
	v_add_f32_e32 v53, v50, v53
	v_add_co_u32 v50, vcc_lo, v62, v8
	v_add_co_ci_u32_e64 v51, null, v63, v9, vcc_lo
	s_and_b32 vcc_lo, exec_lo, s1
	flat_store_dword v[50:51], v53
	s_cbranch_vccnz .LBB40_51
; %bb.50:
	v_add_co_u32 v50, vcc_lo, v64, v12
	v_add_co_ci_u32_e64 v51, null, v65, v13, vcc_lo
	flat_load_dword v50, v[50:51]
	s_waitcnt vmcnt(0) lgkmcnt(0)
	v_mul_f32_e32 v52, s7, v50
.LBB40_51:
	v_add_nc_u32_e32 v51, 64, v72
	v_add_f32_e32 v55, v48, v49
	v_mov_b32_e32 v50, 0
	v_mad_i64_i32 v[53:54], null, v51, s9, 0
	v_add_f32_e32 v55, v55, v52
	v_mov_b32_e32 v52, 0
	v_lshlrev_b64 v[48:49], 2, v[53:54]
	v_add_co_u32 v53, vcc_lo, v62, v12
	v_add_co_ci_u32_e64 v54, null, v63, v13, vcc_lo
	v_add_co_u32 v48, vcc_lo, s12, v48
	v_add_co_ci_u32_e64 v49, null, s13, v49, vcc_lo
	s_and_b32 vcc_lo, exec_lo, s1
	flat_store_dword v[53:54], v55
	s_cbranch_vccnz .LBB40_53
; %bb.52:
	v_add_co_u32 v52, vcc_lo, v48, v0
	v_add_co_ci_u32_e64 v53, null, v49, v1, vcc_lo
	flat_load_dword v52, v[52:53]
	s_waitcnt vmcnt(0) lgkmcnt(0)
	v_mul_f32_e32 v52, s7, v52
.LBB40_53:
	v_mad_i64_i32 v[53:54], null, v51, s6, 0
	v_add_f32_e32 v51, v46, v47
	v_lshlrev_b64 v[53:54], 2, v[53:54]
	v_add_co_u32 v46, vcc_lo, s2, v53
	v_add_co_ci_u32_e64 v47, null, s3, v54, vcc_lo
	v_add_f32_e32 v53, v51, v52
	v_add_co_u32 v51, vcc_lo, v46, v0
	v_add_co_ci_u32_e64 v52, null, v47, v1, vcc_lo
	s_and_b32 vcc_lo, exec_lo, s1
	flat_store_dword v[51:52], v53
	s_cbranch_vccnz .LBB40_55
; %bb.54:
	v_add_co_u32 v50, vcc_lo, v48, v2
	v_add_co_ci_u32_e64 v51, null, v49, v3, vcc_lo
	flat_load_dword v50, v[50:51]
	s_waitcnt vmcnt(0) lgkmcnt(0)
	v_mul_f32_e32 v50, s7, v50
.LBB40_55:
	v_add_f32_e32 v44, v44, v45
	v_add_co_u32 v51, vcc_lo, v46, v2
	v_add_co_ci_u32_e64 v52, null, v47, v3, vcc_lo
	v_add_f32_e32 v50, v44, v50
	v_mov_b32_e32 v44, 0
	v_mov_b32_e32 v45, 0
	s_and_b32 vcc_lo, exec_lo, s1
	flat_store_dword v[51:52], v50
	s_cbranch_vccnz .LBB40_57
; %bb.56:
	v_add_co_u32 v50, vcc_lo, v48, v4
	v_add_co_ci_u32_e64 v51, null, v49, v5, vcc_lo
	flat_load_dword v45, v[50:51]
	s_waitcnt vmcnt(0) lgkmcnt(0)
	v_mul_f32_e32 v45, s7, v45
.LBB40_57:
	v_add_f32_e32 v42, v42, v43
	v_add_f32_e32 v45, v42, v45
	v_add_co_u32 v42, vcc_lo, v46, v4
	v_add_co_ci_u32_e64 v43, null, v47, v5, vcc_lo
	s_and_b32 vcc_lo, exec_lo, s1
	flat_store_dword v[42:43], v45
	s_cbranch_vccnz .LBB40_59
; %bb.58:
	v_add_co_u32 v42, vcc_lo, v48, v6
	v_add_co_ci_u32_e64 v43, null, v49, v7, vcc_lo
	flat_load_dword v42, v[42:43]
	s_waitcnt vmcnt(0) lgkmcnt(0)
	v_mul_f32_e32 v44, s7, v42
.LBB40_59:
	v_add_f32_e32 v40, v40, v41
	v_add_co_u32 v42, vcc_lo, v46, v6
	v_add_co_ci_u32_e64 v43, null, v47, v7, vcc_lo
	v_add_f32_e32 v44, v40, v44
	v_mov_b32_e32 v40, 0
	v_mov_b32_e32 v41, 0
	s_and_b32 vcc_lo, exec_lo, s1
	flat_store_dword v[42:43], v44
	s_cbranch_vccnz .LBB40_61
; %bb.60:
	v_add_co_u32 v41, vcc_lo, v48, v10
	v_add_co_ci_u32_e64 v42, null, v49, v11, vcc_lo
	flat_load_dword v41, v[41:42]
	s_waitcnt vmcnt(0) lgkmcnt(0)
	v_mul_f32_e32 v41, s7, v41
.LBB40_61:
	v_add_f32_e32 v38, v38, v39
	;; [unrolled: 30-line block ×3, first 2 shown]
	v_add_f32_e32 v37, v34, v37
	v_add_co_u32 v34, vcc_lo, v46, v8
	v_add_co_ci_u32_e64 v35, null, v47, v9, vcc_lo
	s_and_b32 vcc_lo, exec_lo, s1
	flat_store_dword v[34:35], v37
	s_cbranch_vccnz .LBB40_67
; %bb.66:
	v_add_co_u32 v34, vcc_lo, v48, v12
	v_add_co_ci_u32_e64 v35, null, v49, v13, vcc_lo
	flat_load_dword v34, v[34:35]
	s_waitcnt vmcnt(0) lgkmcnt(0)
	v_mul_f32_e32 v36, s7, v34
.LBB40_67:
	v_add_nc_u32_e32 v35, 0x60, v72
	v_add_f32_e32 v39, v32, v33
	v_mov_b32_e32 v34, 0
	v_mad_i64_i32 v[37:38], null, v35, s9, 0
	v_add_f32_e32 v39, v39, v36
	v_mov_b32_e32 v36, 0
	v_lshlrev_b64 v[32:33], 2, v[37:38]
	v_add_co_u32 v37, vcc_lo, v46, v12
	v_add_co_ci_u32_e64 v38, null, v47, v13, vcc_lo
	v_add_co_u32 v32, vcc_lo, s12, v32
	v_add_co_ci_u32_e64 v33, null, s13, v33, vcc_lo
	s_and_b32 vcc_lo, exec_lo, s1
	flat_store_dword v[37:38], v39
	s_cbranch_vccnz .LBB40_69
; %bb.68:
	v_add_co_u32 v36, vcc_lo, v32, v0
	v_add_co_ci_u32_e64 v37, null, v33, v1, vcc_lo
	flat_load_dword v36, v[36:37]
	s_waitcnt vmcnt(0) lgkmcnt(0)
	v_mul_f32_e32 v36, s7, v36
.LBB40_69:
	v_mad_i64_i32 v[37:38], null, v35, s6, 0
	v_add_f32_e32 v35, v30, v31
	v_add_f32_e32 v35, v35, v36
	v_lshlrev_b64 v[37:38], 2, v[37:38]
	v_add_co_u32 v30, vcc_lo, s2, v37
	v_add_co_ci_u32_e64 v31, null, s3, v38, vcc_lo
	v_add_co_u32 v0, vcc_lo, v30, v0
	v_add_co_ci_u32_e64 v1, null, v31, v1, vcc_lo
	s_and_b32 vcc_lo, exec_lo, s1
	flat_store_dword v[0:1], v35
	s_cbranch_vccnz .LBB40_71
; %bb.70:
	v_add_co_u32 v0, vcc_lo, v32, v2
	v_add_co_ci_u32_e64 v1, null, v33, v3, vcc_lo
	flat_load_dword v0, v[0:1]
	s_waitcnt vmcnt(0) lgkmcnt(0)
	v_mul_f32_e32 v34, s7, v0
.LBB40_71:
	v_add_f32_e32 v0, v28, v29
	v_add_co_u32 v2, vcc_lo, v30, v2
	v_add_co_ci_u32_e64 v3, null, v31, v3, vcc_lo
	v_add_f32_e32 v28, v0, v34
	v_mov_b32_e32 v0, 0
	v_mov_b32_e32 v1, 0
	s_and_b32 vcc_lo, exec_lo, s1
	flat_store_dword v[2:3], v28
	s_cbranch_vccnz .LBB40_73
; %bb.72:
	v_add_co_u32 v1, vcc_lo, v32, v4
	v_add_co_ci_u32_e64 v2, null, v33, v5, vcc_lo
	flat_load_dword v1, v[1:2]
	s_waitcnt vmcnt(0) lgkmcnt(0)
	v_mul_f32_e32 v1, s7, v1
.LBB40_73:
	v_add_f32_e32 v2, v26, v27
	v_add_f32_e32 v3, v2, v1
	v_add_co_u32 v1, vcc_lo, v30, v4
	v_add_co_ci_u32_e64 v2, null, v31, v5, vcc_lo
	s_and_b32 vcc_lo, exec_lo, s1
	flat_store_dword v[1:2], v3
	s_cbranch_vccnz .LBB40_75
; %bb.74:
	v_add_co_u32 v0, vcc_lo, v32, v6
	v_add_co_ci_u32_e64 v1, null, v33, v7, vcc_lo
	flat_load_dword v0, v[0:1]
	s_waitcnt vmcnt(0) lgkmcnt(0)
	v_mul_f32_e32 v0, s7, v0
.LBB40_75:
	v_add_f32_e32 v1, v24, v25
	v_add_co_u32 v2, vcc_lo, v30, v6
	v_add_co_ci_u32_e64 v3, null, v31, v7, vcc_lo
	v_add_f32_e32 v4, v1, v0
	v_mov_b32_e32 v0, 0
	v_mov_b32_e32 v1, 0
	s_and_b32 vcc_lo, exec_lo, s1
	flat_store_dword v[2:3], v4
	s_cbranch_vccnz .LBB40_77
; %bb.76:
	v_add_co_u32 v1, vcc_lo, v32, v10
	v_add_co_ci_u32_e64 v2, null, v33, v11, vcc_lo
	flat_load_dword v1, v[1:2]
	s_waitcnt vmcnt(0) lgkmcnt(0)
	v_mul_f32_e32 v1, s7, v1
.LBB40_77:
	v_add_f32_e32 v2, v22, v23
	v_add_f32_e32 v3, v2, v1
	v_add_co_u32 v1, vcc_lo, v30, v10
	v_add_co_ci_u32_e64 v2, null, v31, v11, vcc_lo
	s_and_b32 vcc_lo, exec_lo, s1
	flat_store_dword v[1:2], v3
	s_cbranch_vccnz .LBB40_79
; %bb.78:
	v_add_co_u32 v0, vcc_lo, v32, v14
	v_add_co_ci_u32_e64 v1, null, v33, v15, vcc_lo
	flat_load_dword v0, v[0:1]
	s_waitcnt vmcnt(0) lgkmcnt(0)
	v_mul_f32_e32 v0, s7, v0
.LBB40_79:
	v_add_f32_e32 v3, v20, v21
	v_add_co_u32 v1, vcc_lo, v30, v14
	v_add_co_ci_u32_e64 v2, null, v31, v15, vcc_lo
	v_add_f32_e32 v3, v3, v0
	v_add_f32_e32 v0, v18, v19
	s_mov_b32 s1, -1
	s_mov_b32 vcc_lo, s0
	flat_store_dword v[1:2], v3
	s_cbranch_vccz .LBB40_81
; %bb.80:
	v_add_co_u32 v1, vcc_lo, v30, v8
	v_add_f32_e32 v3, 0, v0
	v_add_co_ci_u32_e64 v2, null, v31, v9, vcc_lo
	s_mov_b32 s1, 0
	flat_store_dword v[1:2], v3
.LBB40_81:
	v_mov_b32_e32 v1, 0
	s_andn2_b32 vcc_lo, exec_lo, s1
	s_cbranch_vccnz .LBB40_83
; %bb.82:
	v_add_co_u32 v1, vcc_lo, v32, v8
	v_add_co_ci_u32_e64 v2, null, v33, v9, vcc_lo
	flat_load_dword v3, v[1:2]
	v_add_co_u32 v1, vcc_lo, v30, v8
	v_add_co_ci_u32_e64 v2, null, v31, v9, vcc_lo
	s_waitcnt vmcnt(0) lgkmcnt(0)
	v_fmac_f32_e32 v0, s7, v3
	v_add_co_u32 v3, vcc_lo, v32, v12
	v_add_co_ci_u32_e64 v4, null, v33, v13, vcc_lo
	flat_store_dword v[1:2], v0
	flat_load_dword v0, v[3:4]
	s_waitcnt vmcnt(0) lgkmcnt(0)
	v_mul_f32_e32 v1, s7, v0
.LBB40_83:
	v_add_f32_e32 v0, v16, v17
	v_add_f32_e32 v2, v0, v1
	v_add_co_u32 v0, vcc_lo, v30, v12
	v_add_co_ci_u32_e64 v1, null, v31, v13, vcc_lo
	flat_store_dword v[0:1], v2
	s_endpgm
	.section	.rodata,"a",@progbits
	.p2align	6, 0x0
	.amdhsa_kernel _ZN12_GLOBAL__N_120geam_min_plus_kernelIf15HIP_vector_typeIfLj2EES2_Li8ELi32ELi64ELi128ELi4ELi64ELi4ELi64ELi4ELc78ELc84ELb1ELb0ELb0EfKPKfKPfEEviiiT16_PT17_ilSA_ilS8_SA_ilPT18_ili26rocblas_geam_ex_operation_
		.amdhsa_group_segment_fixed_size 6144
		.amdhsa_private_segment_fixed_size 0
		.amdhsa_kernarg_size 128
		.amdhsa_user_sgpr_count 6
		.amdhsa_user_sgpr_private_segment_buffer 1
		.amdhsa_user_sgpr_dispatch_ptr 0
		.amdhsa_user_sgpr_queue_ptr 0
		.amdhsa_user_sgpr_kernarg_segment_ptr 1
		.amdhsa_user_sgpr_dispatch_id 0
		.amdhsa_user_sgpr_flat_scratch_init 0
		.amdhsa_user_sgpr_private_segment_size 0
		.amdhsa_wavefront_size32 1
		.amdhsa_uses_dynamic_stack 0
		.amdhsa_system_sgpr_private_segment_wavefront_offset 0
		.amdhsa_system_sgpr_workgroup_id_x 1
		.amdhsa_system_sgpr_workgroup_id_y 0
		.amdhsa_system_sgpr_workgroup_id_z 1
		.amdhsa_system_sgpr_workgroup_info 0
		.amdhsa_system_vgpr_workitem_id 1
		.amdhsa_next_free_vgpr 149
		.amdhsa_next_free_sgpr 24
		.amdhsa_reserve_vcc 1
		.amdhsa_reserve_flat_scratch 1
		.amdhsa_float_round_mode_32 0
		.amdhsa_float_round_mode_16_64 0
		.amdhsa_float_denorm_mode_32 3
		.amdhsa_float_denorm_mode_16_64 3
		.amdhsa_dx10_clamp 1
		.amdhsa_ieee_mode 1
		.amdhsa_fp16_overflow 0
		.amdhsa_workgroup_processor_mode 1
		.amdhsa_memory_ordered 1
		.amdhsa_forward_progress 1
		.amdhsa_shared_vgpr_count 0
		.amdhsa_exception_fp_ieee_invalid_op 0
		.amdhsa_exception_fp_denorm_src 0
		.amdhsa_exception_fp_ieee_div_zero 0
		.amdhsa_exception_fp_ieee_overflow 0
		.amdhsa_exception_fp_ieee_underflow 0
		.amdhsa_exception_fp_ieee_inexact 0
		.amdhsa_exception_int_div_zero 0
	.end_amdhsa_kernel
	.section	.text._ZN12_GLOBAL__N_120geam_min_plus_kernelIf15HIP_vector_typeIfLj2EES2_Li8ELi32ELi64ELi128ELi4ELi64ELi4ELi64ELi4ELc78ELc84ELb1ELb0ELb0EfKPKfKPfEEviiiT16_PT17_ilSA_ilS8_SA_ilPT18_ili26rocblas_geam_ex_operation_,"axG",@progbits,_ZN12_GLOBAL__N_120geam_min_plus_kernelIf15HIP_vector_typeIfLj2EES2_Li8ELi32ELi64ELi128ELi4ELi64ELi4ELi64ELi4ELc78ELc84ELb1ELb0ELb0EfKPKfKPfEEviiiT16_PT17_ilSA_ilS8_SA_ilPT18_ili26rocblas_geam_ex_operation_,comdat
.Lfunc_end40:
	.size	_ZN12_GLOBAL__N_120geam_min_plus_kernelIf15HIP_vector_typeIfLj2EES2_Li8ELi32ELi64ELi128ELi4ELi64ELi4ELi64ELi4ELc78ELc84ELb1ELb0ELb0EfKPKfKPfEEviiiT16_PT17_ilSA_ilS8_SA_ilPT18_ili26rocblas_geam_ex_operation_, .Lfunc_end40-_ZN12_GLOBAL__N_120geam_min_plus_kernelIf15HIP_vector_typeIfLj2EES2_Li8ELi32ELi64ELi128ELi4ELi64ELi4ELi64ELi4ELc78ELc84ELb1ELb0ELb0EfKPKfKPfEEviiiT16_PT17_ilSA_ilS8_SA_ilPT18_ili26rocblas_geam_ex_operation_
                                        ; -- End function
	.set _ZN12_GLOBAL__N_120geam_min_plus_kernelIf15HIP_vector_typeIfLj2EES2_Li8ELi32ELi64ELi128ELi4ELi64ELi4ELi64ELi4ELc78ELc84ELb1ELb0ELb0EfKPKfKPfEEviiiT16_PT17_ilSA_ilS8_SA_ilPT18_ili26rocblas_geam_ex_operation_.num_vgpr, 149
	.set _ZN12_GLOBAL__N_120geam_min_plus_kernelIf15HIP_vector_typeIfLj2EES2_Li8ELi32ELi64ELi128ELi4ELi64ELi4ELi64ELi4ELc78ELc84ELb1ELb0ELb0EfKPKfKPfEEviiiT16_PT17_ilSA_ilS8_SA_ilPT18_ili26rocblas_geam_ex_operation_.num_agpr, 0
	.set _ZN12_GLOBAL__N_120geam_min_plus_kernelIf15HIP_vector_typeIfLj2EES2_Li8ELi32ELi64ELi128ELi4ELi64ELi4ELi64ELi4ELc78ELc84ELb1ELb0ELb0EfKPKfKPfEEviiiT16_PT17_ilSA_ilS8_SA_ilPT18_ili26rocblas_geam_ex_operation_.numbered_sgpr, 24
	.set _ZN12_GLOBAL__N_120geam_min_plus_kernelIf15HIP_vector_typeIfLj2EES2_Li8ELi32ELi64ELi128ELi4ELi64ELi4ELi64ELi4ELc78ELc84ELb1ELb0ELb0EfKPKfKPfEEviiiT16_PT17_ilSA_ilS8_SA_ilPT18_ili26rocblas_geam_ex_operation_.num_named_barrier, 0
	.set _ZN12_GLOBAL__N_120geam_min_plus_kernelIf15HIP_vector_typeIfLj2EES2_Li8ELi32ELi64ELi128ELi4ELi64ELi4ELi64ELi4ELc78ELc84ELb1ELb0ELb0EfKPKfKPfEEviiiT16_PT17_ilSA_ilS8_SA_ilPT18_ili26rocblas_geam_ex_operation_.private_seg_size, 0
	.set _ZN12_GLOBAL__N_120geam_min_plus_kernelIf15HIP_vector_typeIfLj2EES2_Li8ELi32ELi64ELi128ELi4ELi64ELi4ELi64ELi4ELc78ELc84ELb1ELb0ELb0EfKPKfKPfEEviiiT16_PT17_ilSA_ilS8_SA_ilPT18_ili26rocblas_geam_ex_operation_.uses_vcc, 1
	.set _ZN12_GLOBAL__N_120geam_min_plus_kernelIf15HIP_vector_typeIfLj2EES2_Li8ELi32ELi64ELi128ELi4ELi64ELi4ELi64ELi4ELc78ELc84ELb1ELb0ELb0EfKPKfKPfEEviiiT16_PT17_ilSA_ilS8_SA_ilPT18_ili26rocblas_geam_ex_operation_.uses_flat_scratch, 1
	.set _ZN12_GLOBAL__N_120geam_min_plus_kernelIf15HIP_vector_typeIfLj2EES2_Li8ELi32ELi64ELi128ELi4ELi64ELi4ELi64ELi4ELc78ELc84ELb1ELb0ELb0EfKPKfKPfEEviiiT16_PT17_ilSA_ilS8_SA_ilPT18_ili26rocblas_geam_ex_operation_.has_dyn_sized_stack, 0
	.set _ZN12_GLOBAL__N_120geam_min_plus_kernelIf15HIP_vector_typeIfLj2EES2_Li8ELi32ELi64ELi128ELi4ELi64ELi4ELi64ELi4ELc78ELc84ELb1ELb0ELb0EfKPKfKPfEEviiiT16_PT17_ilSA_ilS8_SA_ilPT18_ili26rocblas_geam_ex_operation_.has_recursion, 0
	.set _ZN12_GLOBAL__N_120geam_min_plus_kernelIf15HIP_vector_typeIfLj2EES2_Li8ELi32ELi64ELi128ELi4ELi64ELi4ELi64ELi4ELc78ELc84ELb1ELb0ELb0EfKPKfKPfEEviiiT16_PT17_ilSA_ilS8_SA_ilPT18_ili26rocblas_geam_ex_operation_.has_indirect_call, 0
	.section	.AMDGPU.csdata,"",@progbits
; Kernel info:
; codeLenInByte = 7436
; TotalNumSgprs: 26
; NumVgprs: 149
; ScratchSize: 0
; MemoryBound: 0
; FloatMode: 240
; IeeeMode: 1
; LDSByteSize: 6144 bytes/workgroup (compile time only)
; SGPRBlocks: 0
; VGPRBlocks: 18
; NumSGPRsForWavesPerEU: 26
; NumVGPRsForWavesPerEU: 149
; Occupancy: 6
; WaveLimiterHint : 1
; COMPUTE_PGM_RSRC2:SCRATCH_EN: 0
; COMPUTE_PGM_RSRC2:USER_SGPR: 6
; COMPUTE_PGM_RSRC2:TRAP_HANDLER: 0
; COMPUTE_PGM_RSRC2:TGID_X_EN: 1
; COMPUTE_PGM_RSRC2:TGID_Y_EN: 0
; COMPUTE_PGM_RSRC2:TGID_Z_EN: 1
; COMPUTE_PGM_RSRC2:TIDIG_COMP_CNT: 1
	.section	.text._ZN12_GLOBAL__N_120geam_min_plus_kernelIf15HIP_vector_typeIfLj2EES2_Li8ELi32ELi64ELi128ELi4ELi64ELi4ELi64ELi4ELc78ELc84ELb0ELb0ELb0EfKPKfKPfEEviiiT16_PT17_ilSA_ilS8_SA_ilPT18_ili26rocblas_geam_ex_operation_,"axG",@progbits,_ZN12_GLOBAL__N_120geam_min_plus_kernelIf15HIP_vector_typeIfLj2EES2_Li8ELi32ELi64ELi128ELi4ELi64ELi4ELi64ELi4ELc78ELc84ELb0ELb0ELb0EfKPKfKPfEEviiiT16_PT17_ilSA_ilS8_SA_ilPT18_ili26rocblas_geam_ex_operation_,comdat
	.globl	_ZN12_GLOBAL__N_120geam_min_plus_kernelIf15HIP_vector_typeIfLj2EES2_Li8ELi32ELi64ELi128ELi4ELi64ELi4ELi64ELi4ELc78ELc84ELb0ELb0ELb0EfKPKfKPfEEviiiT16_PT17_ilSA_ilS8_SA_ilPT18_ili26rocblas_geam_ex_operation_ ; -- Begin function _ZN12_GLOBAL__N_120geam_min_plus_kernelIf15HIP_vector_typeIfLj2EES2_Li8ELi32ELi64ELi128ELi4ELi64ELi4ELi64ELi4ELc78ELc84ELb0ELb0ELb0EfKPKfKPfEEviiiT16_PT17_ilSA_ilS8_SA_ilPT18_ili26rocblas_geam_ex_operation_
	.p2align	8
	.type	_ZN12_GLOBAL__N_120geam_min_plus_kernelIf15HIP_vector_typeIfLj2EES2_Li8ELi32ELi64ELi128ELi4ELi64ELi4ELi64ELi4ELc78ELc84ELb0ELb0ELb0EfKPKfKPfEEviiiT16_PT17_ilSA_ilS8_SA_ilPT18_ili26rocblas_geam_ex_operation_,@function
_ZN12_GLOBAL__N_120geam_min_plus_kernelIf15HIP_vector_typeIfLj2EES2_Li8ELi32ELi64ELi128ELi4ELi64ELi4ELi64ELi4ELc78ELc84ELb0ELb0ELb0EfKPKfKPfEEviiiT16_PT17_ilSA_ilS8_SA_ilPT18_ili26rocblas_geam_ex_operation_: ; @_ZN12_GLOBAL__N_120geam_min_plus_kernelIf15HIP_vector_typeIfLj2EES2_Li8ELi32ELi64ELi128ELi4ELi64ELi4ELi64ELi4ELc78ELc84ELb0ELb0ELb0EfKPKfKPfEEviiiT16_PT17_ilSA_ilS8_SA_ilPT18_ili26rocblas_geam_ex_operation_
; %bb.0:
	s_clause 0x1
	s_load_dwordx2 s[14:15], s[4:5], 0x8
	s_load_dwordx4 s[8:11], s[4:5], 0x20
	s_mov_b32 s20, s7
	s_mov_b32 s21, 0
	s_waitcnt lgkmcnt(0)
	v_cmp_eq_f32_e64 s0, s15, 0
	s_and_b32 s1, exec_lo, s0
	s_mov_b32 vcc_lo, s1
	s_cbranch_vccnz .LBB41_3
; %bb.1:
	s_load_dwordx2 s[2:3], s[4:5], 0x10
	s_lshl_b64 s[12:13], s[20:21], 3
	s_waitcnt lgkmcnt(0)
	s_add_u32 s2, s2, s12
	s_addc_u32 s3, s3, s13
	s_lshl_b64 s[8:9], s[8:9], 2
	s_load_dwordx2 s[2:3], s[2:3], 0x0
	s_waitcnt lgkmcnt(0)
	s_add_u32 s16, s2, s8
	s_addc_u32 s17, s3, s9
	s_andn2_b32 vcc_lo, exec_lo, s0
	s_cbranch_vccnz .LBB41_4
.LBB41_2:
	s_mov_b32 s3, 0
	s_mov_b32 s2, s20
	;; [unrolled: 1-line block ×3, first 2 shown]
	s_mov_b64 s[12:13], 0
	s_andn2_b32 vcc_lo, exec_lo, s0
	s_mov_b64 s[18:19], 0
	s_cbranch_vccz .LBB41_5
	s_branch .LBB41_6
.LBB41_3:
	s_mov_b64 s[16:17], 0
	s_andn2_b32 vcc_lo, exec_lo, s0
	s_cbranch_vccz .LBB41_2
.LBB41_4:
	s_mov_b64 s[2:3], s[20:21]
	s_mov_b64 s[12:13], 0
	;; [unrolled: 1-line block ×3, first 2 shown]
.LBB41_5:
	s_lshl_b64 s[8:9], s[20:21], 3
	s_load_dwordx2 s[18:19], s[4:5], 0x38
	s_add_u32 s8, s10, s8
	s_addc_u32 s9, s11, s9
	s_load_dwordx2 s[8:9], s[8:9], 0x0
	s_waitcnt lgkmcnt(0)
	s_lshl_b64 s[10:11], s[18:19], 2
	s_add_u32 s18, s8, s10
	s_addc_u32 s19, s9, s11
.LBB41_6:
	s_clause 0x1
	s_load_dword s20, s[4:5], 0x40
	s_load_dwordx4 s[8:11], s[4:5], 0x58
	v_cmp_neq_f32_e64 s7, s15, 0
	s_waitcnt lgkmcnt(0)
	v_cmp_eq_f32_e64 s0, s20, 0
	s_and_b32 s0, exec_lo, s0
	s_mov_b32 vcc_lo, s0
	s_cbranch_vccnz .LBB41_8
; %bb.7:
	s_load_dwordx2 s[12:13], s[4:5], 0x48
	s_lshl_b64 s[22:23], s[2:3], 3
	s_waitcnt lgkmcnt(0)
	s_add_u32 s12, s12, s22
	s_addc_u32 s13, s13, s23
	s_lshl_b64 s[8:9], s[8:9], 2
	s_load_dwordx2 s[12:13], s[12:13], 0x0
	s_waitcnt lgkmcnt(0)
	s_add_u32 s12, s12, s8
	s_addc_u32 s13, s13, s9
.LBB41_8:
	s_clause 0x2
	s_load_dword s21, s[4:5], 0x18
	s_load_dword s22, s[4:5], 0x30
	;; [unrolled: 1-line block ×3, first 2 shown]
	s_lshl_b64 s[2:3], s[2:3], 3
	v_lshl_add_u32 v3, v1, 3, v0
	v_cndmask_b32_e64 v5, 0, 1, s7
	v_mov_b32_e32 v78, 0
	v_mov_b32_e32 v6, 0
	;; [unrolled: 1-line block ×3, first 2 shown]
	v_and_b32_e32 v76, 63, v3
	v_lshrrev_b32_e32 v12, 6, v3
	v_mov_b32_e32 v8, 0
	s_waitcnt lgkmcnt(0)
	s_ashr_i32 s23, s21, 31
	s_ashr_i32 s24, s22, 31
	s_add_u32 s8, s10, s2
	s_addc_u32 s9, s11, s3
	s_add_i32 s2, s25, -1
	s_ashr_i32 s3, s2, 31
	s_lshr_b32 s3, s3, 26
	s_add_i32 s2, s2, s3
	s_ashr_i32 s2, s2, 6
	s_add_i32 s3, s2, 1
	s_not_b32 s2, s2
	v_cvt_f32_u32_e32 v2, s3
	v_rcp_iflag_f32_e32 v2, v2
	v_mul_f32_e32 v2, 0x4f7ffffe, v2
	v_cvt_u32_f32_e32 v2, v2
	v_readfirstlane_b32 s10, v2
	s_mul_i32 s2, s2, s10
	s_mul_hi_u32 s2, s10, s2
	s_add_i32 s10, s10, s2
	s_mul_hi_u32 s2, s6, s10
	s_mul_i32 s10, s2, s3
	s_add_i32 s11, s2, 1
	s_sub_i32 s10, s6, s10
	s_sub_i32 s25, s10, s3
	s_cmp_ge_u32 s10, s3
	s_cselect_b32 s2, s11, s2
	s_cselect_b32 s10, s25, s10
	s_add_i32 s11, s2, 1
	s_cmp_ge_u32 s10, s3
	s_cselect_b32 s2, s11, s2
	s_andn2_b32 vcc_lo, exec_lo, s7
	s_mul_i32 s3, s2, s3
	s_lshl_b32 s10, s2, 7
	s_sub_i32 s3, s6, s3
	v_or_b32_e32 v2, s10, v76
	s_lshl_b32 s3, s3, 6
	v_cmp_ne_u32_e64 s2, 1, v5
	v_or_b32_e32 v4, s3, v76
	v_ashrrev_i32_e32 v3, 31, v2
	v_ashrrev_i32_e32 v5, 31, v4
	s_cbranch_vccnz .LBB41_10
; %bb.9:
	v_mad_i64_i32 v[6:7], null, s21, v12, 0
	v_mad_i64_i32 v[8:9], null, s22, v12, 0
	v_lshlrev_b64 v[10:11], 2, v[4:5]
	v_lshlrev_b64 v[13:14], 2, v[2:3]
	;; [unrolled: 1-line block ×4, first 2 shown]
	v_add_co_u32 v6, vcc_lo, s16, v6
	v_add_co_ci_u32_e64 v7, null, s17, v7, vcc_lo
	v_add_co_u32 v8, vcc_lo, s18, v8
	v_add_co_ci_u32_e64 v9, null, s19, v9, vcc_lo
	;; [unrolled: 2-line block ×4, first 2 shown]
	flat_load_dword v6, v[6:7]
	s_clause 0x1
	flat_load_dword v7, v[8:9]
	flat_load_dword v9, v[8:9] offset:256
	s_waitcnt vmcnt(2) lgkmcnt(2)
	v_mul_f32_e32 v6, s15, v6
	s_waitcnt vmcnt(1) lgkmcnt(1)
	v_mul_f32_e32 v8, s15, v7
	;; [unrolled: 2-line block ×3, first 2 shown]
.LBB41_10:
	s_load_dwordx2 s[6:7], s[8:9], 0x0
	v_add_nc_u32_e32 v13, 4, v12
	v_mov_b32_e32 v79, 0
	v_mov_b32_e32 v80, 0
	s_and_b32 vcc_lo, exec_lo, s2
	s_cbranch_vccnz .LBB41_12
; %bb.11:
	v_mad_i64_i32 v[9:10], null, s21, v13, 0
	v_mad_i64_i32 v[14:15], null, s22, v13, 0
	v_lshlrev_b64 v[16:17], 2, v[4:5]
	v_lshlrev_b64 v[18:19], 2, v[2:3]
	;; [unrolled: 1-line block ×4, first 2 shown]
	v_add_co_u32 v9, vcc_lo, s16, v9
	v_add_co_ci_u32_e64 v10, null, s17, v10, vcc_lo
	v_add_co_u32 v11, vcc_lo, s18, v14
	v_add_co_ci_u32_e64 v15, null, s19, v15, vcc_lo
	;; [unrolled: 2-line block ×4, first 2 shown]
	flat_load_dword v9, v[9:10]
	s_clause 0x1
	flat_load_dword v10, v[14:15]
	flat_load_dword v11, v[14:15] offset:256
	s_waitcnt vmcnt(2) lgkmcnt(0)
	v_mul_f32_e32 v78, s15, v9
	s_waitcnt vmcnt(1)
	v_mul_f32_e32 v80, s15, v10
	s_waitcnt vmcnt(0)
	v_mul_f32_e32 v79, s15, v11
.LBB41_12:
	v_lshlrev_b32_e32 v9, 4, v76
	v_mov_b32_e32 v70, 0
	v_cmp_neq_f32_e64 s2, s20, 0
	v_lshl_or_b32 v73, v0, 4, 0x1000
	v_lshlrev_b32_e32 v74, 4, v1
	v_lshl_add_u32 v72, v12, 2, v9
	v_mov_b32_e32 v71, v70
	v_mov_b32_e32 v68, v70
	v_mov_b32_e32 v69, v70
	v_mov_b32_e32 v10, v70
	v_or_b32_e32 v75, 0x1000, v72
	ds_write_b32 v72, v6 offset:4096
	ds_write2st64_b32 v72, v8, v7 offset1:4
	v_mov_b32_e32 v6, v70
	v_mov_b32_e32 v7, v70
	;; [unrolled: 1-line block ×59, first 2 shown]
	s_mov_b32 s9, 0
	s_mov_b32 s8, -1
	s_waitcnt lgkmcnt(0)
	s_barrier
	buffer_gl0_inv
.LBB41_13:                              ; =>This Inner Loop Header: Depth=1
	s_lshl_b32 s9, s9, 2
	v_cndmask_b32_e64 v77, 0, 1, s8
	v_add_nc_u32_e32 v93, s9, v73
	v_add_nc_u32_e32 v101, s9, v74
	s_mov_b32 s8, 0
	s_mov_b32 s9, 2
	v_cmp_ne_u32_e32 vcc_lo, 1, v77
	ds_read2_b64 v[81:84], v93 offset1:16
	ds_read2_b64 v[85:88], v93 offset0:32 offset1:48
	ds_read2_b64 v[89:92], v93 offset0:64 offset1:80
	;; [unrolled: 1-line block ×3, first 2 shown]
	ds_read2st64_b64 v[97:100], v101 offset1:1
	ds_read2st64_b64 v[101:104], v101 offset0:2 offset1:3
	s_and_b32 vcc_lo, exec_lo, vcc_lo
	s_waitcnt lgkmcnt(5)
	v_max_f32_e32 v77, v81, v81
	v_max_f32_e32 v81, v82, v82
	v_max_f32_e32 v82, v83, v83
	v_max_f32_e32 v83, v84, v84
	s_waitcnt lgkmcnt(4)
	v_max_f32_e32 v84, v85, v85
	v_max_f32_e32 v85, v86, v86
	v_max_f32_e32 v86, v87, v87
	v_max_f32_e32 v87, v88, v88
	;; [unrolled: 5-line block ×6, first 2 shown]
	v_min_f32_e32 v104, v77, v96
	v_min_f32_e32 v105, v82, v96
	;; [unrolled: 1-line block ×64, first 2 shown]
	v_add_f32_e32 v71, v102, v71
	v_add_f32_e32 v70, v104, v70
	;; [unrolled: 1-line block ×64, first 2 shown]
	s_cbranch_vccz .LBB41_13
; %bb.14:
	v_lshlrev_b32_e32 v77, 2, v12
	s_cmp_lt_i32 s14, 9
	v_lshl_add_u32 v81, v76, 4, v77
	v_lshl_add_u32 v76, v0, 4, 0x1400
	;; [unrolled: 1-line block ×3, first 2 shown]
	ds_write_b32 v81, v78 offset:5120
	ds_write2st64_b32 v81, v80, v79 offset0:8 offset1:12
	s_waitcnt lgkmcnt(0)
	s_barrier
	buffer_gl0_inv
	s_cbranch_scc1 .LBB41_29
; %bb.15:
	v_lshlrev_b64 v[78:79], 2, v[4:5]
	v_lshlrev_b64 v[2:3], 2, v[2:3]
	v_add_nc_u32_e32 v4, 0x1400, v81
	v_or_b32_e32 v5, 0x800, v81
	s_add_i32 s8, s14, -8
	s_mov_b32 s9, 8
	v_add_co_u32 v78, vcc_lo, s16, v78
	v_add_co_ci_u32_e64 v79, null, s17, v79, vcc_lo
	v_add_co_u32 v80, vcc_lo, s18, v2
	v_add_co_ci_u32_e64 v81, null, s19, v3, vcc_lo
	s_mov_b32 s11, 0
.LBB41_16:                              ; =>This Loop Header: Depth=1
                                        ;     Child Loop BB41_21 Depth 2
                                        ;     Child Loop BB41_27 Depth 2
	s_mov_b32 s14, -1
	s_mov_b32 vcc_lo, s1
                                        ; implicit-def: $vgpr2_vgpr3
	s_cbranch_vccz .LBB41_18
; %bb.17:                               ;   in Loop: Header=BB41_16 Depth=1
	v_mov_b32_e32 v2, 0
	s_mov_b32 s14, 0
.LBB41_18:                              ;   in Loop: Header=BB41_16 Depth=1
	v_mov_b32_e32 v3, 0
	v_mov_b32_e32 v82, 0
	s_andn2_b32 vcc_lo, exec_lo, s14
	s_cbranch_vccnz .LBB41_20
; %bb.19:                               ;   in Loop: Header=BB41_16 Depth=1
	v_add_nc_u32_e32 v86, s9, v12
	v_mad_u64_u32 v[2:3], null, v86, s21, 0
	v_mad_u64_u32 v[82:83], null, v86, s22, 0
	;; [unrolled: 1-line block ×4, first 2 shown]
	v_mov_b32_e32 v3, v84
	v_lshlrev_b64 v[2:3], 2, v[2:3]
	v_mov_b32_e32 v83, v85
	v_add_co_u32 v2, vcc_lo, v78, v2
	v_lshlrev_b64 v[82:83], 2, v[82:83]
	v_add_co_ci_u32_e64 v3, null, v79, v3, vcc_lo
	v_add_co_u32 v82, vcc_lo, v80, v82
	v_add_co_ci_u32_e64 v83, null, v81, v83, vcc_lo
	flat_load_dword v2, v[2:3]
	s_clause 0x1
	flat_load_dword v84, v[82:83]
	flat_load_dword v82, v[82:83] offset:256
	s_waitcnt vmcnt(2) lgkmcnt(2)
	v_mul_f32_e32 v3, s15, v2
	s_waitcnt vmcnt(1) lgkmcnt(1)
	v_mul_f32_e32 v2, s15, v84
	;; [unrolled: 2-line block ×3, first 2 shown]
.LBB41_20:                              ;   in Loop: Header=BB41_16 Depth=1
	s_mov_b32 s16, 0
	s_mov_b32 s14, -1
.LBB41_21:                              ;   Parent Loop BB41_16 Depth=1
                                        ; =>  This Inner Loop Header: Depth=2
	s_lshl_b32 s16, s16, 2
	v_cndmask_b32_e64 v83, 0, 1, s14
	v_add_nc_u32_e32 v103, s16, v77
	v_add_nc_u32_e32 v99, s16, v76
	s_mov_b32 s14, 0
	s_mov_b32 s16, 2
	v_cmp_ne_u32_e32 vcc_lo, 1, v83
	ds_read2st64_b64 v[83:86], v103 offset1:1
	ds_read2_b64 v[87:90], v99 offset1:16
	ds_read2_b64 v[91:94], v99 offset0:32 offset1:48
	ds_read2_b64 v[95:98], v99 offset0:64 offset1:80
	;; [unrolled: 1-line block ×3, first 2 shown]
	ds_read2st64_b64 v[103:106], v103 offset0:2 offset1:3
	s_and_b32 vcc_lo, exec_lo, vcc_lo
	s_waitcnt lgkmcnt(5)
	v_max_f32_e32 v83, v83, v83
	s_waitcnt lgkmcnt(4)
	v_max_f32_e32 v87, v87, v87
	v_max_f32_e32 v84, v84, v84
	;; [unrolled: 1-line block ×5, first 2 shown]
	s_waitcnt lgkmcnt(3)
	v_max_f32_e32 v91, v91, v91
	v_max_f32_e32 v92, v92, v92
	v_max_f32_e32 v93, v93, v93
	v_max_f32_e32 v94, v94, v94
	s_waitcnt lgkmcnt(2)
	v_max_f32_e32 v95, v95, v95
	v_max_f32_e32 v96, v96, v96
	v_max_f32_e32 v97, v97, v97
	v_max_f32_e32 v98, v98, v98
	;; [unrolled: 5-line block ×3, first 2 shown]
	v_max_f32_e32 v85, v85, v85
	v_max_f32_e32 v86, v86, v86
	s_waitcnt lgkmcnt(0)
	v_max_f32_e32 v103, v103, v103
	v_max_f32_e32 v104, v104, v104
	;; [unrolled: 1-line block ×4, first 2 shown]
	v_min_f32_e32 v107, v87, v83
	v_min_f32_e32 v108, v88, v84
	;; [unrolled: 1-line block ×64, first 2 shown]
	v_add_f32_e32 v71, v108, v71
	v_add_f32_e32 v70, v107, v70
	;; [unrolled: 1-line block ×64, first 2 shown]
	s_cbranch_vccz .LBB41_21
; %bb.22:                               ;   in Loop: Header=BB41_16 Depth=1
	s_mov_b32 s14, -1
	s_mov_b32 vcc_lo, s1
	ds_write_b32 v75, v3
	ds_write2st64_b32 v72, v2, v82 offset1:4
	s_waitcnt lgkmcnt(0)
	s_barrier
	buffer_gl0_inv
                                        ; implicit-def: $vgpr2_vgpr3
	s_cbranch_vccz .LBB41_24
; %bb.23:                               ;   in Loop: Header=BB41_16 Depth=1
	v_mov_b32_e32 v2, 0
	s_mov_b32 s14, 0
.LBB41_24:                              ;   in Loop: Header=BB41_16 Depth=1
	v_mov_b32_e32 v3, 0
	v_mov_b32_e32 v82, 0
	s_andn2_b32 vcc_lo, exec_lo, s14
	s_cbranch_vccnz .LBB41_26
; %bb.25:                               ;   in Loop: Header=BB41_16 Depth=1
	v_add_nc_u32_e32 v86, s9, v13
	v_mad_u64_u32 v[2:3], null, v86, s21, 0
	v_mad_u64_u32 v[82:83], null, v86, s22, 0
	;; [unrolled: 1-line block ×4, first 2 shown]
	v_mov_b32_e32 v3, v84
	v_lshlrev_b64 v[2:3], 2, v[2:3]
	v_mov_b32_e32 v83, v85
	v_add_co_u32 v2, vcc_lo, v78, v2
	v_lshlrev_b64 v[82:83], 2, v[82:83]
	v_add_co_ci_u32_e64 v3, null, v79, v3, vcc_lo
	v_add_co_u32 v82, vcc_lo, v80, v82
	v_add_co_ci_u32_e64 v83, null, v81, v83, vcc_lo
	flat_load_dword v2, v[2:3]
	s_clause 0x1
	flat_load_dword v84, v[82:83]
	flat_load_dword v82, v[82:83] offset:256
	s_waitcnt vmcnt(2) lgkmcnt(2)
	v_mul_f32_e32 v3, s15, v2
	s_waitcnt vmcnt(1) lgkmcnt(1)
	v_mul_f32_e32 v2, s15, v84
	;; [unrolled: 2-line block ×3, first 2 shown]
.LBB41_26:                              ;   in Loop: Header=BB41_16 Depth=1
	s_mov_b32 s16, 0
	s_mov_b32 s14, -1
.LBB41_27:                              ;   Parent Loop BB41_16 Depth=1
                                        ; =>  This Inner Loop Header: Depth=2
	s_lshl_b32 s16, s16, 2
	v_cndmask_b32_e64 v83, 0, 1, s14
	v_add_nc_u32_e32 v103, s16, v74
	v_add_nc_u32_e32 v99, s16, v73
	s_mov_b32 s14, 0
	s_mov_b32 s16, 2
	v_cmp_ne_u32_e32 vcc_lo, 1, v83
	ds_read2st64_b64 v[83:86], v103 offset1:1
	ds_read2_b64 v[87:90], v99 offset1:16
	ds_read2_b64 v[91:94], v99 offset0:32 offset1:48
	ds_read2_b64 v[95:98], v99 offset0:64 offset1:80
	;; [unrolled: 1-line block ×3, first 2 shown]
	ds_read2st64_b64 v[103:106], v103 offset0:2 offset1:3
	s_and_b32 vcc_lo, exec_lo, vcc_lo
	s_waitcnt lgkmcnt(5)
	v_max_f32_e32 v83, v83, v83
	s_waitcnt lgkmcnt(4)
	v_max_f32_e32 v87, v87, v87
	v_max_f32_e32 v84, v84, v84
	v_max_f32_e32 v88, v88, v88
	v_max_f32_e32 v89, v89, v89
	v_max_f32_e32 v90, v90, v90
	s_waitcnt lgkmcnt(3)
	v_max_f32_e32 v91, v91, v91
	v_max_f32_e32 v92, v92, v92
	v_max_f32_e32 v93, v93, v93
	v_max_f32_e32 v94, v94, v94
	s_waitcnt lgkmcnt(2)
	v_max_f32_e32 v95, v95, v95
	v_max_f32_e32 v96, v96, v96
	v_max_f32_e32 v97, v97, v97
	v_max_f32_e32 v98, v98, v98
	;; [unrolled: 5-line block ×3, first 2 shown]
	v_max_f32_e32 v85, v85, v85
	v_max_f32_e32 v86, v86, v86
	s_waitcnt lgkmcnt(0)
	v_max_f32_e32 v103, v103, v103
	v_max_f32_e32 v104, v104, v104
	;; [unrolled: 1-line block ×4, first 2 shown]
	v_min_f32_e32 v107, v87, v83
	v_min_f32_e32 v108, v88, v84
	;; [unrolled: 1-line block ×64, first 2 shown]
	v_add_f32_e32 v71, v108, v71
	v_add_f32_e32 v70, v107, v70
	;; [unrolled: 1-line block ×64, first 2 shown]
	s_cbranch_vccz .LBB41_27
; %bb.28:                               ;   in Loop: Header=BB41_16 Depth=1
	s_add_i32 s11, s11, 8
	s_add_i32 s9, s9, 8
	s_cmp_ge_i32 s11, s8
	ds_write_b32 v4, v3
	ds_write2st64_b32 v5, v2, v82 offset1:4
	s_waitcnt lgkmcnt(0)
	s_barrier
	buffer_gl0_inv
	s_cbranch_scc0 .LBB41_16
.LBB41_29:
	s_mov_b32 s8, 0
	s_mov_b32 s1, -1
.LBB41_30:                              ; =>This Inner Loop Header: Depth=1
	s_lshl_b32 s8, s8, 2
	v_cndmask_b32_e64 v2, 0, 1, s1
	v_add_nc_u32_e32 v12, s8, v77
	v_add_nc_u32_e32 v13, s8, v76
	s_mov_b32 s1, 0
	s_mov_b32 s8, 2
	v_cmp_ne_u32_e32 vcc_lo, 1, v2
	ds_read2st64_b64 v[2:5], v12 offset1:1
	ds_read2_b64 v[72:75], v13 offset1:16
	ds_read2_b64 v[78:81], v13 offset0:32 offset1:48
	ds_read2_b64 v[82:85], v13 offset0:64 offset1:80
	;; [unrolled: 1-line block ×3, first 2 shown]
	ds_read2st64_b64 v[90:93], v12 offset0:2 offset1:3
	s_and_b32 vcc_lo, exec_lo, vcc_lo
	s_waitcnt lgkmcnt(5)
	v_max_f32_e32 v2, v2, v2
	s_waitcnt lgkmcnt(4)
	v_max_f32_e32 v12, v72, v72
	v_max_f32_e32 v3, v3, v3
	;; [unrolled: 1-line block ×5, first 2 shown]
	s_waitcnt lgkmcnt(3)
	v_max_f32_e32 v74, v78, v78
	v_max_f32_e32 v75, v79, v79
	v_max_f32_e32 v78, v80, v80
	v_max_f32_e32 v79, v81, v81
	s_waitcnt lgkmcnt(2)
	v_max_f32_e32 v80, v82, v82
	v_max_f32_e32 v81, v83, v83
	v_max_f32_e32 v82, v84, v84
	v_max_f32_e32 v83, v85, v85
	;; [unrolled: 5-line block ×3, first 2 shown]
	v_max_f32_e32 v4, v4, v4
	v_max_f32_e32 v5, v5, v5
	s_waitcnt lgkmcnt(0)
	v_max_f32_e32 v88, v90, v90
	v_max_f32_e32 v89, v91, v91
	;; [unrolled: 1-line block ×4, first 2 shown]
	v_min_f32_e32 v92, v12, v2
	v_min_f32_e32 v93, v13, v3
	;; [unrolled: 1-line block ×64, first 2 shown]
	v_add_f32_e32 v71, v93, v71
	v_add_f32_e32 v70, v92, v70
	;; [unrolled: 1-line block ×64, first 2 shown]
	s_cbranch_vccz .LBB41_30
; %bb.31:
	s_load_dword s8, s[4:5], 0x50
	v_add_nc_u32_e32 v72, s10, v1
	v_add_nc_u32_e32 v12, s3, v0
	v_cndmask_b32_e64 v0, 0, 1, s2
	v_mov_b32_e32 v4, 0
	v_ashrrev_i32_e32 v13, 31, v12
	v_cmp_ne_u32_e64 s1, 1, v0
	s_waitcnt lgkmcnt(0)
	v_mad_i64_i32 v[1:2], null, v72, s8, 0
	v_lshlrev_b64 v[2:3], 2, v[1:2]
	v_lshlrev_b64 v[0:1], 2, v[12:13]
	v_add_co_u32 v73, vcc_lo, s12, v2
	v_add_co_ci_u32_e64 v74, null, s13, v3, vcc_lo
	v_mov_b32_e32 v2, 0
	s_andn2_b32 vcc_lo, exec_lo, s2
	s_cbranch_vccnz .LBB41_33
; %bb.32:
	v_add_co_u32 v2, vcc_lo, v73, v0
	v_add_co_ci_u32_e64 v3, null, v74, v1, vcc_lo
	flat_load_dword v2, v[2:3]
	s_waitcnt vmcnt(0) lgkmcnt(0)
	v_mul_f32_e32 v2, s20, v2
.LBB41_33:
	s_clause 0x1
	s_load_dword s2, s[4:5], 0x68
	s_load_dwordx2 s[4:5], s[4:5], 0x70
	v_add_f32_e32 v3, v70, v71
	v_add_nc_u32_e32 v77, 8, v12
	v_add_f32_e32 v5, v3, v2
	v_ashrrev_i32_e32 v78, 31, v77
	v_lshlrev_b64 v[2:3], 2, v[77:78]
	s_waitcnt lgkmcnt(0)
	v_mad_i64_i32 v[75:76], null, v72, s2, 0
	s_lshl_b64 s[4:5], s[4:5], 2
	s_add_u32 s3, s6, s4
	s_addc_u32 s4, s7, s5
	v_lshlrev_b64 v[70:71], 2, v[75:76]
	v_add_co_u32 v70, vcc_lo, s3, v70
	v_add_co_ci_u32_e64 v71, null, s4, v71, vcc_lo
	v_add_co_u32 v75, vcc_lo, v70, v0
	v_add_co_ci_u32_e64 v76, null, v71, v1, vcc_lo
	s_and_b32 vcc_lo, exec_lo, s1
	flat_store_dword v[75:76], v5
	s_cbranch_vccnz .LBB41_35
; %bb.34:
	v_add_co_u32 v4, vcc_lo, v73, v2
	v_add_co_ci_u32_e64 v5, null, v74, v3, vcc_lo
	flat_load_dword v4, v[4:5]
	s_waitcnt vmcnt(0) lgkmcnt(0)
	v_mul_f32_e32 v4, s20, v4
.LBB41_35:
	v_add_nc_u32_e32 v75, 16, v12
	v_add_f32_e32 v5, v68, v69
	v_add_co_u32 v77, vcc_lo, v70, v2
	v_add_co_ci_u32_e64 v78, null, v71, v3, vcc_lo
	v_ashrrev_i32_e32 v76, 31, v75
	v_add_f32_e32 v69, v5, v4
	v_mov_b32_e32 v13, 0
	v_mov_b32_e32 v68, 0
	s_and_b32 vcc_lo, exec_lo, s1
	v_lshlrev_b64 v[4:5], 2, v[75:76]
	flat_store_dword v[77:78], v69
	s_cbranch_vccnz .LBB41_37
; %bb.36:
	v_add_co_u32 v68, vcc_lo, v73, v4
	v_add_co_ci_u32_e64 v69, null, v74, v5, vcc_lo
	flat_load_dword v68, v[68:69]
	s_waitcnt vmcnt(0) lgkmcnt(0)
	v_mul_f32_e32 v68, s20, v68
.LBB41_37:
	v_add_nc_u32_e32 v75, 24, v12
	v_add_f32_e32 v6, v6, v7
	v_ashrrev_i32_e32 v76, 31, v75
	v_add_f32_e32 v77, v6, v68
	v_add_co_u32 v68, vcc_lo, v70, v4
	v_add_co_ci_u32_e64 v69, null, v71, v5, vcc_lo
	v_lshlrev_b64 v[6:7], 2, v[75:76]
	s_and_b32 vcc_lo, exec_lo, s1
	flat_store_dword v[68:69], v77
	s_cbranch_vccnz .LBB41_39
; %bb.38:
	v_add_co_u32 v68, vcc_lo, v73, v6
	v_add_co_ci_u32_e64 v69, null, v74, v7, vcc_lo
	flat_load_dword v13, v[68:69]
	s_waitcnt vmcnt(0) lgkmcnt(0)
	v_mul_f32_e32 v13, s20, v13
.LBB41_39:
	v_add_nc_u32_e32 v68, 32, v12
	v_add_f32_e32 v10, v10, v11
	v_add_co_u32 v75, vcc_lo, v70, v6
	v_add_co_ci_u32_e64 v76, null, v71, v7, vcc_lo
	v_ashrrev_i32_e32 v69, 31, v68
	v_add_f32_e32 v77, v10, v13
	v_mov_b32_e32 v13, 0
	s_and_b32 vcc_lo, exec_lo, s1
	v_lshlrev_b64 v[10:11], 2, v[68:69]
	v_mov_b32_e32 v68, 0
	flat_store_dword v[75:76], v77
	s_cbranch_vccnz .LBB41_41
; %bb.40:
	v_add_co_u32 v68, vcc_lo, v73, v10
	v_add_co_ci_u32_e64 v69, null, v74, v11, vcc_lo
	flat_load_dword v68, v[68:69]
	s_waitcnt vmcnt(0) lgkmcnt(0)
	v_mul_f32_e32 v68, s20, v68
.LBB41_41:
	v_add_nc_u32_e32 v75, 40, v12
	v_add_f32_e32 v14, v14, v15
	v_ashrrev_i32_e32 v76, 31, v75
	v_add_f32_e32 v77, v14, v68
	v_add_co_u32 v68, vcc_lo, v70, v10
	v_add_co_ci_u32_e64 v69, null, v71, v11, vcc_lo
	v_lshlrev_b64 v[14:15], 2, v[75:76]
	s_and_b32 vcc_lo, exec_lo, s1
	flat_store_dword v[68:69], v77
	s_cbranch_vccnz .LBB41_43
; %bb.42:
	v_add_co_u32 v68, vcc_lo, v73, v14
	v_add_co_ci_u32_e64 v69, null, v74, v15, vcc_lo
	flat_load_dword v13, v[68:69]
	s_waitcnt vmcnt(0) lgkmcnt(0)
	v_mul_f32_e32 v13, s20, v13
.LBB41_43:
	v_add_nc_u32_e32 v75, 48, v12
	v_add_f32_e32 v8, v8, v9
	v_add_co_u32 v77, vcc_lo, v70, v14
	v_add_co_ci_u32_e64 v78, null, v71, v15, vcc_lo
	v_ashrrev_i32_e32 v76, 31, v75
	v_add_f32_e32 v69, v8, v13
	v_mov_b32_e32 v68, 0
	v_mov_b32_e32 v13, 0
	s_and_b32 vcc_lo, exec_lo, s1
	v_lshlrev_b64 v[8:9], 2, v[75:76]
	flat_store_dword v[77:78], v69
	s_cbranch_vccnz .LBB41_45
; %bb.44:
	v_add_co_u32 v75, vcc_lo, v73, v8
	v_add_co_ci_u32_e64 v76, null, v74, v9, vcc_lo
	flat_load_dword v13, v[75:76]
	s_waitcnt vmcnt(0) lgkmcnt(0)
	v_mul_f32_e32 v13, s20, v13
.LBB41_45:
	v_add_nc_u32_e32 v75, 56, v12
	v_add_f32_e32 v12, v66, v67
	v_add_co_u32 v66, vcc_lo, v70, v8
	v_add_co_ci_u32_e64 v67, null, v71, v9, vcc_lo
	v_ashrrev_i32_e32 v76, 31, v75
	v_add_f32_e32 v69, v12, v13
	s_and_b32 vcc_lo, exec_lo, s1
	v_lshlrev_b64 v[12:13], 2, v[75:76]
	flat_store_dword v[66:67], v69
	s_cbranch_vccnz .LBB41_47
; %bb.46:
	v_add_co_u32 v66, vcc_lo, v73, v12
	v_add_co_ci_u32_e64 v67, null, v74, v13, vcc_lo
	flat_load_dword v66, v[66:67]
	s_waitcnt vmcnt(0) lgkmcnt(0)
	v_mul_f32_e32 v68, s20, v66
.LBB41_47:
	v_add_nc_u32_e32 v67, 32, v72
	v_add_f32_e32 v75, v64, v65
	v_add_co_u32 v69, vcc_lo, v70, v12
	v_add_co_ci_u32_e64 v70, null, v71, v13, vcc_lo
	v_mad_i64_i32 v[73:74], null, v67, s8, 0
	v_mov_b32_e32 v66, 0
	v_add_f32_e32 v71, v75, v68
	v_mov_b32_e32 v68, 0
	flat_store_dword v[69:70], v71
	v_lshlrev_b64 v[64:65], 2, v[73:74]
	v_add_co_u32 v64, vcc_lo, s12, v64
	v_add_co_ci_u32_e64 v65, null, s13, v65, vcc_lo
	s_and_b32 vcc_lo, exec_lo, s1
	s_cbranch_vccnz .LBB41_49
; %bb.48:
	v_add_co_u32 v68, vcc_lo, v64, v0
	v_add_co_ci_u32_e64 v69, null, v65, v1, vcc_lo
	flat_load_dword v68, v[68:69]
	s_waitcnt vmcnt(0) lgkmcnt(0)
	v_mul_f32_e32 v68, s20, v68
.LBB41_49:
	v_mad_i64_i32 v[69:70], null, v67, s2, 0
	v_add_f32_e32 v67, v62, v63
	v_lshlrev_b64 v[69:70], 2, v[69:70]
	v_add_co_u32 v62, vcc_lo, s3, v69
	v_add_co_ci_u32_e64 v63, null, s4, v70, vcc_lo
	v_add_f32_e32 v69, v67, v68
	v_add_co_u32 v67, vcc_lo, v62, v0
	v_add_co_ci_u32_e64 v68, null, v63, v1, vcc_lo
	s_and_b32 vcc_lo, exec_lo, s1
	flat_store_dword v[67:68], v69
	s_cbranch_vccnz .LBB41_51
; %bb.50:
	v_add_co_u32 v66, vcc_lo, v64, v2
	v_add_co_ci_u32_e64 v67, null, v65, v3, vcc_lo
	flat_load_dword v66, v[66:67]
	s_waitcnt vmcnt(0) lgkmcnt(0)
	v_mul_f32_e32 v66, s20, v66
.LBB41_51:
	v_add_f32_e32 v60, v60, v61
	v_add_co_u32 v67, vcc_lo, v62, v2
	v_add_co_ci_u32_e64 v68, null, v63, v3, vcc_lo
	v_add_f32_e32 v66, v60, v66
	v_mov_b32_e32 v60, 0
	v_mov_b32_e32 v61, 0
	s_and_b32 vcc_lo, exec_lo, s1
	flat_store_dword v[67:68], v66
	s_cbranch_vccnz .LBB41_53
; %bb.52:
	v_add_co_u32 v66, vcc_lo, v64, v4
	v_add_co_ci_u32_e64 v67, null, v65, v5, vcc_lo
	flat_load_dword v61, v[66:67]
	s_waitcnt vmcnt(0) lgkmcnt(0)
	v_mul_f32_e32 v61, s20, v61
.LBB41_53:
	v_add_f32_e32 v58, v58, v59
	v_add_f32_e32 v61, v58, v61
	v_add_co_u32 v58, vcc_lo, v62, v4
	v_add_co_ci_u32_e64 v59, null, v63, v5, vcc_lo
	s_and_b32 vcc_lo, exec_lo, s1
	flat_store_dword v[58:59], v61
	s_cbranch_vccnz .LBB41_55
; %bb.54:
	v_add_co_u32 v58, vcc_lo, v64, v6
	v_add_co_ci_u32_e64 v59, null, v65, v7, vcc_lo
	flat_load_dword v58, v[58:59]
	s_waitcnt vmcnt(0) lgkmcnt(0)
	v_mul_f32_e32 v60, s20, v58
.LBB41_55:
	v_add_f32_e32 v56, v56, v57
	v_add_co_u32 v58, vcc_lo, v62, v6
	v_add_co_ci_u32_e64 v59, null, v63, v7, vcc_lo
	v_add_f32_e32 v60, v56, v60
	v_mov_b32_e32 v56, 0
	v_mov_b32_e32 v57, 0
	s_and_b32 vcc_lo, exec_lo, s1
	flat_store_dword v[58:59], v60
	s_cbranch_vccnz .LBB41_57
; %bb.56:
	v_add_co_u32 v57, vcc_lo, v64, v10
	v_add_co_ci_u32_e64 v58, null, v65, v11, vcc_lo
	flat_load_dword v57, v[57:58]
	s_waitcnt vmcnt(0) lgkmcnt(0)
	v_mul_f32_e32 v57, s20, v57
.LBB41_57:
	v_add_f32_e32 v54, v54, v55
	;; [unrolled: 30-line block ×3, first 2 shown]
	v_add_f32_e32 v53, v50, v53
	v_add_co_u32 v50, vcc_lo, v62, v8
	v_add_co_ci_u32_e64 v51, null, v63, v9, vcc_lo
	s_and_b32 vcc_lo, exec_lo, s1
	flat_store_dword v[50:51], v53
	s_cbranch_vccnz .LBB41_63
; %bb.62:
	v_add_co_u32 v50, vcc_lo, v64, v12
	v_add_co_ci_u32_e64 v51, null, v65, v13, vcc_lo
	flat_load_dword v50, v[50:51]
	s_waitcnt vmcnt(0) lgkmcnt(0)
	v_mul_f32_e32 v52, s20, v50
.LBB41_63:
	v_add_nc_u32_e32 v51, 64, v72
	v_add_f32_e32 v55, v48, v49
	v_mov_b32_e32 v50, 0
	v_mad_i64_i32 v[53:54], null, v51, s8, 0
	v_add_f32_e32 v55, v55, v52
	v_mov_b32_e32 v52, 0
	v_lshlrev_b64 v[48:49], 2, v[53:54]
	v_add_co_u32 v53, vcc_lo, v62, v12
	v_add_co_ci_u32_e64 v54, null, v63, v13, vcc_lo
	v_add_co_u32 v48, vcc_lo, s12, v48
	v_add_co_ci_u32_e64 v49, null, s13, v49, vcc_lo
	s_and_b32 vcc_lo, exec_lo, s1
	flat_store_dword v[53:54], v55
	s_cbranch_vccnz .LBB41_65
; %bb.64:
	v_add_co_u32 v52, vcc_lo, v48, v0
	v_add_co_ci_u32_e64 v53, null, v49, v1, vcc_lo
	flat_load_dword v52, v[52:53]
	s_waitcnt vmcnt(0) lgkmcnt(0)
	v_mul_f32_e32 v52, s20, v52
.LBB41_65:
	v_mad_i64_i32 v[53:54], null, v51, s2, 0
	v_add_f32_e32 v51, v46, v47
	v_lshlrev_b64 v[53:54], 2, v[53:54]
	v_add_co_u32 v46, vcc_lo, s3, v53
	v_add_co_ci_u32_e64 v47, null, s4, v54, vcc_lo
	v_add_f32_e32 v53, v51, v52
	v_add_co_u32 v51, vcc_lo, v46, v0
	v_add_co_ci_u32_e64 v52, null, v47, v1, vcc_lo
	s_and_b32 vcc_lo, exec_lo, s1
	flat_store_dword v[51:52], v53
	s_cbranch_vccnz .LBB41_67
; %bb.66:
	v_add_co_u32 v50, vcc_lo, v48, v2
	v_add_co_ci_u32_e64 v51, null, v49, v3, vcc_lo
	flat_load_dword v50, v[50:51]
	s_waitcnt vmcnt(0) lgkmcnt(0)
	v_mul_f32_e32 v50, s20, v50
.LBB41_67:
	v_add_f32_e32 v44, v44, v45
	v_add_co_u32 v51, vcc_lo, v46, v2
	v_add_co_ci_u32_e64 v52, null, v47, v3, vcc_lo
	v_add_f32_e32 v50, v44, v50
	v_mov_b32_e32 v44, 0
	v_mov_b32_e32 v45, 0
	s_and_b32 vcc_lo, exec_lo, s1
	flat_store_dword v[51:52], v50
	s_cbranch_vccnz .LBB41_69
; %bb.68:
	v_add_co_u32 v50, vcc_lo, v48, v4
	v_add_co_ci_u32_e64 v51, null, v49, v5, vcc_lo
	flat_load_dword v45, v[50:51]
	s_waitcnt vmcnt(0) lgkmcnt(0)
	v_mul_f32_e32 v45, s20, v45
.LBB41_69:
	v_add_f32_e32 v42, v42, v43
	v_add_f32_e32 v45, v42, v45
	v_add_co_u32 v42, vcc_lo, v46, v4
	v_add_co_ci_u32_e64 v43, null, v47, v5, vcc_lo
	s_and_b32 vcc_lo, exec_lo, s1
	flat_store_dword v[42:43], v45
	s_cbranch_vccnz .LBB41_71
; %bb.70:
	v_add_co_u32 v42, vcc_lo, v48, v6
	v_add_co_ci_u32_e64 v43, null, v49, v7, vcc_lo
	flat_load_dword v42, v[42:43]
	s_waitcnt vmcnt(0) lgkmcnt(0)
	v_mul_f32_e32 v44, s20, v42
.LBB41_71:
	v_add_f32_e32 v40, v40, v41
	v_add_co_u32 v42, vcc_lo, v46, v6
	v_add_co_ci_u32_e64 v43, null, v47, v7, vcc_lo
	v_add_f32_e32 v44, v40, v44
	v_mov_b32_e32 v40, 0
	v_mov_b32_e32 v41, 0
	s_and_b32 vcc_lo, exec_lo, s1
	flat_store_dword v[42:43], v44
	s_cbranch_vccnz .LBB41_73
; %bb.72:
	v_add_co_u32 v41, vcc_lo, v48, v10
	v_add_co_ci_u32_e64 v42, null, v49, v11, vcc_lo
	flat_load_dword v41, v[41:42]
	s_waitcnt vmcnt(0) lgkmcnt(0)
	v_mul_f32_e32 v41, s20, v41
.LBB41_73:
	v_add_f32_e32 v38, v38, v39
	;; [unrolled: 30-line block ×3, first 2 shown]
	v_add_f32_e32 v37, v34, v37
	v_add_co_u32 v34, vcc_lo, v46, v8
	v_add_co_ci_u32_e64 v35, null, v47, v9, vcc_lo
	s_and_b32 vcc_lo, exec_lo, s1
	flat_store_dword v[34:35], v37
	s_cbranch_vccnz .LBB41_79
; %bb.78:
	v_add_co_u32 v34, vcc_lo, v48, v12
	v_add_co_ci_u32_e64 v35, null, v49, v13, vcc_lo
	flat_load_dword v34, v[34:35]
	s_waitcnt vmcnt(0) lgkmcnt(0)
	v_mul_f32_e32 v36, s20, v34
.LBB41_79:
	v_add_nc_u32_e32 v35, 0x60, v72
	v_add_f32_e32 v39, v32, v33
	v_mov_b32_e32 v34, 0
	v_mad_i64_i32 v[37:38], null, v35, s8, 0
	v_add_f32_e32 v39, v39, v36
	v_mov_b32_e32 v36, 0
	v_lshlrev_b64 v[32:33], 2, v[37:38]
	v_add_co_u32 v37, vcc_lo, v46, v12
	v_add_co_ci_u32_e64 v38, null, v47, v13, vcc_lo
	v_add_co_u32 v32, vcc_lo, s12, v32
	v_add_co_ci_u32_e64 v33, null, s13, v33, vcc_lo
	s_and_b32 vcc_lo, exec_lo, s1
	flat_store_dword v[37:38], v39
	s_cbranch_vccnz .LBB41_81
; %bb.80:
	v_add_co_u32 v36, vcc_lo, v32, v0
	v_add_co_ci_u32_e64 v37, null, v33, v1, vcc_lo
	flat_load_dword v36, v[36:37]
	s_waitcnt vmcnt(0) lgkmcnt(0)
	v_mul_f32_e32 v36, s20, v36
.LBB41_81:
	v_mad_i64_i32 v[37:38], null, v35, s2, 0
	v_add_f32_e32 v35, v30, v31
	v_add_f32_e32 v35, v35, v36
	v_lshlrev_b64 v[37:38], 2, v[37:38]
	v_add_co_u32 v30, vcc_lo, s3, v37
	v_add_co_ci_u32_e64 v31, null, s4, v38, vcc_lo
	v_add_co_u32 v0, vcc_lo, v30, v0
	v_add_co_ci_u32_e64 v1, null, v31, v1, vcc_lo
	s_and_b32 vcc_lo, exec_lo, s1
	flat_store_dword v[0:1], v35
	s_cbranch_vccnz .LBB41_83
; %bb.82:
	v_add_co_u32 v0, vcc_lo, v32, v2
	v_add_co_ci_u32_e64 v1, null, v33, v3, vcc_lo
	flat_load_dword v0, v[0:1]
	s_waitcnt vmcnt(0) lgkmcnt(0)
	v_mul_f32_e32 v34, s20, v0
.LBB41_83:
	v_add_f32_e32 v0, v28, v29
	v_add_co_u32 v2, vcc_lo, v30, v2
	v_add_co_ci_u32_e64 v3, null, v31, v3, vcc_lo
	v_add_f32_e32 v28, v0, v34
	v_mov_b32_e32 v0, 0
	v_mov_b32_e32 v1, 0
	s_and_b32 vcc_lo, exec_lo, s1
	flat_store_dword v[2:3], v28
	s_cbranch_vccnz .LBB41_85
; %bb.84:
	v_add_co_u32 v1, vcc_lo, v32, v4
	v_add_co_ci_u32_e64 v2, null, v33, v5, vcc_lo
	flat_load_dword v1, v[1:2]
	s_waitcnt vmcnt(0) lgkmcnt(0)
	v_mul_f32_e32 v1, s20, v1
.LBB41_85:
	v_add_f32_e32 v2, v26, v27
	v_add_f32_e32 v3, v2, v1
	v_add_co_u32 v1, vcc_lo, v30, v4
	v_add_co_ci_u32_e64 v2, null, v31, v5, vcc_lo
	s_and_b32 vcc_lo, exec_lo, s1
	flat_store_dword v[1:2], v3
	s_cbranch_vccnz .LBB41_87
; %bb.86:
	v_add_co_u32 v0, vcc_lo, v32, v6
	v_add_co_ci_u32_e64 v1, null, v33, v7, vcc_lo
	flat_load_dword v0, v[0:1]
	s_waitcnt vmcnt(0) lgkmcnt(0)
	v_mul_f32_e32 v0, s20, v0
.LBB41_87:
	v_add_f32_e32 v1, v24, v25
	v_add_co_u32 v2, vcc_lo, v30, v6
	v_add_co_ci_u32_e64 v3, null, v31, v7, vcc_lo
	v_add_f32_e32 v4, v1, v0
	v_mov_b32_e32 v0, 0
	v_mov_b32_e32 v1, 0
	s_and_b32 vcc_lo, exec_lo, s1
	flat_store_dword v[2:3], v4
	s_cbranch_vccnz .LBB41_89
; %bb.88:
	v_add_co_u32 v1, vcc_lo, v32, v10
	v_add_co_ci_u32_e64 v2, null, v33, v11, vcc_lo
	flat_load_dword v1, v[1:2]
	s_waitcnt vmcnt(0) lgkmcnt(0)
	v_mul_f32_e32 v1, s20, v1
.LBB41_89:
	v_add_f32_e32 v2, v22, v23
	v_add_f32_e32 v3, v2, v1
	v_add_co_u32 v1, vcc_lo, v30, v10
	v_add_co_ci_u32_e64 v2, null, v31, v11, vcc_lo
	s_and_b32 vcc_lo, exec_lo, s1
	flat_store_dword v[1:2], v3
	s_cbranch_vccnz .LBB41_91
; %bb.90:
	v_add_co_u32 v0, vcc_lo, v32, v14
	v_add_co_ci_u32_e64 v1, null, v33, v15, vcc_lo
	flat_load_dword v0, v[0:1]
	s_waitcnt vmcnt(0) lgkmcnt(0)
	v_mul_f32_e32 v0, s20, v0
.LBB41_91:
	v_add_f32_e32 v3, v20, v21
	v_add_co_u32 v1, vcc_lo, v30, v14
	v_add_co_ci_u32_e64 v2, null, v31, v15, vcc_lo
	v_add_f32_e32 v3, v3, v0
	v_add_f32_e32 v0, v18, v19
	s_mov_b32 s1, -1
	s_mov_b32 vcc_lo, s0
	flat_store_dword v[1:2], v3
	s_cbranch_vccz .LBB41_93
; %bb.92:
	v_add_co_u32 v1, vcc_lo, v30, v8
	v_add_f32_e32 v3, 0, v0
	v_add_co_ci_u32_e64 v2, null, v31, v9, vcc_lo
	s_mov_b32 s1, 0
	flat_store_dword v[1:2], v3
.LBB41_93:
	v_mov_b32_e32 v1, 0
	s_andn2_b32 vcc_lo, exec_lo, s1
	s_cbranch_vccnz .LBB41_95
; %bb.94:
	v_add_co_u32 v1, vcc_lo, v32, v8
	v_add_co_ci_u32_e64 v2, null, v33, v9, vcc_lo
	flat_load_dword v3, v[1:2]
	v_add_co_u32 v1, vcc_lo, v30, v8
	v_add_co_ci_u32_e64 v2, null, v31, v9, vcc_lo
	s_waitcnt vmcnt(0) lgkmcnt(0)
	v_fmac_f32_e32 v0, s20, v3
	v_add_co_u32 v3, vcc_lo, v32, v12
	v_add_co_ci_u32_e64 v4, null, v33, v13, vcc_lo
	flat_store_dword v[1:2], v0
	flat_load_dword v0, v[3:4]
	s_waitcnt vmcnt(0) lgkmcnt(0)
	v_mul_f32_e32 v1, s20, v0
.LBB41_95:
	v_add_f32_e32 v0, v16, v17
	v_add_f32_e32 v2, v0, v1
	v_add_co_u32 v0, vcc_lo, v30, v12
	v_add_co_ci_u32_e64 v1, null, v31, v13, vcc_lo
	flat_store_dword v[0:1], v2
	s_endpgm
	.section	.rodata,"a",@progbits
	.p2align	6, 0x0
	.amdhsa_kernel _ZN12_GLOBAL__N_120geam_min_plus_kernelIf15HIP_vector_typeIfLj2EES2_Li8ELi32ELi64ELi128ELi4ELi64ELi4ELi64ELi4ELc78ELc84ELb0ELb0ELb0EfKPKfKPfEEviiiT16_PT17_ilSA_ilS8_SA_ilPT18_ili26rocblas_geam_ex_operation_
		.amdhsa_group_segment_fixed_size 6144
		.amdhsa_private_segment_fixed_size 0
		.amdhsa_kernarg_size 128
		.amdhsa_user_sgpr_count 6
		.amdhsa_user_sgpr_private_segment_buffer 1
		.amdhsa_user_sgpr_dispatch_ptr 0
		.amdhsa_user_sgpr_queue_ptr 0
		.amdhsa_user_sgpr_kernarg_segment_ptr 1
		.amdhsa_user_sgpr_dispatch_id 0
		.amdhsa_user_sgpr_flat_scratch_init 0
		.amdhsa_user_sgpr_private_segment_size 0
		.amdhsa_wavefront_size32 1
		.amdhsa_uses_dynamic_stack 0
		.amdhsa_system_sgpr_private_segment_wavefront_offset 0
		.amdhsa_system_sgpr_workgroup_id_x 1
		.amdhsa_system_sgpr_workgroup_id_y 0
		.amdhsa_system_sgpr_workgroup_id_z 1
		.amdhsa_system_sgpr_workgroup_info 0
		.amdhsa_system_vgpr_workitem_id 1
		.amdhsa_next_free_vgpr 149
		.amdhsa_next_free_sgpr 26
		.amdhsa_reserve_vcc 1
		.amdhsa_reserve_flat_scratch 1
		.amdhsa_float_round_mode_32 0
		.amdhsa_float_round_mode_16_64 0
		.amdhsa_float_denorm_mode_32 3
		.amdhsa_float_denorm_mode_16_64 3
		.amdhsa_dx10_clamp 1
		.amdhsa_ieee_mode 1
		.amdhsa_fp16_overflow 0
		.amdhsa_workgroup_processor_mode 1
		.amdhsa_memory_ordered 1
		.amdhsa_forward_progress 1
		.amdhsa_shared_vgpr_count 0
		.amdhsa_exception_fp_ieee_invalid_op 0
		.amdhsa_exception_fp_denorm_src 0
		.amdhsa_exception_fp_ieee_div_zero 0
		.amdhsa_exception_fp_ieee_overflow 0
		.amdhsa_exception_fp_ieee_underflow 0
		.amdhsa_exception_fp_ieee_inexact 0
		.amdhsa_exception_int_div_zero 0
	.end_amdhsa_kernel
	.section	.text._ZN12_GLOBAL__N_120geam_min_plus_kernelIf15HIP_vector_typeIfLj2EES2_Li8ELi32ELi64ELi128ELi4ELi64ELi4ELi64ELi4ELc78ELc84ELb0ELb0ELb0EfKPKfKPfEEviiiT16_PT17_ilSA_ilS8_SA_ilPT18_ili26rocblas_geam_ex_operation_,"axG",@progbits,_ZN12_GLOBAL__N_120geam_min_plus_kernelIf15HIP_vector_typeIfLj2EES2_Li8ELi32ELi64ELi128ELi4ELi64ELi4ELi64ELi4ELc78ELc84ELb0ELb0ELb0EfKPKfKPfEEviiiT16_PT17_ilSA_ilS8_SA_ilPT18_ili26rocblas_geam_ex_operation_,comdat
.Lfunc_end41:
	.size	_ZN12_GLOBAL__N_120geam_min_plus_kernelIf15HIP_vector_typeIfLj2EES2_Li8ELi32ELi64ELi128ELi4ELi64ELi4ELi64ELi4ELc78ELc84ELb0ELb0ELb0EfKPKfKPfEEviiiT16_PT17_ilSA_ilS8_SA_ilPT18_ili26rocblas_geam_ex_operation_, .Lfunc_end41-_ZN12_GLOBAL__N_120geam_min_plus_kernelIf15HIP_vector_typeIfLj2EES2_Li8ELi32ELi64ELi128ELi4ELi64ELi4ELi64ELi4ELc78ELc84ELb0ELb0ELb0EfKPKfKPfEEviiiT16_PT17_ilSA_ilS8_SA_ilPT18_ili26rocblas_geam_ex_operation_
                                        ; -- End function
	.set _ZN12_GLOBAL__N_120geam_min_plus_kernelIf15HIP_vector_typeIfLj2EES2_Li8ELi32ELi64ELi128ELi4ELi64ELi4ELi64ELi4ELc78ELc84ELb0ELb0ELb0EfKPKfKPfEEviiiT16_PT17_ilSA_ilS8_SA_ilPT18_ili26rocblas_geam_ex_operation_.num_vgpr, 149
	.set _ZN12_GLOBAL__N_120geam_min_plus_kernelIf15HIP_vector_typeIfLj2EES2_Li8ELi32ELi64ELi128ELi4ELi64ELi4ELi64ELi4ELc78ELc84ELb0ELb0ELb0EfKPKfKPfEEviiiT16_PT17_ilSA_ilS8_SA_ilPT18_ili26rocblas_geam_ex_operation_.num_agpr, 0
	.set _ZN12_GLOBAL__N_120geam_min_plus_kernelIf15HIP_vector_typeIfLj2EES2_Li8ELi32ELi64ELi128ELi4ELi64ELi4ELi64ELi4ELc78ELc84ELb0ELb0ELb0EfKPKfKPfEEviiiT16_PT17_ilSA_ilS8_SA_ilPT18_ili26rocblas_geam_ex_operation_.numbered_sgpr, 26
	.set _ZN12_GLOBAL__N_120geam_min_plus_kernelIf15HIP_vector_typeIfLj2EES2_Li8ELi32ELi64ELi128ELi4ELi64ELi4ELi64ELi4ELc78ELc84ELb0ELb0ELb0EfKPKfKPfEEviiiT16_PT17_ilSA_ilS8_SA_ilPT18_ili26rocblas_geam_ex_operation_.num_named_barrier, 0
	.set _ZN12_GLOBAL__N_120geam_min_plus_kernelIf15HIP_vector_typeIfLj2EES2_Li8ELi32ELi64ELi128ELi4ELi64ELi4ELi64ELi4ELc78ELc84ELb0ELb0ELb0EfKPKfKPfEEviiiT16_PT17_ilSA_ilS8_SA_ilPT18_ili26rocblas_geam_ex_operation_.private_seg_size, 0
	.set _ZN12_GLOBAL__N_120geam_min_plus_kernelIf15HIP_vector_typeIfLj2EES2_Li8ELi32ELi64ELi128ELi4ELi64ELi4ELi64ELi4ELc78ELc84ELb0ELb0ELb0EfKPKfKPfEEviiiT16_PT17_ilSA_ilS8_SA_ilPT18_ili26rocblas_geam_ex_operation_.uses_vcc, 1
	.set _ZN12_GLOBAL__N_120geam_min_plus_kernelIf15HIP_vector_typeIfLj2EES2_Li8ELi32ELi64ELi128ELi4ELi64ELi4ELi64ELi4ELc78ELc84ELb0ELb0ELb0EfKPKfKPfEEviiiT16_PT17_ilSA_ilS8_SA_ilPT18_ili26rocblas_geam_ex_operation_.uses_flat_scratch, 1
	.set _ZN12_GLOBAL__N_120geam_min_plus_kernelIf15HIP_vector_typeIfLj2EES2_Li8ELi32ELi64ELi128ELi4ELi64ELi4ELi64ELi4ELc78ELc84ELb0ELb0ELb0EfKPKfKPfEEviiiT16_PT17_ilSA_ilS8_SA_ilPT18_ili26rocblas_geam_ex_operation_.has_dyn_sized_stack, 0
	.set _ZN12_GLOBAL__N_120geam_min_plus_kernelIf15HIP_vector_typeIfLj2EES2_Li8ELi32ELi64ELi128ELi4ELi64ELi4ELi64ELi4ELc78ELc84ELb0ELb0ELb0EfKPKfKPfEEviiiT16_PT17_ilSA_ilS8_SA_ilPT18_ili26rocblas_geam_ex_operation_.has_recursion, 0
	.set _ZN12_GLOBAL__N_120geam_min_plus_kernelIf15HIP_vector_typeIfLj2EES2_Li8ELi32ELi64ELi128ELi4ELi64ELi4ELi64ELi4ELc78ELc84ELb0ELb0ELb0EfKPKfKPfEEviiiT16_PT17_ilSA_ilS8_SA_ilPT18_ili26rocblas_geam_ex_operation_.has_indirect_call, 0
	.section	.AMDGPU.csdata,"",@progbits
; Kernel info:
; codeLenInByte = 7680
; TotalNumSgprs: 28
; NumVgprs: 149
; ScratchSize: 0
; MemoryBound: 0
; FloatMode: 240
; IeeeMode: 1
; LDSByteSize: 6144 bytes/workgroup (compile time only)
; SGPRBlocks: 0
; VGPRBlocks: 18
; NumSGPRsForWavesPerEU: 28
; NumVGPRsForWavesPerEU: 149
; Occupancy: 6
; WaveLimiterHint : 1
; COMPUTE_PGM_RSRC2:SCRATCH_EN: 0
; COMPUTE_PGM_RSRC2:USER_SGPR: 6
; COMPUTE_PGM_RSRC2:TRAP_HANDLER: 0
; COMPUTE_PGM_RSRC2:TGID_X_EN: 1
; COMPUTE_PGM_RSRC2:TGID_Y_EN: 0
; COMPUTE_PGM_RSRC2:TGID_Z_EN: 1
; COMPUTE_PGM_RSRC2:TIDIG_COMP_CNT: 1
	.section	.text._ZN12_GLOBAL__N_120geam_min_plus_kernelIf15HIP_vector_typeIfLj2EES2_Li8ELi32ELi64ELi128ELi4ELi64ELi4ELi64ELi4ELc78ELc84ELb0ELb1ELb0EPKfKS4_KPfEEviiiT16_PT17_ilSA_ilS8_SA_ilPT18_ili26rocblas_geam_ex_operation_,"axG",@progbits,_ZN12_GLOBAL__N_120geam_min_plus_kernelIf15HIP_vector_typeIfLj2EES2_Li8ELi32ELi64ELi128ELi4ELi64ELi4ELi64ELi4ELc78ELc84ELb0ELb1ELb0EPKfKS4_KPfEEviiiT16_PT17_ilSA_ilS8_SA_ilPT18_ili26rocblas_geam_ex_operation_,comdat
	.globl	_ZN12_GLOBAL__N_120geam_min_plus_kernelIf15HIP_vector_typeIfLj2EES2_Li8ELi32ELi64ELi128ELi4ELi64ELi4ELi64ELi4ELc78ELc84ELb0ELb1ELb0EPKfKS4_KPfEEviiiT16_PT17_ilSA_ilS8_SA_ilPT18_ili26rocblas_geam_ex_operation_ ; -- Begin function _ZN12_GLOBAL__N_120geam_min_plus_kernelIf15HIP_vector_typeIfLj2EES2_Li8ELi32ELi64ELi128ELi4ELi64ELi4ELi64ELi4ELc78ELc84ELb0ELb1ELb0EPKfKS4_KPfEEviiiT16_PT17_ilSA_ilS8_SA_ilPT18_ili26rocblas_geam_ex_operation_
	.p2align	8
	.type	_ZN12_GLOBAL__N_120geam_min_plus_kernelIf15HIP_vector_typeIfLj2EES2_Li8ELi32ELi64ELi128ELi4ELi64ELi4ELi64ELi4ELc78ELc84ELb0ELb1ELb0EPKfKS4_KPfEEviiiT16_PT17_ilSA_ilS8_SA_ilPT18_ili26rocblas_geam_ex_operation_,@function
_ZN12_GLOBAL__N_120geam_min_plus_kernelIf15HIP_vector_typeIfLj2EES2_Li8ELi32ELi64ELi128ELi4ELi64ELi4ELi64ELi4ELc78ELc84ELb0ELb1ELb0EPKfKS4_KPfEEviiiT16_PT17_ilSA_ilS8_SA_ilPT18_ili26rocblas_geam_ex_operation_: ; @_ZN12_GLOBAL__N_120geam_min_plus_kernelIf15HIP_vector_typeIfLj2EES2_Li8ELi32ELi64ELi128ELi4ELi64ELi4ELi64ELi4ELc78ELc84ELb0ELb1ELb0EPKfKS4_KPfEEviiiT16_PT17_ilSA_ilS8_SA_ilPT18_ili26rocblas_geam_ex_operation_
; %bb.0:
	s_clause 0x1
	s_load_dwordx4 s[12:15], s[4:5], 0x10
	s_load_dwordx4 s[0:3], s[4:5], 0x28
	s_mov_b32 s20, s7
	s_mov_b32 s21, 0
	s_mov_b64 s[18:19], 0
	s_lshl_b64 s[16:17], s[20:21], 2
	s_waitcnt lgkmcnt(0)
	s_add_u32 s8, s12, s16
	s_addc_u32 s9, s13, s17
	s_load_dword s24, s[8:9], 0x0
	s_clause 0x1
	s_load_dwordx4 s[8:11], s[4:5], 0x40
	s_load_dwordx2 s[12:13], s[4:5], 0x50
	s_waitcnt lgkmcnt(0)
	v_cmp_eq_f32_e64 s7, s24, 0
	v_cmp_neq_f32_e64 s25, s24, 0
	s_add_u32 s10, s10, s16
	s_addc_u32 s11, s11, s17
	s_mov_b64 s[16:17], 0
	s_and_b32 vcc_lo, exec_lo, s7
	s_cbranch_vccnz .LBB42_2
; %bb.1:
	s_lshl_b64 s[18:19], s[20:21], 3
	s_add_u32 s14, s14, s18
	s_addc_u32 s15, s15, s19
	s_lshl_b64 s[0:1], s[0:1], 2
	s_load_dwordx2 s[14:15], s[14:15], 0x0
	s_waitcnt lgkmcnt(0)
	s_add_u32 s18, s14, s0
	s_addc_u32 s19, s15, s1
.LBB42_2:
	s_load_dword s22, s[10:11], 0x0
	s_andn2_b32 vcc_lo, exec_lo, s25
	s_cbranch_vccnz .LBB42_4
; %bb.3:
	s_lshl_b64 s[0:1], s[20:21], 3
	s_add_u32 s0, s2, s0
	s_addc_u32 s1, s3, s1
	s_lshl_b64 s[2:3], s[8:9], 2
	s_load_dwordx2 s[0:1], s[0:1], 0x0
	s_waitcnt lgkmcnt(0)
	s_add_u32 s16, s0, s2
	s_addc_u32 s17, s1, s3
.LBB42_4:
	s_load_dwordx4 s[0:3], s[4:5], 0x60
	s_waitcnt lgkmcnt(0)
	v_cmp_eq_f32_e64 s7, s22, 0
	v_cmp_neq_f32_e64 s23, s22, 0
	s_and_b32 vcc_lo, exec_lo, s7
	s_cbranch_vccnz .LBB42_6
; %bb.5:
	s_lshl_b64 s[8:9], s[20:21], 3
	s_add_u32 s8, s12, s8
	s_addc_u32 s9, s13, s9
	s_lshl_b64 s[0:1], s[0:1], 2
	s_load_dwordx2 s[8:9], s[8:9], 0x0
	s_waitcnt lgkmcnt(0)
	s_add_u32 s10, s8, s0
	s_addc_u32 s11, s9, s1
	s_branch .LBB42_7
.LBB42_6:
	s_mov_b64 s[10:11], 0
.LBB42_7:
	s_clause 0x1
	s_load_dword s26, s[4:5], 0x20
	s_load_dwordx4 s[12:15], s[4:5], 0x0
	s_lshl_b64 s[0:1], s[20:21], 3
	v_lshl_add_u32 v3, v1, 3, v0
	v_mov_b32_e32 v7, 0
	v_mov_b32_e32 v8, 0
	v_and_b32_e32 v75, 63, v3
	v_lshrrev_b32_e32 v70, 6, v3
	s_waitcnt lgkmcnt(0)
	s_ashr_i32 s21, s26, 31
	s_add_u32 s8, s2, s0
	s_addc_u32 s9, s3, s1
	s_add_i32 s0, s12, -1
	v_cmp_gt_i32_e32 vcc_lo, s14, v70
	s_ashr_i32 s1, s0, 31
	s_lshr_b32 s1, s1, 26
	s_add_i32 s0, s0, s1
	s_ashr_i32 s0, s0, 6
	s_add_i32 s2, s0, 1
	s_not_b32 s0, s0
	v_cvt_f32_u32_e32 v2, s2
	v_rcp_iflag_f32_e32 v2, v2
	v_mul_f32_e32 v2, 0x4f7ffffe, v2
	v_cvt_u32_f32_e32 v2, v2
	v_readfirstlane_b32 s1, v2
	s_mul_i32 s0, s0, s1
	s_mul_hi_u32 s0, s1, s0
	s_add_i32 s1, s1, s0
	s_mul_hi_u32 s0, s6, s1
	s_mul_i32 s1, s0, s2
	s_add_i32 s3, s0, 1
	s_sub_i32 s1, s6, s1
	s_sub_i32 s7, s1, s2
	s_cmp_ge_u32 s1, s2
	s_cselect_b32 s0, s3, s0
	s_cselect_b32 s1, s7, s1
	s_add_i32 s3, s0, 1
	s_cmp_ge_u32 s1, s2
	s_cselect_b32 s1, s3, s0
	s_mul_i32 s0, s1, s2
	s_sub_i32 s0, s6, s0
	s_lshl_b32 s15, s0, 6
	v_or_b32_e32 v2, s15, v75
	v_cmp_gt_i32_e64 s0, s12, v2
	v_ashrrev_i32_e32 v3, 31, v2
	s_and_b32 s2, vcc_lo, s0
	s_and_b32 s3, s25, s2
	s_and_saveexec_b32 s2, s3
	s_cbranch_execz .LBB42_9
; %bb.8:
	v_mad_i64_i32 v[4:5], null, s26, v70, 0
	v_lshlrev_b64 v[8:9], 2, v[2:3]
	v_lshlrev_b64 v[4:5], 2, v[4:5]
	v_add_co_u32 v4, vcc_lo, s18, v4
	v_add_co_ci_u32_e64 v5, null, s19, v5, vcc_lo
	v_add_co_u32 v4, vcc_lo, v4, v8
	v_add_co_ci_u32_e64 v5, null, v5, v9, vcc_lo
	flat_load_dword v4, v[4:5]
	s_waitcnt vmcnt(0) lgkmcnt(0)
	v_mul_f32_e32 v8, s24, v4
.LBB42_9:
	s_or_b32 exec_lo, exec_lo, s2
	s_load_dword s27, s[4:5], 0x38
	s_add_i32 s28, s14, -1
	s_lshl_b32 s20, s1, 7
	v_min_i32_e32 v4, s28, v70
	v_cmp_le_i32_e32 vcc_lo, s14, v70
	s_xor_b32 s29, s25, -1
	s_waitcnt lgkmcnt(0)
	v_mad_i64_i32 v[5:6], null, s27, v4, 0
	v_or_b32_e32 v4, s20, v75
	v_cmp_le_i32_e64 s1, s13, v4
	v_lshlrev_b64 v[9:10], 2, v[5:6]
	v_ashrrev_i32_e32 v5, 31, v4
	s_or_b32 s3, vcc_lo, s1
	v_add_co_u32 v6, s2, s16, v9
	v_add_co_ci_u32_e64 v10, null, s17, v10, s2
	s_nor_b32 s2, s3, s29
	s_and_saveexec_b32 s3, s2
	s_cbranch_execz .LBB42_11
; %bb.10:
	v_lshlrev_b64 v[11:12], 2, v[4:5]
	v_add_co_u32 v11, s2, v6, v11
	v_add_co_ci_u32_e64 v12, null, v10, v12, s2
	flat_load_dword v7, v[11:12]
	s_waitcnt vmcnt(0) lgkmcnt(0)
	v_mul_f32_e32 v7, s24, v7
.LBB42_11:
	s_or_b32 exec_lo, exec_lo, s3
	v_or_b32_e32 v9, 64, v4
	v_mov_b32_e32 v77, 0
	v_cmp_le_i32_e64 s2, s13, v9
	v_mov_b32_e32 v9, 0
	s_or_b32 s3, vcc_lo, s2
	s_nor_b32 s6, s3, s29
	s_and_saveexec_b32 s3, s6
	s_cbranch_execz .LBB42_13
; %bb.12:
	v_lshlrev_b64 v[11:12], 2, v[4:5]
	v_add_co_u32 v9, vcc_lo, v6, v11
	v_add_co_ci_u32_e64 v10, null, v10, v12, vcc_lo
	flat_load_dword v6, v[9:10] offset:256
	s_waitcnt vmcnt(0) lgkmcnt(0)
	v_mul_f32_e32 v9, s24, v6
.LBB42_13:
	s_or_b32 exec_lo, exec_lo, s3
	v_add_nc_u32_e32 v6, 4, v70
	v_cmp_gt_i32_e32 vcc_lo, s14, v6
	s_and_b32 s3, s0, vcc_lo
	s_and_b32 s6, s25, s3
	s_and_saveexec_b32 s3, s6
	s_cbranch_execz .LBB42_15
; %bb.14:
	v_mad_u64_u32 v[10:11], null, s26, v6, 0
	v_mad_u64_u32 v[11:12], null, s21, v6, v[11:12]
	v_lshlrev_b64 v[12:13], 2, v[2:3]
	v_lshlrev_b64 v[10:11], 2, v[10:11]
	v_add_co_u32 v10, vcc_lo, s18, v10
	v_add_co_ci_u32_e64 v11, null, s19, v11, vcc_lo
	v_add_co_u32 v10, vcc_lo, v10, v12
	v_add_co_ci_u32_e64 v11, null, v11, v13, vcc_lo
	flat_load_dword v10, v[10:11]
	s_waitcnt vmcnt(0) lgkmcnt(0)
	v_mul_f32_e32 v77, s24, v10
.LBB42_15:
	s_or_b32 exec_lo, exec_lo, s3
	v_min_i32_e32 v10, s28, v6
	v_cmp_le_i32_e32 vcc_lo, s14, v6
	v_mov_b32_e32 v78, 0
	v_mov_b32_e32 v79, 0
	v_mad_i64_i32 v[10:11], null, s27, v10, 0
	v_lshlrev_b64 v[10:11], 2, v[10:11]
	v_add_co_u32 v6, s3, s16, v10
	v_add_co_ci_u32_e64 v10, null, s17, v11, s3
	s_or_b32 s3, s1, vcc_lo
	s_nor_b32 s3, s3, s29
	s_and_saveexec_b32 s6, s3
	s_cbranch_execz .LBB42_17
; %bb.16:
	v_lshlrev_b64 v[11:12], 2, v[4:5]
	v_add_co_u32 v11, s3, v6, v11
	v_add_co_ci_u32_e64 v12, null, v10, v12, s3
	flat_load_dword v11, v[11:12]
	s_waitcnt vmcnt(0) lgkmcnt(0)
	v_mul_f32_e32 v79, s24, v11
.LBB42_17:
	s_or_b32 exec_lo, exec_lo, s6
	s_load_dwordx2 s[6:7], s[8:9], 0x0
	s_or_b32 s3, s2, vcc_lo
	s_nor_b32 s8, s3, s29
	s_and_saveexec_b32 s3, s8
	s_cbranch_execz .LBB42_19
; %bb.18:
	v_lshlrev_b64 v[11:12], 2, v[4:5]
	v_add_co_u32 v11, vcc_lo, v6, v11
	v_add_co_ci_u32_e64 v12, null, v10, v12, vcc_lo
	flat_load_dword v6, v[11:12] offset:256
	s_waitcnt vmcnt(0) lgkmcnt(0)
	v_mul_f32_e32 v78, s24, v6
.LBB42_19:
	s_or_b32 exec_lo, exec_lo, s3
	v_lshlrev_b32_e32 v6, 4, v75
	v_mov_b32_e32 v68, 0
	v_lshl_or_b32 v72, v0, 4, 0x1000
	v_lshlrev_b32_e32 v73, 4, v1
	s_mov_b32 s8, 0
	v_lshl_add_u32 v71, v70, 2, v6
	v_mov_b32_e32 v69, v68
	v_mov_b32_e32 v6, v68
	;; [unrolled: 1-line block ×4, first 2 shown]
	v_or_b32_e32 v74, 0x1000, v71
	ds_write_b32 v71, v8 offset:4096
	ds_write2st64_b32 v71, v7, v9 offset1:4
	v_mov_b32_e32 v7, v68
	v_mov_b32_e32 v8, v68
	;; [unrolled: 1-line block ×59, first 2 shown]
	s_mov_b32 s3, -1
	s_waitcnt lgkmcnt(0)
	s_barrier
	buffer_gl0_inv
.LBB42_20:                              ; =>This Inner Loop Header: Depth=1
	s_lshl_b32 s8, s8, 2
	v_cndmask_b32_e64 v76, 0, 1, s3
	v_add_nc_u32_e32 v92, s8, v72
	v_add_nc_u32_e32 v100, s8, v73
	s_mov_b32 s3, 0
	s_mov_b32 s8, 2
	v_cmp_ne_u32_e32 vcc_lo, 1, v76
	ds_read2_b64 v[80:83], v92 offset1:16
	ds_read2_b64 v[84:87], v92 offset0:32 offset1:48
	ds_read2_b64 v[88:91], v92 offset0:64 offset1:80
	;; [unrolled: 1-line block ×3, first 2 shown]
	ds_read2st64_b64 v[96:99], v100 offset1:1
	ds_read2st64_b64 v[100:103], v100 offset0:2 offset1:3
	s_and_b32 vcc_lo, exec_lo, vcc_lo
	s_waitcnt lgkmcnt(5)
	v_max_f32_e32 v76, v80, v80
	v_max_f32_e32 v80, v81, v81
	v_max_f32_e32 v81, v82, v82
	v_max_f32_e32 v82, v83, v83
	s_waitcnt lgkmcnt(4)
	v_max_f32_e32 v83, v84, v84
	v_max_f32_e32 v84, v85, v85
	v_max_f32_e32 v85, v86, v86
	v_max_f32_e32 v86, v87, v87
	;; [unrolled: 5-line block ×6, first 2 shown]
	v_min_f32_e32 v103, v76, v95
	v_min_f32_e32 v104, v81, v95
	;; [unrolled: 1-line block ×64, first 2 shown]
	v_add_f32_e32 v69, v69, v101
	v_add_f32_e32 v68, v68, v103
	;; [unrolled: 1-line block ×64, first 2 shown]
	s_cbranch_vccz .LBB42_20
; %bb.21:
	v_lshlrev_b32_e32 v76, 2, v70
	s_cmp_lt_i32 s14, 9
	v_lshl_add_u32 v80, v75, 4, v76
	v_lshl_add_u32 v75, v0, 4, 0x1400
	;; [unrolled: 1-line block ×3, first 2 shown]
	ds_write_b32 v80, v77 offset:5120
	ds_write2st64_b32 v80, v79, v78 offset0:8 offset1:12
	s_waitcnt lgkmcnt(0)
	s_barrier
	buffer_gl0_inv
	s_cbranch_scc1 .LBB42_40
; %bb.22:
	v_lshlrev_b64 v[81:82], 2, v[2:3]
	v_lshlrev_b64 v[2:3], 2, v[4:5]
	v_add_nc_u32_e32 v77, 0x1400, v80
	v_or_b32_e32 v78, 0x800, v80
	s_add_i32 s8, s14, -8
	s_mov_b32 s9, 8
	v_add_co_u32 v4, vcc_lo, s18, v81
	v_add_co_ci_u32_e64 v5, null, s19, v82, vcc_lo
	s_mov_b32 s18, 0
.LBB42_23:                              ; =>This Loop Header: Depth=1
                                        ;     Child Loop BB42_30 Depth 2
                                        ;     Child Loop BB42_38 Depth 2
	v_add_nc_u32_e32 v81, s9, v70
	v_mov_b32_e32 v79, 0
	v_mov_b32_e32 v80, 0
	v_cmp_gt_i32_e32 vcc_lo, s14, v81
	s_and_b32 s3, s0, vcc_lo
	s_and_b32 s19, s25, s3
	s_and_saveexec_b32 s3, s19
	s_cbranch_execz .LBB42_25
; %bb.24:                               ;   in Loop: Header=BB42_23 Depth=1
	v_mad_u64_u32 v[82:83], null, v81, s26, 0
	v_mov_b32_e32 v80, v83
	v_mad_u64_u32 v[83:84], null, v81, s21, v[80:81]
	v_lshlrev_b64 v[82:83], 2, v[82:83]
	v_add_co_u32 v82, vcc_lo, v4, v82
	v_add_co_ci_u32_e64 v83, null, v5, v83, vcc_lo
	flat_load_dword v80, v[82:83]
	s_waitcnt vmcnt(0) lgkmcnt(0)
	v_mul_f32_e32 v80, s24, v80
.LBB42_25:                              ;   in Loop: Header=BB42_23 Depth=1
	s_or_b32 exec_lo, exec_lo, s3
	v_min_i32_e32 v82, s28, v81
	v_cmp_le_i32_e32 vcc_lo, s14, v81
	v_mad_i64_i32 v[82:83], null, v82, s27, 0
	v_lshlrev_b64 v[82:83], 2, v[82:83]
	v_add_co_u32 v82, s3, s16, v82
	v_add_co_ci_u32_e64 v83, null, s17, v83, s3
	s_or_b32 s3, s1, vcc_lo
	s_nor_b32 s3, s3, s29
	s_and_saveexec_b32 s19, s3
	s_cbranch_execz .LBB42_27
; %bb.26:                               ;   in Loop: Header=BB42_23 Depth=1
	v_add_co_u32 v84, s3, v82, v2
	v_add_co_ci_u32_e64 v85, null, v83, v3, s3
	flat_load_dword v79, v[84:85]
	s_waitcnt vmcnt(0) lgkmcnt(0)
	v_mul_f32_e32 v79, s24, v79
.LBB42_27:                              ;   in Loop: Header=BB42_23 Depth=1
	s_or_b32 exec_lo, exec_lo, s19
	v_mov_b32_e32 v81, 0
	s_or_b32 s3, s2, vcc_lo
	s_nor_b32 s19, s3, s29
	s_and_saveexec_b32 s3, s19
	s_cbranch_execz .LBB42_29
; %bb.28:                               ;   in Loop: Header=BB42_23 Depth=1
	v_add_co_u32 v81, vcc_lo, v82, v2
	v_add_co_ci_u32_e64 v82, null, v83, v3, vcc_lo
	flat_load_dword v81, v[81:82] offset:256
	s_waitcnt vmcnt(0) lgkmcnt(0)
	v_mul_f32_e32 v81, s24, v81
.LBB42_29:                              ;   in Loop: Header=BB42_23 Depth=1
	s_or_b32 exec_lo, exec_lo, s3
	s_mov_b32 s19, 0
	s_mov_b32 s3, -1
.LBB42_30:                              ;   Parent Loop BB42_23 Depth=1
                                        ; =>  This Inner Loop Header: Depth=2
	s_lshl_b32 s19, s19, 2
	v_cndmask_b32_e64 v82, 0, 1, s3
	v_add_nc_u32_e32 v102, s19, v76
	v_add_nc_u32_e32 v98, s19, v75
	s_mov_b32 s3, 0
	s_mov_b32 s19, 2
	v_cmp_ne_u32_e32 vcc_lo, 1, v82
	ds_read2st64_b64 v[82:85], v102 offset1:1
	ds_read2_b64 v[86:89], v98 offset1:16
	ds_read2_b64 v[90:93], v98 offset0:32 offset1:48
	ds_read2_b64 v[94:97], v98 offset0:64 offset1:80
	;; [unrolled: 1-line block ×3, first 2 shown]
	ds_read2st64_b64 v[102:105], v102 offset0:2 offset1:3
	s_and_b32 vcc_lo, exec_lo, vcc_lo
	s_waitcnt lgkmcnt(5)
	v_max_f32_e32 v82, v82, v82
	s_waitcnt lgkmcnt(4)
	v_max_f32_e32 v86, v86, v86
	v_max_f32_e32 v83, v83, v83
	v_max_f32_e32 v87, v87, v87
	v_max_f32_e32 v88, v88, v88
	v_max_f32_e32 v89, v89, v89
	s_waitcnt lgkmcnt(3)
	v_max_f32_e32 v90, v90, v90
	v_max_f32_e32 v91, v91, v91
	v_max_f32_e32 v92, v92, v92
	v_max_f32_e32 v93, v93, v93
	s_waitcnt lgkmcnt(2)
	v_max_f32_e32 v94, v94, v94
	v_max_f32_e32 v95, v95, v95
	v_max_f32_e32 v96, v96, v96
	v_max_f32_e32 v97, v97, v97
	;; [unrolled: 5-line block ×3, first 2 shown]
	v_max_f32_e32 v84, v84, v84
	v_max_f32_e32 v85, v85, v85
	s_waitcnt lgkmcnt(0)
	v_max_f32_e32 v102, v102, v102
	v_max_f32_e32 v103, v103, v103
	;; [unrolled: 1-line block ×4, first 2 shown]
	v_min_f32_e32 v106, v86, v82
	v_min_f32_e32 v107, v87, v83
	;; [unrolled: 1-line block ×64, first 2 shown]
	v_add_f32_e32 v69, v69, v107
	v_add_f32_e32 v68, v68, v106
	;; [unrolled: 1-line block ×64, first 2 shown]
	s_cbranch_vccz .LBB42_30
; %bb.31:                               ;   in Loop: Header=BB42_23 Depth=1
	v_add3_u32 v82, v70, s9, 4
	ds_write_b32 v74, v80
	ds_write2st64_b32 v71, v79, v81 offset1:4
	v_mov_b32_e32 v79, 0
	v_mov_b32_e32 v80, 0
	v_cmp_gt_i32_e32 vcc_lo, s14, v82
	s_waitcnt lgkmcnt(0)
	s_barrier
	buffer_gl0_inv
	s_and_b32 s3, s0, vcc_lo
	s_and_b32 s19, s25, s3
	s_and_saveexec_b32 s3, s19
	s_cbranch_execz .LBB42_33
; %bb.32:                               ;   in Loop: Header=BB42_23 Depth=1
	v_mad_u64_u32 v[80:81], null, v82, s26, 0
	v_mad_u64_u32 v[83:84], null, v82, s21, v[81:82]
	v_mov_b32_e32 v81, v83
	v_lshlrev_b64 v[80:81], 2, v[80:81]
	v_add_co_u32 v80, vcc_lo, v4, v80
	v_add_co_ci_u32_e64 v81, null, v5, v81, vcc_lo
	flat_load_dword v80, v[80:81]
	s_waitcnt vmcnt(0) lgkmcnt(0)
	v_mul_f32_e32 v80, s24, v80
.LBB42_33:                              ;   in Loop: Header=BB42_23 Depth=1
	s_or_b32 exec_lo, exec_lo, s3
	v_min_i32_e32 v81, s28, v82
	v_cmp_le_i32_e32 vcc_lo, s14, v82
	v_mad_i64_i32 v[83:84], null, v81, s27, 0
	v_lshlrev_b64 v[83:84], 2, v[83:84]
	v_add_co_u32 v82, s3, s16, v83
	v_add_co_ci_u32_e64 v83, null, s17, v84, s3
	s_or_b32 s3, s1, vcc_lo
	s_nor_b32 s3, s3, s29
	s_and_saveexec_b32 s19, s3
	s_cbranch_execz .LBB42_35
; %bb.34:                               ;   in Loop: Header=BB42_23 Depth=1
	v_add_co_u32 v84, s3, v82, v2
	v_add_co_ci_u32_e64 v85, null, v83, v3, s3
	flat_load_dword v79, v[84:85]
	s_waitcnt vmcnt(0) lgkmcnt(0)
	v_mul_f32_e32 v79, s24, v79
.LBB42_35:                              ;   in Loop: Header=BB42_23 Depth=1
	s_or_b32 exec_lo, exec_lo, s19
	v_mov_b32_e32 v81, 0
	s_or_b32 s3, s2, vcc_lo
	s_nor_b32 s19, s3, s29
	s_and_saveexec_b32 s3, s19
	s_cbranch_execz .LBB42_37
; %bb.36:                               ;   in Loop: Header=BB42_23 Depth=1
	v_add_co_u32 v81, vcc_lo, v82, v2
	v_add_co_ci_u32_e64 v82, null, v83, v3, vcc_lo
	flat_load_dword v81, v[81:82] offset:256
	s_waitcnt vmcnt(0) lgkmcnt(0)
	v_mul_f32_e32 v81, s24, v81
.LBB42_37:                              ;   in Loop: Header=BB42_23 Depth=1
	s_or_b32 exec_lo, exec_lo, s3
	s_mov_b32 s19, 0
	s_mov_b32 s3, -1
.LBB42_38:                              ;   Parent Loop BB42_23 Depth=1
                                        ; =>  This Inner Loop Header: Depth=2
	s_lshl_b32 s19, s19, 2
	v_cndmask_b32_e64 v82, 0, 1, s3
	v_add_nc_u32_e32 v102, s19, v73
	v_add_nc_u32_e32 v98, s19, v72
	s_mov_b32 s3, 0
	s_mov_b32 s19, 2
	v_cmp_ne_u32_e32 vcc_lo, 1, v82
	ds_read2st64_b64 v[82:85], v102 offset1:1
	ds_read2_b64 v[86:89], v98 offset1:16
	ds_read2_b64 v[90:93], v98 offset0:32 offset1:48
	ds_read2_b64 v[94:97], v98 offset0:64 offset1:80
	;; [unrolled: 1-line block ×3, first 2 shown]
	ds_read2st64_b64 v[102:105], v102 offset0:2 offset1:3
	s_and_b32 vcc_lo, exec_lo, vcc_lo
	s_waitcnt lgkmcnt(5)
	v_max_f32_e32 v82, v82, v82
	s_waitcnt lgkmcnt(4)
	v_max_f32_e32 v86, v86, v86
	v_max_f32_e32 v83, v83, v83
	;; [unrolled: 1-line block ×5, first 2 shown]
	s_waitcnt lgkmcnt(3)
	v_max_f32_e32 v90, v90, v90
	v_max_f32_e32 v91, v91, v91
	v_max_f32_e32 v92, v92, v92
	v_max_f32_e32 v93, v93, v93
	s_waitcnt lgkmcnt(2)
	v_max_f32_e32 v94, v94, v94
	v_max_f32_e32 v95, v95, v95
	v_max_f32_e32 v96, v96, v96
	v_max_f32_e32 v97, v97, v97
	;; [unrolled: 5-line block ×3, first 2 shown]
	v_max_f32_e32 v84, v84, v84
	v_max_f32_e32 v85, v85, v85
	s_waitcnt lgkmcnt(0)
	v_max_f32_e32 v102, v102, v102
	v_max_f32_e32 v103, v103, v103
	;; [unrolled: 1-line block ×4, first 2 shown]
	v_min_f32_e32 v106, v86, v82
	v_min_f32_e32 v107, v87, v83
	;; [unrolled: 1-line block ×64, first 2 shown]
	v_add_f32_e32 v69, v69, v107
	v_add_f32_e32 v68, v68, v106
	;; [unrolled: 1-line block ×64, first 2 shown]
	s_cbranch_vccz .LBB42_38
; %bb.39:                               ;   in Loop: Header=BB42_23 Depth=1
	s_add_i32 s18, s18, 8
	s_add_i32 s9, s9, 8
	s_cmp_ge_i32 s18, s8
	ds_write_b32 v77, v80
	ds_write2st64_b32 v78, v79, v81 offset1:4
	s_waitcnt lgkmcnt(0)
	s_barrier
	buffer_gl0_inv
	s_cbranch_scc0 .LBB42_23
.LBB42_40:
	s_mov_b32 s1, 0
	s_mov_b32 s0, -1
.LBB42_41:                              ; =>This Inner Loop Header: Depth=1
	s_lshl_b32 s1, s1, 2
	v_cndmask_b32_e64 v2, 0, 1, s0
	v_add_nc_u32_e32 v74, s1, v76
	v_add_nc_u32_e32 v85, s1, v75
	s_mov_b32 s0, 0
	s_mov_b32 s1, 2
	v_cmp_ne_u32_e32 vcc_lo, 1, v2
	ds_read2st64_b64 v[2:5], v74 offset1:1
	ds_read2_b64 v[70:73], v85 offset1:16
	ds_read2_b64 v[77:80], v85 offset0:32 offset1:48
	ds_read2_b64 v[81:84], v85 offset0:64 offset1:80
	;; [unrolled: 1-line block ×3, first 2 shown]
	ds_read2st64_b64 v[89:92], v74 offset0:2 offset1:3
	s_and_b32 vcc_lo, exec_lo, vcc_lo
	s_waitcnt lgkmcnt(5)
	v_max_f32_e32 v2, v2, v2
	s_waitcnt lgkmcnt(4)
	v_max_f32_e32 v70, v70, v70
	v_max_f32_e32 v3, v3, v3
	;; [unrolled: 1-line block ×5, first 2 shown]
	s_waitcnt lgkmcnt(3)
	v_max_f32_e32 v74, v77, v77
	v_max_f32_e32 v77, v78, v78
	v_max_f32_e32 v78, v79, v79
	v_max_f32_e32 v79, v80, v80
	s_waitcnt lgkmcnt(2)
	v_max_f32_e32 v80, v81, v81
	v_max_f32_e32 v81, v82, v82
	v_max_f32_e32 v82, v83, v83
	v_max_f32_e32 v83, v84, v84
	;; [unrolled: 5-line block ×3, first 2 shown]
	v_max_f32_e32 v4, v4, v4
	v_max_f32_e32 v5, v5, v5
	s_waitcnt lgkmcnt(0)
	v_max_f32_e32 v88, v89, v89
	v_max_f32_e32 v89, v90, v90
	;; [unrolled: 1-line block ×4, first 2 shown]
	v_min_f32_e32 v92, v70, v2
	v_min_f32_e32 v93, v71, v3
	;; [unrolled: 1-line block ×64, first 2 shown]
	v_add_f32_e32 v69, v69, v93
	v_add_f32_e32 v68, v68, v92
	;; [unrolled: 1-line block ×64, first 2 shown]
	s_cbranch_vccz .LBB42_41
; %bb.42:
	s_clause 0x2
	s_load_dword s14, s[4:5], 0x58
	s_load_dword s9, s[4:5], 0x70
	s_load_dwordx2 s[2:3], s[4:5], 0x78
	v_add_nc_u32_e32 v71, s20, v1
	v_add_nc_u32_e32 v0, s15, v0
	v_cndmask_b32_e64 v70, 0, 1, s23
	v_cmp_gt_i32_e64 s8, s13, v71
	v_cmp_gt_i32_e64 s0, s12, v0
	s_waitcnt lgkmcnt(0)
	v_mad_i64_i32 v[1:2], null, v71, s14, 0
	v_mad_i64_i32 v[3:4], null, v71, s9, 0
	s_lshl_b64 s[2:3], s[2:3], 2
	s_add_u32 s15, s6, s2
	s_addc_u32 s16, s7, s3
	v_lshlrev_b64 v[72:73], 2, v[1:2]
	v_ashrrev_i32_e32 v1, 31, v0
	v_lshlrev_b64 v[2:3], 2, v[3:4]
	s_and_b32 s2, s0, s8
	v_add_co_u32 v74, vcc_lo, s10, v72
	v_add_co_ci_u32_e64 v75, null, s11, v73, vcc_lo
	v_add_co_u32 v72, vcc_lo, s15, v2
	v_add_co_ci_u32_e64 v73, null, s16, v3, vcc_lo
	s_and_saveexec_b32 s1, s2
	s_cbranch_execz .LBB42_47
; %bb.43:
	v_lshlrev_b64 v[2:3], 2, v[0:1]
	s_andn2_b32 vcc_lo, exec_lo, s23
	s_cbranch_vccnz .LBB42_45
; %bb.44:
	v_add_co_u32 v4, vcc_lo, v74, v2
	v_add_co_ci_u32_e64 v5, null, v75, v3, vcc_lo
	flat_load_dword v4, v[4:5]
	s_waitcnt vmcnt(0) lgkmcnt(0)
	v_mul_f32_e32 v4, s22, v4
	s_branch .LBB42_46
.LBB42_45:
	v_mov_b32_e32 v4, 0
.LBB42_46:
	v_add_f32_e32 v5, v68, v69
	v_add_co_u32 v2, vcc_lo, v72, v2
	v_add_co_ci_u32_e64 v3, null, v73, v3, vcc_lo
	v_add_f32_e32 v4, v5, v4
	flat_store_dword v[2:3], v4
.LBB42_47:
	s_or_b32 exec_lo, exec_lo, s1
	v_add_nc_u32_e32 v2, 8, v0
	v_cmp_gt_i32_e64 s1, s12, v2
	v_ashrrev_i32_e32 v3, 31, v2
	s_and_b32 s3, s1, s8
	s_and_saveexec_b32 s2, s3
	s_cbranch_execz .LBB42_52
; %bb.48:
	v_cmp_ne_u32_e32 vcc_lo, 1, v70
	v_lshlrev_b64 v[4:5], 2, v[2:3]
	s_cbranch_vccnz .LBB42_50
; %bb.49:
	v_add_co_u32 v68, vcc_lo, v74, v4
	v_add_co_ci_u32_e64 v69, null, v75, v5, vcc_lo
	flat_load_dword v68, v[68:69]
	s_waitcnt vmcnt(0) lgkmcnt(0)
	v_mul_f32_e32 v68, s22, v68
	s_branch .LBB42_51
.LBB42_50:
	v_mov_b32_e32 v68, 0
.LBB42_51:
	v_add_f32_e32 v6, v6, v7
	v_add_co_u32 v4, vcc_lo, v72, v4
	v_add_co_ci_u32_e64 v5, null, v73, v5, vcc_lo
	v_add_f32_e32 v6, v6, v68
	flat_store_dword v[4:5], v6
.LBB42_52:
	s_or_b32 exec_lo, exec_lo, s2
	v_add_nc_u32_e32 v4, 16, v0
	v_cmp_gt_i32_e64 s2, s12, v4
	v_ashrrev_i32_e32 v5, 31, v4
	s_and_b32 s4, s2, s8
	s_and_saveexec_b32 s3, s4
	s_cbranch_execz .LBB42_57
; %bb.53:
	v_cmp_ne_u32_e32 vcc_lo, 1, v70
	v_lshlrev_b64 v[6:7], 2, v[4:5]
	s_cbranch_vccnz .LBB42_55
; %bb.54:
	v_add_co_u32 v68, vcc_lo, v74, v6
	v_add_co_ci_u32_e64 v69, null, v75, v7, vcc_lo
	flat_load_dword v68, v[68:69]
	s_waitcnt vmcnt(0) lgkmcnt(0)
	v_mul_f32_e32 v68, s22, v68
	s_branch .LBB42_56
.LBB42_55:
	v_mov_b32_e32 v68, 0
.LBB42_56:
	v_add_f32_e32 v8, v8, v9
	v_add_co_u32 v6, vcc_lo, v72, v6
	v_add_co_ci_u32_e64 v7, null, v73, v7, vcc_lo
	v_add_f32_e32 v8, v8, v68
	flat_store_dword v[6:7], v8
.LBB42_57:
	;; [unrolled: 27-line block ×7, first 2 shown]
	s_or_b32 exec_lo, exec_lo, s8
	v_add_nc_u32_e32 v68, 32, v71
	v_mad_i64_i32 v[16:17], null, v68, s14, 0
	v_mad_i64_i32 v[66:67], null, v68, s9, 0
	v_cmp_gt_i32_e64 s8, s13, v68
	v_lshlrev_b64 v[16:17], 2, v[16:17]
	s_and_b32 s17, s0, s8
	v_lshlrev_b64 v[66:67], 2, v[66:67]
	v_add_co_u32 v68, vcc_lo, s10, v16
	v_add_co_ci_u32_e64 v69, null, s11, v17, vcc_lo
	v_add_co_u32 v66, vcc_lo, s15, v66
	v_add_co_ci_u32_e64 v67, null, s16, v67, vcc_lo
	s_and_saveexec_b32 s12, s17
	s_cbranch_execnz .LBB42_90
; %bb.83:
	s_or_b32 exec_lo, exec_lo, s12
	s_and_b32 s17, s1, s8
	s_and_saveexec_b32 s12, s17
	s_cbranch_execnz .LBB42_94
.LBB42_84:
	s_or_b32 exec_lo, exec_lo, s12
	s_and_b32 s17, s2, s8
	s_and_saveexec_b32 s12, s17
	s_cbranch_execnz .LBB42_98
.LBB42_85:
	s_or_b32 exec_lo, exec_lo, s12
	s_and_b32 s17, s3, s8
	s_and_saveexec_b32 s12, s17
	s_cbranch_execnz .LBB42_102
.LBB42_86:
	s_or_b32 exec_lo, exec_lo, s12
	s_and_b32 s17, s4, s8
	s_and_saveexec_b32 s12, s17
	s_cbranch_execnz .LBB42_106
.LBB42_87:
	s_or_b32 exec_lo, exec_lo, s12
	s_and_b32 s17, s5, s8
	s_and_saveexec_b32 s12, s17
	s_cbranch_execnz .LBB42_110
.LBB42_88:
	s_or_b32 exec_lo, exec_lo, s12
	s_and_b32 s17, s6, s8
	s_and_saveexec_b32 s12, s17
	s_cbranch_execnz .LBB42_114
.LBB42_89:
	s_or_b32 exec_lo, exec_lo, s12
	s_and_b32 s12, s7, s8
	s_and_saveexec_b32 s8, s12
	s_cbranch_execnz .LBB42_118
	s_branch .LBB42_122
.LBB42_90:
	v_cmp_ne_u32_e32 vcc_lo, 1, v70
	v_lshlrev_b64 v[16:17], 2, v[0:1]
	s_cbranch_vccnz .LBB42_92
; %bb.91:
	v_add_co_u32 v72, vcc_lo, v68, v16
	v_add_co_ci_u32_e64 v73, null, v69, v17, vcc_lo
	flat_load_dword v72, v[72:73]
	s_waitcnt vmcnt(0) lgkmcnt(0)
	v_mul_f32_e32 v72, s22, v72
	s_branch .LBB42_93
.LBB42_92:
	v_mov_b32_e32 v72, 0
.LBB42_93:
	v_add_f32_e32 v64, v64, v65
	v_add_co_u32 v16, vcc_lo, v66, v16
	v_add_co_ci_u32_e64 v17, null, v67, v17, vcc_lo
	v_add_f32_e32 v64, v64, v72
	flat_store_dword v[16:17], v64
	s_or_b32 exec_lo, exec_lo, s12
	s_and_b32 s17, s1, s8
	s_and_saveexec_b32 s12, s17
	s_cbranch_execz .LBB42_84
.LBB42_94:
	v_cmp_ne_u32_e32 vcc_lo, 1, v70
	v_lshlrev_b64 v[16:17], 2, v[2:3]
	s_cbranch_vccnz .LBB42_96
; %bb.95:
	v_add_co_u32 v64, vcc_lo, v68, v16
	v_add_co_ci_u32_e64 v65, null, v69, v17, vcc_lo
	flat_load_dword v64, v[64:65]
	s_waitcnt vmcnt(0) lgkmcnt(0)
	v_mul_f32_e32 v64, s22, v64
	s_branch .LBB42_97
.LBB42_96:
	v_mov_b32_e32 v64, 0
.LBB42_97:
	v_add_f32_e32 v62, v62, v63
	v_add_co_u32 v16, vcc_lo, v66, v16
	v_add_co_ci_u32_e64 v17, null, v67, v17, vcc_lo
	v_add_f32_e32 v62, v62, v64
	flat_store_dword v[16:17], v62
	s_or_b32 exec_lo, exec_lo, s12
	s_and_b32 s17, s2, s8
	s_and_saveexec_b32 s12, s17
	s_cbranch_execz .LBB42_85
.LBB42_98:
	v_cmp_ne_u32_e32 vcc_lo, 1, v70
	v_lshlrev_b64 v[16:17], 2, v[4:5]
	s_cbranch_vccnz .LBB42_100
; %bb.99:
	v_add_co_u32 v62, vcc_lo, v68, v16
	v_add_co_ci_u32_e64 v63, null, v69, v17, vcc_lo
	flat_load_dword v62, v[62:63]
	s_waitcnt vmcnt(0) lgkmcnt(0)
	v_mul_f32_e32 v62, s22, v62
	s_branch .LBB42_101
.LBB42_100:
	v_mov_b32_e32 v62, 0
.LBB42_101:
	v_add_f32_e32 v60, v60, v61
	v_add_co_u32 v16, vcc_lo, v66, v16
	v_add_co_ci_u32_e64 v17, null, v67, v17, vcc_lo
	v_add_f32_e32 v60, v60, v62
	flat_store_dword v[16:17], v60
	s_or_b32 exec_lo, exec_lo, s12
	s_and_b32 s17, s3, s8
	s_and_saveexec_b32 s12, s17
	s_cbranch_execz .LBB42_86
.LBB42_102:
	v_cmp_ne_u32_e32 vcc_lo, 1, v70
	v_lshlrev_b64 v[16:17], 2, v[6:7]
	s_cbranch_vccnz .LBB42_104
; %bb.103:
	v_add_co_u32 v60, vcc_lo, v68, v16
	v_add_co_ci_u32_e64 v61, null, v69, v17, vcc_lo
	flat_load_dword v60, v[60:61]
	s_waitcnt vmcnt(0) lgkmcnt(0)
	v_mul_f32_e32 v60, s22, v60
	s_branch .LBB42_105
.LBB42_104:
	v_mov_b32_e32 v60, 0
.LBB42_105:
	v_add_f32_e32 v58, v58, v59
	v_add_co_u32 v16, vcc_lo, v66, v16
	v_add_co_ci_u32_e64 v17, null, v67, v17, vcc_lo
	v_add_f32_e32 v58, v58, v60
	flat_store_dword v[16:17], v58
	s_or_b32 exec_lo, exec_lo, s12
	s_and_b32 s17, s4, s8
	s_and_saveexec_b32 s12, s17
	s_cbranch_execz .LBB42_87
.LBB42_106:
	v_cmp_ne_u32_e32 vcc_lo, 1, v70
	v_lshlrev_b64 v[16:17], 2, v[8:9]
	s_cbranch_vccnz .LBB42_108
; %bb.107:
	v_add_co_u32 v58, vcc_lo, v68, v16
	v_add_co_ci_u32_e64 v59, null, v69, v17, vcc_lo
	flat_load_dword v58, v[58:59]
	s_waitcnt vmcnt(0) lgkmcnt(0)
	v_mul_f32_e32 v58, s22, v58
	s_branch .LBB42_109
.LBB42_108:
	v_mov_b32_e32 v58, 0
.LBB42_109:
	v_add_f32_e32 v56, v56, v57
	v_add_co_u32 v16, vcc_lo, v66, v16
	v_add_co_ci_u32_e64 v17, null, v67, v17, vcc_lo
	v_add_f32_e32 v56, v56, v58
	flat_store_dword v[16:17], v56
	s_or_b32 exec_lo, exec_lo, s12
	s_and_b32 s17, s5, s8
	s_and_saveexec_b32 s12, s17
	s_cbranch_execz .LBB42_88
.LBB42_110:
	v_cmp_ne_u32_e32 vcc_lo, 1, v70
	v_lshlrev_b64 v[16:17], 2, v[10:11]
	s_cbranch_vccnz .LBB42_112
; %bb.111:
	v_add_co_u32 v56, vcc_lo, v68, v16
	v_add_co_ci_u32_e64 v57, null, v69, v17, vcc_lo
	flat_load_dword v56, v[56:57]
	s_waitcnt vmcnt(0) lgkmcnt(0)
	v_mul_f32_e32 v56, s22, v56
	s_branch .LBB42_113
.LBB42_112:
	v_mov_b32_e32 v56, 0
.LBB42_113:
	v_add_f32_e32 v54, v54, v55
	v_add_co_u32 v16, vcc_lo, v66, v16
	v_add_co_ci_u32_e64 v17, null, v67, v17, vcc_lo
	v_add_f32_e32 v54, v54, v56
	flat_store_dword v[16:17], v54
	s_or_b32 exec_lo, exec_lo, s12
	s_and_b32 s17, s6, s8
	s_and_saveexec_b32 s12, s17
	s_cbranch_execz .LBB42_89
.LBB42_114:
	v_cmp_ne_u32_e32 vcc_lo, 1, v70
	v_lshlrev_b64 v[16:17], 2, v[12:13]
	s_cbranch_vccnz .LBB42_116
; %bb.115:
	v_add_co_u32 v54, vcc_lo, v68, v16
	v_add_co_ci_u32_e64 v55, null, v69, v17, vcc_lo
	flat_load_dword v54, v[54:55]
	s_waitcnt vmcnt(0) lgkmcnt(0)
	v_mul_f32_e32 v54, s22, v54
	s_branch .LBB42_117
.LBB42_116:
	v_mov_b32_e32 v54, 0
.LBB42_117:
	v_add_f32_e32 v52, v52, v53
	v_add_co_u32 v16, vcc_lo, v66, v16
	v_add_co_ci_u32_e64 v17, null, v67, v17, vcc_lo
	v_add_f32_e32 v52, v52, v54
	flat_store_dword v[16:17], v52
	s_or_b32 exec_lo, exec_lo, s12
	s_and_b32 s12, s7, s8
	s_and_saveexec_b32 s8, s12
	s_cbranch_execz .LBB42_122
.LBB42_118:
	v_cmp_ne_u32_e32 vcc_lo, 1, v70
	v_lshlrev_b64 v[16:17], 2, v[14:15]
	s_cbranch_vccnz .LBB42_120
; %bb.119:
	v_add_co_u32 v52, vcc_lo, v68, v16
	v_add_co_ci_u32_e64 v53, null, v69, v17, vcc_lo
	flat_load_dword v52, v[52:53]
	s_waitcnt vmcnt(0) lgkmcnt(0)
	v_mul_f32_e32 v52, s22, v52
	s_branch .LBB42_121
.LBB42_120:
	v_mov_b32_e32 v52, 0
.LBB42_121:
	v_add_f32_e32 v50, v50, v51
	v_add_co_u32 v16, vcc_lo, v66, v16
	v_add_co_ci_u32_e64 v17, null, v67, v17, vcc_lo
	v_add_f32_e32 v50, v50, v52
	flat_store_dword v[16:17], v50
.LBB42_122:
	s_or_b32 exec_lo, exec_lo, s8
	v_add_nc_u32_e32 v52, 64, v71
	v_mad_i64_i32 v[16:17], null, v52, s14, 0
	v_mad_i64_i32 v[50:51], null, v52, s9, 0
	v_cmp_gt_i32_e64 s8, s13, v52
	v_lshlrev_b64 v[16:17], 2, v[16:17]
	s_and_b32 s17, s0, s8
	v_lshlrev_b64 v[50:51], 2, v[50:51]
	v_add_co_u32 v52, vcc_lo, s10, v16
	v_add_co_ci_u32_e64 v53, null, s11, v17, vcc_lo
	v_add_co_u32 v50, vcc_lo, s15, v50
	v_add_co_ci_u32_e64 v51, null, s16, v51, vcc_lo
	s_and_saveexec_b32 s12, s17
	s_cbranch_execnz .LBB42_130
; %bb.123:
	s_or_b32 exec_lo, exec_lo, s12
	s_and_b32 s17, s1, s8
	s_and_saveexec_b32 s12, s17
	s_cbranch_execnz .LBB42_134
.LBB42_124:
	s_or_b32 exec_lo, exec_lo, s12
	s_and_b32 s17, s2, s8
	s_and_saveexec_b32 s12, s17
	s_cbranch_execnz .LBB42_138
.LBB42_125:
	s_or_b32 exec_lo, exec_lo, s12
	s_and_b32 s17, s3, s8
	s_and_saveexec_b32 s12, s17
	s_cbranch_execnz .LBB42_142
.LBB42_126:
	s_or_b32 exec_lo, exec_lo, s12
	s_and_b32 s17, s4, s8
	s_and_saveexec_b32 s12, s17
	s_cbranch_execnz .LBB42_146
.LBB42_127:
	s_or_b32 exec_lo, exec_lo, s12
	s_and_b32 s17, s5, s8
	s_and_saveexec_b32 s12, s17
	s_cbranch_execnz .LBB42_150
.LBB42_128:
	s_or_b32 exec_lo, exec_lo, s12
	s_and_b32 s17, s6, s8
	s_and_saveexec_b32 s12, s17
	s_cbranch_execnz .LBB42_154
.LBB42_129:
	s_or_b32 exec_lo, exec_lo, s12
	s_and_b32 s12, s7, s8
	s_and_saveexec_b32 s8, s12
	s_cbranch_execnz .LBB42_158
	s_branch .LBB42_162
.LBB42_130:
	v_cmp_ne_u32_e32 vcc_lo, 1, v70
	v_lshlrev_b64 v[16:17], 2, v[0:1]
	s_cbranch_vccnz .LBB42_132
; %bb.131:
	v_add_co_u32 v54, vcc_lo, v52, v16
	v_add_co_ci_u32_e64 v55, null, v53, v17, vcc_lo
	flat_load_dword v54, v[54:55]
	s_waitcnt vmcnt(0) lgkmcnt(0)
	v_mul_f32_e32 v54, s22, v54
	s_branch .LBB42_133
.LBB42_132:
	v_mov_b32_e32 v54, 0
.LBB42_133:
	v_add_f32_e32 v48, v48, v49
	v_add_co_u32 v16, vcc_lo, v50, v16
	v_add_co_ci_u32_e64 v17, null, v51, v17, vcc_lo
	v_add_f32_e32 v48, v48, v54
	flat_store_dword v[16:17], v48
	s_or_b32 exec_lo, exec_lo, s12
	s_and_b32 s17, s1, s8
	s_and_saveexec_b32 s12, s17
	s_cbranch_execz .LBB42_124
.LBB42_134:
	v_cmp_ne_u32_e32 vcc_lo, 1, v70
	v_lshlrev_b64 v[16:17], 2, v[2:3]
	s_cbranch_vccnz .LBB42_136
; %bb.135:
	v_add_co_u32 v48, vcc_lo, v52, v16
	v_add_co_ci_u32_e64 v49, null, v53, v17, vcc_lo
	flat_load_dword v48, v[48:49]
	s_waitcnt vmcnt(0) lgkmcnt(0)
	v_mul_f32_e32 v48, s22, v48
	s_branch .LBB42_137
.LBB42_136:
	v_mov_b32_e32 v48, 0
.LBB42_137:
	v_add_f32_e32 v46, v46, v47
	v_add_co_u32 v16, vcc_lo, v50, v16
	v_add_co_ci_u32_e64 v17, null, v51, v17, vcc_lo
	v_add_f32_e32 v46, v46, v48
	flat_store_dword v[16:17], v46
	s_or_b32 exec_lo, exec_lo, s12
	s_and_b32 s17, s2, s8
	s_and_saveexec_b32 s12, s17
	s_cbranch_execz .LBB42_125
.LBB42_138:
	v_cmp_ne_u32_e32 vcc_lo, 1, v70
	v_lshlrev_b64 v[16:17], 2, v[4:5]
	s_cbranch_vccnz .LBB42_140
; %bb.139:
	v_add_co_u32 v46, vcc_lo, v52, v16
	v_add_co_ci_u32_e64 v47, null, v53, v17, vcc_lo
	flat_load_dword v46, v[46:47]
	s_waitcnt vmcnt(0) lgkmcnt(0)
	v_mul_f32_e32 v46, s22, v46
	s_branch .LBB42_141
.LBB42_140:
	v_mov_b32_e32 v46, 0
.LBB42_141:
	v_add_f32_e32 v44, v44, v45
	v_add_co_u32 v16, vcc_lo, v50, v16
	v_add_co_ci_u32_e64 v17, null, v51, v17, vcc_lo
	v_add_f32_e32 v44, v44, v46
	flat_store_dword v[16:17], v44
	s_or_b32 exec_lo, exec_lo, s12
	s_and_b32 s17, s3, s8
	s_and_saveexec_b32 s12, s17
	s_cbranch_execz .LBB42_126
.LBB42_142:
	v_cmp_ne_u32_e32 vcc_lo, 1, v70
	v_lshlrev_b64 v[16:17], 2, v[6:7]
	s_cbranch_vccnz .LBB42_144
; %bb.143:
	v_add_co_u32 v44, vcc_lo, v52, v16
	v_add_co_ci_u32_e64 v45, null, v53, v17, vcc_lo
	flat_load_dword v44, v[44:45]
	s_waitcnt vmcnt(0) lgkmcnt(0)
	v_mul_f32_e32 v44, s22, v44
	s_branch .LBB42_145
.LBB42_144:
	v_mov_b32_e32 v44, 0
.LBB42_145:
	v_add_f32_e32 v42, v42, v43
	v_add_co_u32 v16, vcc_lo, v50, v16
	v_add_co_ci_u32_e64 v17, null, v51, v17, vcc_lo
	v_add_f32_e32 v42, v42, v44
	flat_store_dword v[16:17], v42
	s_or_b32 exec_lo, exec_lo, s12
	s_and_b32 s17, s4, s8
	s_and_saveexec_b32 s12, s17
	s_cbranch_execz .LBB42_127
.LBB42_146:
	v_cmp_ne_u32_e32 vcc_lo, 1, v70
	v_lshlrev_b64 v[16:17], 2, v[8:9]
	s_cbranch_vccnz .LBB42_148
; %bb.147:
	v_add_co_u32 v42, vcc_lo, v52, v16
	v_add_co_ci_u32_e64 v43, null, v53, v17, vcc_lo
	flat_load_dword v42, v[42:43]
	s_waitcnt vmcnt(0) lgkmcnt(0)
	v_mul_f32_e32 v42, s22, v42
	s_branch .LBB42_149
.LBB42_148:
	v_mov_b32_e32 v42, 0
.LBB42_149:
	v_add_f32_e32 v40, v40, v41
	v_add_co_u32 v16, vcc_lo, v50, v16
	v_add_co_ci_u32_e64 v17, null, v51, v17, vcc_lo
	v_add_f32_e32 v40, v40, v42
	flat_store_dword v[16:17], v40
	s_or_b32 exec_lo, exec_lo, s12
	s_and_b32 s17, s5, s8
	s_and_saveexec_b32 s12, s17
	s_cbranch_execz .LBB42_128
.LBB42_150:
	v_cmp_ne_u32_e32 vcc_lo, 1, v70
	v_lshlrev_b64 v[16:17], 2, v[10:11]
	s_cbranch_vccnz .LBB42_152
; %bb.151:
	v_add_co_u32 v40, vcc_lo, v52, v16
	v_add_co_ci_u32_e64 v41, null, v53, v17, vcc_lo
	flat_load_dword v40, v[40:41]
	s_waitcnt vmcnt(0) lgkmcnt(0)
	v_mul_f32_e32 v40, s22, v40
	s_branch .LBB42_153
.LBB42_152:
	v_mov_b32_e32 v40, 0
.LBB42_153:
	v_add_f32_e32 v38, v38, v39
	v_add_co_u32 v16, vcc_lo, v50, v16
	v_add_co_ci_u32_e64 v17, null, v51, v17, vcc_lo
	v_add_f32_e32 v38, v38, v40
	flat_store_dword v[16:17], v38
	s_or_b32 exec_lo, exec_lo, s12
	s_and_b32 s17, s6, s8
	s_and_saveexec_b32 s12, s17
	s_cbranch_execz .LBB42_129
.LBB42_154:
	v_cmp_ne_u32_e32 vcc_lo, 1, v70
	v_lshlrev_b64 v[16:17], 2, v[12:13]
	s_cbranch_vccnz .LBB42_156
; %bb.155:
	v_add_co_u32 v38, vcc_lo, v52, v16
	v_add_co_ci_u32_e64 v39, null, v53, v17, vcc_lo
	flat_load_dword v38, v[38:39]
	s_waitcnt vmcnt(0) lgkmcnt(0)
	v_mul_f32_e32 v38, s22, v38
	s_branch .LBB42_157
.LBB42_156:
	v_mov_b32_e32 v38, 0
.LBB42_157:
	v_add_f32_e32 v36, v36, v37
	v_add_co_u32 v16, vcc_lo, v50, v16
	v_add_co_ci_u32_e64 v17, null, v51, v17, vcc_lo
	v_add_f32_e32 v36, v36, v38
	flat_store_dword v[16:17], v36
	s_or_b32 exec_lo, exec_lo, s12
	s_and_b32 s12, s7, s8
	s_and_saveexec_b32 s8, s12
	s_cbranch_execz .LBB42_162
.LBB42_158:
	v_cmp_ne_u32_e32 vcc_lo, 1, v70
	v_lshlrev_b64 v[16:17], 2, v[14:15]
	s_cbranch_vccnz .LBB42_160
; %bb.159:
	v_add_co_u32 v36, vcc_lo, v52, v16
	v_add_co_ci_u32_e64 v37, null, v53, v17, vcc_lo
	flat_load_dword v36, v[36:37]
	s_waitcnt vmcnt(0) lgkmcnt(0)
	v_mul_f32_e32 v36, s22, v36
	s_branch .LBB42_161
.LBB42_160:
	v_mov_b32_e32 v36, 0
.LBB42_161:
	v_add_f32_e32 v34, v34, v35
	v_add_co_u32 v16, vcc_lo, v50, v16
	v_add_co_ci_u32_e64 v17, null, v51, v17, vcc_lo
	v_add_f32_e32 v34, v34, v36
	flat_store_dword v[16:17], v34
.LBB42_162:
	s_or_b32 exec_lo, exec_lo, s8
	v_add_nc_u32_e32 v36, 0x60, v71
	v_mad_i64_i32 v[16:17], null, v36, s14, 0
	v_mad_i64_i32 v[34:35], null, v36, s9, 0
	v_cmp_gt_i32_e64 s8, s13, v36
	v_lshlrev_b64 v[16:17], 2, v[16:17]
	s_and_b32 s9, s0, s8
	v_lshlrev_b64 v[36:37], 2, v[34:35]
	v_add_co_u32 v34, vcc_lo, s10, v16
	v_add_co_ci_u32_e64 v35, null, s11, v17, vcc_lo
	v_add_co_u32 v16, vcc_lo, s15, v36
	v_add_co_ci_u32_e64 v17, null, s16, v37, vcc_lo
	s_and_saveexec_b32 s0, s9
	s_cbranch_execnz .LBB42_171
; %bb.163:
	s_or_b32 exec_lo, exec_lo, s0
	s_and_b32 s1, s1, s8
	s_and_saveexec_b32 s0, s1
	s_cbranch_execnz .LBB42_175
.LBB42_164:
	s_or_b32 exec_lo, exec_lo, s0
	s_and_b32 s1, s2, s8
	s_and_saveexec_b32 s0, s1
	s_cbranch_execnz .LBB42_179
.LBB42_165:
	s_or_b32 exec_lo, exec_lo, s0
	s_and_b32 s1, s3, s8
	s_and_saveexec_b32 s0, s1
	s_cbranch_execnz .LBB42_183
.LBB42_166:
	s_or_b32 exec_lo, exec_lo, s0
	s_and_b32 s1, s4, s8
	s_and_saveexec_b32 s0, s1
	s_cbranch_execnz .LBB42_187
.LBB42_167:
	s_or_b32 exec_lo, exec_lo, s0
	s_and_b32 s1, s5, s8
	s_and_saveexec_b32 s0, s1
	s_cbranch_execnz .LBB42_191
.LBB42_168:
	s_or_b32 exec_lo, exec_lo, s0
	s_and_b32 s1, s6, s8
	s_and_saveexec_b32 s0, s1
	s_cbranch_execnz .LBB42_195
.LBB42_169:
	s_or_b32 exec_lo, exec_lo, s0
	s_and_b32 s0, s7, s8
	s_and_saveexec_b32 s1, s0
	s_cbranch_execnz .LBB42_199
.LBB42_170:
	s_endpgm
.LBB42_171:
	v_cmp_ne_u32_e32 vcc_lo, 1, v70
	v_lshlrev_b64 v[0:1], 2, v[0:1]
	s_cbranch_vccnz .LBB42_173
; %bb.172:
	v_add_co_u32 v36, vcc_lo, v34, v0
	v_add_co_ci_u32_e64 v37, null, v35, v1, vcc_lo
	flat_load_dword v36, v[36:37]
	s_waitcnt vmcnt(0) lgkmcnt(0)
	v_mul_f32_e32 v36, s22, v36
	s_branch .LBB42_174
.LBB42_173:
	v_mov_b32_e32 v36, 0
.LBB42_174:
	v_add_f32_e32 v32, v32, v33
	v_add_co_u32 v0, vcc_lo, v16, v0
	v_add_co_ci_u32_e64 v1, null, v17, v1, vcc_lo
	v_add_f32_e32 v32, v32, v36
	flat_store_dword v[0:1], v32
	s_or_b32 exec_lo, exec_lo, s0
	s_and_b32 s1, s1, s8
	s_and_saveexec_b32 s0, s1
	s_cbranch_execz .LBB42_164
.LBB42_175:
	v_cmp_ne_u32_e32 vcc_lo, 1, v70
	v_lshlrev_b64 v[0:1], 2, v[2:3]
	s_cbranch_vccnz .LBB42_177
; %bb.176:
	v_add_co_u32 v2, vcc_lo, v34, v0
	v_add_co_ci_u32_e64 v3, null, v35, v1, vcc_lo
	flat_load_dword v2, v[2:3]
	s_waitcnt vmcnt(0) lgkmcnt(0)
	v_mul_f32_e32 v2, s22, v2
	s_branch .LBB42_178
.LBB42_177:
	v_mov_b32_e32 v2, 0
.LBB42_178:
	v_add_f32_e32 v3, v30, v31
	v_add_co_u32 v0, vcc_lo, v16, v0
	v_add_co_ci_u32_e64 v1, null, v17, v1, vcc_lo
	v_add_f32_e32 v2, v3, v2
	flat_store_dword v[0:1], v2
	s_or_b32 exec_lo, exec_lo, s0
	s_and_b32 s1, s2, s8
	s_and_saveexec_b32 s0, s1
	s_cbranch_execz .LBB42_165
.LBB42_179:
	v_cmp_ne_u32_e32 vcc_lo, 1, v70
	v_lshlrev_b64 v[0:1], 2, v[4:5]
	s_cbranch_vccnz .LBB42_181
; %bb.180:
	v_add_co_u32 v2, vcc_lo, v34, v0
	v_add_co_ci_u32_e64 v3, null, v35, v1, vcc_lo
	flat_load_dword v2, v[2:3]
	s_waitcnt vmcnt(0) lgkmcnt(0)
	v_mul_f32_e32 v2, s22, v2
	s_branch .LBB42_182
.LBB42_181:
	v_mov_b32_e32 v2, 0
.LBB42_182:
	v_add_f32_e32 v3, v28, v29
	v_add_co_u32 v0, vcc_lo, v16, v0
	v_add_co_ci_u32_e64 v1, null, v17, v1, vcc_lo
	v_add_f32_e32 v2, v3, v2
	flat_store_dword v[0:1], v2
	s_or_b32 exec_lo, exec_lo, s0
	s_and_b32 s1, s3, s8
	s_and_saveexec_b32 s0, s1
	s_cbranch_execz .LBB42_166
.LBB42_183:
	v_cmp_ne_u32_e32 vcc_lo, 1, v70
	v_lshlrev_b64 v[0:1], 2, v[6:7]
	s_cbranch_vccnz .LBB42_185
; %bb.184:
	v_add_co_u32 v2, vcc_lo, v34, v0
	v_add_co_ci_u32_e64 v3, null, v35, v1, vcc_lo
	flat_load_dword v2, v[2:3]
	s_waitcnt vmcnt(0) lgkmcnt(0)
	v_mul_f32_e32 v2, s22, v2
	s_branch .LBB42_186
.LBB42_185:
	v_mov_b32_e32 v2, 0
.LBB42_186:
	v_add_f32_e32 v3, v26, v27
	v_add_co_u32 v0, vcc_lo, v16, v0
	v_add_co_ci_u32_e64 v1, null, v17, v1, vcc_lo
	v_add_f32_e32 v2, v3, v2
	flat_store_dword v[0:1], v2
	s_or_b32 exec_lo, exec_lo, s0
	s_and_b32 s1, s4, s8
	s_and_saveexec_b32 s0, s1
	s_cbranch_execz .LBB42_167
.LBB42_187:
	v_cmp_ne_u32_e32 vcc_lo, 1, v70
	v_lshlrev_b64 v[0:1], 2, v[8:9]
	s_cbranch_vccnz .LBB42_189
; %bb.188:
	v_add_co_u32 v2, vcc_lo, v34, v0
	v_add_co_ci_u32_e64 v3, null, v35, v1, vcc_lo
	flat_load_dword v2, v[2:3]
	s_waitcnt vmcnt(0) lgkmcnt(0)
	v_mul_f32_e32 v2, s22, v2
	s_branch .LBB42_190
.LBB42_189:
	v_mov_b32_e32 v2, 0
.LBB42_190:
	v_add_f32_e32 v3, v24, v25
	v_add_co_u32 v0, vcc_lo, v16, v0
	v_add_co_ci_u32_e64 v1, null, v17, v1, vcc_lo
	v_add_f32_e32 v2, v3, v2
	flat_store_dword v[0:1], v2
	s_or_b32 exec_lo, exec_lo, s0
	s_and_b32 s1, s5, s8
	s_and_saveexec_b32 s0, s1
	s_cbranch_execz .LBB42_168
.LBB42_191:
	v_cmp_ne_u32_e32 vcc_lo, 1, v70
	v_lshlrev_b64 v[0:1], 2, v[10:11]
	s_cbranch_vccnz .LBB42_193
; %bb.192:
	v_add_co_u32 v2, vcc_lo, v34, v0
	v_add_co_ci_u32_e64 v3, null, v35, v1, vcc_lo
	flat_load_dword v2, v[2:3]
	s_waitcnt vmcnt(0) lgkmcnt(0)
	v_mul_f32_e32 v2, s22, v2
	s_branch .LBB42_194
.LBB42_193:
	v_mov_b32_e32 v2, 0
.LBB42_194:
	v_add_f32_e32 v3, v22, v23
	v_add_co_u32 v0, vcc_lo, v16, v0
	v_add_co_ci_u32_e64 v1, null, v17, v1, vcc_lo
	v_add_f32_e32 v2, v3, v2
	flat_store_dword v[0:1], v2
	s_or_b32 exec_lo, exec_lo, s0
	s_and_b32 s1, s6, s8
	s_and_saveexec_b32 s0, s1
	s_cbranch_execz .LBB42_169
.LBB42_195:
	v_cmp_ne_u32_e32 vcc_lo, 1, v70
	v_lshlrev_b64 v[0:1], 2, v[12:13]
	s_cbranch_vccnz .LBB42_197
; %bb.196:
	v_add_co_u32 v2, vcc_lo, v34, v0
	v_add_co_ci_u32_e64 v3, null, v35, v1, vcc_lo
	flat_load_dword v2, v[2:3]
	s_waitcnt vmcnt(0) lgkmcnt(0)
	v_mul_f32_e32 v2, s22, v2
	s_branch .LBB42_198
.LBB42_197:
	v_mov_b32_e32 v2, 0
.LBB42_198:
	v_add_f32_e32 v3, v20, v21
	v_add_co_u32 v0, vcc_lo, v16, v0
	v_add_co_ci_u32_e64 v1, null, v17, v1, vcc_lo
	v_add_f32_e32 v2, v3, v2
	flat_store_dword v[0:1], v2
	s_or_b32 exec_lo, exec_lo, s0
	s_and_b32 s0, s7, s8
	s_and_saveexec_b32 s1, s0
	s_cbranch_execz .LBB42_170
.LBB42_199:
	v_cmp_ne_u32_e32 vcc_lo, 1, v70
	v_lshlrev_b64 v[0:1], 2, v[14:15]
	s_cbranch_vccnz .LBB42_201
; %bb.200:
	v_add_co_u32 v2, vcc_lo, v34, v0
	v_add_co_ci_u32_e64 v3, null, v35, v1, vcc_lo
	flat_load_dword v2, v[2:3]
	s_waitcnt vmcnt(0) lgkmcnt(0)
	v_mul_f32_e32 v2, s22, v2
	s_branch .LBB42_202
.LBB42_201:
	v_mov_b32_e32 v2, 0
.LBB42_202:
	v_add_f32_e32 v3, v18, v19
	v_add_co_u32 v0, vcc_lo, v16, v0
	v_add_co_ci_u32_e64 v1, null, v17, v1, vcc_lo
	v_add_f32_e32 v2, v3, v2
	flat_store_dword v[0:1], v2
	s_endpgm
	.section	.rodata,"a",@progbits
	.p2align	6, 0x0
	.amdhsa_kernel _ZN12_GLOBAL__N_120geam_min_plus_kernelIf15HIP_vector_typeIfLj2EES2_Li8ELi32ELi64ELi128ELi4ELi64ELi4ELi64ELi4ELc78ELc84ELb0ELb1ELb0EPKfKS4_KPfEEviiiT16_PT17_ilSA_ilS8_SA_ilPT18_ili26rocblas_geam_ex_operation_
		.amdhsa_group_segment_fixed_size 6144
		.amdhsa_private_segment_fixed_size 0
		.amdhsa_kernarg_size 136
		.amdhsa_user_sgpr_count 6
		.amdhsa_user_sgpr_private_segment_buffer 1
		.amdhsa_user_sgpr_dispatch_ptr 0
		.amdhsa_user_sgpr_queue_ptr 0
		.amdhsa_user_sgpr_kernarg_segment_ptr 1
		.amdhsa_user_sgpr_dispatch_id 0
		.amdhsa_user_sgpr_flat_scratch_init 0
		.amdhsa_user_sgpr_private_segment_size 0
		.amdhsa_wavefront_size32 1
		.amdhsa_uses_dynamic_stack 0
		.amdhsa_system_sgpr_private_segment_wavefront_offset 0
		.amdhsa_system_sgpr_workgroup_id_x 1
		.amdhsa_system_sgpr_workgroup_id_y 0
		.amdhsa_system_sgpr_workgroup_id_z 1
		.amdhsa_system_sgpr_workgroup_info 0
		.amdhsa_system_vgpr_workitem_id 1
		.amdhsa_next_free_vgpr 148
		.amdhsa_next_free_sgpr 30
		.amdhsa_reserve_vcc 1
		.amdhsa_reserve_flat_scratch 0
		.amdhsa_float_round_mode_32 0
		.amdhsa_float_round_mode_16_64 0
		.amdhsa_float_denorm_mode_32 3
		.amdhsa_float_denorm_mode_16_64 3
		.amdhsa_dx10_clamp 1
		.amdhsa_ieee_mode 1
		.amdhsa_fp16_overflow 0
		.amdhsa_workgroup_processor_mode 1
		.amdhsa_memory_ordered 1
		.amdhsa_forward_progress 1
		.amdhsa_shared_vgpr_count 0
		.amdhsa_exception_fp_ieee_invalid_op 0
		.amdhsa_exception_fp_denorm_src 0
		.amdhsa_exception_fp_ieee_div_zero 0
		.amdhsa_exception_fp_ieee_overflow 0
		.amdhsa_exception_fp_ieee_underflow 0
		.amdhsa_exception_fp_ieee_inexact 0
		.amdhsa_exception_int_div_zero 0
	.end_amdhsa_kernel
	.section	.text._ZN12_GLOBAL__N_120geam_min_plus_kernelIf15HIP_vector_typeIfLj2EES2_Li8ELi32ELi64ELi128ELi4ELi64ELi4ELi64ELi4ELc78ELc84ELb0ELb1ELb0EPKfKS4_KPfEEviiiT16_PT17_ilSA_ilS8_SA_ilPT18_ili26rocblas_geam_ex_operation_,"axG",@progbits,_ZN12_GLOBAL__N_120geam_min_plus_kernelIf15HIP_vector_typeIfLj2EES2_Li8ELi32ELi64ELi128ELi4ELi64ELi4ELi64ELi4ELc78ELc84ELb0ELb1ELb0EPKfKS4_KPfEEviiiT16_PT17_ilSA_ilS8_SA_ilPT18_ili26rocblas_geam_ex_operation_,comdat
.Lfunc_end42:
	.size	_ZN12_GLOBAL__N_120geam_min_plus_kernelIf15HIP_vector_typeIfLj2EES2_Li8ELi32ELi64ELi128ELi4ELi64ELi4ELi64ELi4ELc78ELc84ELb0ELb1ELb0EPKfKS4_KPfEEviiiT16_PT17_ilSA_ilS8_SA_ilPT18_ili26rocblas_geam_ex_operation_, .Lfunc_end42-_ZN12_GLOBAL__N_120geam_min_plus_kernelIf15HIP_vector_typeIfLj2EES2_Li8ELi32ELi64ELi128ELi4ELi64ELi4ELi64ELi4ELc78ELc84ELb0ELb1ELb0EPKfKS4_KPfEEviiiT16_PT17_ilSA_ilS8_SA_ilPT18_ili26rocblas_geam_ex_operation_
                                        ; -- End function
	.set _ZN12_GLOBAL__N_120geam_min_plus_kernelIf15HIP_vector_typeIfLj2EES2_Li8ELi32ELi64ELi128ELi4ELi64ELi4ELi64ELi4ELc78ELc84ELb0ELb1ELb0EPKfKS4_KPfEEviiiT16_PT17_ilSA_ilS8_SA_ilPT18_ili26rocblas_geam_ex_operation_.num_vgpr, 148
	.set _ZN12_GLOBAL__N_120geam_min_plus_kernelIf15HIP_vector_typeIfLj2EES2_Li8ELi32ELi64ELi128ELi4ELi64ELi4ELi64ELi4ELc78ELc84ELb0ELb1ELb0EPKfKS4_KPfEEviiiT16_PT17_ilSA_ilS8_SA_ilPT18_ili26rocblas_geam_ex_operation_.num_agpr, 0
	.set _ZN12_GLOBAL__N_120geam_min_plus_kernelIf15HIP_vector_typeIfLj2EES2_Li8ELi32ELi64ELi128ELi4ELi64ELi4ELi64ELi4ELc78ELc84ELb0ELb1ELb0EPKfKS4_KPfEEviiiT16_PT17_ilSA_ilS8_SA_ilPT18_ili26rocblas_geam_ex_operation_.numbered_sgpr, 30
	.set _ZN12_GLOBAL__N_120geam_min_plus_kernelIf15HIP_vector_typeIfLj2EES2_Li8ELi32ELi64ELi128ELi4ELi64ELi4ELi64ELi4ELc78ELc84ELb0ELb1ELb0EPKfKS4_KPfEEviiiT16_PT17_ilSA_ilS8_SA_ilPT18_ili26rocblas_geam_ex_operation_.num_named_barrier, 0
	.set _ZN12_GLOBAL__N_120geam_min_plus_kernelIf15HIP_vector_typeIfLj2EES2_Li8ELi32ELi64ELi128ELi4ELi64ELi4ELi64ELi4ELc78ELc84ELb0ELb1ELb0EPKfKS4_KPfEEviiiT16_PT17_ilSA_ilS8_SA_ilPT18_ili26rocblas_geam_ex_operation_.private_seg_size, 0
	.set _ZN12_GLOBAL__N_120geam_min_plus_kernelIf15HIP_vector_typeIfLj2EES2_Li8ELi32ELi64ELi128ELi4ELi64ELi4ELi64ELi4ELc78ELc84ELb0ELb1ELb0EPKfKS4_KPfEEviiiT16_PT17_ilSA_ilS8_SA_ilPT18_ili26rocblas_geam_ex_operation_.uses_vcc, 1
	.set _ZN12_GLOBAL__N_120geam_min_plus_kernelIf15HIP_vector_typeIfLj2EES2_Li8ELi32ELi64ELi128ELi4ELi64ELi4ELi64ELi4ELc78ELc84ELb0ELb1ELb0EPKfKS4_KPfEEviiiT16_PT17_ilSA_ilS8_SA_ilPT18_ili26rocblas_geam_ex_operation_.uses_flat_scratch, 0
	.set _ZN12_GLOBAL__N_120geam_min_plus_kernelIf15HIP_vector_typeIfLj2EES2_Li8ELi32ELi64ELi128ELi4ELi64ELi4ELi64ELi4ELc78ELc84ELb0ELb1ELb0EPKfKS4_KPfEEviiiT16_PT17_ilSA_ilS8_SA_ilPT18_ili26rocblas_geam_ex_operation_.has_dyn_sized_stack, 0
	.set _ZN12_GLOBAL__N_120geam_min_plus_kernelIf15HIP_vector_typeIfLj2EES2_Li8ELi32ELi64ELi128ELi4ELi64ELi4ELi64ELi4ELc78ELc84ELb0ELb1ELb0EPKfKS4_KPfEEviiiT16_PT17_ilSA_ilS8_SA_ilPT18_ili26rocblas_geam_ex_operation_.has_recursion, 0
	.set _ZN12_GLOBAL__N_120geam_min_plus_kernelIf15HIP_vector_typeIfLj2EES2_Li8ELi32ELi64ELi128ELi4ELi64ELi4ELi64ELi4ELc78ELc84ELb0ELb1ELb0EPKfKS4_KPfEEviiiT16_PT17_ilSA_ilS8_SA_ilPT18_ili26rocblas_geam_ex_operation_.has_indirect_call, 0
	.section	.AMDGPU.csdata,"",@progbits
; Kernel info:
; codeLenInByte = 9192
; TotalNumSgprs: 32
; NumVgprs: 148
; ScratchSize: 0
; MemoryBound: 0
; FloatMode: 240
; IeeeMode: 1
; LDSByteSize: 6144 bytes/workgroup (compile time only)
; SGPRBlocks: 0
; VGPRBlocks: 18
; NumSGPRsForWavesPerEU: 32
; NumVGPRsForWavesPerEU: 148
; Occupancy: 6
; WaveLimiterHint : 1
; COMPUTE_PGM_RSRC2:SCRATCH_EN: 0
; COMPUTE_PGM_RSRC2:USER_SGPR: 6
; COMPUTE_PGM_RSRC2:TRAP_HANDLER: 0
; COMPUTE_PGM_RSRC2:TGID_X_EN: 1
; COMPUTE_PGM_RSRC2:TGID_Y_EN: 0
; COMPUTE_PGM_RSRC2:TGID_Z_EN: 1
; COMPUTE_PGM_RSRC2:TIDIG_COMP_CNT: 1
	.section	.text._ZN12_GLOBAL__N_120geam_min_plus_kernelIf15HIP_vector_typeIfLj2EES2_Li8ELi32ELi64ELi128ELi4ELi64ELi4ELi64ELi4ELc78ELc84ELb1ELb1ELb0EfKPKfKPfEEviiiT16_PT17_ilSA_ilS8_SA_ilPT18_ili26rocblas_geam_ex_operation_,"axG",@progbits,_ZN12_GLOBAL__N_120geam_min_plus_kernelIf15HIP_vector_typeIfLj2EES2_Li8ELi32ELi64ELi128ELi4ELi64ELi4ELi64ELi4ELc78ELc84ELb1ELb1ELb0EfKPKfKPfEEviiiT16_PT17_ilSA_ilS8_SA_ilPT18_ili26rocblas_geam_ex_operation_,comdat
	.globl	_ZN12_GLOBAL__N_120geam_min_plus_kernelIf15HIP_vector_typeIfLj2EES2_Li8ELi32ELi64ELi128ELi4ELi64ELi4ELi64ELi4ELc78ELc84ELb1ELb1ELb0EfKPKfKPfEEviiiT16_PT17_ilSA_ilS8_SA_ilPT18_ili26rocblas_geam_ex_operation_ ; -- Begin function _ZN12_GLOBAL__N_120geam_min_plus_kernelIf15HIP_vector_typeIfLj2EES2_Li8ELi32ELi64ELi128ELi4ELi64ELi4ELi64ELi4ELc78ELc84ELb1ELb1ELb0EfKPKfKPfEEviiiT16_PT17_ilSA_ilS8_SA_ilPT18_ili26rocblas_geam_ex_operation_
	.p2align	8
	.type	_ZN12_GLOBAL__N_120geam_min_plus_kernelIf15HIP_vector_typeIfLj2EES2_Li8ELi32ELi64ELi128ELi4ELi64ELi4ELi64ELi4ELc78ELc84ELb1ELb1ELb0EfKPKfKPfEEviiiT16_PT17_ilSA_ilS8_SA_ilPT18_ili26rocblas_geam_ex_operation_,@function
_ZN12_GLOBAL__N_120geam_min_plus_kernelIf15HIP_vector_typeIfLj2EES2_Li8ELi32ELi64ELi128ELi4ELi64ELi4ELi64ELi4ELc78ELc84ELb1ELb1ELb0EfKPKfKPfEEviiiT16_PT17_ilSA_ilS8_SA_ilPT18_ili26rocblas_geam_ex_operation_: ; @_ZN12_GLOBAL__N_120geam_min_plus_kernelIf15HIP_vector_typeIfLj2EES2_Li8ELi32ELi64ELi128ELi4ELi64ELi4ELi64ELi4ELc78ELc84ELb1ELb1ELb0EfKPKfKPfEEviiiT16_PT17_ilSA_ilS8_SA_ilPT18_ili26rocblas_geam_ex_operation_
; %bb.0:
	s_clause 0x1
	s_load_dwordx4 s[12:15], s[4:5], 0x0
	s_load_dwordx4 s[0:3], s[4:5], 0x20
	s_mov_b32 s18, s7
	s_mov_b32 s19, 0
	s_waitcnt lgkmcnt(0)
	v_cmp_eq_f32_e64 s7, s15, 0
	s_and_b32 vcc_lo, exec_lo, s7
	s_cbranch_vccnz .LBB43_3
; %bb.1:
	s_load_dwordx2 s[8:9], s[4:5], 0x10
	s_lshl_b64 s[10:11], s[18:19], 3
	s_waitcnt lgkmcnt(0)
	s_add_u32 s8, s8, s10
	s_addc_u32 s9, s9, s11
	s_lshl_b64 s[0:1], s[0:1], 2
	s_load_dwordx2 s[8:9], s[8:9], 0x0
	s_waitcnt lgkmcnt(0)
	s_add_u32 s16, s8, s0
	s_addc_u32 s17, s9, s1
	s_andn2_b32 vcc_lo, exec_lo, s7
	s_cbranch_vccnz .LBB43_4
.LBB43_2:
	s_mov_b32 s21, 0
	s_mov_b32 s20, s18
	;; [unrolled: 1-line block ×3, first 2 shown]
	s_mov_b64 s[10:11], 0
	s_andn2_b32 vcc_lo, exec_lo, s0
	s_mov_b64 s[8:9], 0
	s_cbranch_vccz .LBB43_5
	s_branch .LBB43_6
.LBB43_3:
	s_mov_b64 s[16:17], 0
	s_andn2_b32 vcc_lo, exec_lo, s7
	s_cbranch_vccz .LBB43_2
.LBB43_4:
	s_mov_b64 s[20:21], s[18:19]
	s_mov_b64 s[10:11], 0
	;; [unrolled: 1-line block ×3, first 2 shown]
.LBB43_5:
	s_lshl_b64 s[0:1], s[18:19], 3
	s_load_dwordx2 s[8:9], s[4:5], 0x38
	s_add_u32 s0, s2, s0
	s_addc_u32 s1, s3, s1
	s_load_dwordx2 s[0:1], s[0:1], 0x0
	s_waitcnt lgkmcnt(0)
	s_lshl_b64 s[2:3], s[8:9], 2
	s_add_u32 s8, s0, s2
	s_addc_u32 s9, s1, s3
.LBB43_6:
	s_clause 0x1
	s_load_dword s15, s[4:5], 0x40
	s_load_dwordx4 s[0:3], s[4:5], 0x58
	s_waitcnt lgkmcnt(0)
	v_cmp_eq_f32_e64 s7, s15, 0
	v_cmp_neq_f32_e64 s22, s15, 0
	s_and_b32 vcc_lo, exec_lo, s7
	s_cbranch_vccnz .LBB43_8
; %bb.7:
	s_load_dwordx2 s[10:11], s[4:5], 0x48
	s_lshl_b64 s[18:19], s[20:21], 3
	s_waitcnt lgkmcnt(0)
	s_add_u32 s10, s10, s18
	s_addc_u32 s11, s11, s19
	s_lshl_b64 s[0:1], s[0:1], 2
	s_load_dwordx2 s[10:11], s[10:11], 0x0
	s_waitcnt lgkmcnt(0)
	s_add_u32 s10, s10, s0
	s_addc_u32 s11, s11, s1
.LBB43_8:
	s_load_dword s23, s[4:5], 0x18
	s_lshl_b64 s[0:1], s[20:21], 3
	v_mov_b32_e32 v7, 0
	v_mov_b32_e32 v8, 0
	s_waitcnt lgkmcnt(0)
	s_ashr_i32 s24, s23, 31
	s_add_u32 s18, s2, s0
	s_addc_u32 s19, s3, s1
	s_add_i32 s0, s12, -1
	s_ashr_i32 s1, s0, 31
	s_lshr_b32 s1, s1, 26
	s_add_i32 s0, s0, s1
	s_ashr_i32 s0, s0, 6
	s_add_i32 s1, s0, 1
	s_not_b32 s0, s0
	v_cvt_f32_u32_e32 v2, s1
	v_rcp_iflag_f32_e32 v2, v2
	v_mul_f32_e32 v2, 0x4f7ffffe, v2
	v_cvt_u32_f32_e32 v2, v2
	v_readfirstlane_b32 s2, v2
	v_lshl_add_u32 v2, v1, 3, v0
	s_mul_i32 s0, s0, s2
	v_and_b32_e32 v75, 63, v2
	s_mul_hi_u32 s0, s2, s0
	v_lshrrev_b32_e32 v70, 6, v2
	s_add_i32 s2, s2, s0
	s_mul_hi_u32 s0, s6, s2
	s_mul_i32 s2, s0, s1
	s_add_i32 s3, s0, 1
	s_sub_i32 s2, s6, s2
	v_cmp_le_i32_e32 vcc_lo, s14, v70
	s_sub_i32 s7, s2, s1
	s_cmp_ge_u32 s2, s1
	s_cselect_b32 s0, s3, s0
	s_cselect_b32 s2, s7, s2
	s_add_i32 s3, s0, 1
	s_cmp_ge_u32 s2, s1
	s_cselect_b32 s2, s3, s0
	s_mul_i32 s0, s2, s1
	s_sub_i32 s0, s6, s0
	s_lshl_b32 s20, s0, 6
	v_or_b32_e32 v2, s20, v75
	v_cmp_le_i32_e64 s0, s12, v2
	v_ashrrev_i32_e32 v3, 31, v2
	s_nor_b32 s1, vcc_lo, s0
	s_and_saveexec_b32 s3, s1
	s_cbranch_execz .LBB43_10
; %bb.9:
	v_mad_i64_i32 v[4:5], null, s23, v70, 0
	v_lshlrev_b64 v[8:9], 2, v[2:3]
	v_lshlrev_b64 v[4:5], 2, v[4:5]
	v_add_co_u32 v4, s1, s16, v4
	v_add_co_ci_u32_e64 v5, null, s17, v5, s1
	v_add_co_u32 v4, s1, v4, v8
	v_add_co_ci_u32_e64 v5, null, v5, v9, s1
	flat_load_dword v8, v[4:5]
.LBB43_10:
	s_or_b32 exec_lo, exec_lo, s3
	s_load_dword s25, s[4:5], 0x30
	s_lshl_b32 s21, s2, 7
	v_or_b32_e32 v4, s21, v75
	v_cmp_le_i32_e64 s1, s13, v4
	s_waitcnt lgkmcnt(0)
	v_mad_i64_i32 v[5:6], null, v70, s25, 0
	s_ashr_i32 s26, s25, 31
	v_lshlrev_b64 v[9:10], 2, v[5:6]
	v_ashrrev_i32_e32 v5, 31, v4
	v_add_co_u32 v6, s2, s8, v9
	v_add_co_ci_u32_e64 v10, null, s9, v10, s2
	s_nor_b32 s2, vcc_lo, s1
	s_and_saveexec_b32 s3, s2
	s_cbranch_execz .LBB43_12
; %bb.11:
	v_lshlrev_b64 v[11:12], 2, v[4:5]
	v_add_co_u32 v11, s2, v6, v11
	v_add_co_ci_u32_e64 v12, null, v10, v12, s2
	flat_load_dword v7, v[11:12]
.LBB43_12:
	s_or_b32 exec_lo, exec_lo, s3
	v_or_b32_e32 v9, 64, v4
	v_mov_b32_e32 v77, 0
	v_cmp_le_i32_e64 s2, s13, v9
	v_mov_b32_e32 v9, 0
	s_nor_b32 s6, vcc_lo, s2
	s_and_saveexec_b32 s3, s6
	s_cbranch_execz .LBB43_14
; %bb.13:
	v_lshlrev_b64 v[11:12], 2, v[4:5]
	v_add_co_u32 v9, vcc_lo, v6, v11
	v_add_co_ci_u32_e64 v10, null, v10, v12, vcc_lo
	flat_load_dword v9, v[9:10] offset:256
.LBB43_14:
	s_or_b32 exec_lo, exec_lo, s3
	v_add_nc_u32_e32 v6, 4, v70
	v_cmp_le_i32_e32 vcc_lo, s14, v6
	s_nor_b32 s3, s0, vcc_lo
	s_and_saveexec_b32 s6, s3
	s_cbranch_execz .LBB43_16
; %bb.15:
	v_mad_u64_u32 v[10:11], null, s23, v6, 0
	v_mad_u64_u32 v[11:12], null, s24, v6, v[11:12]
	v_lshlrev_b64 v[12:13], 2, v[2:3]
	v_lshlrev_b64 v[10:11], 2, v[10:11]
	v_add_co_u32 v10, s3, s16, v10
	v_add_co_ci_u32_e64 v11, null, s17, v11, s3
	v_add_co_u32 v10, s3, v10, v12
	v_add_co_ci_u32_e64 v11, null, v11, v13, s3
	flat_load_dword v77, v[10:11]
.LBB43_16:
	s_or_b32 exec_lo, exec_lo, s6
	v_mad_u64_u32 v[10:11], null, v6, s25, 0
	v_mov_b32_e32 v78, 0
	v_mov_b32_e32 v79, 0
	v_mad_u64_u32 v[11:12], null, v6, s26, v[11:12]
	v_lshlrev_b64 v[10:11], 2, v[10:11]
	v_add_co_u32 v6, s3, s8, v10
	v_add_co_ci_u32_e64 v10, null, s9, v11, s3
	s_nor_b32 s3, s1, vcc_lo
	s_and_saveexec_b32 s6, s3
	s_cbranch_execz .LBB43_18
; %bb.17:
	v_lshlrev_b64 v[11:12], 2, v[4:5]
	v_add_co_u32 v11, s3, v6, v11
	v_add_co_ci_u32_e64 v12, null, v10, v12, s3
	flat_load_dword v79, v[11:12]
.LBB43_18:
	s_or_b32 exec_lo, exec_lo, s6
	s_load_dwordx2 s[6:7], s[18:19], 0x0
	s_nor_b32 s18, s2, vcc_lo
	s_and_saveexec_b32 s3, s18
	s_cbranch_execz .LBB43_20
; %bb.19:
	v_lshlrev_b64 v[11:12], 2, v[4:5]
	v_add_co_u32 v11, vcc_lo, v6, v11
	v_add_co_ci_u32_e64 v12, null, v10, v12, vcc_lo
	flat_load_dword v78, v[11:12] offset:256
.LBB43_20:
	s_or_b32 exec_lo, exec_lo, s3
	v_lshlrev_b32_e32 v6, 4, v75
	v_mov_b32_e32 v68, 0
	v_lshl_or_b32 v72, v0, 4, 0x1000
	v_lshlrev_b32_e32 v73, 4, v1
	s_mov_b32 s18, 0
	v_lshl_add_u32 v71, v70, 2, v6
	v_mov_b32_e32 v69, v68
	v_mov_b32_e32 v6, v68
	;; [unrolled: 1-line block ×4, first 2 shown]
	v_or_b32_e32 v74, 0x1000, v71
	s_waitcnt vmcnt(0)
	ds_write_b32 v71, v8 offset:4096
	s_waitcnt lgkmcnt(0)
	ds_write2st64_b32 v71, v7, v9 offset1:4
	v_mov_b32_e32 v7, v68
	v_mov_b32_e32 v8, v68
	;; [unrolled: 1-line block ×59, first 2 shown]
	s_mov_b32 s3, -1
	s_waitcnt lgkmcnt(0)
	s_barrier
	buffer_gl0_inv
.LBB43_21:                              ; =>This Inner Loop Header: Depth=1
	s_lshl_b32 s18, s18, 2
	v_cndmask_b32_e64 v76, 0, 1, s3
	v_add_nc_u32_e32 v92, s18, v72
	v_add_nc_u32_e32 v100, s18, v73
	s_mov_b32 s3, 0
	s_mov_b32 s18, 2
	v_cmp_ne_u32_e32 vcc_lo, 1, v76
	ds_read2_b64 v[80:83], v92 offset1:16
	ds_read2_b64 v[84:87], v92 offset0:32 offset1:48
	ds_read2_b64 v[88:91], v92 offset0:64 offset1:80
	;; [unrolled: 1-line block ×3, first 2 shown]
	ds_read2st64_b64 v[96:99], v100 offset1:1
	ds_read2st64_b64 v[100:103], v100 offset0:2 offset1:3
	s_and_b32 vcc_lo, exec_lo, vcc_lo
	s_waitcnt lgkmcnt(5)
	v_max_f32_e32 v76, v80, v80
	v_max_f32_e32 v80, v81, v81
	v_max_f32_e32 v81, v82, v82
	v_max_f32_e32 v82, v83, v83
	s_waitcnt lgkmcnt(4)
	v_max_f32_e32 v83, v84, v84
	v_max_f32_e32 v84, v85, v85
	v_max_f32_e32 v85, v86, v86
	v_max_f32_e32 v86, v87, v87
	;; [unrolled: 5-line block ×6, first 2 shown]
	v_min_f32_e32 v103, v76, v95
	v_min_f32_e32 v104, v81, v95
	;; [unrolled: 1-line block ×64, first 2 shown]
	v_add_f32_e32 v69, v69, v101
	v_add_f32_e32 v68, v68, v103
	;; [unrolled: 1-line block ×64, first 2 shown]
	s_cbranch_vccz .LBB43_21
; %bb.22:
	v_lshlrev_b32_e32 v76, 2, v70
	s_cmp_lt_i32 s14, 9
	v_lshl_add_u32 v80, v75, 4, v76
	v_lshl_add_u32 v75, v0, 4, 0x1400
	v_lshl_add_u32 v76, v1, 4, 0x800
	ds_write_b32 v80, v77 offset:5120
	ds_write2st64_b32 v80, v79, v78 offset0:8 offset1:12
	s_waitcnt lgkmcnt(0)
	s_barrier
	buffer_gl0_inv
	s_cbranch_scc1 .LBB43_41
; %bb.23:
	v_lshlrev_b64 v[81:82], 2, v[2:3]
	v_lshlrev_b64 v[2:3], 2, v[4:5]
	v_add_nc_u32_e32 v77, 0x1400, v80
	v_or_b32_e32 v78, 0x800, v80
	s_mov_b32 s18, 0
	v_add_co_u32 v4, vcc_lo, s16, v81
	v_add_co_ci_u32_e64 v5, null, s17, v82, vcc_lo
	s_add_i32 s16, s14, -8
	s_mov_b32 s17, 8
.LBB43_24:                              ; =>This Loop Header: Depth=1
                                        ;     Child Loop BB43_31 Depth 2
                                        ;     Child Loop BB43_39 Depth 2
	v_add_nc_u32_e32 v80, s17, v70
	v_mov_b32_e32 v79, 0
	v_cmp_le_i32_e32 vcc_lo, s14, v80
	s_nor_b32 s3, s0, vcc_lo
	s_and_saveexec_b32 s19, s3
	s_cbranch_execz .LBB43_26
; %bb.25:                               ;   in Loop: Header=BB43_24 Depth=1
	v_mad_u64_u32 v[81:82], null, v80, s23, 0
	v_mov_b32_e32 v79, v82
	v_mad_u64_u32 v[82:83], null, v80, s24, v[79:80]
	v_lshlrev_b64 v[81:82], 2, v[81:82]
	v_add_co_u32 v81, s3, v4, v81
	v_add_co_ci_u32_e64 v82, null, v5, v82, s3
	flat_load_dword v79, v[81:82]
.LBB43_26:                              ;   in Loop: Header=BB43_24 Depth=1
	s_or_b32 exec_lo, exec_lo, s19
	v_mad_u64_u32 v[81:82], null, v80, s25, 0
	v_mad_u64_u32 v[82:83], null, v80, s26, v[82:83]
	v_mov_b32_e32 v80, 0
	v_lshlrev_b64 v[82:83], 2, v[81:82]
	v_mov_b32_e32 v81, 0
	v_add_co_u32 v82, s3, s8, v82
	v_add_co_ci_u32_e64 v83, null, s9, v83, s3
	s_nor_b32 s3, s1, vcc_lo
	s_and_saveexec_b32 s19, s3
	s_cbranch_execz .LBB43_28
; %bb.27:                               ;   in Loop: Header=BB43_24 Depth=1
	v_add_co_u32 v84, s3, v82, v2
	v_add_co_ci_u32_e64 v85, null, v83, v3, s3
	flat_load_dword v81, v[84:85]
.LBB43_28:                              ;   in Loop: Header=BB43_24 Depth=1
	s_or_b32 exec_lo, exec_lo, s19
	s_nor_b32 s19, s2, vcc_lo
	s_and_saveexec_b32 s3, s19
	s_cbranch_execz .LBB43_30
; %bb.29:                               ;   in Loop: Header=BB43_24 Depth=1
	v_add_co_u32 v82, vcc_lo, v82, v2
	v_add_co_ci_u32_e64 v83, null, v83, v3, vcc_lo
	flat_load_dword v80, v[82:83] offset:256
.LBB43_30:                              ;   in Loop: Header=BB43_24 Depth=1
	s_or_b32 exec_lo, exec_lo, s3
	s_mov_b32 s19, 0
	s_mov_b32 s3, -1
.LBB43_31:                              ;   Parent Loop BB43_24 Depth=1
                                        ; =>  This Inner Loop Header: Depth=2
	s_lshl_b32 s19, s19, 2
	v_cndmask_b32_e64 v82, 0, 1, s3
	v_add_nc_u32_e32 v102, s19, v76
	v_add_nc_u32_e32 v98, s19, v75
	s_mov_b32 s3, 0
	s_mov_b32 s19, 2
	v_cmp_ne_u32_e32 vcc_lo, 1, v82
	ds_read2st64_b64 v[82:85], v102 offset1:1
	ds_read2_b64 v[86:89], v98 offset1:16
	ds_read2_b64 v[90:93], v98 offset0:32 offset1:48
	ds_read2_b64 v[94:97], v98 offset0:64 offset1:80
	;; [unrolled: 1-line block ×3, first 2 shown]
	ds_read2st64_b64 v[102:105], v102 offset0:2 offset1:3
	s_and_b32 vcc_lo, exec_lo, vcc_lo
	s_waitcnt lgkmcnt(5)
	v_max_f32_e32 v82, v82, v82
	s_waitcnt lgkmcnt(4)
	v_max_f32_e32 v86, v86, v86
	v_max_f32_e32 v83, v83, v83
	;; [unrolled: 1-line block ×5, first 2 shown]
	s_waitcnt lgkmcnt(3)
	v_max_f32_e32 v90, v90, v90
	v_max_f32_e32 v91, v91, v91
	v_max_f32_e32 v92, v92, v92
	v_max_f32_e32 v93, v93, v93
	s_waitcnt lgkmcnt(2)
	v_max_f32_e32 v94, v94, v94
	v_max_f32_e32 v95, v95, v95
	v_max_f32_e32 v96, v96, v96
	v_max_f32_e32 v97, v97, v97
	;; [unrolled: 5-line block ×3, first 2 shown]
	v_max_f32_e32 v84, v84, v84
	v_max_f32_e32 v85, v85, v85
	s_waitcnt lgkmcnt(0)
	v_max_f32_e32 v102, v102, v102
	v_max_f32_e32 v103, v103, v103
	;; [unrolled: 1-line block ×4, first 2 shown]
	v_min_f32_e32 v106, v86, v82
	v_min_f32_e32 v107, v87, v83
	;; [unrolled: 1-line block ×64, first 2 shown]
	v_add_f32_e32 v69, v69, v107
	v_add_f32_e32 v68, v68, v106
	;; [unrolled: 1-line block ×64, first 2 shown]
	s_cbranch_vccz .LBB43_31
; %bb.32:                               ;   in Loop: Header=BB43_24 Depth=1
	v_add3_u32 v82, v70, s17, 4
	s_waitcnt vmcnt(0)
	ds_write_b32 v74, v79
	ds_write2st64_b32 v71, v81, v80 offset1:4
	v_mov_b32_e32 v79, 0
	v_mov_b32_e32 v80, 0
	s_waitcnt lgkmcnt(0)
	v_cmp_le_i32_e32 vcc_lo, s14, v82
	s_barrier
	buffer_gl0_inv
	s_nor_b32 s3, s0, vcc_lo
	s_and_saveexec_b32 s19, s3
	s_cbranch_execz .LBB43_34
; %bb.33:                               ;   in Loop: Header=BB43_24 Depth=1
	v_mad_u64_u32 v[80:81], null, v82, s23, 0
	v_mad_u64_u32 v[83:84], null, v82, s24, v[81:82]
	v_mov_b32_e32 v81, v83
	v_lshlrev_b64 v[80:81], 2, v[80:81]
	v_add_co_u32 v80, s3, v4, v80
	v_add_co_ci_u32_e64 v81, null, v5, v81, s3
	flat_load_dword v80, v[80:81]
.LBB43_34:                              ;   in Loop: Header=BB43_24 Depth=1
	s_or_b32 exec_lo, exec_lo, s19
	v_mad_u64_u32 v[83:84], null, v82, s25, 0
	v_mov_b32_e32 v81, v84
	v_mad_u64_u32 v[81:82], null, v82, s26, v[81:82]
	v_mov_b32_e32 v84, v81
	v_lshlrev_b64 v[82:83], 2, v[83:84]
	v_add_co_u32 v82, s3, s8, v82
	v_add_co_ci_u32_e64 v83, null, s9, v83, s3
	s_nor_b32 s3, s1, vcc_lo
	s_and_saveexec_b32 s19, s3
	s_cbranch_execz .LBB43_36
; %bb.35:                               ;   in Loop: Header=BB43_24 Depth=1
	v_add_co_u32 v84, s3, v82, v2
	v_add_co_ci_u32_e64 v85, null, v83, v3, s3
	flat_load_dword v79, v[84:85]
.LBB43_36:                              ;   in Loop: Header=BB43_24 Depth=1
	s_or_b32 exec_lo, exec_lo, s19
	v_mov_b32_e32 v81, 0
	s_nor_b32 s19, s2, vcc_lo
	s_and_saveexec_b32 s3, s19
	s_cbranch_execz .LBB43_38
; %bb.37:                               ;   in Loop: Header=BB43_24 Depth=1
	v_add_co_u32 v81, vcc_lo, v82, v2
	v_add_co_ci_u32_e64 v82, null, v83, v3, vcc_lo
	flat_load_dword v81, v[81:82] offset:256
.LBB43_38:                              ;   in Loop: Header=BB43_24 Depth=1
	s_or_b32 exec_lo, exec_lo, s3
	s_mov_b32 s19, 0
	s_mov_b32 s3, -1
.LBB43_39:                              ;   Parent Loop BB43_24 Depth=1
                                        ; =>  This Inner Loop Header: Depth=2
	s_lshl_b32 s19, s19, 2
	v_cndmask_b32_e64 v82, 0, 1, s3
	v_add_nc_u32_e32 v102, s19, v73
	v_add_nc_u32_e32 v98, s19, v72
	s_mov_b32 s3, 0
	s_mov_b32 s19, 2
	v_cmp_ne_u32_e32 vcc_lo, 1, v82
	ds_read2st64_b64 v[82:85], v102 offset1:1
	ds_read2_b64 v[86:89], v98 offset1:16
	ds_read2_b64 v[90:93], v98 offset0:32 offset1:48
	ds_read2_b64 v[94:97], v98 offset0:64 offset1:80
	;; [unrolled: 1-line block ×3, first 2 shown]
	ds_read2st64_b64 v[102:105], v102 offset0:2 offset1:3
	s_and_b32 vcc_lo, exec_lo, vcc_lo
	s_waitcnt lgkmcnt(5)
	v_max_f32_e32 v82, v82, v82
	s_waitcnt lgkmcnt(4)
	v_max_f32_e32 v86, v86, v86
	v_max_f32_e32 v83, v83, v83
	;; [unrolled: 1-line block ×5, first 2 shown]
	s_waitcnt lgkmcnt(3)
	v_max_f32_e32 v90, v90, v90
	v_max_f32_e32 v91, v91, v91
	v_max_f32_e32 v92, v92, v92
	v_max_f32_e32 v93, v93, v93
	s_waitcnt lgkmcnt(2)
	v_max_f32_e32 v94, v94, v94
	v_max_f32_e32 v95, v95, v95
	v_max_f32_e32 v96, v96, v96
	v_max_f32_e32 v97, v97, v97
	s_waitcnt lgkmcnt(1)
	v_max_f32_e32 v98, v98, v98
	v_max_f32_e32 v99, v99, v99
	v_max_f32_e32 v100, v100, v100
	v_max_f32_e32 v101, v101, v101
	v_max_f32_e32 v84, v84, v84
	v_max_f32_e32 v85, v85, v85
	s_waitcnt lgkmcnt(0)
	v_max_f32_e32 v102, v102, v102
	v_max_f32_e32 v103, v103, v103
	;; [unrolled: 1-line block ×4, first 2 shown]
	v_min_f32_e32 v106, v86, v82
	v_min_f32_e32 v107, v87, v83
	;; [unrolled: 1-line block ×64, first 2 shown]
	v_add_f32_e32 v69, v69, v107
	v_add_f32_e32 v68, v68, v106
	;; [unrolled: 1-line block ×64, first 2 shown]
	s_cbranch_vccz .LBB43_39
; %bb.40:                               ;   in Loop: Header=BB43_24 Depth=1
	s_add_i32 s18, s18, 8
	s_add_i32 s17, s17, 8
	s_cmp_ge_i32 s18, s16
	s_waitcnt vmcnt(0)
	ds_write_b32 v77, v80
	ds_write2st64_b32 v78, v79, v81 offset1:4
	s_waitcnt lgkmcnt(0)
	s_barrier
	buffer_gl0_inv
	s_cbranch_scc0 .LBB43_24
.LBB43_41:
	s_mov_b32 s1, 0
	s_mov_b32 s0, -1
.LBB43_42:                              ; =>This Inner Loop Header: Depth=1
	s_lshl_b32 s1, s1, 2
	v_cndmask_b32_e64 v2, 0, 1, s0
	v_add_nc_u32_e32 v74, s1, v76
	v_add_nc_u32_e32 v85, s1, v75
	s_mov_b32 s0, 0
	s_mov_b32 s1, 2
	v_cmp_ne_u32_e32 vcc_lo, 1, v2
	ds_read2st64_b64 v[2:5], v74 offset1:1
	ds_read2_b64 v[70:73], v85 offset1:16
	ds_read2_b64 v[77:80], v85 offset0:32 offset1:48
	ds_read2_b64 v[81:84], v85 offset0:64 offset1:80
	;; [unrolled: 1-line block ×3, first 2 shown]
	ds_read2st64_b64 v[89:92], v74 offset0:2 offset1:3
	s_and_b32 vcc_lo, exec_lo, vcc_lo
	s_waitcnt lgkmcnt(5)
	v_max_f32_e32 v2, v2, v2
	s_waitcnt lgkmcnt(4)
	v_max_f32_e32 v70, v70, v70
	v_max_f32_e32 v3, v3, v3
	;; [unrolled: 1-line block ×5, first 2 shown]
	s_waitcnt lgkmcnt(3)
	v_max_f32_e32 v74, v77, v77
	v_max_f32_e32 v77, v78, v78
	v_max_f32_e32 v78, v79, v79
	v_max_f32_e32 v79, v80, v80
	s_waitcnt lgkmcnt(2)
	v_max_f32_e32 v80, v81, v81
	v_max_f32_e32 v81, v82, v82
	v_max_f32_e32 v82, v83, v83
	v_max_f32_e32 v83, v84, v84
	;; [unrolled: 5-line block ×3, first 2 shown]
	v_max_f32_e32 v4, v4, v4
	v_max_f32_e32 v5, v5, v5
	s_waitcnt lgkmcnt(0)
	v_max_f32_e32 v88, v89, v89
	v_max_f32_e32 v89, v90, v90
	;; [unrolled: 1-line block ×4, first 2 shown]
	v_min_f32_e32 v92, v70, v2
	v_min_f32_e32 v93, v71, v3
	v_min_f32_e32 v94, v72, v2
	v_min_f32_e32 v95, v73, v3
	v_min_f32_e32 v96, v74, v2
	v_min_f32_e32 v97, v77, v3
	v_min_f32_e32 v98, v78, v2
	v_min_f32_e32 v99, v79, v3
	v_min_f32_e32 v100, v80, v2
	v_min_f32_e32 v101, v81, v3
	v_min_f32_e32 v102, v82, v2
	v_min_f32_e32 v103, v83, v3
	v_min_f32_e32 v104, v84, v2
	v_min_f32_e32 v105, v85, v3
	v_min_f32_e32 v2, v86, v2
	v_min_f32_e32 v3, v87, v3
	v_min_f32_e32 v106, v70, v4
	v_min_f32_e32 v107, v71, v5
	v_min_f32_e32 v108, v72, v4
	v_min_f32_e32 v109, v73, v5
	v_min_f32_e32 v110, v74, v4
	v_min_f32_e32 v111, v77, v5
	v_min_f32_e32 v112, v78, v4
	v_min_f32_e32 v113, v79, v5
	v_min_f32_e32 v114, v80, v4
	v_min_f32_e32 v115, v81, v5
	v_min_f32_e32 v116, v82, v4
	v_min_f32_e32 v117, v83, v5
	v_min_f32_e32 v118, v84, v4
	v_min_f32_e32 v119, v85, v5
	v_min_f32_e32 v4, v86, v4
	v_min_f32_e32 v5, v87, v5
	v_min_f32_e32 v120, v70, v88
	v_min_f32_e32 v121, v71, v89
	v_min_f32_e32 v122, v72, v88
	v_min_f32_e32 v123, v73, v89
	v_min_f32_e32 v124, v74, v88
	v_min_f32_e32 v125, v77, v89
	v_min_f32_e32 v126, v78, v88
	v_min_f32_e32 v127, v79, v89
	v_min_f32_e32 v128, v80, v88
	v_min_f32_e32 v129, v81, v89
	v_min_f32_e32 v130, v82, v88
	v_min_f32_e32 v131, v83, v89
	v_min_f32_e32 v132, v84, v88
	v_min_f32_e32 v133, v85, v89
	v_min_f32_e32 v88, v86, v88
	v_min_f32_e32 v89, v87, v89
	v_min_f32_e32 v70, v70, v90
	v_min_f32_e32 v71, v71, v91
	v_min_f32_e32 v72, v72, v90
	v_min_f32_e32 v73, v73, v91
	v_min_f32_e32 v74, v74, v90
	v_min_f32_e32 v77, v77, v91
	v_min_f32_e32 v78, v78, v90
	v_min_f32_e32 v79, v79, v91
	v_min_f32_e32 v80, v80, v90
	v_min_f32_e32 v81, v81, v91
	v_min_f32_e32 v82, v82, v90
	v_min_f32_e32 v83, v83, v91
	v_min_f32_e32 v84, v84, v90
	v_min_f32_e32 v85, v85, v91
	v_min_f32_e32 v86, v86, v90
	v_min_f32_e32 v87, v87, v91
	v_add_f32_e32 v69, v69, v93
	v_add_f32_e32 v68, v68, v92
	;; [unrolled: 1-line block ×64, first 2 shown]
	s_cbranch_vccz .LBB43_42
; %bb.43:
	s_clause 0x2
	s_load_dword s14, s[4:5], 0x50
	s_load_dword s9, s[4:5], 0x68
	s_load_dwordx2 s[2:3], s[4:5], 0x70
	v_add_nc_u32_e32 v71, s21, v1
	v_add_nc_u32_e32 v0, s20, v0
	v_cndmask_b32_e64 v70, 0, 1, s22
	v_cmp_gt_i32_e64 s8, s13, v71
	v_cmp_gt_i32_e64 s0, s12, v0
	s_waitcnt lgkmcnt(0)
	v_mad_i64_i32 v[1:2], null, v71, s14, 0
	v_mad_i64_i32 v[3:4], null, v71, s9, 0
	s_lshl_b64 s[2:3], s[2:3], 2
	s_add_u32 s16, s6, s2
	s_addc_u32 s17, s7, s3
	v_lshlrev_b64 v[72:73], 2, v[1:2]
	v_ashrrev_i32_e32 v1, 31, v0
	v_lshlrev_b64 v[2:3], 2, v[3:4]
	s_and_b32 s2, s0, s8
	v_add_co_u32 v74, vcc_lo, s10, v72
	v_add_co_ci_u32_e64 v75, null, s11, v73, vcc_lo
	v_add_co_u32 v72, vcc_lo, s16, v2
	v_add_co_ci_u32_e64 v73, null, s17, v3, vcc_lo
	s_and_saveexec_b32 s1, s2
	s_cbranch_execz .LBB43_48
; %bb.44:
	v_lshlrev_b64 v[2:3], 2, v[0:1]
	s_andn2_b32 vcc_lo, exec_lo, s22
	s_cbranch_vccnz .LBB43_46
; %bb.45:
	v_add_co_u32 v4, vcc_lo, v74, v2
	v_add_co_ci_u32_e64 v5, null, v75, v3, vcc_lo
	flat_load_dword v4, v[4:5]
	s_waitcnt vmcnt(0) lgkmcnt(0)
	v_mul_f32_e32 v4, s15, v4
	s_branch .LBB43_47
.LBB43_46:
	v_mov_b32_e32 v4, 0
.LBB43_47:
	v_add_f32_e32 v5, v68, v69
	v_add_co_u32 v2, vcc_lo, v72, v2
	v_add_co_ci_u32_e64 v3, null, v73, v3, vcc_lo
	v_add_f32_e32 v4, v5, v4
	flat_store_dword v[2:3], v4
.LBB43_48:
	s_or_b32 exec_lo, exec_lo, s1
	v_add_nc_u32_e32 v2, 8, v0
	v_cmp_gt_i32_e64 s1, s12, v2
	v_ashrrev_i32_e32 v3, 31, v2
	s_and_b32 s3, s1, s8
	s_and_saveexec_b32 s2, s3
	s_cbranch_execz .LBB43_53
; %bb.49:
	v_cmp_ne_u32_e32 vcc_lo, 1, v70
	v_lshlrev_b64 v[4:5], 2, v[2:3]
	s_cbranch_vccnz .LBB43_51
; %bb.50:
	v_add_co_u32 v68, vcc_lo, v74, v4
	v_add_co_ci_u32_e64 v69, null, v75, v5, vcc_lo
	flat_load_dword v68, v[68:69]
	s_waitcnt vmcnt(0) lgkmcnt(0)
	v_mul_f32_e32 v68, s15, v68
	s_branch .LBB43_52
.LBB43_51:
	v_mov_b32_e32 v68, 0
.LBB43_52:
	v_add_f32_e32 v6, v6, v7
	v_add_co_u32 v4, vcc_lo, v72, v4
	v_add_co_ci_u32_e64 v5, null, v73, v5, vcc_lo
	v_add_f32_e32 v6, v6, v68
	flat_store_dword v[4:5], v6
.LBB43_53:
	s_or_b32 exec_lo, exec_lo, s2
	v_add_nc_u32_e32 v4, 16, v0
	v_cmp_gt_i32_e64 s2, s12, v4
	v_ashrrev_i32_e32 v5, 31, v4
	s_and_b32 s4, s2, s8
	s_and_saveexec_b32 s3, s4
	s_cbranch_execz .LBB43_58
; %bb.54:
	v_cmp_ne_u32_e32 vcc_lo, 1, v70
	v_lshlrev_b64 v[6:7], 2, v[4:5]
	s_cbranch_vccnz .LBB43_56
; %bb.55:
	v_add_co_u32 v68, vcc_lo, v74, v6
	v_add_co_ci_u32_e64 v69, null, v75, v7, vcc_lo
	flat_load_dword v68, v[68:69]
	s_waitcnt vmcnt(0) lgkmcnt(0)
	v_mul_f32_e32 v68, s15, v68
	s_branch .LBB43_57
.LBB43_56:
	v_mov_b32_e32 v68, 0
.LBB43_57:
	v_add_f32_e32 v8, v8, v9
	v_add_co_u32 v6, vcc_lo, v72, v6
	v_add_co_ci_u32_e64 v7, null, v73, v7, vcc_lo
	v_add_f32_e32 v8, v8, v68
	flat_store_dword v[6:7], v8
.LBB43_58:
	s_or_b32 exec_lo, exec_lo, s3
	v_add_nc_u32_e32 v6, 24, v0
	v_cmp_gt_i32_e64 s3, s12, v6
	v_ashrrev_i32_e32 v7, 31, v6
	s_and_b32 s5, s3, s8
	s_and_saveexec_b32 s4, s5
	s_cbranch_execz .LBB43_63
; %bb.59:
	v_cmp_ne_u32_e32 vcc_lo, 1, v70
	v_lshlrev_b64 v[8:9], 2, v[6:7]
	s_cbranch_vccnz .LBB43_61
; %bb.60:
	v_add_co_u32 v68, vcc_lo, v74, v8
	v_add_co_ci_u32_e64 v69, null, v75, v9, vcc_lo
	flat_load_dword v68, v[68:69]
	s_waitcnt vmcnt(0) lgkmcnt(0)
	v_mul_f32_e32 v68, s15, v68
	s_branch .LBB43_62
.LBB43_61:
	v_mov_b32_e32 v68, 0
.LBB43_62:
	v_add_f32_e32 v10, v10, v11
	v_add_co_u32 v8, vcc_lo, v72, v8
	v_add_co_ci_u32_e64 v9, null, v73, v9, vcc_lo
	v_add_f32_e32 v10, v10, v68
	flat_store_dword v[8:9], v10
.LBB43_63:
	s_or_b32 exec_lo, exec_lo, s4
	v_add_nc_u32_e32 v8, 32, v0
	v_cmp_gt_i32_e64 s4, s12, v8
	v_ashrrev_i32_e32 v9, 31, v8
	s_and_b32 s6, s4, s8
	s_and_saveexec_b32 s5, s6
	s_cbranch_execz .LBB43_68
; %bb.64:
	v_cmp_ne_u32_e32 vcc_lo, 1, v70
	v_lshlrev_b64 v[10:11], 2, v[8:9]
	s_cbranch_vccnz .LBB43_66
; %bb.65:
	v_add_co_u32 v68, vcc_lo, v74, v10
	v_add_co_ci_u32_e64 v69, null, v75, v11, vcc_lo
	flat_load_dword v68, v[68:69]
	s_waitcnt vmcnt(0) lgkmcnt(0)
	v_mul_f32_e32 v68, s15, v68
	s_branch .LBB43_67
.LBB43_66:
	v_mov_b32_e32 v68, 0
.LBB43_67:
	v_add_f32_e32 v12, v12, v13
	v_add_co_u32 v10, vcc_lo, v72, v10
	v_add_co_ci_u32_e64 v11, null, v73, v11, vcc_lo
	v_add_f32_e32 v12, v12, v68
	flat_store_dword v[10:11], v12
.LBB43_68:
	s_or_b32 exec_lo, exec_lo, s5
	v_add_nc_u32_e32 v10, 40, v0
	v_cmp_gt_i32_e64 s5, s12, v10
	v_ashrrev_i32_e32 v11, 31, v10
	s_and_b32 s7, s5, s8
	s_and_saveexec_b32 s6, s7
	s_cbranch_execz .LBB43_73
; %bb.69:
	v_cmp_ne_u32_e32 vcc_lo, 1, v70
	v_lshlrev_b64 v[12:13], 2, v[10:11]
	s_cbranch_vccnz .LBB43_71
; %bb.70:
	v_add_co_u32 v68, vcc_lo, v74, v12
	v_add_co_ci_u32_e64 v69, null, v75, v13, vcc_lo
	flat_load_dword v68, v[68:69]
	s_waitcnt vmcnt(0) lgkmcnt(0)
	v_mul_f32_e32 v68, s15, v68
	s_branch .LBB43_72
.LBB43_71:
	v_mov_b32_e32 v68, 0
.LBB43_72:
	v_add_f32_e32 v14, v14, v15
	v_add_co_u32 v12, vcc_lo, v72, v12
	v_add_co_ci_u32_e64 v13, null, v73, v13, vcc_lo
	v_add_f32_e32 v14, v14, v68
	flat_store_dword v[12:13], v14
.LBB43_73:
	s_or_b32 exec_lo, exec_lo, s6
	v_add_nc_u32_e32 v12, 48, v0
	v_cmp_gt_i32_e64 s6, s12, v12
	v_ashrrev_i32_e32 v13, 31, v12
	s_and_b32 s18, s6, s8
	s_and_saveexec_b32 s7, s18
	s_cbranch_execz .LBB43_78
; %bb.74:
	v_cmp_ne_u32_e32 vcc_lo, 1, v70
	v_lshlrev_b64 v[14:15], 2, v[12:13]
	s_cbranch_vccnz .LBB43_76
; %bb.75:
	v_add_co_u32 v68, vcc_lo, v74, v14
	v_add_co_ci_u32_e64 v69, null, v75, v15, vcc_lo
	flat_load_dword v68, v[68:69]
	s_waitcnt vmcnt(0) lgkmcnt(0)
	v_mul_f32_e32 v68, s15, v68
	s_branch .LBB43_77
.LBB43_76:
	v_mov_b32_e32 v68, 0
.LBB43_77:
	v_add_f32_e32 v16, v16, v17
	v_add_co_u32 v14, vcc_lo, v72, v14
	v_add_co_ci_u32_e64 v15, null, v73, v15, vcc_lo
	v_add_f32_e32 v16, v16, v68
	flat_store_dword v[14:15], v16
.LBB43_78:
	s_or_b32 exec_lo, exec_lo, s7
	v_add_nc_u32_e32 v14, 56, v0
	v_cmp_gt_i32_e64 s7, s12, v14
	v_ashrrev_i32_e32 v15, 31, v14
	s_and_b32 s12, s7, s8
	s_and_saveexec_b32 s8, s12
	s_cbranch_execz .LBB43_83
; %bb.79:
	v_cmp_ne_u32_e32 vcc_lo, 1, v70
	v_lshlrev_b64 v[16:17], 2, v[14:15]
	s_cbranch_vccnz .LBB43_81
; %bb.80:
	v_add_co_u32 v68, vcc_lo, v74, v16
	v_add_co_ci_u32_e64 v69, null, v75, v17, vcc_lo
	flat_load_dword v68, v[68:69]
	s_waitcnt vmcnt(0) lgkmcnt(0)
	v_mul_f32_e32 v68, s15, v68
	s_branch .LBB43_82
.LBB43_81:
	v_mov_b32_e32 v68, 0
.LBB43_82:
	v_add_f32_e32 v66, v66, v67
	v_add_co_u32 v16, vcc_lo, v72, v16
	v_add_co_ci_u32_e64 v17, null, v73, v17, vcc_lo
	v_add_f32_e32 v66, v66, v68
	flat_store_dword v[16:17], v66
.LBB43_83:
	s_or_b32 exec_lo, exec_lo, s8
	v_add_nc_u32_e32 v68, 32, v71
	v_mad_i64_i32 v[16:17], null, v68, s14, 0
	v_mad_i64_i32 v[66:67], null, v68, s9, 0
	v_cmp_gt_i32_e64 s8, s13, v68
	v_lshlrev_b64 v[16:17], 2, v[16:17]
	s_and_b32 s18, s0, s8
	v_lshlrev_b64 v[66:67], 2, v[66:67]
	v_add_co_u32 v68, vcc_lo, s10, v16
	v_add_co_ci_u32_e64 v69, null, s11, v17, vcc_lo
	v_add_co_u32 v66, vcc_lo, s16, v66
	v_add_co_ci_u32_e64 v67, null, s17, v67, vcc_lo
	s_and_saveexec_b32 s12, s18
	s_cbranch_execnz .LBB43_91
; %bb.84:
	s_or_b32 exec_lo, exec_lo, s12
	s_and_b32 s18, s1, s8
	s_and_saveexec_b32 s12, s18
	s_cbranch_execnz .LBB43_95
.LBB43_85:
	s_or_b32 exec_lo, exec_lo, s12
	s_and_b32 s18, s2, s8
	s_and_saveexec_b32 s12, s18
	s_cbranch_execnz .LBB43_99
.LBB43_86:
	s_or_b32 exec_lo, exec_lo, s12
	s_and_b32 s18, s3, s8
	s_and_saveexec_b32 s12, s18
	s_cbranch_execnz .LBB43_103
.LBB43_87:
	s_or_b32 exec_lo, exec_lo, s12
	s_and_b32 s18, s4, s8
	s_and_saveexec_b32 s12, s18
	s_cbranch_execnz .LBB43_107
.LBB43_88:
	s_or_b32 exec_lo, exec_lo, s12
	s_and_b32 s18, s5, s8
	s_and_saveexec_b32 s12, s18
	s_cbranch_execnz .LBB43_111
.LBB43_89:
	s_or_b32 exec_lo, exec_lo, s12
	s_and_b32 s18, s6, s8
	s_and_saveexec_b32 s12, s18
	s_cbranch_execnz .LBB43_115
.LBB43_90:
	s_or_b32 exec_lo, exec_lo, s12
	s_and_b32 s12, s7, s8
	s_and_saveexec_b32 s8, s12
	s_cbranch_execnz .LBB43_119
	s_branch .LBB43_123
.LBB43_91:
	v_cmp_ne_u32_e32 vcc_lo, 1, v70
	v_lshlrev_b64 v[16:17], 2, v[0:1]
	s_cbranch_vccnz .LBB43_93
; %bb.92:
	v_add_co_u32 v72, vcc_lo, v68, v16
	v_add_co_ci_u32_e64 v73, null, v69, v17, vcc_lo
	flat_load_dword v72, v[72:73]
	s_waitcnt vmcnt(0) lgkmcnt(0)
	v_mul_f32_e32 v72, s15, v72
	s_branch .LBB43_94
.LBB43_93:
	v_mov_b32_e32 v72, 0
.LBB43_94:
	v_add_f32_e32 v64, v64, v65
	v_add_co_u32 v16, vcc_lo, v66, v16
	v_add_co_ci_u32_e64 v17, null, v67, v17, vcc_lo
	v_add_f32_e32 v64, v64, v72
	flat_store_dword v[16:17], v64
	s_or_b32 exec_lo, exec_lo, s12
	s_and_b32 s18, s1, s8
	s_and_saveexec_b32 s12, s18
	s_cbranch_execz .LBB43_85
.LBB43_95:
	v_cmp_ne_u32_e32 vcc_lo, 1, v70
	v_lshlrev_b64 v[16:17], 2, v[2:3]
	s_cbranch_vccnz .LBB43_97
; %bb.96:
	v_add_co_u32 v64, vcc_lo, v68, v16
	v_add_co_ci_u32_e64 v65, null, v69, v17, vcc_lo
	flat_load_dword v64, v[64:65]
	s_waitcnt vmcnt(0) lgkmcnt(0)
	v_mul_f32_e32 v64, s15, v64
	s_branch .LBB43_98
.LBB43_97:
	v_mov_b32_e32 v64, 0
.LBB43_98:
	v_add_f32_e32 v62, v62, v63
	v_add_co_u32 v16, vcc_lo, v66, v16
	v_add_co_ci_u32_e64 v17, null, v67, v17, vcc_lo
	v_add_f32_e32 v62, v62, v64
	flat_store_dword v[16:17], v62
	s_or_b32 exec_lo, exec_lo, s12
	s_and_b32 s18, s2, s8
	s_and_saveexec_b32 s12, s18
	s_cbranch_execz .LBB43_86
.LBB43_99:
	v_cmp_ne_u32_e32 vcc_lo, 1, v70
	v_lshlrev_b64 v[16:17], 2, v[4:5]
	s_cbranch_vccnz .LBB43_101
; %bb.100:
	v_add_co_u32 v62, vcc_lo, v68, v16
	v_add_co_ci_u32_e64 v63, null, v69, v17, vcc_lo
	flat_load_dword v62, v[62:63]
	s_waitcnt vmcnt(0) lgkmcnt(0)
	v_mul_f32_e32 v62, s15, v62
	s_branch .LBB43_102
.LBB43_101:
	v_mov_b32_e32 v62, 0
.LBB43_102:
	v_add_f32_e32 v60, v60, v61
	v_add_co_u32 v16, vcc_lo, v66, v16
	v_add_co_ci_u32_e64 v17, null, v67, v17, vcc_lo
	v_add_f32_e32 v60, v60, v62
	flat_store_dword v[16:17], v60
	s_or_b32 exec_lo, exec_lo, s12
	s_and_b32 s18, s3, s8
	s_and_saveexec_b32 s12, s18
	s_cbranch_execz .LBB43_87
.LBB43_103:
	v_cmp_ne_u32_e32 vcc_lo, 1, v70
	v_lshlrev_b64 v[16:17], 2, v[6:7]
	s_cbranch_vccnz .LBB43_105
; %bb.104:
	v_add_co_u32 v60, vcc_lo, v68, v16
	v_add_co_ci_u32_e64 v61, null, v69, v17, vcc_lo
	flat_load_dword v60, v[60:61]
	s_waitcnt vmcnt(0) lgkmcnt(0)
	v_mul_f32_e32 v60, s15, v60
	s_branch .LBB43_106
.LBB43_105:
	v_mov_b32_e32 v60, 0
.LBB43_106:
	v_add_f32_e32 v58, v58, v59
	v_add_co_u32 v16, vcc_lo, v66, v16
	v_add_co_ci_u32_e64 v17, null, v67, v17, vcc_lo
	v_add_f32_e32 v58, v58, v60
	flat_store_dword v[16:17], v58
	s_or_b32 exec_lo, exec_lo, s12
	s_and_b32 s18, s4, s8
	s_and_saveexec_b32 s12, s18
	s_cbranch_execz .LBB43_88
.LBB43_107:
	v_cmp_ne_u32_e32 vcc_lo, 1, v70
	v_lshlrev_b64 v[16:17], 2, v[8:9]
	s_cbranch_vccnz .LBB43_109
; %bb.108:
	v_add_co_u32 v58, vcc_lo, v68, v16
	v_add_co_ci_u32_e64 v59, null, v69, v17, vcc_lo
	flat_load_dword v58, v[58:59]
	s_waitcnt vmcnt(0) lgkmcnt(0)
	v_mul_f32_e32 v58, s15, v58
	s_branch .LBB43_110
.LBB43_109:
	v_mov_b32_e32 v58, 0
.LBB43_110:
	v_add_f32_e32 v56, v56, v57
	v_add_co_u32 v16, vcc_lo, v66, v16
	v_add_co_ci_u32_e64 v17, null, v67, v17, vcc_lo
	v_add_f32_e32 v56, v56, v58
	flat_store_dword v[16:17], v56
	s_or_b32 exec_lo, exec_lo, s12
	s_and_b32 s18, s5, s8
	s_and_saveexec_b32 s12, s18
	s_cbranch_execz .LBB43_89
.LBB43_111:
	v_cmp_ne_u32_e32 vcc_lo, 1, v70
	v_lshlrev_b64 v[16:17], 2, v[10:11]
	s_cbranch_vccnz .LBB43_113
; %bb.112:
	v_add_co_u32 v56, vcc_lo, v68, v16
	v_add_co_ci_u32_e64 v57, null, v69, v17, vcc_lo
	flat_load_dword v56, v[56:57]
	s_waitcnt vmcnt(0) lgkmcnt(0)
	v_mul_f32_e32 v56, s15, v56
	s_branch .LBB43_114
.LBB43_113:
	v_mov_b32_e32 v56, 0
.LBB43_114:
	v_add_f32_e32 v54, v54, v55
	v_add_co_u32 v16, vcc_lo, v66, v16
	v_add_co_ci_u32_e64 v17, null, v67, v17, vcc_lo
	v_add_f32_e32 v54, v54, v56
	flat_store_dword v[16:17], v54
	s_or_b32 exec_lo, exec_lo, s12
	s_and_b32 s18, s6, s8
	s_and_saveexec_b32 s12, s18
	s_cbranch_execz .LBB43_90
.LBB43_115:
	v_cmp_ne_u32_e32 vcc_lo, 1, v70
	v_lshlrev_b64 v[16:17], 2, v[12:13]
	s_cbranch_vccnz .LBB43_117
; %bb.116:
	v_add_co_u32 v54, vcc_lo, v68, v16
	v_add_co_ci_u32_e64 v55, null, v69, v17, vcc_lo
	flat_load_dword v54, v[54:55]
	s_waitcnt vmcnt(0) lgkmcnt(0)
	v_mul_f32_e32 v54, s15, v54
	s_branch .LBB43_118
.LBB43_117:
	v_mov_b32_e32 v54, 0
.LBB43_118:
	v_add_f32_e32 v52, v52, v53
	v_add_co_u32 v16, vcc_lo, v66, v16
	v_add_co_ci_u32_e64 v17, null, v67, v17, vcc_lo
	v_add_f32_e32 v52, v52, v54
	flat_store_dword v[16:17], v52
	s_or_b32 exec_lo, exec_lo, s12
	s_and_b32 s12, s7, s8
	s_and_saveexec_b32 s8, s12
	s_cbranch_execz .LBB43_123
.LBB43_119:
	v_cmp_ne_u32_e32 vcc_lo, 1, v70
	v_lshlrev_b64 v[16:17], 2, v[14:15]
	s_cbranch_vccnz .LBB43_121
; %bb.120:
	v_add_co_u32 v52, vcc_lo, v68, v16
	v_add_co_ci_u32_e64 v53, null, v69, v17, vcc_lo
	flat_load_dword v52, v[52:53]
	s_waitcnt vmcnt(0) lgkmcnt(0)
	v_mul_f32_e32 v52, s15, v52
	s_branch .LBB43_122
.LBB43_121:
	v_mov_b32_e32 v52, 0
.LBB43_122:
	v_add_f32_e32 v50, v50, v51
	v_add_co_u32 v16, vcc_lo, v66, v16
	v_add_co_ci_u32_e64 v17, null, v67, v17, vcc_lo
	v_add_f32_e32 v50, v50, v52
	flat_store_dword v[16:17], v50
.LBB43_123:
	s_or_b32 exec_lo, exec_lo, s8
	v_add_nc_u32_e32 v52, 64, v71
	v_mad_i64_i32 v[16:17], null, v52, s14, 0
	v_mad_i64_i32 v[50:51], null, v52, s9, 0
	v_cmp_gt_i32_e64 s8, s13, v52
	v_lshlrev_b64 v[16:17], 2, v[16:17]
	s_and_b32 s18, s0, s8
	v_lshlrev_b64 v[50:51], 2, v[50:51]
	v_add_co_u32 v52, vcc_lo, s10, v16
	v_add_co_ci_u32_e64 v53, null, s11, v17, vcc_lo
	v_add_co_u32 v50, vcc_lo, s16, v50
	v_add_co_ci_u32_e64 v51, null, s17, v51, vcc_lo
	s_and_saveexec_b32 s12, s18
	s_cbranch_execnz .LBB43_131
; %bb.124:
	s_or_b32 exec_lo, exec_lo, s12
	s_and_b32 s18, s1, s8
	s_and_saveexec_b32 s12, s18
	s_cbranch_execnz .LBB43_135
.LBB43_125:
	s_or_b32 exec_lo, exec_lo, s12
	s_and_b32 s18, s2, s8
	s_and_saveexec_b32 s12, s18
	s_cbranch_execnz .LBB43_139
.LBB43_126:
	s_or_b32 exec_lo, exec_lo, s12
	s_and_b32 s18, s3, s8
	s_and_saveexec_b32 s12, s18
	s_cbranch_execnz .LBB43_143
.LBB43_127:
	s_or_b32 exec_lo, exec_lo, s12
	s_and_b32 s18, s4, s8
	s_and_saveexec_b32 s12, s18
	s_cbranch_execnz .LBB43_147
.LBB43_128:
	s_or_b32 exec_lo, exec_lo, s12
	s_and_b32 s18, s5, s8
	s_and_saveexec_b32 s12, s18
	s_cbranch_execnz .LBB43_151
.LBB43_129:
	s_or_b32 exec_lo, exec_lo, s12
	s_and_b32 s18, s6, s8
	s_and_saveexec_b32 s12, s18
	s_cbranch_execnz .LBB43_155
.LBB43_130:
	s_or_b32 exec_lo, exec_lo, s12
	s_and_b32 s12, s7, s8
	s_and_saveexec_b32 s8, s12
	s_cbranch_execnz .LBB43_159
	s_branch .LBB43_163
.LBB43_131:
	v_cmp_ne_u32_e32 vcc_lo, 1, v70
	v_lshlrev_b64 v[16:17], 2, v[0:1]
	s_cbranch_vccnz .LBB43_133
; %bb.132:
	v_add_co_u32 v54, vcc_lo, v52, v16
	v_add_co_ci_u32_e64 v55, null, v53, v17, vcc_lo
	flat_load_dword v54, v[54:55]
	s_waitcnt vmcnt(0) lgkmcnt(0)
	v_mul_f32_e32 v54, s15, v54
	s_branch .LBB43_134
.LBB43_133:
	v_mov_b32_e32 v54, 0
.LBB43_134:
	v_add_f32_e32 v48, v48, v49
	v_add_co_u32 v16, vcc_lo, v50, v16
	v_add_co_ci_u32_e64 v17, null, v51, v17, vcc_lo
	v_add_f32_e32 v48, v48, v54
	flat_store_dword v[16:17], v48
	s_or_b32 exec_lo, exec_lo, s12
	s_and_b32 s18, s1, s8
	s_and_saveexec_b32 s12, s18
	s_cbranch_execz .LBB43_125
.LBB43_135:
	v_cmp_ne_u32_e32 vcc_lo, 1, v70
	v_lshlrev_b64 v[16:17], 2, v[2:3]
	s_cbranch_vccnz .LBB43_137
; %bb.136:
	v_add_co_u32 v48, vcc_lo, v52, v16
	v_add_co_ci_u32_e64 v49, null, v53, v17, vcc_lo
	flat_load_dword v48, v[48:49]
	s_waitcnt vmcnt(0) lgkmcnt(0)
	v_mul_f32_e32 v48, s15, v48
	s_branch .LBB43_138
.LBB43_137:
	v_mov_b32_e32 v48, 0
.LBB43_138:
	v_add_f32_e32 v46, v46, v47
	v_add_co_u32 v16, vcc_lo, v50, v16
	v_add_co_ci_u32_e64 v17, null, v51, v17, vcc_lo
	v_add_f32_e32 v46, v46, v48
	flat_store_dword v[16:17], v46
	s_or_b32 exec_lo, exec_lo, s12
	s_and_b32 s18, s2, s8
	s_and_saveexec_b32 s12, s18
	s_cbranch_execz .LBB43_126
.LBB43_139:
	v_cmp_ne_u32_e32 vcc_lo, 1, v70
	v_lshlrev_b64 v[16:17], 2, v[4:5]
	s_cbranch_vccnz .LBB43_141
; %bb.140:
	v_add_co_u32 v46, vcc_lo, v52, v16
	v_add_co_ci_u32_e64 v47, null, v53, v17, vcc_lo
	flat_load_dword v46, v[46:47]
	s_waitcnt vmcnt(0) lgkmcnt(0)
	v_mul_f32_e32 v46, s15, v46
	s_branch .LBB43_142
.LBB43_141:
	v_mov_b32_e32 v46, 0
.LBB43_142:
	v_add_f32_e32 v44, v44, v45
	v_add_co_u32 v16, vcc_lo, v50, v16
	v_add_co_ci_u32_e64 v17, null, v51, v17, vcc_lo
	v_add_f32_e32 v44, v44, v46
	flat_store_dword v[16:17], v44
	s_or_b32 exec_lo, exec_lo, s12
	s_and_b32 s18, s3, s8
	s_and_saveexec_b32 s12, s18
	s_cbranch_execz .LBB43_127
.LBB43_143:
	v_cmp_ne_u32_e32 vcc_lo, 1, v70
	v_lshlrev_b64 v[16:17], 2, v[6:7]
	s_cbranch_vccnz .LBB43_145
; %bb.144:
	v_add_co_u32 v44, vcc_lo, v52, v16
	v_add_co_ci_u32_e64 v45, null, v53, v17, vcc_lo
	flat_load_dword v44, v[44:45]
	s_waitcnt vmcnt(0) lgkmcnt(0)
	v_mul_f32_e32 v44, s15, v44
	s_branch .LBB43_146
.LBB43_145:
	v_mov_b32_e32 v44, 0
.LBB43_146:
	v_add_f32_e32 v42, v42, v43
	v_add_co_u32 v16, vcc_lo, v50, v16
	v_add_co_ci_u32_e64 v17, null, v51, v17, vcc_lo
	v_add_f32_e32 v42, v42, v44
	flat_store_dword v[16:17], v42
	s_or_b32 exec_lo, exec_lo, s12
	s_and_b32 s18, s4, s8
	s_and_saveexec_b32 s12, s18
	s_cbranch_execz .LBB43_128
.LBB43_147:
	v_cmp_ne_u32_e32 vcc_lo, 1, v70
	v_lshlrev_b64 v[16:17], 2, v[8:9]
	s_cbranch_vccnz .LBB43_149
; %bb.148:
	v_add_co_u32 v42, vcc_lo, v52, v16
	v_add_co_ci_u32_e64 v43, null, v53, v17, vcc_lo
	flat_load_dword v42, v[42:43]
	s_waitcnt vmcnt(0) lgkmcnt(0)
	v_mul_f32_e32 v42, s15, v42
	s_branch .LBB43_150
.LBB43_149:
	v_mov_b32_e32 v42, 0
.LBB43_150:
	v_add_f32_e32 v40, v40, v41
	v_add_co_u32 v16, vcc_lo, v50, v16
	v_add_co_ci_u32_e64 v17, null, v51, v17, vcc_lo
	v_add_f32_e32 v40, v40, v42
	flat_store_dword v[16:17], v40
	s_or_b32 exec_lo, exec_lo, s12
	s_and_b32 s18, s5, s8
	s_and_saveexec_b32 s12, s18
	s_cbranch_execz .LBB43_129
.LBB43_151:
	v_cmp_ne_u32_e32 vcc_lo, 1, v70
	v_lshlrev_b64 v[16:17], 2, v[10:11]
	s_cbranch_vccnz .LBB43_153
; %bb.152:
	v_add_co_u32 v40, vcc_lo, v52, v16
	v_add_co_ci_u32_e64 v41, null, v53, v17, vcc_lo
	flat_load_dword v40, v[40:41]
	s_waitcnt vmcnt(0) lgkmcnt(0)
	v_mul_f32_e32 v40, s15, v40
	s_branch .LBB43_154
.LBB43_153:
	v_mov_b32_e32 v40, 0
.LBB43_154:
	v_add_f32_e32 v38, v38, v39
	v_add_co_u32 v16, vcc_lo, v50, v16
	v_add_co_ci_u32_e64 v17, null, v51, v17, vcc_lo
	v_add_f32_e32 v38, v38, v40
	flat_store_dword v[16:17], v38
	s_or_b32 exec_lo, exec_lo, s12
	s_and_b32 s18, s6, s8
	s_and_saveexec_b32 s12, s18
	s_cbranch_execz .LBB43_130
.LBB43_155:
	v_cmp_ne_u32_e32 vcc_lo, 1, v70
	v_lshlrev_b64 v[16:17], 2, v[12:13]
	s_cbranch_vccnz .LBB43_157
; %bb.156:
	v_add_co_u32 v38, vcc_lo, v52, v16
	v_add_co_ci_u32_e64 v39, null, v53, v17, vcc_lo
	flat_load_dword v38, v[38:39]
	s_waitcnt vmcnt(0) lgkmcnt(0)
	v_mul_f32_e32 v38, s15, v38
	s_branch .LBB43_158
.LBB43_157:
	v_mov_b32_e32 v38, 0
.LBB43_158:
	v_add_f32_e32 v36, v36, v37
	v_add_co_u32 v16, vcc_lo, v50, v16
	v_add_co_ci_u32_e64 v17, null, v51, v17, vcc_lo
	v_add_f32_e32 v36, v36, v38
	flat_store_dword v[16:17], v36
	s_or_b32 exec_lo, exec_lo, s12
	s_and_b32 s12, s7, s8
	s_and_saveexec_b32 s8, s12
	s_cbranch_execz .LBB43_163
.LBB43_159:
	v_cmp_ne_u32_e32 vcc_lo, 1, v70
	v_lshlrev_b64 v[16:17], 2, v[14:15]
	s_cbranch_vccnz .LBB43_161
; %bb.160:
	v_add_co_u32 v36, vcc_lo, v52, v16
	v_add_co_ci_u32_e64 v37, null, v53, v17, vcc_lo
	flat_load_dword v36, v[36:37]
	s_waitcnt vmcnt(0) lgkmcnt(0)
	v_mul_f32_e32 v36, s15, v36
	s_branch .LBB43_162
.LBB43_161:
	v_mov_b32_e32 v36, 0
.LBB43_162:
	v_add_f32_e32 v34, v34, v35
	v_add_co_u32 v16, vcc_lo, v50, v16
	v_add_co_ci_u32_e64 v17, null, v51, v17, vcc_lo
	v_add_f32_e32 v34, v34, v36
	flat_store_dword v[16:17], v34
.LBB43_163:
	s_or_b32 exec_lo, exec_lo, s8
	v_add_nc_u32_e32 v36, 0x60, v71
	v_mad_i64_i32 v[16:17], null, v36, s14, 0
	v_mad_i64_i32 v[34:35], null, v36, s9, 0
	v_cmp_gt_i32_e64 s8, s13, v36
	v_lshlrev_b64 v[16:17], 2, v[16:17]
	s_and_b32 s9, s0, s8
	v_lshlrev_b64 v[36:37], 2, v[34:35]
	v_add_co_u32 v34, vcc_lo, s10, v16
	v_add_co_ci_u32_e64 v35, null, s11, v17, vcc_lo
	v_add_co_u32 v16, vcc_lo, s16, v36
	v_add_co_ci_u32_e64 v17, null, s17, v37, vcc_lo
	s_and_saveexec_b32 s0, s9
	s_cbranch_execnz .LBB43_172
; %bb.164:
	s_or_b32 exec_lo, exec_lo, s0
	s_and_b32 s1, s1, s8
	s_and_saveexec_b32 s0, s1
	s_cbranch_execnz .LBB43_176
.LBB43_165:
	s_or_b32 exec_lo, exec_lo, s0
	s_and_b32 s1, s2, s8
	s_and_saveexec_b32 s0, s1
	s_cbranch_execnz .LBB43_180
.LBB43_166:
	s_or_b32 exec_lo, exec_lo, s0
	s_and_b32 s1, s3, s8
	s_and_saveexec_b32 s0, s1
	s_cbranch_execnz .LBB43_184
.LBB43_167:
	s_or_b32 exec_lo, exec_lo, s0
	s_and_b32 s1, s4, s8
	s_and_saveexec_b32 s0, s1
	s_cbranch_execnz .LBB43_188
.LBB43_168:
	s_or_b32 exec_lo, exec_lo, s0
	s_and_b32 s1, s5, s8
	s_and_saveexec_b32 s0, s1
	s_cbranch_execnz .LBB43_192
.LBB43_169:
	s_or_b32 exec_lo, exec_lo, s0
	s_and_b32 s1, s6, s8
	s_and_saveexec_b32 s0, s1
	s_cbranch_execnz .LBB43_196
.LBB43_170:
	s_or_b32 exec_lo, exec_lo, s0
	s_and_b32 s0, s7, s8
	s_and_saveexec_b32 s1, s0
	s_cbranch_execnz .LBB43_200
.LBB43_171:
	s_endpgm
.LBB43_172:
	v_cmp_ne_u32_e32 vcc_lo, 1, v70
	v_lshlrev_b64 v[0:1], 2, v[0:1]
	s_cbranch_vccnz .LBB43_174
; %bb.173:
	v_add_co_u32 v36, vcc_lo, v34, v0
	v_add_co_ci_u32_e64 v37, null, v35, v1, vcc_lo
	flat_load_dword v36, v[36:37]
	s_waitcnt vmcnt(0) lgkmcnt(0)
	v_mul_f32_e32 v36, s15, v36
	s_branch .LBB43_175
.LBB43_174:
	v_mov_b32_e32 v36, 0
.LBB43_175:
	v_add_f32_e32 v32, v32, v33
	v_add_co_u32 v0, vcc_lo, v16, v0
	v_add_co_ci_u32_e64 v1, null, v17, v1, vcc_lo
	v_add_f32_e32 v32, v32, v36
	flat_store_dword v[0:1], v32
	s_or_b32 exec_lo, exec_lo, s0
	s_and_b32 s1, s1, s8
	s_and_saveexec_b32 s0, s1
	s_cbranch_execz .LBB43_165
.LBB43_176:
	v_cmp_ne_u32_e32 vcc_lo, 1, v70
	v_lshlrev_b64 v[0:1], 2, v[2:3]
	s_cbranch_vccnz .LBB43_178
; %bb.177:
	v_add_co_u32 v2, vcc_lo, v34, v0
	v_add_co_ci_u32_e64 v3, null, v35, v1, vcc_lo
	flat_load_dword v2, v[2:3]
	s_waitcnt vmcnt(0) lgkmcnt(0)
	v_mul_f32_e32 v2, s15, v2
	s_branch .LBB43_179
.LBB43_178:
	v_mov_b32_e32 v2, 0
.LBB43_179:
	v_add_f32_e32 v3, v30, v31
	v_add_co_u32 v0, vcc_lo, v16, v0
	v_add_co_ci_u32_e64 v1, null, v17, v1, vcc_lo
	v_add_f32_e32 v2, v3, v2
	flat_store_dword v[0:1], v2
	s_or_b32 exec_lo, exec_lo, s0
	s_and_b32 s1, s2, s8
	s_and_saveexec_b32 s0, s1
	s_cbranch_execz .LBB43_166
.LBB43_180:
	v_cmp_ne_u32_e32 vcc_lo, 1, v70
	v_lshlrev_b64 v[0:1], 2, v[4:5]
	s_cbranch_vccnz .LBB43_182
; %bb.181:
	v_add_co_u32 v2, vcc_lo, v34, v0
	v_add_co_ci_u32_e64 v3, null, v35, v1, vcc_lo
	flat_load_dword v2, v[2:3]
	s_waitcnt vmcnt(0) lgkmcnt(0)
	v_mul_f32_e32 v2, s15, v2
	s_branch .LBB43_183
.LBB43_182:
	v_mov_b32_e32 v2, 0
.LBB43_183:
	v_add_f32_e32 v3, v28, v29
	v_add_co_u32 v0, vcc_lo, v16, v0
	v_add_co_ci_u32_e64 v1, null, v17, v1, vcc_lo
	v_add_f32_e32 v2, v3, v2
	flat_store_dword v[0:1], v2
	s_or_b32 exec_lo, exec_lo, s0
	s_and_b32 s1, s3, s8
	s_and_saveexec_b32 s0, s1
	s_cbranch_execz .LBB43_167
.LBB43_184:
	v_cmp_ne_u32_e32 vcc_lo, 1, v70
	v_lshlrev_b64 v[0:1], 2, v[6:7]
	s_cbranch_vccnz .LBB43_186
; %bb.185:
	v_add_co_u32 v2, vcc_lo, v34, v0
	v_add_co_ci_u32_e64 v3, null, v35, v1, vcc_lo
	flat_load_dword v2, v[2:3]
	s_waitcnt vmcnt(0) lgkmcnt(0)
	v_mul_f32_e32 v2, s15, v2
	s_branch .LBB43_187
.LBB43_186:
	v_mov_b32_e32 v2, 0
.LBB43_187:
	v_add_f32_e32 v3, v26, v27
	v_add_co_u32 v0, vcc_lo, v16, v0
	v_add_co_ci_u32_e64 v1, null, v17, v1, vcc_lo
	v_add_f32_e32 v2, v3, v2
	flat_store_dword v[0:1], v2
	s_or_b32 exec_lo, exec_lo, s0
	s_and_b32 s1, s4, s8
	s_and_saveexec_b32 s0, s1
	s_cbranch_execz .LBB43_168
.LBB43_188:
	v_cmp_ne_u32_e32 vcc_lo, 1, v70
	v_lshlrev_b64 v[0:1], 2, v[8:9]
	s_cbranch_vccnz .LBB43_190
; %bb.189:
	v_add_co_u32 v2, vcc_lo, v34, v0
	v_add_co_ci_u32_e64 v3, null, v35, v1, vcc_lo
	flat_load_dword v2, v[2:3]
	s_waitcnt vmcnt(0) lgkmcnt(0)
	v_mul_f32_e32 v2, s15, v2
	s_branch .LBB43_191
.LBB43_190:
	v_mov_b32_e32 v2, 0
.LBB43_191:
	v_add_f32_e32 v3, v24, v25
	v_add_co_u32 v0, vcc_lo, v16, v0
	v_add_co_ci_u32_e64 v1, null, v17, v1, vcc_lo
	v_add_f32_e32 v2, v3, v2
	flat_store_dword v[0:1], v2
	s_or_b32 exec_lo, exec_lo, s0
	s_and_b32 s1, s5, s8
	s_and_saveexec_b32 s0, s1
	s_cbranch_execz .LBB43_169
.LBB43_192:
	v_cmp_ne_u32_e32 vcc_lo, 1, v70
	v_lshlrev_b64 v[0:1], 2, v[10:11]
	s_cbranch_vccnz .LBB43_194
; %bb.193:
	v_add_co_u32 v2, vcc_lo, v34, v0
	v_add_co_ci_u32_e64 v3, null, v35, v1, vcc_lo
	flat_load_dword v2, v[2:3]
	s_waitcnt vmcnt(0) lgkmcnt(0)
	v_mul_f32_e32 v2, s15, v2
	s_branch .LBB43_195
.LBB43_194:
	v_mov_b32_e32 v2, 0
.LBB43_195:
	v_add_f32_e32 v3, v22, v23
	v_add_co_u32 v0, vcc_lo, v16, v0
	v_add_co_ci_u32_e64 v1, null, v17, v1, vcc_lo
	v_add_f32_e32 v2, v3, v2
	flat_store_dword v[0:1], v2
	s_or_b32 exec_lo, exec_lo, s0
	s_and_b32 s1, s6, s8
	s_and_saveexec_b32 s0, s1
	s_cbranch_execz .LBB43_170
.LBB43_196:
	v_cmp_ne_u32_e32 vcc_lo, 1, v70
	v_lshlrev_b64 v[0:1], 2, v[12:13]
	s_cbranch_vccnz .LBB43_198
; %bb.197:
	v_add_co_u32 v2, vcc_lo, v34, v0
	v_add_co_ci_u32_e64 v3, null, v35, v1, vcc_lo
	flat_load_dword v2, v[2:3]
	s_waitcnt vmcnt(0) lgkmcnt(0)
	v_mul_f32_e32 v2, s15, v2
	s_branch .LBB43_199
.LBB43_198:
	v_mov_b32_e32 v2, 0
.LBB43_199:
	v_add_f32_e32 v3, v20, v21
	v_add_co_u32 v0, vcc_lo, v16, v0
	v_add_co_ci_u32_e64 v1, null, v17, v1, vcc_lo
	v_add_f32_e32 v2, v3, v2
	flat_store_dword v[0:1], v2
	s_or_b32 exec_lo, exec_lo, s0
	s_and_b32 s0, s7, s8
	s_and_saveexec_b32 s1, s0
	s_cbranch_execz .LBB43_171
.LBB43_200:
	v_cmp_ne_u32_e32 vcc_lo, 1, v70
	v_lshlrev_b64 v[0:1], 2, v[14:15]
	s_cbranch_vccnz .LBB43_202
; %bb.201:
	v_add_co_u32 v2, vcc_lo, v34, v0
	v_add_co_ci_u32_e64 v3, null, v35, v1, vcc_lo
	flat_load_dword v2, v[2:3]
	s_waitcnt vmcnt(0) lgkmcnt(0)
	v_mul_f32_e32 v2, s15, v2
	s_branch .LBB43_203
.LBB43_202:
	v_mov_b32_e32 v2, 0
.LBB43_203:
	v_add_f32_e32 v3, v18, v19
	v_add_co_u32 v0, vcc_lo, v16, v0
	v_add_co_ci_u32_e64 v1, null, v17, v1, vcc_lo
	v_add_f32_e32 v2, v3, v2
	flat_store_dword v[0:1], v2
	s_endpgm
	.section	.rodata,"a",@progbits
	.p2align	6, 0x0
	.amdhsa_kernel _ZN12_GLOBAL__N_120geam_min_plus_kernelIf15HIP_vector_typeIfLj2EES2_Li8ELi32ELi64ELi128ELi4ELi64ELi4ELi64ELi4ELc78ELc84ELb1ELb1ELb0EfKPKfKPfEEviiiT16_PT17_ilSA_ilS8_SA_ilPT18_ili26rocblas_geam_ex_operation_
		.amdhsa_group_segment_fixed_size 6144
		.amdhsa_private_segment_fixed_size 0
		.amdhsa_kernarg_size 128
		.amdhsa_user_sgpr_count 6
		.amdhsa_user_sgpr_private_segment_buffer 1
		.amdhsa_user_sgpr_dispatch_ptr 0
		.amdhsa_user_sgpr_queue_ptr 0
		.amdhsa_user_sgpr_kernarg_segment_ptr 1
		.amdhsa_user_sgpr_dispatch_id 0
		.amdhsa_user_sgpr_flat_scratch_init 0
		.amdhsa_user_sgpr_private_segment_size 0
		.amdhsa_wavefront_size32 1
		.amdhsa_uses_dynamic_stack 0
		.amdhsa_system_sgpr_private_segment_wavefront_offset 0
		.amdhsa_system_sgpr_workgroup_id_x 1
		.amdhsa_system_sgpr_workgroup_id_y 0
		.amdhsa_system_sgpr_workgroup_id_z 1
		.amdhsa_system_sgpr_workgroup_info 0
		.amdhsa_system_vgpr_workitem_id 1
		.amdhsa_next_free_vgpr 148
		.amdhsa_next_free_sgpr 27
		.amdhsa_reserve_vcc 1
		.amdhsa_reserve_flat_scratch 0
		.amdhsa_float_round_mode_32 0
		.amdhsa_float_round_mode_16_64 0
		.amdhsa_float_denorm_mode_32 3
		.amdhsa_float_denorm_mode_16_64 3
		.amdhsa_dx10_clamp 1
		.amdhsa_ieee_mode 1
		.amdhsa_fp16_overflow 0
		.amdhsa_workgroup_processor_mode 1
		.amdhsa_memory_ordered 1
		.amdhsa_forward_progress 1
		.amdhsa_shared_vgpr_count 0
		.amdhsa_exception_fp_ieee_invalid_op 0
		.amdhsa_exception_fp_denorm_src 0
		.amdhsa_exception_fp_ieee_div_zero 0
		.amdhsa_exception_fp_ieee_overflow 0
		.amdhsa_exception_fp_ieee_underflow 0
		.amdhsa_exception_fp_ieee_inexact 0
		.amdhsa_exception_int_div_zero 0
	.end_amdhsa_kernel
	.section	.text._ZN12_GLOBAL__N_120geam_min_plus_kernelIf15HIP_vector_typeIfLj2EES2_Li8ELi32ELi64ELi128ELi4ELi64ELi4ELi64ELi4ELc78ELc84ELb1ELb1ELb0EfKPKfKPfEEviiiT16_PT17_ilSA_ilS8_SA_ilPT18_ili26rocblas_geam_ex_operation_,"axG",@progbits,_ZN12_GLOBAL__N_120geam_min_plus_kernelIf15HIP_vector_typeIfLj2EES2_Li8ELi32ELi64ELi128ELi4ELi64ELi4ELi64ELi4ELc78ELc84ELb1ELb1ELb0EfKPKfKPfEEviiiT16_PT17_ilSA_ilS8_SA_ilPT18_ili26rocblas_geam_ex_operation_,comdat
.Lfunc_end43:
	.size	_ZN12_GLOBAL__N_120geam_min_plus_kernelIf15HIP_vector_typeIfLj2EES2_Li8ELi32ELi64ELi128ELi4ELi64ELi4ELi64ELi4ELc78ELc84ELb1ELb1ELb0EfKPKfKPfEEviiiT16_PT17_ilSA_ilS8_SA_ilPT18_ili26rocblas_geam_ex_operation_, .Lfunc_end43-_ZN12_GLOBAL__N_120geam_min_plus_kernelIf15HIP_vector_typeIfLj2EES2_Li8ELi32ELi64ELi128ELi4ELi64ELi4ELi64ELi4ELc78ELc84ELb1ELb1ELb0EfKPKfKPfEEviiiT16_PT17_ilSA_ilS8_SA_ilPT18_ili26rocblas_geam_ex_operation_
                                        ; -- End function
	.set _ZN12_GLOBAL__N_120geam_min_plus_kernelIf15HIP_vector_typeIfLj2EES2_Li8ELi32ELi64ELi128ELi4ELi64ELi4ELi64ELi4ELc78ELc84ELb1ELb1ELb0EfKPKfKPfEEviiiT16_PT17_ilSA_ilS8_SA_ilPT18_ili26rocblas_geam_ex_operation_.num_vgpr, 148
	.set _ZN12_GLOBAL__N_120geam_min_plus_kernelIf15HIP_vector_typeIfLj2EES2_Li8ELi32ELi64ELi128ELi4ELi64ELi4ELi64ELi4ELc78ELc84ELb1ELb1ELb0EfKPKfKPfEEviiiT16_PT17_ilSA_ilS8_SA_ilPT18_ili26rocblas_geam_ex_operation_.num_agpr, 0
	.set _ZN12_GLOBAL__N_120geam_min_plus_kernelIf15HIP_vector_typeIfLj2EES2_Li8ELi32ELi64ELi128ELi4ELi64ELi4ELi64ELi4ELc78ELc84ELb1ELb1ELb0EfKPKfKPfEEviiiT16_PT17_ilSA_ilS8_SA_ilPT18_ili26rocblas_geam_ex_operation_.numbered_sgpr, 27
	.set _ZN12_GLOBAL__N_120geam_min_plus_kernelIf15HIP_vector_typeIfLj2EES2_Li8ELi32ELi64ELi128ELi4ELi64ELi4ELi64ELi4ELc78ELc84ELb1ELb1ELb0EfKPKfKPfEEviiiT16_PT17_ilSA_ilS8_SA_ilPT18_ili26rocblas_geam_ex_operation_.num_named_barrier, 0
	.set _ZN12_GLOBAL__N_120geam_min_plus_kernelIf15HIP_vector_typeIfLj2EES2_Li8ELi32ELi64ELi128ELi4ELi64ELi4ELi64ELi4ELc78ELc84ELb1ELb1ELb0EfKPKfKPfEEviiiT16_PT17_ilSA_ilS8_SA_ilPT18_ili26rocblas_geam_ex_operation_.private_seg_size, 0
	.set _ZN12_GLOBAL__N_120geam_min_plus_kernelIf15HIP_vector_typeIfLj2EES2_Li8ELi32ELi64ELi128ELi4ELi64ELi4ELi64ELi4ELc78ELc84ELb1ELb1ELb0EfKPKfKPfEEviiiT16_PT17_ilSA_ilS8_SA_ilPT18_ili26rocblas_geam_ex_operation_.uses_vcc, 1
	.set _ZN12_GLOBAL__N_120geam_min_plus_kernelIf15HIP_vector_typeIfLj2EES2_Li8ELi32ELi64ELi128ELi4ELi64ELi4ELi64ELi4ELc78ELc84ELb1ELb1ELb0EfKPKfKPfEEviiiT16_PT17_ilSA_ilS8_SA_ilPT18_ili26rocblas_geam_ex_operation_.uses_flat_scratch, 0
	.set _ZN12_GLOBAL__N_120geam_min_plus_kernelIf15HIP_vector_typeIfLj2EES2_Li8ELi32ELi64ELi128ELi4ELi64ELi4ELi64ELi4ELc78ELc84ELb1ELb1ELb0EfKPKfKPfEEviiiT16_PT17_ilSA_ilS8_SA_ilPT18_ili26rocblas_geam_ex_operation_.has_dyn_sized_stack, 0
	.set _ZN12_GLOBAL__N_120geam_min_plus_kernelIf15HIP_vector_typeIfLj2EES2_Li8ELi32ELi64ELi128ELi4ELi64ELi4ELi64ELi4ELc78ELc84ELb1ELb1ELb0EfKPKfKPfEEviiiT16_PT17_ilSA_ilS8_SA_ilPT18_ili26rocblas_geam_ex_operation_.has_recursion, 0
	.set _ZN12_GLOBAL__N_120geam_min_plus_kernelIf15HIP_vector_typeIfLj2EES2_Li8ELi32ELi64ELi128ELi4ELi64ELi4ELi64ELi4ELc78ELc84ELb1ELb1ELb0EfKPKfKPfEEviiiT16_PT17_ilSA_ilS8_SA_ilPT18_ili26rocblas_geam_ex_operation_.has_indirect_call, 0
	.section	.AMDGPU.csdata,"",@progbits
; Kernel info:
; codeLenInByte = 9064
; TotalNumSgprs: 29
; NumVgprs: 148
; ScratchSize: 0
; MemoryBound: 0
; FloatMode: 240
; IeeeMode: 1
; LDSByteSize: 6144 bytes/workgroup (compile time only)
; SGPRBlocks: 0
; VGPRBlocks: 18
; NumSGPRsForWavesPerEU: 29
; NumVGPRsForWavesPerEU: 148
; Occupancy: 6
; WaveLimiterHint : 1
; COMPUTE_PGM_RSRC2:SCRATCH_EN: 0
; COMPUTE_PGM_RSRC2:USER_SGPR: 6
; COMPUTE_PGM_RSRC2:TRAP_HANDLER: 0
; COMPUTE_PGM_RSRC2:TGID_X_EN: 1
; COMPUTE_PGM_RSRC2:TGID_Y_EN: 0
; COMPUTE_PGM_RSRC2:TGID_Z_EN: 1
; COMPUTE_PGM_RSRC2:TIDIG_COMP_CNT: 1
	.section	.text._ZN12_GLOBAL__N_120geam_min_plus_kernelIf15HIP_vector_typeIfLj2EES2_Li8ELi32ELi64ELi128ELi4ELi64ELi4ELi64ELi4ELc78ELc84ELb0ELb1ELb0EfKPKfKPfEEviiiT16_PT17_ilSA_ilS8_SA_ilPT18_ili26rocblas_geam_ex_operation_,"axG",@progbits,_ZN12_GLOBAL__N_120geam_min_plus_kernelIf15HIP_vector_typeIfLj2EES2_Li8ELi32ELi64ELi128ELi4ELi64ELi4ELi64ELi4ELc78ELc84ELb0ELb1ELb0EfKPKfKPfEEviiiT16_PT17_ilSA_ilS8_SA_ilPT18_ili26rocblas_geam_ex_operation_,comdat
	.globl	_ZN12_GLOBAL__N_120geam_min_plus_kernelIf15HIP_vector_typeIfLj2EES2_Li8ELi32ELi64ELi128ELi4ELi64ELi4ELi64ELi4ELc78ELc84ELb0ELb1ELb0EfKPKfKPfEEviiiT16_PT17_ilSA_ilS8_SA_ilPT18_ili26rocblas_geam_ex_operation_ ; -- Begin function _ZN12_GLOBAL__N_120geam_min_plus_kernelIf15HIP_vector_typeIfLj2EES2_Li8ELi32ELi64ELi128ELi4ELi64ELi4ELi64ELi4ELc78ELc84ELb0ELb1ELb0EfKPKfKPfEEviiiT16_PT17_ilSA_ilS8_SA_ilPT18_ili26rocblas_geam_ex_operation_
	.p2align	8
	.type	_ZN12_GLOBAL__N_120geam_min_plus_kernelIf15HIP_vector_typeIfLj2EES2_Li8ELi32ELi64ELi128ELi4ELi64ELi4ELi64ELi4ELc78ELc84ELb0ELb1ELb0EfKPKfKPfEEviiiT16_PT17_ilSA_ilS8_SA_ilPT18_ili26rocblas_geam_ex_operation_,@function
_ZN12_GLOBAL__N_120geam_min_plus_kernelIf15HIP_vector_typeIfLj2EES2_Li8ELi32ELi64ELi128ELi4ELi64ELi4ELi64ELi4ELc78ELc84ELb0ELb1ELb0EfKPKfKPfEEviiiT16_PT17_ilSA_ilS8_SA_ilPT18_ili26rocblas_geam_ex_operation_: ; @_ZN12_GLOBAL__N_120geam_min_plus_kernelIf15HIP_vector_typeIfLj2EES2_Li8ELi32ELi64ELi128ELi4ELi64ELi4ELi64ELi4ELc78ELc84ELb0ELb1ELb0EfKPKfKPfEEviiiT16_PT17_ilSA_ilS8_SA_ilPT18_ili26rocblas_geam_ex_operation_
; %bb.0:
	s_clause 0x1
	s_load_dwordx4 s[12:15], s[4:5], 0x0
	s_load_dwordx4 s[0:3], s[4:5], 0x20
	s_mov_b32 s18, s7
	s_mov_b32 s19, 0
	s_waitcnt lgkmcnt(0)
	v_cmp_eq_f32_e64 s7, s15, 0
	v_cmp_neq_f32_e64 s24, s15, 0
	s_and_b32 vcc_lo, exec_lo, s7
	s_cbranch_vccnz .LBB44_3
; %bb.1:
	s_load_dwordx2 s[8:9], s[4:5], 0x10
	s_lshl_b64 s[10:11], s[18:19], 3
	s_waitcnt lgkmcnt(0)
	s_add_u32 s8, s8, s10
	s_addc_u32 s9, s9, s11
	s_lshl_b64 s[0:1], s[0:1], 2
	s_load_dwordx2 s[8:9], s[8:9], 0x0
	s_waitcnt lgkmcnt(0)
	s_add_u32 s16, s8, s0
	s_addc_u32 s17, s9, s1
	s_andn2_b32 vcc_lo, exec_lo, s7
	s_cbranch_vccnz .LBB44_4
.LBB44_2:
	s_mov_b32 s21, 0
	s_mov_b32 s20, s18
	;; [unrolled: 1-line block ×3, first 2 shown]
	s_mov_b64 s[10:11], 0
	s_andn2_b32 vcc_lo, exec_lo, s0
	s_mov_b64 s[8:9], 0
	s_cbranch_vccz .LBB44_5
	s_branch .LBB44_6
.LBB44_3:
	s_mov_b64 s[16:17], 0
	s_andn2_b32 vcc_lo, exec_lo, s7
	s_cbranch_vccz .LBB44_2
.LBB44_4:
	s_mov_b64 s[20:21], s[18:19]
	s_mov_b64 s[10:11], 0
	;; [unrolled: 1-line block ×3, first 2 shown]
.LBB44_5:
	s_lshl_b64 s[0:1], s[18:19], 3
	s_load_dwordx2 s[8:9], s[4:5], 0x38
	s_add_u32 s0, s2, s0
	s_addc_u32 s1, s3, s1
	s_load_dwordx2 s[0:1], s[0:1], 0x0
	s_waitcnt lgkmcnt(0)
	s_lshl_b64 s[2:3], s[8:9], 2
	s_add_u32 s8, s0, s2
	s_addc_u32 s9, s1, s3
.LBB44_6:
	s_clause 0x1
	s_load_dword s22, s[4:5], 0x40
	s_load_dwordx4 s[0:3], s[4:5], 0x58
	s_waitcnt lgkmcnt(0)
	v_cmp_eq_f32_e64 s7, s22, 0
	v_cmp_neq_f32_e64 s23, s22, 0
	s_and_b32 vcc_lo, exec_lo, s7
	s_cbranch_vccnz .LBB44_8
; %bb.7:
	s_load_dwordx2 s[10:11], s[4:5], 0x48
	s_lshl_b64 s[18:19], s[20:21], 3
	s_waitcnt lgkmcnt(0)
	s_add_u32 s10, s10, s18
	s_addc_u32 s11, s11, s19
	s_lshl_b64 s[0:1], s[0:1], 2
	s_load_dwordx2 s[10:11], s[10:11], 0x0
	s_waitcnt lgkmcnt(0)
	s_add_u32 s10, s10, s0
	s_addc_u32 s11, s11, s1
.LBB44_8:
	s_load_dword s25, s[4:5], 0x18
	s_lshl_b64 s[0:1], s[20:21], 3
	v_lshl_add_u32 v3, v1, 3, v0
	v_mov_b32_e32 v7, 0
	v_mov_b32_e32 v8, 0
	v_and_b32_e32 v75, 63, v3
	v_lshrrev_b32_e32 v70, 6, v3
	v_cmp_gt_i32_e32 vcc_lo, s14, v70
	s_waitcnt lgkmcnt(0)
	s_ashr_i32 s26, s25, 31
	s_add_u32 s18, s2, s0
	s_addc_u32 s19, s3, s1
	s_add_i32 s0, s12, -1
	s_ashr_i32 s1, s0, 31
	s_lshr_b32 s1, s1, 26
	s_add_i32 s0, s0, s1
	s_ashr_i32 s0, s0, 6
	s_add_i32 s2, s0, 1
	s_not_b32 s0, s0
	v_cvt_f32_u32_e32 v2, s2
	v_rcp_iflag_f32_e32 v2, v2
	v_mul_f32_e32 v2, 0x4f7ffffe, v2
	v_cvt_u32_f32_e32 v2, v2
	v_readfirstlane_b32 s1, v2
	s_mul_i32 s0, s0, s1
	s_mul_hi_u32 s0, s1, s0
	s_add_i32 s1, s1, s0
	s_mul_hi_u32 s0, s6, s1
	s_mul_i32 s1, s0, s2
	s_add_i32 s3, s0, 1
	s_sub_i32 s1, s6, s1
	s_sub_i32 s7, s1, s2
	s_cmp_ge_u32 s1, s2
	s_cselect_b32 s0, s3, s0
	s_cselect_b32 s1, s7, s1
	s_add_i32 s3, s0, 1
	s_cmp_ge_u32 s1, s2
	s_cselect_b32 s1, s3, s0
	s_mul_i32 s0, s1, s2
	s_sub_i32 s0, s6, s0
	s_lshl_b32 s20, s0, 6
	v_or_b32_e32 v2, s20, v75
	v_cmp_gt_i32_e64 s0, s12, v2
	v_ashrrev_i32_e32 v3, 31, v2
	s_and_b32 s2, vcc_lo, s0
	s_and_b32 s3, s24, s2
	s_and_saveexec_b32 s2, s3
	s_cbranch_execz .LBB44_10
; %bb.9:
	v_mad_i64_i32 v[4:5], null, s25, v70, 0
	v_lshlrev_b64 v[8:9], 2, v[2:3]
	v_lshlrev_b64 v[4:5], 2, v[4:5]
	v_add_co_u32 v4, vcc_lo, s16, v4
	v_add_co_ci_u32_e64 v5, null, s17, v5, vcc_lo
	v_add_co_u32 v4, vcc_lo, v4, v8
	v_add_co_ci_u32_e64 v5, null, v5, v9, vcc_lo
	flat_load_dword v4, v[4:5]
	s_waitcnt vmcnt(0) lgkmcnt(0)
	v_mul_f32_e32 v8, s15, v4
.LBB44_10:
	s_or_b32 exec_lo, exec_lo, s2
	s_load_dword s27, s[4:5], 0x30
	s_add_i32 s28, s14, -1
	s_lshl_b32 s21, s1, 7
	v_min_i32_e32 v4, s28, v70
	v_cmp_le_i32_e32 vcc_lo, s14, v70
	s_xor_b32 s29, s24, -1
	s_waitcnt lgkmcnt(0)
	v_mad_i64_i32 v[5:6], null, s27, v4, 0
	v_or_b32_e32 v4, s21, v75
	v_cmp_le_i32_e64 s1, s13, v4
	v_lshlrev_b64 v[9:10], 2, v[5:6]
	v_ashrrev_i32_e32 v5, 31, v4
	s_or_b32 s3, vcc_lo, s1
	v_add_co_u32 v6, s2, s8, v9
	v_add_co_ci_u32_e64 v10, null, s9, v10, s2
	s_nor_b32 s2, s3, s29
	s_and_saveexec_b32 s3, s2
	s_cbranch_execz .LBB44_12
; %bb.11:
	v_lshlrev_b64 v[11:12], 2, v[4:5]
	v_add_co_u32 v11, s2, v6, v11
	v_add_co_ci_u32_e64 v12, null, v10, v12, s2
	flat_load_dword v7, v[11:12]
	s_waitcnt vmcnt(0) lgkmcnt(0)
	v_mul_f32_e32 v7, s15, v7
.LBB44_12:
	s_or_b32 exec_lo, exec_lo, s3
	v_or_b32_e32 v9, 64, v4
	v_mov_b32_e32 v77, 0
	v_cmp_le_i32_e64 s2, s13, v9
	v_mov_b32_e32 v9, 0
	s_or_b32 s3, vcc_lo, s2
	s_nor_b32 s6, s3, s29
	s_and_saveexec_b32 s3, s6
	s_cbranch_execz .LBB44_14
; %bb.13:
	v_lshlrev_b64 v[11:12], 2, v[4:5]
	v_add_co_u32 v9, vcc_lo, v6, v11
	v_add_co_ci_u32_e64 v10, null, v10, v12, vcc_lo
	flat_load_dword v6, v[9:10] offset:256
	s_waitcnt vmcnt(0) lgkmcnt(0)
	v_mul_f32_e32 v9, s15, v6
.LBB44_14:
	s_or_b32 exec_lo, exec_lo, s3
	v_add_nc_u32_e32 v6, 4, v70
	v_cmp_gt_i32_e32 vcc_lo, s14, v6
	s_and_b32 s3, s0, vcc_lo
	s_and_b32 s6, s24, s3
	s_and_saveexec_b32 s3, s6
	s_cbranch_execz .LBB44_16
; %bb.15:
	v_mad_u64_u32 v[10:11], null, s25, v6, 0
	v_mad_u64_u32 v[11:12], null, s26, v6, v[11:12]
	v_lshlrev_b64 v[12:13], 2, v[2:3]
	v_lshlrev_b64 v[10:11], 2, v[10:11]
	v_add_co_u32 v10, vcc_lo, s16, v10
	v_add_co_ci_u32_e64 v11, null, s17, v11, vcc_lo
	v_add_co_u32 v10, vcc_lo, v10, v12
	v_add_co_ci_u32_e64 v11, null, v11, v13, vcc_lo
	flat_load_dword v10, v[10:11]
	s_waitcnt vmcnt(0) lgkmcnt(0)
	v_mul_f32_e32 v77, s15, v10
.LBB44_16:
	s_or_b32 exec_lo, exec_lo, s3
	v_min_i32_e32 v10, s28, v6
	v_cmp_le_i32_e32 vcc_lo, s14, v6
	v_mov_b32_e32 v78, 0
	v_mov_b32_e32 v79, 0
	v_mad_i64_i32 v[10:11], null, s27, v10, 0
	v_lshlrev_b64 v[10:11], 2, v[10:11]
	v_add_co_u32 v6, s3, s8, v10
	v_add_co_ci_u32_e64 v10, null, s9, v11, s3
	s_or_b32 s3, s1, vcc_lo
	s_nor_b32 s3, s3, s29
	s_and_saveexec_b32 s6, s3
	s_cbranch_execz .LBB44_18
; %bb.17:
	v_lshlrev_b64 v[11:12], 2, v[4:5]
	v_add_co_u32 v11, s3, v6, v11
	v_add_co_ci_u32_e64 v12, null, v10, v12, s3
	flat_load_dword v11, v[11:12]
	s_waitcnt vmcnt(0) lgkmcnt(0)
	v_mul_f32_e32 v79, s15, v11
.LBB44_18:
	s_or_b32 exec_lo, exec_lo, s6
	s_load_dwordx2 s[6:7], s[18:19], 0x0
	s_or_b32 s3, s2, vcc_lo
	s_nor_b32 s18, s3, s29
	s_and_saveexec_b32 s3, s18
	s_cbranch_execz .LBB44_20
; %bb.19:
	v_lshlrev_b64 v[11:12], 2, v[4:5]
	v_add_co_u32 v11, vcc_lo, v6, v11
	v_add_co_ci_u32_e64 v12, null, v10, v12, vcc_lo
	flat_load_dword v6, v[11:12] offset:256
	s_waitcnt vmcnt(0) lgkmcnt(0)
	v_mul_f32_e32 v78, s15, v6
.LBB44_20:
	s_or_b32 exec_lo, exec_lo, s3
	v_lshlrev_b32_e32 v6, 4, v75
	v_mov_b32_e32 v68, 0
	v_lshl_or_b32 v72, v0, 4, 0x1000
	v_lshlrev_b32_e32 v73, 4, v1
	s_mov_b32 s18, 0
	v_lshl_add_u32 v71, v70, 2, v6
	v_mov_b32_e32 v69, v68
	v_mov_b32_e32 v6, v68
	;; [unrolled: 1-line block ×4, first 2 shown]
	v_or_b32_e32 v74, 0x1000, v71
	ds_write_b32 v71, v8 offset:4096
	ds_write2st64_b32 v71, v7, v9 offset1:4
	v_mov_b32_e32 v7, v68
	v_mov_b32_e32 v8, v68
	;; [unrolled: 1-line block ×59, first 2 shown]
	s_mov_b32 s3, -1
	s_waitcnt lgkmcnt(0)
	s_barrier
	buffer_gl0_inv
.LBB44_21:                              ; =>This Inner Loop Header: Depth=1
	s_lshl_b32 s18, s18, 2
	v_cndmask_b32_e64 v76, 0, 1, s3
	v_add_nc_u32_e32 v92, s18, v72
	v_add_nc_u32_e32 v100, s18, v73
	s_mov_b32 s3, 0
	s_mov_b32 s18, 2
	v_cmp_ne_u32_e32 vcc_lo, 1, v76
	ds_read2_b64 v[80:83], v92 offset1:16
	ds_read2_b64 v[84:87], v92 offset0:32 offset1:48
	ds_read2_b64 v[88:91], v92 offset0:64 offset1:80
	;; [unrolled: 1-line block ×3, first 2 shown]
	ds_read2st64_b64 v[96:99], v100 offset1:1
	ds_read2st64_b64 v[100:103], v100 offset0:2 offset1:3
	s_and_b32 vcc_lo, exec_lo, vcc_lo
	s_waitcnt lgkmcnt(5)
	v_max_f32_e32 v76, v80, v80
	v_max_f32_e32 v80, v81, v81
	v_max_f32_e32 v81, v82, v82
	v_max_f32_e32 v82, v83, v83
	s_waitcnt lgkmcnt(4)
	v_max_f32_e32 v83, v84, v84
	v_max_f32_e32 v84, v85, v85
	v_max_f32_e32 v85, v86, v86
	v_max_f32_e32 v86, v87, v87
	;; [unrolled: 5-line block ×6, first 2 shown]
	v_min_f32_e32 v103, v76, v95
	v_min_f32_e32 v104, v81, v95
	;; [unrolled: 1-line block ×64, first 2 shown]
	v_add_f32_e32 v69, v69, v101
	v_add_f32_e32 v68, v68, v103
	;; [unrolled: 1-line block ×64, first 2 shown]
	s_cbranch_vccz .LBB44_21
; %bb.22:
	v_lshlrev_b32_e32 v76, 2, v70
	s_cmp_lt_i32 s14, 9
	v_lshl_add_u32 v80, v75, 4, v76
	v_lshl_add_u32 v75, v0, 4, 0x1400
	;; [unrolled: 1-line block ×3, first 2 shown]
	ds_write_b32 v80, v77 offset:5120
	ds_write2st64_b32 v80, v79, v78 offset0:8 offset1:12
	s_waitcnt lgkmcnt(0)
	s_barrier
	buffer_gl0_inv
	s_cbranch_scc1 .LBB44_41
; %bb.23:
	v_lshlrev_b64 v[81:82], 2, v[2:3]
	v_lshlrev_b64 v[2:3], 2, v[4:5]
	v_add_nc_u32_e32 v77, 0x1400, v80
	v_or_b32_e32 v78, 0x800, v80
	s_mov_b32 s18, 0
	v_add_co_u32 v4, vcc_lo, s16, v81
	v_add_co_ci_u32_e64 v5, null, s17, v82, vcc_lo
	s_add_i32 s16, s14, -8
	s_mov_b32 s17, 8
.LBB44_24:                              ; =>This Loop Header: Depth=1
                                        ;     Child Loop BB44_31 Depth 2
                                        ;     Child Loop BB44_39 Depth 2
	v_add_nc_u32_e32 v81, s17, v70
	v_mov_b32_e32 v79, 0
	v_mov_b32_e32 v80, 0
	v_cmp_gt_i32_e32 vcc_lo, s14, v81
	s_and_b32 s3, s0, vcc_lo
	s_and_b32 s19, s24, s3
	s_and_saveexec_b32 s3, s19
	s_cbranch_execz .LBB44_26
; %bb.25:                               ;   in Loop: Header=BB44_24 Depth=1
	v_mad_u64_u32 v[82:83], null, v81, s25, 0
	v_mov_b32_e32 v80, v83
	v_mad_u64_u32 v[83:84], null, v81, s26, v[80:81]
	v_lshlrev_b64 v[82:83], 2, v[82:83]
	v_add_co_u32 v82, vcc_lo, v4, v82
	v_add_co_ci_u32_e64 v83, null, v5, v83, vcc_lo
	flat_load_dword v80, v[82:83]
	s_waitcnt vmcnt(0) lgkmcnt(0)
	v_mul_f32_e32 v80, s15, v80
.LBB44_26:                              ;   in Loop: Header=BB44_24 Depth=1
	s_or_b32 exec_lo, exec_lo, s3
	v_min_i32_e32 v82, s28, v81
	v_cmp_le_i32_e32 vcc_lo, s14, v81
	v_mad_i64_i32 v[82:83], null, v82, s27, 0
	v_lshlrev_b64 v[82:83], 2, v[82:83]
	v_add_co_u32 v82, s3, s8, v82
	v_add_co_ci_u32_e64 v83, null, s9, v83, s3
	s_or_b32 s3, s1, vcc_lo
	s_nor_b32 s3, s3, s29
	s_and_saveexec_b32 s19, s3
	s_cbranch_execz .LBB44_28
; %bb.27:                               ;   in Loop: Header=BB44_24 Depth=1
	v_add_co_u32 v84, s3, v82, v2
	v_add_co_ci_u32_e64 v85, null, v83, v3, s3
	flat_load_dword v79, v[84:85]
	s_waitcnt vmcnt(0) lgkmcnt(0)
	v_mul_f32_e32 v79, s15, v79
.LBB44_28:                              ;   in Loop: Header=BB44_24 Depth=1
	s_or_b32 exec_lo, exec_lo, s19
	v_mov_b32_e32 v81, 0
	s_or_b32 s3, s2, vcc_lo
	s_nor_b32 s19, s3, s29
	s_and_saveexec_b32 s3, s19
	s_cbranch_execz .LBB44_30
; %bb.29:                               ;   in Loop: Header=BB44_24 Depth=1
	v_add_co_u32 v81, vcc_lo, v82, v2
	v_add_co_ci_u32_e64 v82, null, v83, v3, vcc_lo
	flat_load_dword v81, v[81:82] offset:256
	s_waitcnt vmcnt(0) lgkmcnt(0)
	v_mul_f32_e32 v81, s15, v81
.LBB44_30:                              ;   in Loop: Header=BB44_24 Depth=1
	s_or_b32 exec_lo, exec_lo, s3
	s_mov_b32 s19, 0
	s_mov_b32 s3, -1
.LBB44_31:                              ;   Parent Loop BB44_24 Depth=1
                                        ; =>  This Inner Loop Header: Depth=2
	s_lshl_b32 s19, s19, 2
	v_cndmask_b32_e64 v82, 0, 1, s3
	v_add_nc_u32_e32 v102, s19, v76
	v_add_nc_u32_e32 v98, s19, v75
	s_mov_b32 s3, 0
	s_mov_b32 s19, 2
	v_cmp_ne_u32_e32 vcc_lo, 1, v82
	ds_read2st64_b64 v[82:85], v102 offset1:1
	ds_read2_b64 v[86:89], v98 offset1:16
	ds_read2_b64 v[90:93], v98 offset0:32 offset1:48
	ds_read2_b64 v[94:97], v98 offset0:64 offset1:80
	;; [unrolled: 1-line block ×3, first 2 shown]
	ds_read2st64_b64 v[102:105], v102 offset0:2 offset1:3
	s_and_b32 vcc_lo, exec_lo, vcc_lo
	s_waitcnt lgkmcnt(5)
	v_max_f32_e32 v82, v82, v82
	s_waitcnt lgkmcnt(4)
	v_max_f32_e32 v86, v86, v86
	v_max_f32_e32 v83, v83, v83
	v_max_f32_e32 v87, v87, v87
	v_max_f32_e32 v88, v88, v88
	v_max_f32_e32 v89, v89, v89
	s_waitcnt lgkmcnt(3)
	v_max_f32_e32 v90, v90, v90
	v_max_f32_e32 v91, v91, v91
	v_max_f32_e32 v92, v92, v92
	v_max_f32_e32 v93, v93, v93
	s_waitcnt lgkmcnt(2)
	v_max_f32_e32 v94, v94, v94
	v_max_f32_e32 v95, v95, v95
	v_max_f32_e32 v96, v96, v96
	v_max_f32_e32 v97, v97, v97
	;; [unrolled: 5-line block ×3, first 2 shown]
	v_max_f32_e32 v84, v84, v84
	v_max_f32_e32 v85, v85, v85
	s_waitcnt lgkmcnt(0)
	v_max_f32_e32 v102, v102, v102
	v_max_f32_e32 v103, v103, v103
	;; [unrolled: 1-line block ×4, first 2 shown]
	v_min_f32_e32 v106, v86, v82
	v_min_f32_e32 v107, v87, v83
	;; [unrolled: 1-line block ×64, first 2 shown]
	v_add_f32_e32 v69, v69, v107
	v_add_f32_e32 v68, v68, v106
	;; [unrolled: 1-line block ×64, first 2 shown]
	s_cbranch_vccz .LBB44_31
; %bb.32:                               ;   in Loop: Header=BB44_24 Depth=1
	v_add3_u32 v82, v70, s17, 4
	ds_write_b32 v74, v80
	ds_write2st64_b32 v71, v79, v81 offset1:4
	v_mov_b32_e32 v79, 0
	v_mov_b32_e32 v80, 0
	v_cmp_gt_i32_e32 vcc_lo, s14, v82
	s_waitcnt lgkmcnt(0)
	s_barrier
	buffer_gl0_inv
	s_and_b32 s3, s0, vcc_lo
	s_and_b32 s19, s24, s3
	s_and_saveexec_b32 s3, s19
	s_cbranch_execz .LBB44_34
; %bb.33:                               ;   in Loop: Header=BB44_24 Depth=1
	v_mad_u64_u32 v[80:81], null, v82, s25, 0
	v_mad_u64_u32 v[83:84], null, v82, s26, v[81:82]
	v_mov_b32_e32 v81, v83
	v_lshlrev_b64 v[80:81], 2, v[80:81]
	v_add_co_u32 v80, vcc_lo, v4, v80
	v_add_co_ci_u32_e64 v81, null, v5, v81, vcc_lo
	flat_load_dword v80, v[80:81]
	s_waitcnt vmcnt(0) lgkmcnt(0)
	v_mul_f32_e32 v80, s15, v80
.LBB44_34:                              ;   in Loop: Header=BB44_24 Depth=1
	s_or_b32 exec_lo, exec_lo, s3
	v_min_i32_e32 v81, s28, v82
	v_cmp_le_i32_e32 vcc_lo, s14, v82
	v_mad_i64_i32 v[83:84], null, v81, s27, 0
	v_lshlrev_b64 v[83:84], 2, v[83:84]
	v_add_co_u32 v82, s3, s8, v83
	v_add_co_ci_u32_e64 v83, null, s9, v84, s3
	s_or_b32 s3, s1, vcc_lo
	s_nor_b32 s3, s3, s29
	s_and_saveexec_b32 s19, s3
	s_cbranch_execz .LBB44_36
; %bb.35:                               ;   in Loop: Header=BB44_24 Depth=1
	v_add_co_u32 v84, s3, v82, v2
	v_add_co_ci_u32_e64 v85, null, v83, v3, s3
	flat_load_dword v79, v[84:85]
	s_waitcnt vmcnt(0) lgkmcnt(0)
	v_mul_f32_e32 v79, s15, v79
.LBB44_36:                              ;   in Loop: Header=BB44_24 Depth=1
	s_or_b32 exec_lo, exec_lo, s19
	v_mov_b32_e32 v81, 0
	s_or_b32 s3, s2, vcc_lo
	s_nor_b32 s19, s3, s29
	s_and_saveexec_b32 s3, s19
	s_cbranch_execz .LBB44_38
; %bb.37:                               ;   in Loop: Header=BB44_24 Depth=1
	v_add_co_u32 v81, vcc_lo, v82, v2
	v_add_co_ci_u32_e64 v82, null, v83, v3, vcc_lo
	flat_load_dword v81, v[81:82] offset:256
	s_waitcnt vmcnt(0) lgkmcnt(0)
	v_mul_f32_e32 v81, s15, v81
.LBB44_38:                              ;   in Loop: Header=BB44_24 Depth=1
	s_or_b32 exec_lo, exec_lo, s3
	s_mov_b32 s19, 0
	s_mov_b32 s3, -1
.LBB44_39:                              ;   Parent Loop BB44_24 Depth=1
                                        ; =>  This Inner Loop Header: Depth=2
	s_lshl_b32 s19, s19, 2
	v_cndmask_b32_e64 v82, 0, 1, s3
	v_add_nc_u32_e32 v102, s19, v73
	v_add_nc_u32_e32 v98, s19, v72
	s_mov_b32 s3, 0
	s_mov_b32 s19, 2
	v_cmp_ne_u32_e32 vcc_lo, 1, v82
	ds_read2st64_b64 v[82:85], v102 offset1:1
	ds_read2_b64 v[86:89], v98 offset1:16
	ds_read2_b64 v[90:93], v98 offset0:32 offset1:48
	ds_read2_b64 v[94:97], v98 offset0:64 offset1:80
	;; [unrolled: 1-line block ×3, first 2 shown]
	ds_read2st64_b64 v[102:105], v102 offset0:2 offset1:3
	s_and_b32 vcc_lo, exec_lo, vcc_lo
	s_waitcnt lgkmcnt(5)
	v_max_f32_e32 v82, v82, v82
	s_waitcnt lgkmcnt(4)
	v_max_f32_e32 v86, v86, v86
	v_max_f32_e32 v83, v83, v83
	;; [unrolled: 1-line block ×5, first 2 shown]
	s_waitcnt lgkmcnt(3)
	v_max_f32_e32 v90, v90, v90
	v_max_f32_e32 v91, v91, v91
	v_max_f32_e32 v92, v92, v92
	v_max_f32_e32 v93, v93, v93
	s_waitcnt lgkmcnt(2)
	v_max_f32_e32 v94, v94, v94
	v_max_f32_e32 v95, v95, v95
	v_max_f32_e32 v96, v96, v96
	v_max_f32_e32 v97, v97, v97
	;; [unrolled: 5-line block ×3, first 2 shown]
	v_max_f32_e32 v84, v84, v84
	v_max_f32_e32 v85, v85, v85
	s_waitcnt lgkmcnt(0)
	v_max_f32_e32 v102, v102, v102
	v_max_f32_e32 v103, v103, v103
	;; [unrolled: 1-line block ×4, first 2 shown]
	v_min_f32_e32 v106, v86, v82
	v_min_f32_e32 v107, v87, v83
	;; [unrolled: 1-line block ×64, first 2 shown]
	v_add_f32_e32 v69, v69, v107
	v_add_f32_e32 v68, v68, v106
	;; [unrolled: 1-line block ×64, first 2 shown]
	s_cbranch_vccz .LBB44_39
; %bb.40:                               ;   in Loop: Header=BB44_24 Depth=1
	s_add_i32 s18, s18, 8
	s_add_i32 s17, s17, 8
	s_cmp_ge_i32 s18, s16
	ds_write_b32 v77, v80
	ds_write2st64_b32 v78, v79, v81 offset1:4
	s_waitcnt lgkmcnt(0)
	s_barrier
	buffer_gl0_inv
	s_cbranch_scc0 .LBB44_24
.LBB44_41:
	s_mov_b32 s1, 0
	s_mov_b32 s0, -1
.LBB44_42:                              ; =>This Inner Loop Header: Depth=1
	s_lshl_b32 s1, s1, 2
	v_cndmask_b32_e64 v2, 0, 1, s0
	v_add_nc_u32_e32 v74, s1, v76
	v_add_nc_u32_e32 v85, s1, v75
	s_mov_b32 s0, 0
	s_mov_b32 s1, 2
	v_cmp_ne_u32_e32 vcc_lo, 1, v2
	ds_read2st64_b64 v[2:5], v74 offset1:1
	ds_read2_b64 v[70:73], v85 offset1:16
	ds_read2_b64 v[77:80], v85 offset0:32 offset1:48
	ds_read2_b64 v[81:84], v85 offset0:64 offset1:80
	;; [unrolled: 1-line block ×3, first 2 shown]
	ds_read2st64_b64 v[89:92], v74 offset0:2 offset1:3
	s_and_b32 vcc_lo, exec_lo, vcc_lo
	s_waitcnt lgkmcnt(5)
	v_max_f32_e32 v2, v2, v2
	s_waitcnt lgkmcnt(4)
	v_max_f32_e32 v70, v70, v70
	v_max_f32_e32 v3, v3, v3
	;; [unrolled: 1-line block ×5, first 2 shown]
	s_waitcnt lgkmcnt(3)
	v_max_f32_e32 v74, v77, v77
	v_max_f32_e32 v77, v78, v78
	v_max_f32_e32 v78, v79, v79
	v_max_f32_e32 v79, v80, v80
	s_waitcnt lgkmcnt(2)
	v_max_f32_e32 v80, v81, v81
	v_max_f32_e32 v81, v82, v82
	v_max_f32_e32 v82, v83, v83
	v_max_f32_e32 v83, v84, v84
	;; [unrolled: 5-line block ×3, first 2 shown]
	v_max_f32_e32 v4, v4, v4
	v_max_f32_e32 v5, v5, v5
	s_waitcnt lgkmcnt(0)
	v_max_f32_e32 v88, v89, v89
	v_max_f32_e32 v89, v90, v90
	;; [unrolled: 1-line block ×4, first 2 shown]
	v_min_f32_e32 v92, v70, v2
	v_min_f32_e32 v93, v71, v3
	;; [unrolled: 1-line block ×64, first 2 shown]
	v_add_f32_e32 v69, v69, v93
	v_add_f32_e32 v68, v68, v92
	;; [unrolled: 1-line block ×64, first 2 shown]
	s_cbranch_vccz .LBB44_42
; %bb.43:
	s_clause 0x2
	s_load_dword s14, s[4:5], 0x50
	s_load_dword s9, s[4:5], 0x68
	s_load_dwordx2 s[2:3], s[4:5], 0x70
	v_add_nc_u32_e32 v71, s21, v1
	v_add_nc_u32_e32 v0, s20, v0
	v_cndmask_b32_e64 v70, 0, 1, s23
	v_cmp_gt_i32_e64 s8, s13, v71
	v_cmp_gt_i32_e64 s0, s12, v0
	s_waitcnt lgkmcnt(0)
	v_mad_i64_i32 v[1:2], null, v71, s14, 0
	v_mad_i64_i32 v[3:4], null, v71, s9, 0
	s_lshl_b64 s[2:3], s[2:3], 2
	s_add_u32 s15, s6, s2
	s_addc_u32 s16, s7, s3
	v_lshlrev_b64 v[72:73], 2, v[1:2]
	v_ashrrev_i32_e32 v1, 31, v0
	v_lshlrev_b64 v[2:3], 2, v[3:4]
	s_and_b32 s2, s0, s8
	v_add_co_u32 v74, vcc_lo, s10, v72
	v_add_co_ci_u32_e64 v75, null, s11, v73, vcc_lo
	v_add_co_u32 v72, vcc_lo, s15, v2
	v_add_co_ci_u32_e64 v73, null, s16, v3, vcc_lo
	s_and_saveexec_b32 s1, s2
	s_cbranch_execz .LBB44_48
; %bb.44:
	v_lshlrev_b64 v[2:3], 2, v[0:1]
	s_andn2_b32 vcc_lo, exec_lo, s23
	s_cbranch_vccnz .LBB44_46
; %bb.45:
	v_add_co_u32 v4, vcc_lo, v74, v2
	v_add_co_ci_u32_e64 v5, null, v75, v3, vcc_lo
	flat_load_dword v4, v[4:5]
	s_waitcnt vmcnt(0) lgkmcnt(0)
	v_mul_f32_e32 v4, s22, v4
	s_branch .LBB44_47
.LBB44_46:
	v_mov_b32_e32 v4, 0
.LBB44_47:
	v_add_f32_e32 v5, v68, v69
	v_add_co_u32 v2, vcc_lo, v72, v2
	v_add_co_ci_u32_e64 v3, null, v73, v3, vcc_lo
	v_add_f32_e32 v4, v5, v4
	flat_store_dword v[2:3], v4
.LBB44_48:
	s_or_b32 exec_lo, exec_lo, s1
	v_add_nc_u32_e32 v2, 8, v0
	v_cmp_gt_i32_e64 s1, s12, v2
	v_ashrrev_i32_e32 v3, 31, v2
	s_and_b32 s3, s1, s8
	s_and_saveexec_b32 s2, s3
	s_cbranch_execz .LBB44_53
; %bb.49:
	v_cmp_ne_u32_e32 vcc_lo, 1, v70
	v_lshlrev_b64 v[4:5], 2, v[2:3]
	s_cbranch_vccnz .LBB44_51
; %bb.50:
	v_add_co_u32 v68, vcc_lo, v74, v4
	v_add_co_ci_u32_e64 v69, null, v75, v5, vcc_lo
	flat_load_dword v68, v[68:69]
	s_waitcnt vmcnt(0) lgkmcnt(0)
	v_mul_f32_e32 v68, s22, v68
	s_branch .LBB44_52
.LBB44_51:
	v_mov_b32_e32 v68, 0
.LBB44_52:
	v_add_f32_e32 v6, v6, v7
	v_add_co_u32 v4, vcc_lo, v72, v4
	v_add_co_ci_u32_e64 v5, null, v73, v5, vcc_lo
	v_add_f32_e32 v6, v6, v68
	flat_store_dword v[4:5], v6
.LBB44_53:
	s_or_b32 exec_lo, exec_lo, s2
	v_add_nc_u32_e32 v4, 16, v0
	v_cmp_gt_i32_e64 s2, s12, v4
	v_ashrrev_i32_e32 v5, 31, v4
	s_and_b32 s4, s2, s8
	s_and_saveexec_b32 s3, s4
	s_cbranch_execz .LBB44_58
; %bb.54:
	v_cmp_ne_u32_e32 vcc_lo, 1, v70
	v_lshlrev_b64 v[6:7], 2, v[4:5]
	s_cbranch_vccnz .LBB44_56
; %bb.55:
	v_add_co_u32 v68, vcc_lo, v74, v6
	v_add_co_ci_u32_e64 v69, null, v75, v7, vcc_lo
	flat_load_dword v68, v[68:69]
	s_waitcnt vmcnt(0) lgkmcnt(0)
	v_mul_f32_e32 v68, s22, v68
	s_branch .LBB44_57
.LBB44_56:
	v_mov_b32_e32 v68, 0
.LBB44_57:
	v_add_f32_e32 v8, v8, v9
	v_add_co_u32 v6, vcc_lo, v72, v6
	v_add_co_ci_u32_e64 v7, null, v73, v7, vcc_lo
	v_add_f32_e32 v8, v8, v68
	flat_store_dword v[6:7], v8
.LBB44_58:
	;; [unrolled: 27-line block ×7, first 2 shown]
	s_or_b32 exec_lo, exec_lo, s8
	v_add_nc_u32_e32 v68, 32, v71
	v_mad_i64_i32 v[16:17], null, v68, s14, 0
	v_mad_i64_i32 v[66:67], null, v68, s9, 0
	v_cmp_gt_i32_e64 s8, s13, v68
	v_lshlrev_b64 v[16:17], 2, v[16:17]
	s_and_b32 s17, s0, s8
	v_lshlrev_b64 v[66:67], 2, v[66:67]
	v_add_co_u32 v68, vcc_lo, s10, v16
	v_add_co_ci_u32_e64 v69, null, s11, v17, vcc_lo
	v_add_co_u32 v66, vcc_lo, s15, v66
	v_add_co_ci_u32_e64 v67, null, s16, v67, vcc_lo
	s_and_saveexec_b32 s12, s17
	s_cbranch_execnz .LBB44_91
; %bb.84:
	s_or_b32 exec_lo, exec_lo, s12
	s_and_b32 s17, s1, s8
	s_and_saveexec_b32 s12, s17
	s_cbranch_execnz .LBB44_95
.LBB44_85:
	s_or_b32 exec_lo, exec_lo, s12
	s_and_b32 s17, s2, s8
	s_and_saveexec_b32 s12, s17
	s_cbranch_execnz .LBB44_99
.LBB44_86:
	s_or_b32 exec_lo, exec_lo, s12
	s_and_b32 s17, s3, s8
	s_and_saveexec_b32 s12, s17
	s_cbranch_execnz .LBB44_103
.LBB44_87:
	s_or_b32 exec_lo, exec_lo, s12
	s_and_b32 s17, s4, s8
	s_and_saveexec_b32 s12, s17
	s_cbranch_execnz .LBB44_107
.LBB44_88:
	s_or_b32 exec_lo, exec_lo, s12
	s_and_b32 s17, s5, s8
	s_and_saveexec_b32 s12, s17
	s_cbranch_execnz .LBB44_111
.LBB44_89:
	s_or_b32 exec_lo, exec_lo, s12
	s_and_b32 s17, s6, s8
	s_and_saveexec_b32 s12, s17
	s_cbranch_execnz .LBB44_115
.LBB44_90:
	s_or_b32 exec_lo, exec_lo, s12
	s_and_b32 s12, s7, s8
	s_and_saveexec_b32 s8, s12
	s_cbranch_execnz .LBB44_119
	s_branch .LBB44_123
.LBB44_91:
	v_cmp_ne_u32_e32 vcc_lo, 1, v70
	v_lshlrev_b64 v[16:17], 2, v[0:1]
	s_cbranch_vccnz .LBB44_93
; %bb.92:
	v_add_co_u32 v72, vcc_lo, v68, v16
	v_add_co_ci_u32_e64 v73, null, v69, v17, vcc_lo
	flat_load_dword v72, v[72:73]
	s_waitcnt vmcnt(0) lgkmcnt(0)
	v_mul_f32_e32 v72, s22, v72
	s_branch .LBB44_94
.LBB44_93:
	v_mov_b32_e32 v72, 0
.LBB44_94:
	v_add_f32_e32 v64, v64, v65
	v_add_co_u32 v16, vcc_lo, v66, v16
	v_add_co_ci_u32_e64 v17, null, v67, v17, vcc_lo
	v_add_f32_e32 v64, v64, v72
	flat_store_dword v[16:17], v64
	s_or_b32 exec_lo, exec_lo, s12
	s_and_b32 s17, s1, s8
	s_and_saveexec_b32 s12, s17
	s_cbranch_execz .LBB44_85
.LBB44_95:
	v_cmp_ne_u32_e32 vcc_lo, 1, v70
	v_lshlrev_b64 v[16:17], 2, v[2:3]
	s_cbranch_vccnz .LBB44_97
; %bb.96:
	v_add_co_u32 v64, vcc_lo, v68, v16
	v_add_co_ci_u32_e64 v65, null, v69, v17, vcc_lo
	flat_load_dword v64, v[64:65]
	s_waitcnt vmcnt(0) lgkmcnt(0)
	v_mul_f32_e32 v64, s22, v64
	s_branch .LBB44_98
.LBB44_97:
	v_mov_b32_e32 v64, 0
.LBB44_98:
	v_add_f32_e32 v62, v62, v63
	v_add_co_u32 v16, vcc_lo, v66, v16
	v_add_co_ci_u32_e64 v17, null, v67, v17, vcc_lo
	v_add_f32_e32 v62, v62, v64
	flat_store_dword v[16:17], v62
	s_or_b32 exec_lo, exec_lo, s12
	s_and_b32 s17, s2, s8
	s_and_saveexec_b32 s12, s17
	s_cbranch_execz .LBB44_86
.LBB44_99:
	v_cmp_ne_u32_e32 vcc_lo, 1, v70
	v_lshlrev_b64 v[16:17], 2, v[4:5]
	s_cbranch_vccnz .LBB44_101
; %bb.100:
	v_add_co_u32 v62, vcc_lo, v68, v16
	v_add_co_ci_u32_e64 v63, null, v69, v17, vcc_lo
	flat_load_dword v62, v[62:63]
	s_waitcnt vmcnt(0) lgkmcnt(0)
	v_mul_f32_e32 v62, s22, v62
	s_branch .LBB44_102
.LBB44_101:
	v_mov_b32_e32 v62, 0
.LBB44_102:
	v_add_f32_e32 v60, v60, v61
	v_add_co_u32 v16, vcc_lo, v66, v16
	v_add_co_ci_u32_e64 v17, null, v67, v17, vcc_lo
	v_add_f32_e32 v60, v60, v62
	flat_store_dword v[16:17], v60
	s_or_b32 exec_lo, exec_lo, s12
	s_and_b32 s17, s3, s8
	s_and_saveexec_b32 s12, s17
	s_cbranch_execz .LBB44_87
.LBB44_103:
	v_cmp_ne_u32_e32 vcc_lo, 1, v70
	v_lshlrev_b64 v[16:17], 2, v[6:7]
	s_cbranch_vccnz .LBB44_105
; %bb.104:
	v_add_co_u32 v60, vcc_lo, v68, v16
	v_add_co_ci_u32_e64 v61, null, v69, v17, vcc_lo
	flat_load_dword v60, v[60:61]
	s_waitcnt vmcnt(0) lgkmcnt(0)
	v_mul_f32_e32 v60, s22, v60
	s_branch .LBB44_106
.LBB44_105:
	v_mov_b32_e32 v60, 0
.LBB44_106:
	v_add_f32_e32 v58, v58, v59
	v_add_co_u32 v16, vcc_lo, v66, v16
	v_add_co_ci_u32_e64 v17, null, v67, v17, vcc_lo
	v_add_f32_e32 v58, v58, v60
	flat_store_dword v[16:17], v58
	s_or_b32 exec_lo, exec_lo, s12
	s_and_b32 s17, s4, s8
	s_and_saveexec_b32 s12, s17
	s_cbranch_execz .LBB44_88
.LBB44_107:
	v_cmp_ne_u32_e32 vcc_lo, 1, v70
	v_lshlrev_b64 v[16:17], 2, v[8:9]
	s_cbranch_vccnz .LBB44_109
; %bb.108:
	v_add_co_u32 v58, vcc_lo, v68, v16
	v_add_co_ci_u32_e64 v59, null, v69, v17, vcc_lo
	flat_load_dword v58, v[58:59]
	s_waitcnt vmcnt(0) lgkmcnt(0)
	v_mul_f32_e32 v58, s22, v58
	s_branch .LBB44_110
.LBB44_109:
	v_mov_b32_e32 v58, 0
.LBB44_110:
	v_add_f32_e32 v56, v56, v57
	v_add_co_u32 v16, vcc_lo, v66, v16
	v_add_co_ci_u32_e64 v17, null, v67, v17, vcc_lo
	v_add_f32_e32 v56, v56, v58
	flat_store_dword v[16:17], v56
	s_or_b32 exec_lo, exec_lo, s12
	s_and_b32 s17, s5, s8
	s_and_saveexec_b32 s12, s17
	s_cbranch_execz .LBB44_89
.LBB44_111:
	v_cmp_ne_u32_e32 vcc_lo, 1, v70
	v_lshlrev_b64 v[16:17], 2, v[10:11]
	s_cbranch_vccnz .LBB44_113
; %bb.112:
	v_add_co_u32 v56, vcc_lo, v68, v16
	v_add_co_ci_u32_e64 v57, null, v69, v17, vcc_lo
	flat_load_dword v56, v[56:57]
	s_waitcnt vmcnt(0) lgkmcnt(0)
	v_mul_f32_e32 v56, s22, v56
	s_branch .LBB44_114
.LBB44_113:
	v_mov_b32_e32 v56, 0
.LBB44_114:
	v_add_f32_e32 v54, v54, v55
	v_add_co_u32 v16, vcc_lo, v66, v16
	v_add_co_ci_u32_e64 v17, null, v67, v17, vcc_lo
	v_add_f32_e32 v54, v54, v56
	flat_store_dword v[16:17], v54
	s_or_b32 exec_lo, exec_lo, s12
	s_and_b32 s17, s6, s8
	s_and_saveexec_b32 s12, s17
	s_cbranch_execz .LBB44_90
.LBB44_115:
	v_cmp_ne_u32_e32 vcc_lo, 1, v70
	v_lshlrev_b64 v[16:17], 2, v[12:13]
	s_cbranch_vccnz .LBB44_117
; %bb.116:
	v_add_co_u32 v54, vcc_lo, v68, v16
	v_add_co_ci_u32_e64 v55, null, v69, v17, vcc_lo
	flat_load_dword v54, v[54:55]
	s_waitcnt vmcnt(0) lgkmcnt(0)
	v_mul_f32_e32 v54, s22, v54
	s_branch .LBB44_118
.LBB44_117:
	v_mov_b32_e32 v54, 0
.LBB44_118:
	v_add_f32_e32 v52, v52, v53
	v_add_co_u32 v16, vcc_lo, v66, v16
	v_add_co_ci_u32_e64 v17, null, v67, v17, vcc_lo
	v_add_f32_e32 v52, v52, v54
	flat_store_dword v[16:17], v52
	s_or_b32 exec_lo, exec_lo, s12
	s_and_b32 s12, s7, s8
	s_and_saveexec_b32 s8, s12
	s_cbranch_execz .LBB44_123
.LBB44_119:
	v_cmp_ne_u32_e32 vcc_lo, 1, v70
	v_lshlrev_b64 v[16:17], 2, v[14:15]
	s_cbranch_vccnz .LBB44_121
; %bb.120:
	v_add_co_u32 v52, vcc_lo, v68, v16
	v_add_co_ci_u32_e64 v53, null, v69, v17, vcc_lo
	flat_load_dword v52, v[52:53]
	s_waitcnt vmcnt(0) lgkmcnt(0)
	v_mul_f32_e32 v52, s22, v52
	s_branch .LBB44_122
.LBB44_121:
	v_mov_b32_e32 v52, 0
.LBB44_122:
	v_add_f32_e32 v50, v50, v51
	v_add_co_u32 v16, vcc_lo, v66, v16
	v_add_co_ci_u32_e64 v17, null, v67, v17, vcc_lo
	v_add_f32_e32 v50, v50, v52
	flat_store_dword v[16:17], v50
.LBB44_123:
	s_or_b32 exec_lo, exec_lo, s8
	v_add_nc_u32_e32 v52, 64, v71
	v_mad_i64_i32 v[16:17], null, v52, s14, 0
	v_mad_i64_i32 v[50:51], null, v52, s9, 0
	v_cmp_gt_i32_e64 s8, s13, v52
	v_lshlrev_b64 v[16:17], 2, v[16:17]
	s_and_b32 s17, s0, s8
	v_lshlrev_b64 v[50:51], 2, v[50:51]
	v_add_co_u32 v52, vcc_lo, s10, v16
	v_add_co_ci_u32_e64 v53, null, s11, v17, vcc_lo
	v_add_co_u32 v50, vcc_lo, s15, v50
	v_add_co_ci_u32_e64 v51, null, s16, v51, vcc_lo
	s_and_saveexec_b32 s12, s17
	s_cbranch_execnz .LBB44_131
; %bb.124:
	s_or_b32 exec_lo, exec_lo, s12
	s_and_b32 s17, s1, s8
	s_and_saveexec_b32 s12, s17
	s_cbranch_execnz .LBB44_135
.LBB44_125:
	s_or_b32 exec_lo, exec_lo, s12
	s_and_b32 s17, s2, s8
	s_and_saveexec_b32 s12, s17
	s_cbranch_execnz .LBB44_139
.LBB44_126:
	s_or_b32 exec_lo, exec_lo, s12
	s_and_b32 s17, s3, s8
	s_and_saveexec_b32 s12, s17
	s_cbranch_execnz .LBB44_143
.LBB44_127:
	s_or_b32 exec_lo, exec_lo, s12
	s_and_b32 s17, s4, s8
	s_and_saveexec_b32 s12, s17
	s_cbranch_execnz .LBB44_147
.LBB44_128:
	s_or_b32 exec_lo, exec_lo, s12
	s_and_b32 s17, s5, s8
	s_and_saveexec_b32 s12, s17
	s_cbranch_execnz .LBB44_151
.LBB44_129:
	s_or_b32 exec_lo, exec_lo, s12
	s_and_b32 s17, s6, s8
	s_and_saveexec_b32 s12, s17
	s_cbranch_execnz .LBB44_155
.LBB44_130:
	s_or_b32 exec_lo, exec_lo, s12
	s_and_b32 s12, s7, s8
	s_and_saveexec_b32 s8, s12
	s_cbranch_execnz .LBB44_159
	s_branch .LBB44_163
.LBB44_131:
	v_cmp_ne_u32_e32 vcc_lo, 1, v70
	v_lshlrev_b64 v[16:17], 2, v[0:1]
	s_cbranch_vccnz .LBB44_133
; %bb.132:
	v_add_co_u32 v54, vcc_lo, v52, v16
	v_add_co_ci_u32_e64 v55, null, v53, v17, vcc_lo
	flat_load_dword v54, v[54:55]
	s_waitcnt vmcnt(0) lgkmcnt(0)
	v_mul_f32_e32 v54, s22, v54
	s_branch .LBB44_134
.LBB44_133:
	v_mov_b32_e32 v54, 0
.LBB44_134:
	v_add_f32_e32 v48, v48, v49
	v_add_co_u32 v16, vcc_lo, v50, v16
	v_add_co_ci_u32_e64 v17, null, v51, v17, vcc_lo
	v_add_f32_e32 v48, v48, v54
	flat_store_dword v[16:17], v48
	s_or_b32 exec_lo, exec_lo, s12
	s_and_b32 s17, s1, s8
	s_and_saveexec_b32 s12, s17
	s_cbranch_execz .LBB44_125
.LBB44_135:
	v_cmp_ne_u32_e32 vcc_lo, 1, v70
	v_lshlrev_b64 v[16:17], 2, v[2:3]
	s_cbranch_vccnz .LBB44_137
; %bb.136:
	v_add_co_u32 v48, vcc_lo, v52, v16
	v_add_co_ci_u32_e64 v49, null, v53, v17, vcc_lo
	flat_load_dword v48, v[48:49]
	s_waitcnt vmcnt(0) lgkmcnt(0)
	v_mul_f32_e32 v48, s22, v48
	s_branch .LBB44_138
.LBB44_137:
	v_mov_b32_e32 v48, 0
.LBB44_138:
	v_add_f32_e32 v46, v46, v47
	v_add_co_u32 v16, vcc_lo, v50, v16
	v_add_co_ci_u32_e64 v17, null, v51, v17, vcc_lo
	v_add_f32_e32 v46, v46, v48
	flat_store_dword v[16:17], v46
	s_or_b32 exec_lo, exec_lo, s12
	s_and_b32 s17, s2, s8
	s_and_saveexec_b32 s12, s17
	s_cbranch_execz .LBB44_126
.LBB44_139:
	v_cmp_ne_u32_e32 vcc_lo, 1, v70
	v_lshlrev_b64 v[16:17], 2, v[4:5]
	s_cbranch_vccnz .LBB44_141
; %bb.140:
	v_add_co_u32 v46, vcc_lo, v52, v16
	v_add_co_ci_u32_e64 v47, null, v53, v17, vcc_lo
	flat_load_dword v46, v[46:47]
	s_waitcnt vmcnt(0) lgkmcnt(0)
	v_mul_f32_e32 v46, s22, v46
	s_branch .LBB44_142
.LBB44_141:
	v_mov_b32_e32 v46, 0
.LBB44_142:
	v_add_f32_e32 v44, v44, v45
	v_add_co_u32 v16, vcc_lo, v50, v16
	v_add_co_ci_u32_e64 v17, null, v51, v17, vcc_lo
	v_add_f32_e32 v44, v44, v46
	flat_store_dword v[16:17], v44
	s_or_b32 exec_lo, exec_lo, s12
	s_and_b32 s17, s3, s8
	s_and_saveexec_b32 s12, s17
	s_cbranch_execz .LBB44_127
.LBB44_143:
	v_cmp_ne_u32_e32 vcc_lo, 1, v70
	v_lshlrev_b64 v[16:17], 2, v[6:7]
	s_cbranch_vccnz .LBB44_145
; %bb.144:
	v_add_co_u32 v44, vcc_lo, v52, v16
	v_add_co_ci_u32_e64 v45, null, v53, v17, vcc_lo
	flat_load_dword v44, v[44:45]
	s_waitcnt vmcnt(0) lgkmcnt(0)
	v_mul_f32_e32 v44, s22, v44
	s_branch .LBB44_146
.LBB44_145:
	v_mov_b32_e32 v44, 0
.LBB44_146:
	v_add_f32_e32 v42, v42, v43
	v_add_co_u32 v16, vcc_lo, v50, v16
	v_add_co_ci_u32_e64 v17, null, v51, v17, vcc_lo
	v_add_f32_e32 v42, v42, v44
	flat_store_dword v[16:17], v42
	s_or_b32 exec_lo, exec_lo, s12
	s_and_b32 s17, s4, s8
	s_and_saveexec_b32 s12, s17
	s_cbranch_execz .LBB44_128
.LBB44_147:
	v_cmp_ne_u32_e32 vcc_lo, 1, v70
	v_lshlrev_b64 v[16:17], 2, v[8:9]
	s_cbranch_vccnz .LBB44_149
; %bb.148:
	v_add_co_u32 v42, vcc_lo, v52, v16
	v_add_co_ci_u32_e64 v43, null, v53, v17, vcc_lo
	flat_load_dword v42, v[42:43]
	s_waitcnt vmcnt(0) lgkmcnt(0)
	v_mul_f32_e32 v42, s22, v42
	s_branch .LBB44_150
.LBB44_149:
	v_mov_b32_e32 v42, 0
.LBB44_150:
	v_add_f32_e32 v40, v40, v41
	v_add_co_u32 v16, vcc_lo, v50, v16
	v_add_co_ci_u32_e64 v17, null, v51, v17, vcc_lo
	v_add_f32_e32 v40, v40, v42
	flat_store_dword v[16:17], v40
	s_or_b32 exec_lo, exec_lo, s12
	s_and_b32 s17, s5, s8
	s_and_saveexec_b32 s12, s17
	s_cbranch_execz .LBB44_129
.LBB44_151:
	v_cmp_ne_u32_e32 vcc_lo, 1, v70
	v_lshlrev_b64 v[16:17], 2, v[10:11]
	s_cbranch_vccnz .LBB44_153
; %bb.152:
	v_add_co_u32 v40, vcc_lo, v52, v16
	v_add_co_ci_u32_e64 v41, null, v53, v17, vcc_lo
	flat_load_dword v40, v[40:41]
	s_waitcnt vmcnt(0) lgkmcnt(0)
	v_mul_f32_e32 v40, s22, v40
	s_branch .LBB44_154
.LBB44_153:
	v_mov_b32_e32 v40, 0
.LBB44_154:
	v_add_f32_e32 v38, v38, v39
	v_add_co_u32 v16, vcc_lo, v50, v16
	v_add_co_ci_u32_e64 v17, null, v51, v17, vcc_lo
	v_add_f32_e32 v38, v38, v40
	flat_store_dword v[16:17], v38
	s_or_b32 exec_lo, exec_lo, s12
	s_and_b32 s17, s6, s8
	s_and_saveexec_b32 s12, s17
	s_cbranch_execz .LBB44_130
.LBB44_155:
	v_cmp_ne_u32_e32 vcc_lo, 1, v70
	v_lshlrev_b64 v[16:17], 2, v[12:13]
	s_cbranch_vccnz .LBB44_157
; %bb.156:
	v_add_co_u32 v38, vcc_lo, v52, v16
	v_add_co_ci_u32_e64 v39, null, v53, v17, vcc_lo
	flat_load_dword v38, v[38:39]
	s_waitcnt vmcnt(0) lgkmcnt(0)
	v_mul_f32_e32 v38, s22, v38
	s_branch .LBB44_158
.LBB44_157:
	v_mov_b32_e32 v38, 0
.LBB44_158:
	v_add_f32_e32 v36, v36, v37
	v_add_co_u32 v16, vcc_lo, v50, v16
	v_add_co_ci_u32_e64 v17, null, v51, v17, vcc_lo
	v_add_f32_e32 v36, v36, v38
	flat_store_dword v[16:17], v36
	s_or_b32 exec_lo, exec_lo, s12
	s_and_b32 s12, s7, s8
	s_and_saveexec_b32 s8, s12
	s_cbranch_execz .LBB44_163
.LBB44_159:
	v_cmp_ne_u32_e32 vcc_lo, 1, v70
	v_lshlrev_b64 v[16:17], 2, v[14:15]
	s_cbranch_vccnz .LBB44_161
; %bb.160:
	v_add_co_u32 v36, vcc_lo, v52, v16
	v_add_co_ci_u32_e64 v37, null, v53, v17, vcc_lo
	flat_load_dword v36, v[36:37]
	s_waitcnt vmcnt(0) lgkmcnt(0)
	v_mul_f32_e32 v36, s22, v36
	s_branch .LBB44_162
.LBB44_161:
	v_mov_b32_e32 v36, 0
.LBB44_162:
	v_add_f32_e32 v34, v34, v35
	v_add_co_u32 v16, vcc_lo, v50, v16
	v_add_co_ci_u32_e64 v17, null, v51, v17, vcc_lo
	v_add_f32_e32 v34, v34, v36
	flat_store_dword v[16:17], v34
.LBB44_163:
	s_or_b32 exec_lo, exec_lo, s8
	v_add_nc_u32_e32 v36, 0x60, v71
	v_mad_i64_i32 v[16:17], null, v36, s14, 0
	v_mad_i64_i32 v[34:35], null, v36, s9, 0
	v_cmp_gt_i32_e64 s8, s13, v36
	v_lshlrev_b64 v[16:17], 2, v[16:17]
	s_and_b32 s9, s0, s8
	v_lshlrev_b64 v[36:37], 2, v[34:35]
	v_add_co_u32 v34, vcc_lo, s10, v16
	v_add_co_ci_u32_e64 v35, null, s11, v17, vcc_lo
	v_add_co_u32 v16, vcc_lo, s15, v36
	v_add_co_ci_u32_e64 v17, null, s16, v37, vcc_lo
	s_and_saveexec_b32 s0, s9
	s_cbranch_execnz .LBB44_172
; %bb.164:
	s_or_b32 exec_lo, exec_lo, s0
	s_and_b32 s1, s1, s8
	s_and_saveexec_b32 s0, s1
	s_cbranch_execnz .LBB44_176
.LBB44_165:
	s_or_b32 exec_lo, exec_lo, s0
	s_and_b32 s1, s2, s8
	s_and_saveexec_b32 s0, s1
	s_cbranch_execnz .LBB44_180
.LBB44_166:
	s_or_b32 exec_lo, exec_lo, s0
	s_and_b32 s1, s3, s8
	s_and_saveexec_b32 s0, s1
	s_cbranch_execnz .LBB44_184
.LBB44_167:
	s_or_b32 exec_lo, exec_lo, s0
	s_and_b32 s1, s4, s8
	s_and_saveexec_b32 s0, s1
	s_cbranch_execnz .LBB44_188
.LBB44_168:
	s_or_b32 exec_lo, exec_lo, s0
	s_and_b32 s1, s5, s8
	s_and_saveexec_b32 s0, s1
	s_cbranch_execnz .LBB44_192
.LBB44_169:
	s_or_b32 exec_lo, exec_lo, s0
	s_and_b32 s1, s6, s8
	s_and_saveexec_b32 s0, s1
	s_cbranch_execnz .LBB44_196
.LBB44_170:
	s_or_b32 exec_lo, exec_lo, s0
	s_and_b32 s0, s7, s8
	s_and_saveexec_b32 s1, s0
	s_cbranch_execnz .LBB44_200
.LBB44_171:
	s_endpgm
.LBB44_172:
	v_cmp_ne_u32_e32 vcc_lo, 1, v70
	v_lshlrev_b64 v[0:1], 2, v[0:1]
	s_cbranch_vccnz .LBB44_174
; %bb.173:
	v_add_co_u32 v36, vcc_lo, v34, v0
	v_add_co_ci_u32_e64 v37, null, v35, v1, vcc_lo
	flat_load_dword v36, v[36:37]
	s_waitcnt vmcnt(0) lgkmcnt(0)
	v_mul_f32_e32 v36, s22, v36
	s_branch .LBB44_175
.LBB44_174:
	v_mov_b32_e32 v36, 0
.LBB44_175:
	v_add_f32_e32 v32, v32, v33
	v_add_co_u32 v0, vcc_lo, v16, v0
	v_add_co_ci_u32_e64 v1, null, v17, v1, vcc_lo
	v_add_f32_e32 v32, v32, v36
	flat_store_dword v[0:1], v32
	s_or_b32 exec_lo, exec_lo, s0
	s_and_b32 s1, s1, s8
	s_and_saveexec_b32 s0, s1
	s_cbranch_execz .LBB44_165
.LBB44_176:
	v_cmp_ne_u32_e32 vcc_lo, 1, v70
	v_lshlrev_b64 v[0:1], 2, v[2:3]
	s_cbranch_vccnz .LBB44_178
; %bb.177:
	v_add_co_u32 v2, vcc_lo, v34, v0
	v_add_co_ci_u32_e64 v3, null, v35, v1, vcc_lo
	flat_load_dword v2, v[2:3]
	s_waitcnt vmcnt(0) lgkmcnt(0)
	v_mul_f32_e32 v2, s22, v2
	s_branch .LBB44_179
.LBB44_178:
	v_mov_b32_e32 v2, 0
.LBB44_179:
	v_add_f32_e32 v3, v30, v31
	v_add_co_u32 v0, vcc_lo, v16, v0
	v_add_co_ci_u32_e64 v1, null, v17, v1, vcc_lo
	v_add_f32_e32 v2, v3, v2
	flat_store_dword v[0:1], v2
	s_or_b32 exec_lo, exec_lo, s0
	s_and_b32 s1, s2, s8
	s_and_saveexec_b32 s0, s1
	s_cbranch_execz .LBB44_166
.LBB44_180:
	v_cmp_ne_u32_e32 vcc_lo, 1, v70
	v_lshlrev_b64 v[0:1], 2, v[4:5]
	s_cbranch_vccnz .LBB44_182
; %bb.181:
	v_add_co_u32 v2, vcc_lo, v34, v0
	v_add_co_ci_u32_e64 v3, null, v35, v1, vcc_lo
	flat_load_dword v2, v[2:3]
	s_waitcnt vmcnt(0) lgkmcnt(0)
	v_mul_f32_e32 v2, s22, v2
	s_branch .LBB44_183
.LBB44_182:
	v_mov_b32_e32 v2, 0
.LBB44_183:
	v_add_f32_e32 v3, v28, v29
	v_add_co_u32 v0, vcc_lo, v16, v0
	v_add_co_ci_u32_e64 v1, null, v17, v1, vcc_lo
	v_add_f32_e32 v2, v3, v2
	flat_store_dword v[0:1], v2
	s_or_b32 exec_lo, exec_lo, s0
	s_and_b32 s1, s3, s8
	s_and_saveexec_b32 s0, s1
	s_cbranch_execz .LBB44_167
.LBB44_184:
	v_cmp_ne_u32_e32 vcc_lo, 1, v70
	v_lshlrev_b64 v[0:1], 2, v[6:7]
	s_cbranch_vccnz .LBB44_186
; %bb.185:
	v_add_co_u32 v2, vcc_lo, v34, v0
	v_add_co_ci_u32_e64 v3, null, v35, v1, vcc_lo
	flat_load_dword v2, v[2:3]
	s_waitcnt vmcnt(0) lgkmcnt(0)
	v_mul_f32_e32 v2, s22, v2
	s_branch .LBB44_187
.LBB44_186:
	v_mov_b32_e32 v2, 0
.LBB44_187:
	v_add_f32_e32 v3, v26, v27
	v_add_co_u32 v0, vcc_lo, v16, v0
	v_add_co_ci_u32_e64 v1, null, v17, v1, vcc_lo
	v_add_f32_e32 v2, v3, v2
	flat_store_dword v[0:1], v2
	s_or_b32 exec_lo, exec_lo, s0
	s_and_b32 s1, s4, s8
	s_and_saveexec_b32 s0, s1
	s_cbranch_execz .LBB44_168
.LBB44_188:
	v_cmp_ne_u32_e32 vcc_lo, 1, v70
	v_lshlrev_b64 v[0:1], 2, v[8:9]
	s_cbranch_vccnz .LBB44_190
; %bb.189:
	v_add_co_u32 v2, vcc_lo, v34, v0
	v_add_co_ci_u32_e64 v3, null, v35, v1, vcc_lo
	flat_load_dword v2, v[2:3]
	s_waitcnt vmcnt(0) lgkmcnt(0)
	v_mul_f32_e32 v2, s22, v2
	s_branch .LBB44_191
.LBB44_190:
	v_mov_b32_e32 v2, 0
.LBB44_191:
	v_add_f32_e32 v3, v24, v25
	v_add_co_u32 v0, vcc_lo, v16, v0
	v_add_co_ci_u32_e64 v1, null, v17, v1, vcc_lo
	v_add_f32_e32 v2, v3, v2
	flat_store_dword v[0:1], v2
	s_or_b32 exec_lo, exec_lo, s0
	s_and_b32 s1, s5, s8
	s_and_saveexec_b32 s0, s1
	s_cbranch_execz .LBB44_169
.LBB44_192:
	v_cmp_ne_u32_e32 vcc_lo, 1, v70
	v_lshlrev_b64 v[0:1], 2, v[10:11]
	s_cbranch_vccnz .LBB44_194
; %bb.193:
	v_add_co_u32 v2, vcc_lo, v34, v0
	v_add_co_ci_u32_e64 v3, null, v35, v1, vcc_lo
	flat_load_dword v2, v[2:3]
	s_waitcnt vmcnt(0) lgkmcnt(0)
	v_mul_f32_e32 v2, s22, v2
	s_branch .LBB44_195
.LBB44_194:
	v_mov_b32_e32 v2, 0
.LBB44_195:
	v_add_f32_e32 v3, v22, v23
	v_add_co_u32 v0, vcc_lo, v16, v0
	v_add_co_ci_u32_e64 v1, null, v17, v1, vcc_lo
	v_add_f32_e32 v2, v3, v2
	flat_store_dword v[0:1], v2
	s_or_b32 exec_lo, exec_lo, s0
	s_and_b32 s1, s6, s8
	s_and_saveexec_b32 s0, s1
	s_cbranch_execz .LBB44_170
.LBB44_196:
	v_cmp_ne_u32_e32 vcc_lo, 1, v70
	v_lshlrev_b64 v[0:1], 2, v[12:13]
	s_cbranch_vccnz .LBB44_198
; %bb.197:
	v_add_co_u32 v2, vcc_lo, v34, v0
	v_add_co_ci_u32_e64 v3, null, v35, v1, vcc_lo
	flat_load_dword v2, v[2:3]
	s_waitcnt vmcnt(0) lgkmcnt(0)
	v_mul_f32_e32 v2, s22, v2
	s_branch .LBB44_199
.LBB44_198:
	v_mov_b32_e32 v2, 0
.LBB44_199:
	v_add_f32_e32 v3, v20, v21
	v_add_co_u32 v0, vcc_lo, v16, v0
	v_add_co_ci_u32_e64 v1, null, v17, v1, vcc_lo
	v_add_f32_e32 v2, v3, v2
	flat_store_dword v[0:1], v2
	s_or_b32 exec_lo, exec_lo, s0
	s_and_b32 s0, s7, s8
	s_and_saveexec_b32 s1, s0
	s_cbranch_execz .LBB44_171
.LBB44_200:
	v_cmp_ne_u32_e32 vcc_lo, 1, v70
	v_lshlrev_b64 v[0:1], 2, v[14:15]
	s_cbranch_vccnz .LBB44_202
; %bb.201:
	v_add_co_u32 v2, vcc_lo, v34, v0
	v_add_co_ci_u32_e64 v3, null, v35, v1, vcc_lo
	flat_load_dword v2, v[2:3]
	s_waitcnt vmcnt(0) lgkmcnt(0)
	v_mul_f32_e32 v2, s22, v2
	s_branch .LBB44_203
.LBB44_202:
	v_mov_b32_e32 v2, 0
.LBB44_203:
	v_add_f32_e32 v3, v18, v19
	v_add_co_u32 v0, vcc_lo, v16, v0
	v_add_co_ci_u32_e64 v1, null, v17, v1, vcc_lo
	v_add_f32_e32 v2, v3, v2
	flat_store_dword v[0:1], v2
	s_endpgm
	.section	.rodata,"a",@progbits
	.p2align	6, 0x0
	.amdhsa_kernel _ZN12_GLOBAL__N_120geam_min_plus_kernelIf15HIP_vector_typeIfLj2EES2_Li8ELi32ELi64ELi128ELi4ELi64ELi4ELi64ELi4ELc78ELc84ELb0ELb1ELb0EfKPKfKPfEEviiiT16_PT17_ilSA_ilS8_SA_ilPT18_ili26rocblas_geam_ex_operation_
		.amdhsa_group_segment_fixed_size 6144
		.amdhsa_private_segment_fixed_size 0
		.amdhsa_kernarg_size 128
		.amdhsa_user_sgpr_count 6
		.amdhsa_user_sgpr_private_segment_buffer 1
		.amdhsa_user_sgpr_dispatch_ptr 0
		.amdhsa_user_sgpr_queue_ptr 0
		.amdhsa_user_sgpr_kernarg_segment_ptr 1
		.amdhsa_user_sgpr_dispatch_id 0
		.amdhsa_user_sgpr_flat_scratch_init 0
		.amdhsa_user_sgpr_private_segment_size 0
		.amdhsa_wavefront_size32 1
		.amdhsa_uses_dynamic_stack 0
		.amdhsa_system_sgpr_private_segment_wavefront_offset 0
		.amdhsa_system_sgpr_workgroup_id_x 1
		.amdhsa_system_sgpr_workgroup_id_y 0
		.amdhsa_system_sgpr_workgroup_id_z 1
		.amdhsa_system_sgpr_workgroup_info 0
		.amdhsa_system_vgpr_workitem_id 1
		.amdhsa_next_free_vgpr 148
		.amdhsa_next_free_sgpr 30
		.amdhsa_reserve_vcc 1
		.amdhsa_reserve_flat_scratch 0
		.amdhsa_float_round_mode_32 0
		.amdhsa_float_round_mode_16_64 0
		.amdhsa_float_denorm_mode_32 3
		.amdhsa_float_denorm_mode_16_64 3
		.amdhsa_dx10_clamp 1
		.amdhsa_ieee_mode 1
		.amdhsa_fp16_overflow 0
		.amdhsa_workgroup_processor_mode 1
		.amdhsa_memory_ordered 1
		.amdhsa_forward_progress 1
		.amdhsa_shared_vgpr_count 0
		.amdhsa_exception_fp_ieee_invalid_op 0
		.amdhsa_exception_fp_denorm_src 0
		.amdhsa_exception_fp_ieee_div_zero 0
		.amdhsa_exception_fp_ieee_overflow 0
		.amdhsa_exception_fp_ieee_underflow 0
		.amdhsa_exception_fp_ieee_inexact 0
		.amdhsa_exception_int_div_zero 0
	.end_amdhsa_kernel
	.section	.text._ZN12_GLOBAL__N_120geam_min_plus_kernelIf15HIP_vector_typeIfLj2EES2_Li8ELi32ELi64ELi128ELi4ELi64ELi4ELi64ELi4ELc78ELc84ELb0ELb1ELb0EfKPKfKPfEEviiiT16_PT17_ilSA_ilS8_SA_ilPT18_ili26rocblas_geam_ex_operation_,"axG",@progbits,_ZN12_GLOBAL__N_120geam_min_plus_kernelIf15HIP_vector_typeIfLj2EES2_Li8ELi32ELi64ELi128ELi4ELi64ELi4ELi64ELi4ELc78ELc84ELb0ELb1ELb0EfKPKfKPfEEviiiT16_PT17_ilSA_ilS8_SA_ilPT18_ili26rocblas_geam_ex_operation_,comdat
.Lfunc_end44:
	.size	_ZN12_GLOBAL__N_120geam_min_plus_kernelIf15HIP_vector_typeIfLj2EES2_Li8ELi32ELi64ELi128ELi4ELi64ELi4ELi64ELi4ELc78ELc84ELb0ELb1ELb0EfKPKfKPfEEviiiT16_PT17_ilSA_ilS8_SA_ilPT18_ili26rocblas_geam_ex_operation_, .Lfunc_end44-_ZN12_GLOBAL__N_120geam_min_plus_kernelIf15HIP_vector_typeIfLj2EES2_Li8ELi32ELi64ELi128ELi4ELi64ELi4ELi64ELi4ELc78ELc84ELb0ELb1ELb0EfKPKfKPfEEviiiT16_PT17_ilSA_ilS8_SA_ilPT18_ili26rocblas_geam_ex_operation_
                                        ; -- End function
	.set _ZN12_GLOBAL__N_120geam_min_plus_kernelIf15HIP_vector_typeIfLj2EES2_Li8ELi32ELi64ELi128ELi4ELi64ELi4ELi64ELi4ELc78ELc84ELb0ELb1ELb0EfKPKfKPfEEviiiT16_PT17_ilSA_ilS8_SA_ilPT18_ili26rocblas_geam_ex_operation_.num_vgpr, 148
	.set _ZN12_GLOBAL__N_120geam_min_plus_kernelIf15HIP_vector_typeIfLj2EES2_Li8ELi32ELi64ELi128ELi4ELi64ELi4ELi64ELi4ELc78ELc84ELb0ELb1ELb0EfKPKfKPfEEviiiT16_PT17_ilSA_ilS8_SA_ilPT18_ili26rocblas_geam_ex_operation_.num_agpr, 0
	.set _ZN12_GLOBAL__N_120geam_min_plus_kernelIf15HIP_vector_typeIfLj2EES2_Li8ELi32ELi64ELi128ELi4ELi64ELi4ELi64ELi4ELc78ELc84ELb0ELb1ELb0EfKPKfKPfEEviiiT16_PT17_ilSA_ilS8_SA_ilPT18_ili26rocblas_geam_ex_operation_.numbered_sgpr, 30
	.set _ZN12_GLOBAL__N_120geam_min_plus_kernelIf15HIP_vector_typeIfLj2EES2_Li8ELi32ELi64ELi128ELi4ELi64ELi4ELi64ELi4ELc78ELc84ELb0ELb1ELb0EfKPKfKPfEEviiiT16_PT17_ilSA_ilS8_SA_ilPT18_ili26rocblas_geam_ex_operation_.num_named_barrier, 0
	.set _ZN12_GLOBAL__N_120geam_min_plus_kernelIf15HIP_vector_typeIfLj2EES2_Li8ELi32ELi64ELi128ELi4ELi64ELi4ELi64ELi4ELc78ELc84ELb0ELb1ELb0EfKPKfKPfEEviiiT16_PT17_ilSA_ilS8_SA_ilPT18_ili26rocblas_geam_ex_operation_.private_seg_size, 0
	.set _ZN12_GLOBAL__N_120geam_min_plus_kernelIf15HIP_vector_typeIfLj2EES2_Li8ELi32ELi64ELi128ELi4ELi64ELi4ELi64ELi4ELc78ELc84ELb0ELb1ELb0EfKPKfKPfEEviiiT16_PT17_ilSA_ilS8_SA_ilPT18_ili26rocblas_geam_ex_operation_.uses_vcc, 1
	.set _ZN12_GLOBAL__N_120geam_min_plus_kernelIf15HIP_vector_typeIfLj2EES2_Li8ELi32ELi64ELi128ELi4ELi64ELi4ELi64ELi4ELc78ELc84ELb0ELb1ELb0EfKPKfKPfEEviiiT16_PT17_ilSA_ilS8_SA_ilPT18_ili26rocblas_geam_ex_operation_.uses_flat_scratch, 0
	.set _ZN12_GLOBAL__N_120geam_min_plus_kernelIf15HIP_vector_typeIfLj2EES2_Li8ELi32ELi64ELi128ELi4ELi64ELi4ELi64ELi4ELc78ELc84ELb0ELb1ELb0EfKPKfKPfEEviiiT16_PT17_ilSA_ilS8_SA_ilPT18_ili26rocblas_geam_ex_operation_.has_dyn_sized_stack, 0
	.set _ZN12_GLOBAL__N_120geam_min_plus_kernelIf15HIP_vector_typeIfLj2EES2_Li8ELi32ELi64ELi128ELi4ELi64ELi4ELi64ELi4ELc78ELc84ELb0ELb1ELb0EfKPKfKPfEEviiiT16_PT17_ilSA_ilS8_SA_ilPT18_ili26rocblas_geam_ex_operation_.has_recursion, 0
	.set _ZN12_GLOBAL__N_120geam_min_plus_kernelIf15HIP_vector_typeIfLj2EES2_Li8ELi32ELi64ELi128ELi4ELi64ELi4ELi64ELi4ELc78ELc84ELb0ELb1ELb0EfKPKfKPfEEviiiT16_PT17_ilSA_ilS8_SA_ilPT18_ili26rocblas_geam_ex_operation_.has_indirect_call, 0
	.section	.AMDGPU.csdata,"",@progbits
; Kernel info:
; codeLenInByte = 9204
; TotalNumSgprs: 32
; NumVgprs: 148
; ScratchSize: 0
; MemoryBound: 0
; FloatMode: 240
; IeeeMode: 1
; LDSByteSize: 6144 bytes/workgroup (compile time only)
; SGPRBlocks: 0
; VGPRBlocks: 18
; NumSGPRsForWavesPerEU: 32
; NumVGPRsForWavesPerEU: 148
; Occupancy: 6
; WaveLimiterHint : 1
; COMPUTE_PGM_RSRC2:SCRATCH_EN: 0
; COMPUTE_PGM_RSRC2:USER_SGPR: 6
; COMPUTE_PGM_RSRC2:TRAP_HANDLER: 0
; COMPUTE_PGM_RSRC2:TGID_X_EN: 1
; COMPUTE_PGM_RSRC2:TGID_Y_EN: 0
; COMPUTE_PGM_RSRC2:TGID_Z_EN: 1
; COMPUTE_PGM_RSRC2:TIDIG_COMP_CNT: 1
	.section	.text._ZN12_GLOBAL__N_120geam_min_plus_kernelIf15HIP_vector_typeIfLj2EES2_Li8ELi32ELi64ELi128ELi4ELi4ELi64ELi64ELi4ELc84ELc84ELb0ELb0ELb0EPKfKS4_KPfEEviiiT16_PT17_ilSA_ilS8_SA_ilPT18_ili26rocblas_geam_ex_operation_,"axG",@progbits,_ZN12_GLOBAL__N_120geam_min_plus_kernelIf15HIP_vector_typeIfLj2EES2_Li8ELi32ELi64ELi128ELi4ELi4ELi64ELi64ELi4ELc84ELc84ELb0ELb0ELb0EPKfKS4_KPfEEviiiT16_PT17_ilSA_ilS8_SA_ilPT18_ili26rocblas_geam_ex_operation_,comdat
	.globl	_ZN12_GLOBAL__N_120geam_min_plus_kernelIf15HIP_vector_typeIfLj2EES2_Li8ELi32ELi64ELi128ELi4ELi4ELi64ELi64ELi4ELc84ELc84ELb0ELb0ELb0EPKfKS4_KPfEEviiiT16_PT17_ilSA_ilS8_SA_ilPT18_ili26rocblas_geam_ex_operation_ ; -- Begin function _ZN12_GLOBAL__N_120geam_min_plus_kernelIf15HIP_vector_typeIfLj2EES2_Li8ELi32ELi64ELi128ELi4ELi4ELi64ELi64ELi4ELc84ELc84ELb0ELb0ELb0EPKfKS4_KPfEEviiiT16_PT17_ilSA_ilS8_SA_ilPT18_ili26rocblas_geam_ex_operation_
	.p2align	8
	.type	_ZN12_GLOBAL__N_120geam_min_plus_kernelIf15HIP_vector_typeIfLj2EES2_Li8ELi32ELi64ELi128ELi4ELi4ELi64ELi64ELi4ELc84ELc84ELb0ELb0ELb0EPKfKS4_KPfEEviiiT16_PT17_ilSA_ilS8_SA_ilPT18_ili26rocblas_geam_ex_operation_,@function
_ZN12_GLOBAL__N_120geam_min_plus_kernelIf15HIP_vector_typeIfLj2EES2_Li8ELi32ELi64ELi128ELi4ELi4ELi64ELi64ELi4ELc84ELc84ELb0ELb0ELb0EPKfKS4_KPfEEviiiT16_PT17_ilSA_ilS8_SA_ilPT18_ili26rocblas_geam_ex_operation_: ; @_ZN12_GLOBAL__N_120geam_min_plus_kernelIf15HIP_vector_typeIfLj2EES2_Li8ELi32ELi64ELi128ELi4ELi4ELi64ELi64ELi4ELc84ELc84ELb0ELb0ELb0EPKfKS4_KPfEEviiiT16_PT17_ilSA_ilS8_SA_ilPT18_ili26rocblas_geam_ex_operation_
; %bb.0:
	s_clause 0x1
	s_load_dwordx4 s[0:3], s[4:5], 0x10
	s_load_dwordx4 s[8:11], s[4:5], 0x28
	s_mov_b32 s18, s7
	s_mov_b32 s19, 0
	s_lshl_b64 s[16:17], s[18:19], 2
	s_waitcnt lgkmcnt(0)
	s_add_u32 s0, s0, s16
	s_addc_u32 s1, s1, s17
	s_load_dword s24, s[0:1], 0x0
	s_clause 0x1
	s_load_dwordx4 s[12:15], s[4:5], 0x40
	s_load_dwordx2 s[20:21], s[4:5], 0x50
	s_waitcnt lgkmcnt(0)
	v_cmp_eq_f32_e64 s1, s24, 0
	s_add_u32 s22, s14, s16
	v_cmp_neq_f32_e64 s0, s24, 0
	s_addc_u32 s23, s15, s17
	s_mov_b64 s[14:15], 0
	s_and_b32 s1, exec_lo, s1
	s_mov_b64 s[16:17], 0
	s_mov_b32 vcc_lo, s1
	s_cbranch_vccnz .LBB45_2
; %bb.1:
	s_lshl_b64 s[16:17], s[18:19], 3
	s_add_u32 s2, s2, s16
	s_addc_u32 s3, s3, s17
	s_lshl_b64 s[8:9], s[8:9], 2
	s_load_dwordx2 s[2:3], s[2:3], 0x0
	s_waitcnt lgkmcnt(0)
	s_add_u32 s16, s2, s8
	s_addc_u32 s17, s3, s9
.LBB45_2:
	s_load_dword s3, s[22:23], 0x0
	v_cndmask_b32_e64 v2, 0, 1, s0
	s_andn2_b32 vcc_lo, exec_lo, s0
	v_cmp_ne_u32_e64 s2, 1, v2
	s_cbranch_vccnz .LBB45_4
; %bb.3:
	s_lshl_b64 s[8:9], s[18:19], 3
	s_add_u32 s8, s10, s8
	s_addc_u32 s9, s11, s9
	s_lshl_b64 s[10:11], s[12:13], 2
	s_load_dwordx2 s[8:9], s[8:9], 0x0
	s_waitcnt lgkmcnt(0)
	s_add_u32 s14, s8, s10
	s_addc_u32 s15, s9, s11
.LBB45_4:
	s_load_dwordx4 s[8:11], s[4:5], 0x60
	s_waitcnt lgkmcnt(0)
	v_cmp_eq_f32_e64 s0, s3, 0
	s_and_b32 s0, exec_lo, s0
	s_mov_b32 vcc_lo, s0
	s_cbranch_vccnz .LBB45_6
; %bb.5:
	s_lshl_b64 s[12:13], s[18:19], 3
	s_add_u32 s12, s20, s12
	s_addc_u32 s13, s21, s13
	s_lshl_b64 s[8:9], s[8:9], 2
	s_load_dwordx2 s[12:13], s[12:13], 0x0
	s_waitcnt lgkmcnt(0)
	s_add_u32 s8, s12, s8
	s_addc_u32 s9, s13, s9
	s_branch .LBB45_7
.LBB45_6:
	s_mov_b64 s[8:9], 0
.LBB45_7:
	s_clause 0x2
	s_load_dword s20, s[4:5], 0x38
	s_load_dword s7, s[4:5], 0x0
	;; [unrolled: 1-line block ×3, first 2 shown]
	s_lshl_b64 s[12:13], s[18:19], 3
	v_lshl_add_u32 v3, v1, 3, v0
	v_and_b32_e32 v12, 3, v0
	v_mov_b32_e32 v77, 0
	v_mov_b32_e32 v7, 0
	;; [unrolled: 1-line block ×3, first 2 shown]
	v_and_b32_e32 v5, 63, v3
	v_lshrrev_b32_e32 v6, 2, v3
	v_lshrrev_b32_e32 v13, 6, v3
	v_lshlrev_b32_e32 v8, 2, v12
	v_mov_b32_e32 v10, 0
	s_waitcnt lgkmcnt(0)
	s_ashr_i32 s18, s20, 31
	s_add_u32 s10, s10, s12
	s_addc_u32 s11, s11, s13
	s_add_i32 s7, s7, -1
	s_ashr_i32 s12, s7, 31
	s_lshr_b32 s12, s12, 26
	s_add_i32 s7, s7, s12
	s_ashr_i32 s7, s7, 6
	s_add_i32 s12, s7, 1
	s_not_b32 s7, s7
	v_cvt_f32_u32_e32 v2, s12
	v_rcp_iflag_f32_e32 v2, v2
	v_mul_f32_e32 v2, 0x4f7ffffe, v2
	v_cvt_u32_f32_e32 v2, v2
	v_readfirstlane_b32 s13, v2
	s_mul_i32 s7, s7, s13
	s_mul_hi_u32 s7, s13, s7
	s_add_i32 s13, s13, s7
	s_mul_hi_u32 s7, s6, s13
	s_mul_i32 s13, s7, s12
	s_add_i32 s19, s7, 1
	s_sub_i32 s13, s6, s13
	s_sub_i32 s22, s13, s12
	s_cmp_ge_u32 s13, s12
	s_cselect_b32 s7, s19, s7
	s_cselect_b32 s13, s22, s13
	s_add_i32 s19, s7, 1
	s_cmp_ge_u32 s13, s12
	s_cselect_b32 s7, s19, s7
	s_and_b32 vcc_lo, exec_lo, s2
	s_lshl_b32 s13, s7, 7
	s_mul_i32 s12, s7, s12
	v_or_b32_e32 v2, s13, v5
	s_sub_i32 s6, s6, s12
	s_lshl_b32 s12, s6, 6
	v_add_nc_u32_e32 v4, s12, v6
	v_ashrrev_i32_e32 v3, 31, v2
	s_cbranch_vccnz .LBB45_9
; %bb.8:
	v_mad_i64_i32 v[9:10], null, v4, s21, 0
	v_mad_i64_i32 v[14:15], null, s20, v13, 0
	v_lshlrev_b64 v[16:17], 2, v[2:3]
	v_lshlrev_b64 v[9:10], 2, v[9:10]
	v_lshlrev_b64 v[14:15], 2, v[14:15]
	v_add_co_u32 v7, vcc_lo, s16, v9
	v_add_co_ci_u32_e64 v10, null, s17, v10, vcc_lo
	v_add_co_u32 v11, vcc_lo, s14, v14
	v_add_co_ci_u32_e64 v15, null, s15, v15, vcc_lo
	v_add_co_u32 v9, vcc_lo, v7, v8
	v_add_co_ci_u32_e64 v10, null, 0, v10, vcc_lo
	v_add_co_u32 v14, vcc_lo, v11, v16
	v_add_co_ci_u32_e64 v15, null, v15, v17, vcc_lo
	flat_load_dword v7, v[9:10]
	s_clause 0x1
	flat_load_dword v9, v[14:15]
	flat_load_dword v11, v[14:15] offset:256
	s_waitcnt vmcnt(2) lgkmcnt(2)
	v_mul_f32_e32 v7, s24, v7
	s_waitcnt vmcnt(1) lgkmcnt(1)
	v_mul_f32_e32 v10, s24, v9
	;; [unrolled: 2-line block ×3, first 2 shown]
.LBB45_9:
	s_load_dwordx2 s[6:7], s[10:11], 0x0
	v_add_nc_u32_e32 v72, 4, v13
	v_mov_b32_e32 v78, 0
	v_mov_b32_e32 v80, 0
	s_and_b32 vcc_lo, exec_lo, s2
	s_cbranch_vccnz .LBB45_11
; %bb.10:
	v_mad_i64_i32 v[14:15], null, v4, s21, 0
	v_mad_i64_i32 v[16:17], null, s20, v72, 0
	v_lshlrev_b64 v[18:19], 2, v[2:3]
	v_lshlrev_b64 v[14:15], 2, v[14:15]
	;; [unrolled: 1-line block ×3, first 2 shown]
	v_add_co_u32 v11, vcc_lo, s16, v14
	v_add_co_ci_u32_e64 v15, null, s17, v15, vcc_lo
	v_add_co_u32 v16, vcc_lo, s14, v16
	v_add_co_ci_u32_e64 v17, null, s15, v17, vcc_lo
	;; [unrolled: 2-line block ×4, first 2 shown]
	flat_load_dword v11, v[14:15] offset:16
	s_clause 0x1
	flat_load_dword v14, v[16:17]
	flat_load_dword v15, v[16:17] offset:256
	s_waitcnt vmcnt(2) lgkmcnt(0)
	v_mul_f32_e32 v77, s24, v11
	s_waitcnt vmcnt(1)
	v_mul_f32_e32 v80, s24, v14
	s_waitcnt vmcnt(0)
	v_mul_f32_e32 v78, s24, v15
.LBB45_11:
	v_lshlrev_b32_e32 v11, 4, v5
	v_lshl_or_b32 v79, v6, 4, v8
	v_mov_b32_e32 v70, 0
	v_cmp_neq_f32_e64 s2, s3, 0
	v_lshl_or_b32 v74, v0, 4, 0x1000
	v_lshl_add_u32 v73, v13, 2, v11
	v_lshlrev_b32_e32 v75, 4, v1
	v_add_nc_u32_e32 v76, 0x1000, v79
	v_mov_b32_e32 v71, v70
	ds_write_b32 v79, v7 offset:4096
	ds_write2st64_b32 v73, v10, v9 offset1:4
	v_mov_b32_e32 v68, v70
	v_mov_b32_e32 v69, v70
	;; [unrolled: 1-line block ×62, first 2 shown]
	s_mov_b32 s11, 0
	s_mov_b32 s10, -1
	s_waitcnt lgkmcnt(0)
	s_barrier
	buffer_gl0_inv
.LBB45_12:                              ; =>This Inner Loop Header: Depth=1
	s_lshl_b32 s11, s11, 2
	v_cndmask_b32_e64 v81, 0, 1, s10
	v_add_nc_u32_e32 v93, s11, v74
	v_add_nc_u32_e32 v101, s11, v75
	s_mov_b32 s10, 0
	s_mov_b32 s11, 2
	v_cmp_ne_u32_e32 vcc_lo, 1, v81
	ds_read2_b64 v[81:84], v93 offset1:16
	ds_read2_b64 v[85:88], v93 offset0:32 offset1:48
	ds_read2_b64 v[89:92], v93 offset0:64 offset1:80
	;; [unrolled: 1-line block ×3, first 2 shown]
	ds_read2st64_b64 v[97:100], v101 offset1:1
	ds_read2st64_b64 v[101:104], v101 offset0:2 offset1:3
	s_and_b32 vcc_lo, exec_lo, vcc_lo
	s_waitcnt lgkmcnt(5)
	v_max_f32_e32 v81, v81, v81
	v_max_f32_e32 v82, v82, v82
	v_max_f32_e32 v83, v83, v83
	v_max_f32_e32 v84, v84, v84
	s_waitcnt lgkmcnt(4)
	v_max_f32_e32 v85, v85, v85
	v_max_f32_e32 v86, v86, v86
	v_max_f32_e32 v87, v87, v87
	v_max_f32_e32 v88, v88, v88
	;; [unrolled: 5-line block ×6, first 2 shown]
	v_min_f32_e32 v105, v81, v97
	v_min_f32_e32 v106, v83, v97
	;; [unrolled: 1-line block ×64, first 2 shown]
	v_add_f32_e32 v71, v103, v71
	v_add_f32_e32 v70, v105, v70
	;; [unrolled: 1-line block ×64, first 2 shown]
	s_cbranch_vccz .LBB45_12
; %bb.13:
	s_load_dword s10, s[4:5], 0x8
	v_lshlrev_b32_e32 v81, 2, v13
	v_lshl_add_u32 v5, v5, 4, v81
	ds_write_b32 v79, v77 offset:5120
	ds_write2st64_b32 v5, v80, v78 offset0:8 offset1:12
	v_lshl_add_u32 v77, v0, 4, 0x1400
	v_lshl_add_u32 v78, v1, 4, 0x800
	s_waitcnt lgkmcnt(0)
	s_barrier
	buffer_gl0_inv
	s_cmp_lt_i32 s10, 9
	s_cbranch_scc1 .LBB45_28
; %bb.14:
	v_mad_i64_i32 v[81:82], null, v4, s21, 0
	v_lshlrev_b64 v[2:3], 2, v[2:3]
	v_or_b32_e32 v80, 0x800, v5
	v_add_nc_u32_e32 v79, 0x1400, v79
	s_add_i32 s10, s10, -8
	s_mov_b32 s11, 8
	v_lshlrev_b64 v[4:5], 2, v[81:82]
	v_add_co_u32 v81, vcc_lo, s14, v2
	v_add_co_ci_u32_e64 v82, null, s15, v3, vcc_lo
	v_mov_b32_e32 v3, 0
	v_add_co_u32 v83, vcc_lo, s16, v4
	v_add_co_ci_u32_e64 v84, null, s17, v5, vcc_lo
	s_mov_b32 s14, 0
.LBB45_15:                              ; =>This Loop Header: Depth=1
                                        ;     Child Loop BB45_20 Depth 2
                                        ;     Child Loop BB45_26 Depth 2
	s_mov_b32 s15, -1
	s_mov_b32 vcc_lo, s1
                                        ; implicit-def: $vgpr4_vgpr5
	s_cbranch_vccz .LBB45_17
; %bb.16:                               ;   in Loop: Header=BB45_15 Depth=1
	v_mov_b32_e32 v4, v3
	s_mov_b32 s15, 0
.LBB45_17:                              ;   in Loop: Header=BB45_15 Depth=1
	v_mov_b32_e32 v2, 0
	v_mov_b32_e32 v5, 0
	s_andn2_b32 vcc_lo, exec_lo, s15
	s_cbranch_vccnz .LBB45_19
; %bb.18:                               ;   in Loop: Header=BB45_15 Depth=1
	v_add_nc_u32_e32 v85, s11, v13
	v_mad_u64_u32 v[4:5], null, v85, s20, 0
	v_mov_b32_e32 v2, v5
	v_mad_u64_u32 v[85:86], null, v85, s18, v[2:3]
	v_or_b32_e32 v2, s11, v12
	v_mov_b32_e32 v5, v85
	v_lshlrev_b64 v[85:86], 2, v[2:3]
	v_lshlrev_b64 v[4:5], 2, v[4:5]
	v_add_co_u32 v85, vcc_lo, v83, v85
	v_add_co_ci_u32_e64 v86, null, v84, v86, vcc_lo
	v_add_co_u32 v4, vcc_lo, v81, v4
	v_add_co_ci_u32_e64 v5, null, v82, v5, vcc_lo
	flat_load_dword v2, v[85:86]
	s_clause 0x1
	flat_load_dword v85, v[4:5]
	flat_load_dword v5, v[4:5] offset:256
	s_waitcnt vmcnt(2) lgkmcnt(2)
	v_mul_f32_e32 v2, s24, v2
	s_waitcnt vmcnt(1) lgkmcnt(1)
	v_mul_f32_e32 v4, s24, v85
	;; [unrolled: 2-line block ×3, first 2 shown]
.LBB45_19:                              ;   in Loop: Header=BB45_15 Depth=1
	s_mov_b32 s16, 0
	s_mov_b32 s15, -1
.LBB45_20:                              ;   Parent Loop BB45_15 Depth=1
                                        ; =>  This Inner Loop Header: Depth=2
	s_lshl_b32 s16, s16, 2
	v_cndmask_b32_e64 v85, 0, 1, s15
	v_add_nc_u32_e32 v105, s16, v78
	v_add_nc_u32_e32 v101, s16, v77
	s_mov_b32 s15, 0
	s_mov_b32 s16, 2
	v_cmp_ne_u32_e32 vcc_lo, 1, v85
	ds_read2st64_b64 v[85:88], v105 offset1:1
	ds_read2_b64 v[89:92], v101 offset1:16
	ds_read2_b64 v[93:96], v101 offset0:32 offset1:48
	ds_read2_b64 v[97:100], v101 offset0:64 offset1:80
	;; [unrolled: 1-line block ×3, first 2 shown]
	ds_read2st64_b64 v[105:108], v105 offset0:2 offset1:3
	s_and_b32 vcc_lo, exec_lo, vcc_lo
	s_waitcnt lgkmcnt(5)
	v_max_f32_e32 v85, v85, v85
	s_waitcnt lgkmcnt(4)
	v_max_f32_e32 v89, v89, v89
	v_max_f32_e32 v86, v86, v86
	;; [unrolled: 1-line block ×5, first 2 shown]
	s_waitcnt lgkmcnt(3)
	v_max_f32_e32 v93, v93, v93
	v_max_f32_e32 v94, v94, v94
	v_max_f32_e32 v95, v95, v95
	v_max_f32_e32 v96, v96, v96
	s_waitcnt lgkmcnt(2)
	v_max_f32_e32 v97, v97, v97
	v_max_f32_e32 v98, v98, v98
	v_max_f32_e32 v99, v99, v99
	v_max_f32_e32 v100, v100, v100
	;; [unrolled: 5-line block ×3, first 2 shown]
	v_max_f32_e32 v87, v87, v87
	v_max_f32_e32 v88, v88, v88
	s_waitcnt lgkmcnt(0)
	v_max_f32_e32 v105, v105, v105
	v_max_f32_e32 v106, v106, v106
	;; [unrolled: 1-line block ×4, first 2 shown]
	v_min_f32_e32 v109, v89, v85
	v_min_f32_e32 v110, v90, v86
	;; [unrolled: 1-line block ×64, first 2 shown]
	v_add_f32_e32 v71, v110, v71
	v_add_f32_e32 v70, v109, v70
	v_add_f32_e32 v69, v112, v69
	v_add_f32_e32 v68, v111, v68
	v_add_f32_e32 v7, v114, v7
	v_add_f32_e32 v6, v113, v6
	v_add_f32_e32 v11, v116, v11
	v_add_f32_e32 v10, v115, v10
	v_add_f32_e32 v15, v118, v15
	v_add_f32_e32 v14, v117, v14
	v_add_f32_e32 v9, v120, v9
	v_add_f32_e32 v8, v119, v8
	v_add_f32_e32 v67, v122, v67
	v_add_f32_e32 v66, v121, v66
	v_add_f32_e32 v65, v86, v65
	v_add_f32_e32 v64, v85, v64
	v_add_f32_e32 v63, v124, v63
	v_add_f32_e32 v62, v123, v62
	v_add_f32_e32 v61, v126, v61
	v_add_f32_e32 v60, v125, v60
	v_add_f32_e32 v59, v128, v59
	v_add_f32_e32 v58, v127, v58
	v_add_f32_e32 v57, v130, v57
	v_add_f32_e32 v56, v129, v56
	v_add_f32_e32 v55, v132, v55
	v_add_f32_e32 v54, v131, v54
	v_add_f32_e32 v53, v134, v53
	v_add_f32_e32 v52, v133, v52
	v_add_f32_e32 v51, v136, v51
	v_add_f32_e32 v50, v135, v50
	v_add_f32_e32 v49, v88, v49
	v_add_f32_e32 v48, v87, v48
	v_add_f32_e32 v47, v138, v47
	v_add_f32_e32 v46, v137, v46
	v_add_f32_e32 v45, v140, v45
	v_add_f32_e32 v44, v139, v44
	v_add_f32_e32 v43, v142, v43
	v_add_f32_e32 v42, v141, v42
	v_add_f32_e32 v41, v144, v41
	v_add_f32_e32 v40, v143, v40
	v_add_f32_e32 v39, v146, v39
	v_add_f32_e32 v38, v145, v38
	v_add_f32_e32 v37, v148, v37
	v_add_f32_e32 v36, v147, v36
	v_add_f32_e32 v35, v150, v35
	v_add_f32_e32 v34, v149, v34
	v_add_f32_e32 v33, v106, v33
	v_add_f32_e32 v32, v105, v32
	v_add_f32_e32 v31, v90, v31
	v_add_f32_e32 v30, v89, v30
	v_add_f32_e32 v29, v92, v29
	v_add_f32_e32 v28, v91, v28
	v_add_f32_e32 v27, v94, v27
	v_add_f32_e32 v26, v93, v26
	v_add_f32_e32 v25, v96, v25
	v_add_f32_e32 v24, v95, v24
	v_add_f32_e32 v23, v98, v23
	v_add_f32_e32 v22, v97, v22
	v_add_f32_e32 v21, v100, v21
	v_add_f32_e32 v20, v99, v20
	v_add_f32_e32 v19, v102, v19
	v_add_f32_e32 v18, v101, v18
	v_add_f32_e32 v17, v104, v17
	v_add_f32_e32 v16, v103, v16
	s_cbranch_vccz .LBB45_20
; %bb.21:                               ;   in Loop: Header=BB45_15 Depth=1
	s_mov_b32 s15, -1
	s_mov_b32 vcc_lo, s1
	ds_write_b32 v76, v2
	ds_write2st64_b32 v73, v4, v5 offset1:4
	s_waitcnt lgkmcnt(0)
	s_barrier
	buffer_gl0_inv
                                        ; implicit-def: $vgpr4_vgpr5
	s_cbranch_vccz .LBB45_23
; %bb.22:                               ;   in Loop: Header=BB45_15 Depth=1
	v_mov_b32_e32 v4, v3
	s_mov_b32 s15, 0
.LBB45_23:                              ;   in Loop: Header=BB45_15 Depth=1
	v_mov_b32_e32 v2, 0
	v_mov_b32_e32 v5, 0
	s_andn2_b32 vcc_lo, exec_lo, s15
	s_cbranch_vccnz .LBB45_25
; %bb.24:                               ;   in Loop: Header=BB45_15 Depth=1
	v_add_nc_u32_e32 v85, s11, v72
	v_mad_u64_u32 v[4:5], null, v85, s20, 0
	v_mov_b32_e32 v2, v5
	v_mad_u64_u32 v[85:86], null, v85, s18, v[2:3]
	v_or_b32_e32 v2, s11, v12
	v_mov_b32_e32 v5, v85
	v_lshlrev_b64 v[85:86], 2, v[2:3]
	v_lshlrev_b64 v[4:5], 2, v[4:5]
	v_add_co_u32 v85, vcc_lo, v83, v85
	v_add_co_ci_u32_e64 v86, null, v84, v86, vcc_lo
	v_add_co_u32 v4, vcc_lo, v81, v4
	v_add_co_ci_u32_e64 v5, null, v82, v5, vcc_lo
	flat_load_dword v2, v[85:86] offset:16
	s_clause 0x1
	flat_load_dword v85, v[4:5]
	flat_load_dword v5, v[4:5] offset:256
	s_waitcnt vmcnt(2) lgkmcnt(2)
	v_mul_f32_e32 v2, s24, v2
	s_waitcnt vmcnt(1) lgkmcnt(1)
	v_mul_f32_e32 v4, s24, v85
	;; [unrolled: 2-line block ×3, first 2 shown]
.LBB45_25:                              ;   in Loop: Header=BB45_15 Depth=1
	s_mov_b32 s16, 0
	s_mov_b32 s15, -1
.LBB45_26:                              ;   Parent Loop BB45_15 Depth=1
                                        ; =>  This Inner Loop Header: Depth=2
	s_lshl_b32 s16, s16, 2
	v_cndmask_b32_e64 v85, 0, 1, s15
	v_add_nc_u32_e32 v105, s16, v75
	v_add_nc_u32_e32 v101, s16, v74
	s_mov_b32 s15, 0
	s_mov_b32 s16, 2
	v_cmp_ne_u32_e32 vcc_lo, 1, v85
	ds_read2st64_b64 v[85:88], v105 offset1:1
	ds_read2_b64 v[89:92], v101 offset1:16
	ds_read2_b64 v[93:96], v101 offset0:32 offset1:48
	ds_read2_b64 v[97:100], v101 offset0:64 offset1:80
	ds_read2_b64 v[101:104], v101 offset0:96 offset1:112
	ds_read2st64_b64 v[105:108], v105 offset0:2 offset1:3
	s_and_b32 vcc_lo, exec_lo, vcc_lo
	s_waitcnt lgkmcnt(5)
	v_max_f32_e32 v85, v85, v85
	s_waitcnt lgkmcnt(4)
	v_max_f32_e32 v89, v89, v89
	v_max_f32_e32 v86, v86, v86
	v_max_f32_e32 v90, v90, v90
	v_max_f32_e32 v91, v91, v91
	v_max_f32_e32 v92, v92, v92
	s_waitcnt lgkmcnt(3)
	v_max_f32_e32 v93, v93, v93
	v_max_f32_e32 v94, v94, v94
	v_max_f32_e32 v95, v95, v95
	v_max_f32_e32 v96, v96, v96
	s_waitcnt lgkmcnt(2)
	v_max_f32_e32 v97, v97, v97
	v_max_f32_e32 v98, v98, v98
	v_max_f32_e32 v99, v99, v99
	v_max_f32_e32 v100, v100, v100
	;; [unrolled: 5-line block ×3, first 2 shown]
	v_max_f32_e32 v87, v87, v87
	v_max_f32_e32 v88, v88, v88
	s_waitcnt lgkmcnt(0)
	v_max_f32_e32 v105, v105, v105
	v_max_f32_e32 v106, v106, v106
	;; [unrolled: 1-line block ×4, first 2 shown]
	v_min_f32_e32 v109, v89, v85
	v_min_f32_e32 v110, v90, v86
	;; [unrolled: 1-line block ×64, first 2 shown]
	v_add_f32_e32 v71, v110, v71
	v_add_f32_e32 v70, v109, v70
	;; [unrolled: 1-line block ×64, first 2 shown]
	s_cbranch_vccz .LBB45_26
; %bb.27:                               ;   in Loop: Header=BB45_15 Depth=1
	s_add_i32 s14, s14, 8
	s_add_i32 s11, s11, 8
	s_cmp_ge_i32 s14, s10
	ds_write_b32 v79, v2
	ds_write2st64_b32 v80, v4, v5 offset1:4
	s_waitcnt lgkmcnt(0)
	s_barrier
	buffer_gl0_inv
	s_cbranch_scc0 .LBB45_15
.LBB45_28:
	s_mov_b32 s10, 0
	s_mov_b32 s1, -1
.LBB45_29:                              ; =>This Inner Loop Header: Depth=1
	s_lshl_b32 s10, s10, 2
	v_cndmask_b32_e64 v2, 0, 1, s1
	v_add_nc_u32_e32 v12, s10, v78
	v_add_nc_u32_e32 v13, s10, v77
	s_mov_b32 s1, 0
	s_mov_b32 s10, 2
	v_cmp_ne_u32_e32 vcc_lo, 1, v2
	ds_read2st64_b64 v[2:5], v12 offset1:1
	ds_read2_b64 v[72:75], v13 offset1:16
	ds_read2_b64 v[79:82], v13 offset0:32 offset1:48
	ds_read2_b64 v[83:86], v13 offset0:64 offset1:80
	;; [unrolled: 1-line block ×3, first 2 shown]
	ds_read2st64_b64 v[91:94], v12 offset0:2 offset1:3
	s_and_b32 vcc_lo, exec_lo, vcc_lo
	s_waitcnt lgkmcnt(5)
	v_max_f32_e32 v2, v2, v2
	s_waitcnt lgkmcnt(4)
	v_max_f32_e32 v12, v72, v72
	v_max_f32_e32 v3, v3, v3
	;; [unrolled: 1-line block ×5, first 2 shown]
	s_waitcnt lgkmcnt(3)
	v_max_f32_e32 v74, v79, v79
	v_max_f32_e32 v75, v80, v80
	v_max_f32_e32 v76, v81, v81
	v_max_f32_e32 v79, v82, v82
	s_waitcnt lgkmcnt(2)
	v_max_f32_e32 v80, v83, v83
	v_max_f32_e32 v81, v84, v84
	v_max_f32_e32 v82, v85, v85
	v_max_f32_e32 v83, v86, v86
	;; [unrolled: 5-line block ×3, first 2 shown]
	v_max_f32_e32 v4, v4, v4
	v_max_f32_e32 v5, v5, v5
	s_waitcnt lgkmcnt(0)
	v_max_f32_e32 v88, v91, v91
	v_max_f32_e32 v89, v92, v92
	;; [unrolled: 1-line block ×4, first 2 shown]
	v_min_f32_e32 v92, v12, v2
	v_min_f32_e32 v93, v13, v3
	;; [unrolled: 1-line block ×64, first 2 shown]
	v_add_f32_e32 v71, v93, v71
	v_add_f32_e32 v70, v92, v70
	v_add_f32_e32 v69, v95, v69
	v_add_f32_e32 v68, v94, v68
	v_add_f32_e32 v7, v97, v7
	v_add_f32_e32 v6, v96, v6
	v_add_f32_e32 v11, v99, v11
	v_add_f32_e32 v10, v98, v10
	v_add_f32_e32 v15, v101, v15
	v_add_f32_e32 v14, v100, v14
	v_add_f32_e32 v9, v103, v9
	v_add_f32_e32 v8, v102, v8
	v_add_f32_e32 v67, v105, v67
	v_add_f32_e32 v66, v104, v66
	v_add_f32_e32 v65, v3, v65
	v_add_f32_e32 v64, v2, v64
	v_add_f32_e32 v63, v107, v63
	v_add_f32_e32 v62, v106, v62
	v_add_f32_e32 v61, v109, v61
	v_add_f32_e32 v60, v108, v60
	v_add_f32_e32 v59, v111, v59
	v_add_f32_e32 v58, v110, v58
	v_add_f32_e32 v57, v113, v57
	v_add_f32_e32 v56, v112, v56
	v_add_f32_e32 v55, v115, v55
	v_add_f32_e32 v54, v114, v54
	v_add_f32_e32 v53, v117, v53
	v_add_f32_e32 v52, v116, v52
	v_add_f32_e32 v51, v119, v51
	v_add_f32_e32 v50, v118, v50
	v_add_f32_e32 v49, v5, v49
	v_add_f32_e32 v48, v4, v48
	v_add_f32_e32 v47, v121, v47
	v_add_f32_e32 v46, v120, v46
	v_add_f32_e32 v45, v123, v45
	v_add_f32_e32 v44, v122, v44
	v_add_f32_e32 v43, v125, v43
	v_add_f32_e32 v42, v124, v42
	v_add_f32_e32 v41, v127, v41
	v_add_f32_e32 v40, v126, v40
	v_add_f32_e32 v39, v129, v39
	v_add_f32_e32 v38, v128, v38
	v_add_f32_e32 v37, v131, v37
	v_add_f32_e32 v36, v130, v36
	v_add_f32_e32 v35, v133, v35
	v_add_f32_e32 v34, v132, v34
	v_add_f32_e32 v33, v89, v33
	v_add_f32_e32 v32, v88, v32
	v_add_f32_e32 v31, v13, v31
	v_add_f32_e32 v30, v12, v30
	v_add_f32_e32 v29, v73, v29
	v_add_f32_e32 v28, v72, v28
	v_add_f32_e32 v27, v75, v27
	v_add_f32_e32 v26, v74, v26
	v_add_f32_e32 v25, v79, v25
	v_add_f32_e32 v24, v76, v24
	v_add_f32_e32 v23, v81, v23
	v_add_f32_e32 v22, v80, v22
	v_add_f32_e32 v21, v83, v21
	v_add_f32_e32 v20, v82, v20
	v_add_f32_e32 v19, v85, v19
	v_add_f32_e32 v18, v84, v18
	v_add_f32_e32 v17, v87, v17
	v_add_f32_e32 v16, v86, v16
	s_cbranch_vccz .LBB45_29
; %bb.30:
	s_load_dword s10, s[4:5], 0x58
	v_add_nc_u32_e32 v72, s13, v1
	v_add_nc_u32_e32 v12, s12, v0
	v_cndmask_b32_e64 v0, 0, 1, s2
	v_mov_b32_e32 v4, 0
	v_ashrrev_i32_e32 v13, 31, v12
	v_cmp_ne_u32_e64 s1, 1, v0
	s_waitcnt lgkmcnt(0)
	v_mad_i64_i32 v[1:2], null, v72, s10, 0
	v_lshlrev_b64 v[2:3], 2, v[1:2]
	v_lshlrev_b64 v[0:1], 2, v[12:13]
	v_add_co_u32 v73, vcc_lo, s8, v2
	v_add_co_ci_u32_e64 v74, null, s9, v3, vcc_lo
	v_mov_b32_e32 v2, 0
	s_andn2_b32 vcc_lo, exec_lo, s2
	s_cbranch_vccnz .LBB45_32
; %bb.31:
	v_add_co_u32 v2, vcc_lo, v73, v0
	v_add_co_ci_u32_e64 v3, null, v74, v1, vcc_lo
	flat_load_dword v2, v[2:3]
	s_waitcnt vmcnt(0) lgkmcnt(0)
	v_mul_f32_e32 v2, s3, v2
.LBB45_32:
	s_clause 0x1
	s_load_dword s2, s[4:5], 0x70
	s_load_dwordx2 s[4:5], s[4:5], 0x78
	v_add_f32_e32 v3, v70, v71
	v_add_nc_u32_e32 v77, 8, v12
	v_add_f32_e32 v5, v3, v2
	v_ashrrev_i32_e32 v78, 31, v77
	v_lshlrev_b64 v[2:3], 2, v[77:78]
	s_waitcnt lgkmcnt(0)
	v_mad_i64_i32 v[75:76], null, v72, s2, 0
	s_lshl_b64 s[4:5], s[4:5], 2
	s_add_u32 s4, s6, s4
	s_addc_u32 s5, s7, s5
	v_lshlrev_b64 v[70:71], 2, v[75:76]
	v_add_co_u32 v70, vcc_lo, s4, v70
	v_add_co_ci_u32_e64 v71, null, s5, v71, vcc_lo
	v_add_co_u32 v75, vcc_lo, v70, v0
	v_add_co_ci_u32_e64 v76, null, v71, v1, vcc_lo
	s_and_b32 vcc_lo, exec_lo, s1
	flat_store_dword v[75:76], v5
	s_cbranch_vccnz .LBB45_34
; %bb.33:
	v_add_co_u32 v4, vcc_lo, v73, v2
	v_add_co_ci_u32_e64 v5, null, v74, v3, vcc_lo
	flat_load_dword v4, v[4:5]
	s_waitcnt vmcnt(0) lgkmcnt(0)
	v_mul_f32_e32 v4, s3, v4
.LBB45_34:
	v_add_nc_u32_e32 v75, 16, v12
	v_add_f32_e32 v5, v68, v69
	v_add_co_u32 v77, vcc_lo, v70, v2
	v_add_co_ci_u32_e64 v78, null, v71, v3, vcc_lo
	v_ashrrev_i32_e32 v76, 31, v75
	v_add_f32_e32 v69, v5, v4
	v_mov_b32_e32 v13, 0
	v_mov_b32_e32 v68, 0
	s_and_b32 vcc_lo, exec_lo, s1
	v_lshlrev_b64 v[4:5], 2, v[75:76]
	flat_store_dword v[77:78], v69
	s_cbranch_vccnz .LBB45_36
; %bb.35:
	v_add_co_u32 v68, vcc_lo, v73, v4
	v_add_co_ci_u32_e64 v69, null, v74, v5, vcc_lo
	flat_load_dword v68, v[68:69]
	s_waitcnt vmcnt(0) lgkmcnt(0)
	v_mul_f32_e32 v68, s3, v68
.LBB45_36:
	v_add_nc_u32_e32 v75, 24, v12
	v_add_f32_e32 v6, v6, v7
	v_ashrrev_i32_e32 v76, 31, v75
	v_add_f32_e32 v77, v6, v68
	v_add_co_u32 v68, vcc_lo, v70, v4
	v_add_co_ci_u32_e64 v69, null, v71, v5, vcc_lo
	v_lshlrev_b64 v[6:7], 2, v[75:76]
	s_and_b32 vcc_lo, exec_lo, s1
	flat_store_dword v[68:69], v77
	s_cbranch_vccnz .LBB45_38
; %bb.37:
	v_add_co_u32 v68, vcc_lo, v73, v6
	v_add_co_ci_u32_e64 v69, null, v74, v7, vcc_lo
	flat_load_dword v13, v[68:69]
	s_waitcnt vmcnt(0) lgkmcnt(0)
	v_mul_f32_e32 v13, s3, v13
.LBB45_38:
	v_add_nc_u32_e32 v68, 32, v12
	v_add_f32_e32 v10, v10, v11
	v_add_co_u32 v75, vcc_lo, v70, v6
	v_add_co_ci_u32_e64 v76, null, v71, v7, vcc_lo
	v_ashrrev_i32_e32 v69, 31, v68
	v_add_f32_e32 v77, v10, v13
	v_mov_b32_e32 v13, 0
	s_and_b32 vcc_lo, exec_lo, s1
	v_lshlrev_b64 v[10:11], 2, v[68:69]
	v_mov_b32_e32 v68, 0
	flat_store_dword v[75:76], v77
	s_cbranch_vccnz .LBB45_40
; %bb.39:
	v_add_co_u32 v68, vcc_lo, v73, v10
	v_add_co_ci_u32_e64 v69, null, v74, v11, vcc_lo
	flat_load_dword v68, v[68:69]
	s_waitcnt vmcnt(0) lgkmcnt(0)
	v_mul_f32_e32 v68, s3, v68
.LBB45_40:
	v_add_nc_u32_e32 v75, 40, v12
	v_add_f32_e32 v14, v14, v15
	v_ashrrev_i32_e32 v76, 31, v75
	v_add_f32_e32 v77, v14, v68
	v_add_co_u32 v68, vcc_lo, v70, v10
	v_add_co_ci_u32_e64 v69, null, v71, v11, vcc_lo
	v_lshlrev_b64 v[14:15], 2, v[75:76]
	s_and_b32 vcc_lo, exec_lo, s1
	flat_store_dword v[68:69], v77
	s_cbranch_vccnz .LBB45_42
; %bb.41:
	v_add_co_u32 v68, vcc_lo, v73, v14
	v_add_co_ci_u32_e64 v69, null, v74, v15, vcc_lo
	flat_load_dword v13, v[68:69]
	s_waitcnt vmcnt(0) lgkmcnt(0)
	v_mul_f32_e32 v13, s3, v13
.LBB45_42:
	v_add_nc_u32_e32 v75, 48, v12
	v_add_f32_e32 v8, v8, v9
	v_add_co_u32 v77, vcc_lo, v70, v14
	v_add_co_ci_u32_e64 v78, null, v71, v15, vcc_lo
	v_ashrrev_i32_e32 v76, 31, v75
	v_add_f32_e32 v69, v8, v13
	v_mov_b32_e32 v68, 0
	v_mov_b32_e32 v13, 0
	s_and_b32 vcc_lo, exec_lo, s1
	v_lshlrev_b64 v[8:9], 2, v[75:76]
	flat_store_dword v[77:78], v69
	s_cbranch_vccnz .LBB45_44
; %bb.43:
	v_add_co_u32 v75, vcc_lo, v73, v8
	v_add_co_ci_u32_e64 v76, null, v74, v9, vcc_lo
	flat_load_dword v13, v[75:76]
	s_waitcnt vmcnt(0) lgkmcnt(0)
	v_mul_f32_e32 v13, s3, v13
.LBB45_44:
	v_add_nc_u32_e32 v75, 56, v12
	v_add_f32_e32 v12, v66, v67
	v_add_co_u32 v66, vcc_lo, v70, v8
	v_add_co_ci_u32_e64 v67, null, v71, v9, vcc_lo
	v_ashrrev_i32_e32 v76, 31, v75
	v_add_f32_e32 v69, v12, v13
	s_and_b32 vcc_lo, exec_lo, s1
	v_lshlrev_b64 v[12:13], 2, v[75:76]
	flat_store_dword v[66:67], v69
	s_cbranch_vccnz .LBB45_46
; %bb.45:
	v_add_co_u32 v66, vcc_lo, v73, v12
	v_add_co_ci_u32_e64 v67, null, v74, v13, vcc_lo
	flat_load_dword v66, v[66:67]
	s_waitcnt vmcnt(0) lgkmcnt(0)
	v_mul_f32_e32 v68, s3, v66
.LBB45_46:
	v_add_nc_u32_e32 v67, 32, v72
	v_add_f32_e32 v75, v64, v65
	v_add_co_u32 v69, vcc_lo, v70, v12
	v_add_co_ci_u32_e64 v70, null, v71, v13, vcc_lo
	v_mad_i64_i32 v[73:74], null, v67, s10, 0
	v_mov_b32_e32 v66, 0
	v_add_f32_e32 v71, v75, v68
	v_mov_b32_e32 v68, 0
	flat_store_dword v[69:70], v71
	v_lshlrev_b64 v[64:65], 2, v[73:74]
	v_add_co_u32 v64, vcc_lo, s8, v64
	v_add_co_ci_u32_e64 v65, null, s9, v65, vcc_lo
	s_and_b32 vcc_lo, exec_lo, s1
	s_cbranch_vccnz .LBB45_48
; %bb.47:
	v_add_co_u32 v68, vcc_lo, v64, v0
	v_add_co_ci_u32_e64 v69, null, v65, v1, vcc_lo
	flat_load_dword v68, v[68:69]
	s_waitcnt vmcnt(0) lgkmcnt(0)
	v_mul_f32_e32 v68, s3, v68
.LBB45_48:
	v_mad_i64_i32 v[69:70], null, v67, s2, 0
	v_add_f32_e32 v67, v62, v63
	v_lshlrev_b64 v[69:70], 2, v[69:70]
	v_add_co_u32 v62, vcc_lo, s4, v69
	v_add_co_ci_u32_e64 v63, null, s5, v70, vcc_lo
	v_add_f32_e32 v69, v67, v68
	v_add_co_u32 v67, vcc_lo, v62, v0
	v_add_co_ci_u32_e64 v68, null, v63, v1, vcc_lo
	s_and_b32 vcc_lo, exec_lo, s1
	flat_store_dword v[67:68], v69
	s_cbranch_vccnz .LBB45_50
; %bb.49:
	v_add_co_u32 v66, vcc_lo, v64, v2
	v_add_co_ci_u32_e64 v67, null, v65, v3, vcc_lo
	flat_load_dword v66, v[66:67]
	s_waitcnt vmcnt(0) lgkmcnt(0)
	v_mul_f32_e32 v66, s3, v66
.LBB45_50:
	v_add_f32_e32 v60, v60, v61
	v_add_co_u32 v67, vcc_lo, v62, v2
	v_add_co_ci_u32_e64 v68, null, v63, v3, vcc_lo
	v_add_f32_e32 v66, v60, v66
	v_mov_b32_e32 v60, 0
	v_mov_b32_e32 v61, 0
	s_and_b32 vcc_lo, exec_lo, s1
	flat_store_dword v[67:68], v66
	s_cbranch_vccnz .LBB45_52
; %bb.51:
	v_add_co_u32 v66, vcc_lo, v64, v4
	v_add_co_ci_u32_e64 v67, null, v65, v5, vcc_lo
	flat_load_dword v61, v[66:67]
	s_waitcnt vmcnt(0) lgkmcnt(0)
	v_mul_f32_e32 v61, s3, v61
.LBB45_52:
	v_add_f32_e32 v58, v58, v59
	v_add_f32_e32 v61, v58, v61
	v_add_co_u32 v58, vcc_lo, v62, v4
	v_add_co_ci_u32_e64 v59, null, v63, v5, vcc_lo
	s_and_b32 vcc_lo, exec_lo, s1
	flat_store_dword v[58:59], v61
	s_cbranch_vccnz .LBB45_54
; %bb.53:
	v_add_co_u32 v58, vcc_lo, v64, v6
	v_add_co_ci_u32_e64 v59, null, v65, v7, vcc_lo
	flat_load_dword v58, v[58:59]
	s_waitcnt vmcnt(0) lgkmcnt(0)
	v_mul_f32_e32 v60, s3, v58
.LBB45_54:
	v_add_f32_e32 v56, v56, v57
	v_add_co_u32 v58, vcc_lo, v62, v6
	v_add_co_ci_u32_e64 v59, null, v63, v7, vcc_lo
	v_add_f32_e32 v60, v56, v60
	v_mov_b32_e32 v56, 0
	v_mov_b32_e32 v57, 0
	s_and_b32 vcc_lo, exec_lo, s1
	flat_store_dword v[58:59], v60
	s_cbranch_vccnz .LBB45_56
; %bb.55:
	v_add_co_u32 v57, vcc_lo, v64, v10
	v_add_co_ci_u32_e64 v58, null, v65, v11, vcc_lo
	flat_load_dword v57, v[57:58]
	s_waitcnt vmcnt(0) lgkmcnt(0)
	v_mul_f32_e32 v57, s3, v57
.LBB45_56:
	v_add_f32_e32 v54, v54, v55
	;; [unrolled: 30-line block ×3, first 2 shown]
	v_add_f32_e32 v53, v50, v53
	v_add_co_u32 v50, vcc_lo, v62, v8
	v_add_co_ci_u32_e64 v51, null, v63, v9, vcc_lo
	s_and_b32 vcc_lo, exec_lo, s1
	flat_store_dword v[50:51], v53
	s_cbranch_vccnz .LBB45_62
; %bb.61:
	v_add_co_u32 v50, vcc_lo, v64, v12
	v_add_co_ci_u32_e64 v51, null, v65, v13, vcc_lo
	flat_load_dword v50, v[50:51]
	s_waitcnt vmcnt(0) lgkmcnt(0)
	v_mul_f32_e32 v52, s3, v50
.LBB45_62:
	v_add_nc_u32_e32 v51, 64, v72
	v_add_f32_e32 v55, v48, v49
	v_mov_b32_e32 v50, 0
	v_mad_i64_i32 v[53:54], null, v51, s10, 0
	v_add_f32_e32 v55, v55, v52
	v_mov_b32_e32 v52, 0
	v_lshlrev_b64 v[48:49], 2, v[53:54]
	v_add_co_u32 v53, vcc_lo, v62, v12
	v_add_co_ci_u32_e64 v54, null, v63, v13, vcc_lo
	v_add_co_u32 v48, vcc_lo, s8, v48
	v_add_co_ci_u32_e64 v49, null, s9, v49, vcc_lo
	s_and_b32 vcc_lo, exec_lo, s1
	flat_store_dword v[53:54], v55
	s_cbranch_vccnz .LBB45_64
; %bb.63:
	v_add_co_u32 v52, vcc_lo, v48, v0
	v_add_co_ci_u32_e64 v53, null, v49, v1, vcc_lo
	flat_load_dword v52, v[52:53]
	s_waitcnt vmcnt(0) lgkmcnt(0)
	v_mul_f32_e32 v52, s3, v52
.LBB45_64:
	v_mad_i64_i32 v[53:54], null, v51, s2, 0
	v_add_f32_e32 v51, v46, v47
	v_lshlrev_b64 v[53:54], 2, v[53:54]
	v_add_co_u32 v46, vcc_lo, s4, v53
	v_add_co_ci_u32_e64 v47, null, s5, v54, vcc_lo
	v_add_f32_e32 v53, v51, v52
	v_add_co_u32 v51, vcc_lo, v46, v0
	v_add_co_ci_u32_e64 v52, null, v47, v1, vcc_lo
	s_and_b32 vcc_lo, exec_lo, s1
	flat_store_dword v[51:52], v53
	s_cbranch_vccnz .LBB45_66
; %bb.65:
	v_add_co_u32 v50, vcc_lo, v48, v2
	v_add_co_ci_u32_e64 v51, null, v49, v3, vcc_lo
	flat_load_dword v50, v[50:51]
	s_waitcnt vmcnt(0) lgkmcnt(0)
	v_mul_f32_e32 v50, s3, v50
.LBB45_66:
	v_add_f32_e32 v44, v44, v45
	v_add_co_u32 v51, vcc_lo, v46, v2
	v_add_co_ci_u32_e64 v52, null, v47, v3, vcc_lo
	v_add_f32_e32 v50, v44, v50
	v_mov_b32_e32 v44, 0
	v_mov_b32_e32 v45, 0
	s_and_b32 vcc_lo, exec_lo, s1
	flat_store_dword v[51:52], v50
	s_cbranch_vccnz .LBB45_68
; %bb.67:
	v_add_co_u32 v50, vcc_lo, v48, v4
	v_add_co_ci_u32_e64 v51, null, v49, v5, vcc_lo
	flat_load_dword v45, v[50:51]
	s_waitcnt vmcnt(0) lgkmcnt(0)
	v_mul_f32_e32 v45, s3, v45
.LBB45_68:
	v_add_f32_e32 v42, v42, v43
	v_add_f32_e32 v45, v42, v45
	v_add_co_u32 v42, vcc_lo, v46, v4
	v_add_co_ci_u32_e64 v43, null, v47, v5, vcc_lo
	s_and_b32 vcc_lo, exec_lo, s1
	flat_store_dword v[42:43], v45
	s_cbranch_vccnz .LBB45_70
; %bb.69:
	v_add_co_u32 v42, vcc_lo, v48, v6
	v_add_co_ci_u32_e64 v43, null, v49, v7, vcc_lo
	flat_load_dword v42, v[42:43]
	s_waitcnt vmcnt(0) lgkmcnt(0)
	v_mul_f32_e32 v44, s3, v42
.LBB45_70:
	v_add_f32_e32 v40, v40, v41
	v_add_co_u32 v42, vcc_lo, v46, v6
	v_add_co_ci_u32_e64 v43, null, v47, v7, vcc_lo
	v_add_f32_e32 v44, v40, v44
	v_mov_b32_e32 v40, 0
	v_mov_b32_e32 v41, 0
	s_and_b32 vcc_lo, exec_lo, s1
	flat_store_dword v[42:43], v44
	s_cbranch_vccnz .LBB45_72
; %bb.71:
	v_add_co_u32 v41, vcc_lo, v48, v10
	v_add_co_ci_u32_e64 v42, null, v49, v11, vcc_lo
	flat_load_dword v41, v[41:42]
	s_waitcnt vmcnt(0) lgkmcnt(0)
	v_mul_f32_e32 v41, s3, v41
.LBB45_72:
	v_add_f32_e32 v38, v38, v39
	;; [unrolled: 30-line block ×3, first 2 shown]
	v_add_f32_e32 v37, v34, v37
	v_add_co_u32 v34, vcc_lo, v46, v8
	v_add_co_ci_u32_e64 v35, null, v47, v9, vcc_lo
	s_and_b32 vcc_lo, exec_lo, s1
	flat_store_dword v[34:35], v37
	s_cbranch_vccnz .LBB45_78
; %bb.77:
	v_add_co_u32 v34, vcc_lo, v48, v12
	v_add_co_ci_u32_e64 v35, null, v49, v13, vcc_lo
	flat_load_dword v34, v[34:35]
	s_waitcnt vmcnt(0) lgkmcnt(0)
	v_mul_f32_e32 v36, s3, v34
.LBB45_78:
	v_add_nc_u32_e32 v35, 0x60, v72
	v_add_f32_e32 v39, v32, v33
	v_mov_b32_e32 v34, 0
	v_mad_i64_i32 v[37:38], null, v35, s10, 0
	v_add_f32_e32 v39, v39, v36
	v_mov_b32_e32 v36, 0
	v_lshlrev_b64 v[32:33], 2, v[37:38]
	v_add_co_u32 v37, vcc_lo, v46, v12
	v_add_co_ci_u32_e64 v38, null, v47, v13, vcc_lo
	v_add_co_u32 v32, vcc_lo, s8, v32
	v_add_co_ci_u32_e64 v33, null, s9, v33, vcc_lo
	s_and_b32 vcc_lo, exec_lo, s1
	flat_store_dword v[37:38], v39
	s_cbranch_vccnz .LBB45_80
; %bb.79:
	v_add_co_u32 v36, vcc_lo, v32, v0
	v_add_co_ci_u32_e64 v37, null, v33, v1, vcc_lo
	flat_load_dword v36, v[36:37]
	s_waitcnt vmcnt(0) lgkmcnt(0)
	v_mul_f32_e32 v36, s3, v36
.LBB45_80:
	v_mad_i64_i32 v[37:38], null, v35, s2, 0
	v_add_f32_e32 v35, v30, v31
	v_add_f32_e32 v35, v35, v36
	v_lshlrev_b64 v[37:38], 2, v[37:38]
	v_add_co_u32 v30, vcc_lo, s4, v37
	v_add_co_ci_u32_e64 v31, null, s5, v38, vcc_lo
	v_add_co_u32 v0, vcc_lo, v30, v0
	v_add_co_ci_u32_e64 v1, null, v31, v1, vcc_lo
	s_and_b32 vcc_lo, exec_lo, s1
	flat_store_dword v[0:1], v35
	s_cbranch_vccnz .LBB45_82
; %bb.81:
	v_add_co_u32 v0, vcc_lo, v32, v2
	v_add_co_ci_u32_e64 v1, null, v33, v3, vcc_lo
	flat_load_dword v0, v[0:1]
	s_waitcnt vmcnt(0) lgkmcnt(0)
	v_mul_f32_e32 v34, s3, v0
.LBB45_82:
	v_add_f32_e32 v0, v28, v29
	v_add_co_u32 v2, vcc_lo, v30, v2
	v_add_co_ci_u32_e64 v3, null, v31, v3, vcc_lo
	v_add_f32_e32 v28, v0, v34
	v_mov_b32_e32 v0, 0
	v_mov_b32_e32 v1, 0
	s_and_b32 vcc_lo, exec_lo, s1
	flat_store_dword v[2:3], v28
	s_cbranch_vccnz .LBB45_84
; %bb.83:
	v_add_co_u32 v1, vcc_lo, v32, v4
	v_add_co_ci_u32_e64 v2, null, v33, v5, vcc_lo
	flat_load_dword v1, v[1:2]
	s_waitcnt vmcnt(0) lgkmcnt(0)
	v_mul_f32_e32 v1, s3, v1
.LBB45_84:
	v_add_f32_e32 v2, v26, v27
	v_add_f32_e32 v3, v2, v1
	v_add_co_u32 v1, vcc_lo, v30, v4
	v_add_co_ci_u32_e64 v2, null, v31, v5, vcc_lo
	s_and_b32 vcc_lo, exec_lo, s1
	flat_store_dword v[1:2], v3
	s_cbranch_vccnz .LBB45_86
; %bb.85:
	v_add_co_u32 v0, vcc_lo, v32, v6
	v_add_co_ci_u32_e64 v1, null, v33, v7, vcc_lo
	flat_load_dword v0, v[0:1]
	s_waitcnt vmcnt(0) lgkmcnt(0)
	v_mul_f32_e32 v0, s3, v0
.LBB45_86:
	v_add_f32_e32 v1, v24, v25
	v_add_co_u32 v2, vcc_lo, v30, v6
	v_add_co_ci_u32_e64 v3, null, v31, v7, vcc_lo
	v_add_f32_e32 v4, v1, v0
	v_mov_b32_e32 v0, 0
	v_mov_b32_e32 v1, 0
	s_and_b32 vcc_lo, exec_lo, s1
	flat_store_dword v[2:3], v4
	s_cbranch_vccnz .LBB45_88
; %bb.87:
	v_add_co_u32 v1, vcc_lo, v32, v10
	v_add_co_ci_u32_e64 v2, null, v33, v11, vcc_lo
	flat_load_dword v1, v[1:2]
	s_waitcnt vmcnt(0) lgkmcnt(0)
	v_mul_f32_e32 v1, s3, v1
.LBB45_88:
	v_add_f32_e32 v2, v22, v23
	v_add_f32_e32 v3, v2, v1
	v_add_co_u32 v1, vcc_lo, v30, v10
	v_add_co_ci_u32_e64 v2, null, v31, v11, vcc_lo
	s_and_b32 vcc_lo, exec_lo, s1
	flat_store_dword v[1:2], v3
	s_cbranch_vccnz .LBB45_90
; %bb.89:
	v_add_co_u32 v0, vcc_lo, v32, v14
	v_add_co_ci_u32_e64 v1, null, v33, v15, vcc_lo
	flat_load_dword v0, v[0:1]
	s_waitcnt vmcnt(0) lgkmcnt(0)
	v_mul_f32_e32 v0, s3, v0
.LBB45_90:
	v_add_f32_e32 v3, v20, v21
	v_add_co_u32 v1, vcc_lo, v30, v14
	v_add_co_ci_u32_e64 v2, null, v31, v15, vcc_lo
	v_add_f32_e32 v3, v3, v0
	v_add_f32_e32 v0, v18, v19
	s_mov_b32 s1, -1
	s_mov_b32 vcc_lo, s0
	flat_store_dword v[1:2], v3
	s_cbranch_vccz .LBB45_92
; %bb.91:
	v_add_co_u32 v1, vcc_lo, v30, v8
	v_add_f32_e32 v3, 0, v0
	v_add_co_ci_u32_e64 v2, null, v31, v9, vcc_lo
	s_mov_b32 s1, 0
	flat_store_dword v[1:2], v3
.LBB45_92:
	v_mov_b32_e32 v1, 0
	s_andn2_b32 vcc_lo, exec_lo, s1
	s_cbranch_vccnz .LBB45_94
; %bb.93:
	v_add_co_u32 v1, vcc_lo, v32, v8
	v_add_co_ci_u32_e64 v2, null, v33, v9, vcc_lo
	flat_load_dword v3, v[1:2]
	v_add_co_u32 v1, vcc_lo, v30, v8
	v_add_co_ci_u32_e64 v2, null, v31, v9, vcc_lo
	s_waitcnt vmcnt(0) lgkmcnt(0)
	v_fmac_f32_e32 v0, s3, v3
	v_add_co_u32 v3, vcc_lo, v32, v12
	v_add_co_ci_u32_e64 v4, null, v33, v13, vcc_lo
	flat_store_dword v[1:2], v0
	flat_load_dword v0, v[3:4]
	s_waitcnt vmcnt(0) lgkmcnt(0)
	v_mul_f32_e32 v1, s3, v0
.LBB45_94:
	v_add_f32_e32 v0, v16, v17
	v_add_f32_e32 v2, v0, v1
	v_add_co_u32 v0, vcc_lo, v30, v12
	v_add_co_ci_u32_e64 v1, null, v31, v13, vcc_lo
	flat_store_dword v[0:1], v2
	s_endpgm
	.section	.rodata,"a",@progbits
	.p2align	6, 0x0
	.amdhsa_kernel _ZN12_GLOBAL__N_120geam_min_plus_kernelIf15HIP_vector_typeIfLj2EES2_Li8ELi32ELi64ELi128ELi4ELi4ELi64ELi64ELi4ELc84ELc84ELb0ELb0ELb0EPKfKS4_KPfEEviiiT16_PT17_ilSA_ilS8_SA_ilPT18_ili26rocblas_geam_ex_operation_
		.amdhsa_group_segment_fixed_size 6144
		.amdhsa_private_segment_fixed_size 0
		.amdhsa_kernarg_size 136
		.amdhsa_user_sgpr_count 6
		.amdhsa_user_sgpr_private_segment_buffer 1
		.amdhsa_user_sgpr_dispatch_ptr 0
		.amdhsa_user_sgpr_queue_ptr 0
		.amdhsa_user_sgpr_kernarg_segment_ptr 1
		.amdhsa_user_sgpr_dispatch_id 0
		.amdhsa_user_sgpr_flat_scratch_init 0
		.amdhsa_user_sgpr_private_segment_size 0
		.amdhsa_wavefront_size32 1
		.amdhsa_uses_dynamic_stack 0
		.amdhsa_system_sgpr_private_segment_wavefront_offset 0
		.amdhsa_system_sgpr_workgroup_id_x 1
		.amdhsa_system_sgpr_workgroup_id_y 0
		.amdhsa_system_sgpr_workgroup_id_z 1
		.amdhsa_system_sgpr_workgroup_info 0
		.amdhsa_system_vgpr_workitem_id 1
		.amdhsa_next_free_vgpr 151
		.amdhsa_next_free_sgpr 25
		.amdhsa_reserve_vcc 1
		.amdhsa_reserve_flat_scratch 1
		.amdhsa_float_round_mode_32 0
		.amdhsa_float_round_mode_16_64 0
		.amdhsa_float_denorm_mode_32 3
		.amdhsa_float_denorm_mode_16_64 3
		.amdhsa_dx10_clamp 1
		.amdhsa_ieee_mode 1
		.amdhsa_fp16_overflow 0
		.amdhsa_workgroup_processor_mode 1
		.amdhsa_memory_ordered 1
		.amdhsa_forward_progress 1
		.amdhsa_shared_vgpr_count 0
		.amdhsa_exception_fp_ieee_invalid_op 0
		.amdhsa_exception_fp_denorm_src 0
		.amdhsa_exception_fp_ieee_div_zero 0
		.amdhsa_exception_fp_ieee_overflow 0
		.amdhsa_exception_fp_ieee_underflow 0
		.amdhsa_exception_fp_ieee_inexact 0
		.amdhsa_exception_int_div_zero 0
	.end_amdhsa_kernel
	.section	.text._ZN12_GLOBAL__N_120geam_min_plus_kernelIf15HIP_vector_typeIfLj2EES2_Li8ELi32ELi64ELi128ELi4ELi4ELi64ELi64ELi4ELc84ELc84ELb0ELb0ELb0EPKfKS4_KPfEEviiiT16_PT17_ilSA_ilS8_SA_ilPT18_ili26rocblas_geam_ex_operation_,"axG",@progbits,_ZN12_GLOBAL__N_120geam_min_plus_kernelIf15HIP_vector_typeIfLj2EES2_Li8ELi32ELi64ELi128ELi4ELi4ELi64ELi64ELi4ELc84ELc84ELb0ELb0ELb0EPKfKS4_KPfEEviiiT16_PT17_ilSA_ilS8_SA_ilPT18_ili26rocblas_geam_ex_operation_,comdat
.Lfunc_end45:
	.size	_ZN12_GLOBAL__N_120geam_min_plus_kernelIf15HIP_vector_typeIfLj2EES2_Li8ELi32ELi64ELi128ELi4ELi4ELi64ELi64ELi4ELc84ELc84ELb0ELb0ELb0EPKfKS4_KPfEEviiiT16_PT17_ilSA_ilS8_SA_ilPT18_ili26rocblas_geam_ex_operation_, .Lfunc_end45-_ZN12_GLOBAL__N_120geam_min_plus_kernelIf15HIP_vector_typeIfLj2EES2_Li8ELi32ELi64ELi128ELi4ELi4ELi64ELi64ELi4ELc84ELc84ELb0ELb0ELb0EPKfKS4_KPfEEviiiT16_PT17_ilSA_ilS8_SA_ilPT18_ili26rocblas_geam_ex_operation_
                                        ; -- End function
	.set _ZN12_GLOBAL__N_120geam_min_plus_kernelIf15HIP_vector_typeIfLj2EES2_Li8ELi32ELi64ELi128ELi4ELi4ELi64ELi64ELi4ELc84ELc84ELb0ELb0ELb0EPKfKS4_KPfEEviiiT16_PT17_ilSA_ilS8_SA_ilPT18_ili26rocblas_geam_ex_operation_.num_vgpr, 151
	.set _ZN12_GLOBAL__N_120geam_min_plus_kernelIf15HIP_vector_typeIfLj2EES2_Li8ELi32ELi64ELi128ELi4ELi4ELi64ELi64ELi4ELc84ELc84ELb0ELb0ELb0EPKfKS4_KPfEEviiiT16_PT17_ilSA_ilS8_SA_ilPT18_ili26rocblas_geam_ex_operation_.num_agpr, 0
	.set _ZN12_GLOBAL__N_120geam_min_plus_kernelIf15HIP_vector_typeIfLj2EES2_Li8ELi32ELi64ELi128ELi4ELi4ELi64ELi64ELi4ELc84ELc84ELb0ELb0ELb0EPKfKS4_KPfEEviiiT16_PT17_ilSA_ilS8_SA_ilPT18_ili26rocblas_geam_ex_operation_.numbered_sgpr, 25
	.set _ZN12_GLOBAL__N_120geam_min_plus_kernelIf15HIP_vector_typeIfLj2EES2_Li8ELi32ELi64ELi128ELi4ELi4ELi64ELi64ELi4ELc84ELc84ELb0ELb0ELb0EPKfKS4_KPfEEviiiT16_PT17_ilSA_ilS8_SA_ilPT18_ili26rocblas_geam_ex_operation_.num_named_barrier, 0
	.set _ZN12_GLOBAL__N_120geam_min_plus_kernelIf15HIP_vector_typeIfLj2EES2_Li8ELi32ELi64ELi128ELi4ELi4ELi64ELi64ELi4ELc84ELc84ELb0ELb0ELb0EPKfKS4_KPfEEviiiT16_PT17_ilSA_ilS8_SA_ilPT18_ili26rocblas_geam_ex_operation_.private_seg_size, 0
	.set _ZN12_GLOBAL__N_120geam_min_plus_kernelIf15HIP_vector_typeIfLj2EES2_Li8ELi32ELi64ELi128ELi4ELi4ELi64ELi64ELi4ELc84ELc84ELb0ELb0ELb0EPKfKS4_KPfEEviiiT16_PT17_ilSA_ilS8_SA_ilPT18_ili26rocblas_geam_ex_operation_.uses_vcc, 1
	.set _ZN12_GLOBAL__N_120geam_min_plus_kernelIf15HIP_vector_typeIfLj2EES2_Li8ELi32ELi64ELi128ELi4ELi4ELi64ELi64ELi4ELc84ELc84ELb0ELb0ELb0EPKfKS4_KPfEEviiiT16_PT17_ilSA_ilS8_SA_ilPT18_ili26rocblas_geam_ex_operation_.uses_flat_scratch, 1
	.set _ZN12_GLOBAL__N_120geam_min_plus_kernelIf15HIP_vector_typeIfLj2EES2_Li8ELi32ELi64ELi128ELi4ELi4ELi64ELi64ELi4ELc84ELc84ELb0ELb0ELb0EPKfKS4_KPfEEviiiT16_PT17_ilSA_ilS8_SA_ilPT18_ili26rocblas_geam_ex_operation_.has_dyn_sized_stack, 0
	.set _ZN12_GLOBAL__N_120geam_min_plus_kernelIf15HIP_vector_typeIfLj2EES2_Li8ELi32ELi64ELi128ELi4ELi4ELi64ELi64ELi4ELc84ELc84ELb0ELb0ELb0EPKfKS4_KPfEEviiiT16_PT17_ilSA_ilS8_SA_ilPT18_ili26rocblas_geam_ex_operation_.has_recursion, 0
	.set _ZN12_GLOBAL__N_120geam_min_plus_kernelIf15HIP_vector_typeIfLj2EES2_Li8ELi32ELi64ELi128ELi4ELi4ELi64ELi64ELi4ELc84ELc84ELb0ELb0ELb0EPKfKS4_KPfEEviiiT16_PT17_ilSA_ilS8_SA_ilPT18_ili26rocblas_geam_ex_operation_.has_indirect_call, 0
	.section	.AMDGPU.csdata,"",@progbits
; Kernel info:
; codeLenInByte = 7648
; TotalNumSgprs: 27
; NumVgprs: 151
; ScratchSize: 0
; MemoryBound: 0
; FloatMode: 240
; IeeeMode: 1
; LDSByteSize: 6144 bytes/workgroup (compile time only)
; SGPRBlocks: 0
; VGPRBlocks: 18
; NumSGPRsForWavesPerEU: 27
; NumVGPRsForWavesPerEU: 151
; Occupancy: 6
; WaveLimiterHint : 1
; COMPUTE_PGM_RSRC2:SCRATCH_EN: 0
; COMPUTE_PGM_RSRC2:USER_SGPR: 6
; COMPUTE_PGM_RSRC2:TRAP_HANDLER: 0
; COMPUTE_PGM_RSRC2:TGID_X_EN: 1
; COMPUTE_PGM_RSRC2:TGID_Y_EN: 0
; COMPUTE_PGM_RSRC2:TGID_Z_EN: 1
; COMPUTE_PGM_RSRC2:TIDIG_COMP_CNT: 1
	.section	.text._ZN12_GLOBAL__N_120geam_min_plus_kernelIf15HIP_vector_typeIfLj2EES2_Li8ELi32ELi64ELi128ELi4ELi4ELi64ELi64ELi4ELc84ELc84ELb1ELb0ELb0EfKPKfKPfEEviiiT16_PT17_ilSA_ilS8_SA_ilPT18_ili26rocblas_geam_ex_operation_,"axG",@progbits,_ZN12_GLOBAL__N_120geam_min_plus_kernelIf15HIP_vector_typeIfLj2EES2_Li8ELi32ELi64ELi128ELi4ELi4ELi64ELi64ELi4ELc84ELc84ELb1ELb0ELb0EfKPKfKPfEEviiiT16_PT17_ilSA_ilS8_SA_ilPT18_ili26rocblas_geam_ex_operation_,comdat
	.globl	_ZN12_GLOBAL__N_120geam_min_plus_kernelIf15HIP_vector_typeIfLj2EES2_Li8ELi32ELi64ELi128ELi4ELi4ELi64ELi64ELi4ELc84ELc84ELb1ELb0ELb0EfKPKfKPfEEviiiT16_PT17_ilSA_ilS8_SA_ilPT18_ili26rocblas_geam_ex_operation_ ; -- Begin function _ZN12_GLOBAL__N_120geam_min_plus_kernelIf15HIP_vector_typeIfLj2EES2_Li8ELi32ELi64ELi128ELi4ELi4ELi64ELi64ELi4ELc84ELc84ELb1ELb0ELb0EfKPKfKPfEEviiiT16_PT17_ilSA_ilS8_SA_ilPT18_ili26rocblas_geam_ex_operation_
	.p2align	8
	.type	_ZN12_GLOBAL__N_120geam_min_plus_kernelIf15HIP_vector_typeIfLj2EES2_Li8ELi32ELi64ELi128ELi4ELi4ELi64ELi64ELi4ELc84ELc84ELb1ELb0ELb0EfKPKfKPfEEviiiT16_PT17_ilSA_ilS8_SA_ilPT18_ili26rocblas_geam_ex_operation_,@function
_ZN12_GLOBAL__N_120geam_min_plus_kernelIf15HIP_vector_typeIfLj2EES2_Li8ELi32ELi64ELi128ELi4ELi4ELi64ELi64ELi4ELc84ELc84ELb1ELb0ELb0EfKPKfKPfEEviiiT16_PT17_ilSA_ilS8_SA_ilPT18_ili26rocblas_geam_ex_operation_: ; @_ZN12_GLOBAL__N_120geam_min_plus_kernelIf15HIP_vector_typeIfLj2EES2_Li8ELi32ELi64ELi128ELi4ELi4ELi64ELi64ELi4ELc84ELc84ELb1ELb0ELb0EfKPKfKPfEEviiiT16_PT17_ilSA_ilS8_SA_ilPT18_ili26rocblas_geam_ex_operation_
; %bb.0:
	s_clause 0x1
	s_load_dwordx2 s[14:15], s[4:5], 0x8
	s_load_dwordx4 s[0:3], s[4:5], 0x20
	s_mov_b32 s8, s7
	s_mov_b32 s9, 0
	s_waitcnt lgkmcnt(0)
	v_cmp_eq_f32_e64 s7, s15, 0
	s_and_b32 vcc_lo, exec_lo, s7
	s_cbranch_vccnz .LBB46_3
; %bb.1:
	s_load_dwordx2 s[10:11], s[4:5], 0x10
	s_lshl_b64 s[12:13], s[8:9], 3
	s_waitcnt lgkmcnt(0)
	s_add_u32 s10, s10, s12
	s_addc_u32 s11, s11, s13
	s_lshl_b64 s[0:1], s[0:1], 2
	s_load_dwordx2 s[10:11], s[10:11], 0x0
	s_waitcnt lgkmcnt(0)
	s_add_u32 s18, s10, s0
	s_addc_u32 s19, s11, s1
	s_andn2_b32 vcc_lo, exec_lo, s7
	s_cbranch_vccnz .LBB46_4
.LBB46_2:
	s_mov_b32 s21, 0
	s_mov_b32 s20, s8
	;; [unrolled: 1-line block ×3, first 2 shown]
	s_mov_b64 s[12:13], 0
	s_andn2_b32 vcc_lo, exec_lo, s0
	s_mov_b64 s[16:17], 0
	s_cbranch_vccz .LBB46_5
	s_branch .LBB46_6
.LBB46_3:
	s_mov_b64 s[18:19], 0
	s_andn2_b32 vcc_lo, exec_lo, s7
	s_cbranch_vccz .LBB46_2
.LBB46_4:
	s_mov_b64 s[20:21], s[8:9]
	s_mov_b64 s[12:13], 0
	;; [unrolled: 1-line block ×3, first 2 shown]
.LBB46_5:
	s_lshl_b64 s[0:1], s[8:9], 3
	s_load_dwordx2 s[8:9], s[4:5], 0x38
	s_add_u32 s0, s2, s0
	s_addc_u32 s1, s3, s1
	s_load_dwordx2 s[0:1], s[0:1], 0x0
	s_waitcnt lgkmcnt(0)
	s_lshl_b64 s[2:3], s[8:9], 2
	s_add_u32 s16, s0, s2
	s_addc_u32 s17, s1, s3
.LBB46_6:
	s_clause 0x1
	s_load_dword s7, s[4:5], 0x40
	s_load_dwordx4 s[8:11], s[4:5], 0x58
	s_mov_b32 s22, 0
	s_waitcnt lgkmcnt(0)
	v_cmp_eq_f32_e64 s0, s7, 0
	s_and_b32 s0, exec_lo, s0
	s_mov_b32 vcc_lo, s0
	s_cbranch_vccnz .LBB46_8
; %bb.7:
	s_load_dwordx2 s[2:3], s[4:5], 0x48
	s_lshl_b64 s[12:13], s[20:21], 3
	s_waitcnt lgkmcnt(0)
	s_add_u32 s2, s2, s12
	s_addc_u32 s3, s3, s13
	s_lshl_b64 s[8:9], s[8:9], 2
	s_load_dwordx2 s[2:3], s[2:3], 0x0
	s_waitcnt lgkmcnt(0)
	s_add_u32 s12, s2, s8
	s_addc_u32 s13, s3, s9
.LBB46_8:
	s_clause 0x2
	s_load_dword s9, s[4:5], 0x30
	s_load_dword s1, s[4:5], 0x0
	;; [unrolled: 1-line block ×3, first 2 shown]
	s_lshl_b64 s[2:3], s[20:21], 3
	v_lshl_add_u32 v4, v1, 3, v0
	v_and_b32_e32 v12, 3, v0
	v_mov_b32_e32 v70, 0
	v_lshl_or_b32 v75, v0, 4, 0x1000
	v_lshlrev_b32_e32 v76, 4, v1
	v_lshrrev_b32_e32 v13, 6, v4
	v_lshrrev_b32_e32 v16, 2, v4
	v_and_b32_e32 v4, 63, v4
	v_lshlrev_b32_e32 v17, 2, v12
	v_mov_b32_e32 v71, v70
	v_add_nc_u32_e32 v72, 4, v13
	v_mov_b32_e32 v68, v70
	v_lshlrev_b32_e32 v19, 4, v4
	v_lshl_or_b32 v82, v16, 4, v17
	v_mov_b32_e32 v69, v70
	v_mov_b32_e32 v66, v70
	s_waitcnt lgkmcnt(0)
	s_ashr_i32 s15, s9, 31
	s_add_u32 s2, s10, s2
	s_addc_u32 s3, s11, s3
	s_add_i32 s1, s1, -1
	v_mad_i64_i32 v[5:6], null, s9, v72, 0
	s_ashr_i32 s10, s1, 31
	v_mov_b32_e32 v67, v70
	s_lshr_b32 s10, s10, 26
	v_mov_b32_e32 v64, v70
	s_add_i32 s1, s1, s10
	v_mov_b32_e32 v65, v70
	s_ashr_i32 s1, s1, 6
	v_lshlrev_b64 v[5:6], 2, v[5:6]
	s_add_i32 s10, s1, 1
	s_not_b32 s1, s1
	v_cvt_f32_u32_e32 v2, s10
	v_mov_b32_e32 v62, v70
	v_mov_b32_e32 v63, v70
	;; [unrolled: 1-line block ×4, first 2 shown]
	v_rcp_iflag_f32_e32 v2, v2
	v_mov_b32_e32 v58, v70
	v_mov_b32_e32 v59, v70
	;; [unrolled: 1-line block ×9, first 2 shown]
	v_mul_f32_e32 v2, 0x4f7ffffe, v2
	v_mov_b32_e32 v51, v70
	v_mov_b32_e32 v48, v70
	;; [unrolled: 1-line block ×4, first 2 shown]
	v_cvt_u32_f32_e32 v2, v2
	v_mov_b32_e32 v47, v70
	v_mov_b32_e32 v44, v70
	v_mov_b32_e32 v45, v70
	v_mov_b32_e32 v42, v70
	v_readfirstlane_b32 s11, v2
	v_mad_i64_i32 v[2:3], null, s9, v13, 0
	v_mov_b32_e32 v43, v70
	v_mov_b32_e32 v40, v70
	s_mul_i32 s1, s1, s11
	v_mov_b32_e32 v41, v70
	s_mul_hi_u32 s1, s11, s1
	v_mov_b32_e32 v38, v70
	s_add_i32 s11, s11, s1
	v_lshlrev_b64 v[2:3], 2, v[2:3]
	s_mul_hi_u32 s1, s6, s11
	v_mov_b32_e32 v39, v70
	s_mul_i32 s11, s1, s10
	s_add_i32 s20, s1, 1
	s_sub_i32 s11, s6, s11
	v_add_co_u32 v11, vcc_lo, s16, v2
	s_sub_i32 s21, s11, s10
	s_cmp_ge_u32 s11, s10
	v_add_co_ci_u32_e64 v14, null, s17, v3, vcc_lo
	s_cselect_b32 s1, s20, s1
	s_cselect_b32 s11, s21, s11
	s_add_i32 s20, s1, 1
	s_cmp_ge_u32 s11, s10
	v_add_co_u32 v15, vcc_lo, s16, v5
	s_cselect_b32 s11, s20, s1
	v_add_co_ci_u32_e64 v18, null, s17, v6, vcc_lo
	s_mul_i32 s1, s11, s10
	v_mov_b32_e32 v36, v70
	s_sub_i32 s1, s6, s1
	s_lshl_b32 s6, s11, 7
	s_lshl_b32 s1, s1, 6
	v_or_b32_e32 v9, s6, v4
	v_add_nc_u32_e32 v7, s1, v16
	v_mov_b32_e32 v37, v70
	v_mov_b32_e32 v34, v70
	;; [unrolled: 1-line block ×3, first 2 shown]
	v_ashrrev_i32_e32 v10, 31, v9
	v_mad_i64_i32 v[7:8], null, v7, s8, 0
	v_cmp_neq_f32_e64 s8, s7, 0
	v_mov_b32_e32 v32, v70
	v_lshlrev_b64 v[2:3], 2, v[9:10]
	v_mov_b32_e32 v33, v70
	v_mov_b32_e32 v30, v70
	v_mov_b32_e32 v31, v70
	v_lshlrev_b64 v[7:8], 2, v[7:8]
	v_mov_b32_e32 v28, v70
	v_mov_b32_e32 v29, v70
	;; [unrolled: 1-line block ×5, first 2 shown]
	v_add_co_u32 v73, vcc_lo, s18, v7
	v_add_co_ci_u32_e64 v74, null, s19, v8, vcc_lo
	v_add_co_u32 v5, vcc_lo, v11, v2
	v_add_co_ci_u32_e64 v6, null, v14, v3, vcc_lo
	;; [unrolled: 2-line block ×4, first 2 shown]
	s_clause 0x1
	flat_load_dword v78, v[5:6]
	flat_load_dword v83, v[5:6] offset:256
	flat_load_dword v84, v[7:8]
	s_clause 0x1
	flat_load_dword v5, v[9:10]
	flat_load_dword v81, v[9:10] offset:256
	flat_load_dword v77, v[7:8] offset:16
	s_load_dwordx2 s[2:3], s[2:3], 0x0
	v_mov_b32_e32 v6, v70
	v_mov_b32_e32 v7, v70
	v_mov_b32_e32 v10, v70
	v_mov_b32_e32 v11, v70
	v_mov_b32_e32 v14, v70
	v_mov_b32_e32 v15, v70
	v_mov_b32_e32 v8, v70
	v_mov_b32_e32 v9, v70
	v_mov_b32_e32 v25, v70
	v_mov_b32_e32 v22, v70
	v_mov_b32_e32 v23, v70
	v_mov_b32_e32 v20, v70
	v_mov_b32_e32 v21, v70
	v_mov_b32_e32 v18, v70
	v_lshl_add_u32 v79, v13, 2, v19
	v_mov_b32_e32 v19, v70
	v_mov_b32_e32 v16, v70
	;; [unrolled: 1-line block ×3, first 2 shown]
	v_add_nc_u32_e32 v80, 0x1000, v82
	s_mov_b32 s10, -1
	s_waitcnt vmcnt(4) lgkmcnt(0)
	ds_write2st64_b32 v79, v78, v83 offset1:4
	s_waitcnt vmcnt(3)
	ds_write_b32 v82, v84 offset:4096
	s_waitcnt vmcnt(0) lgkmcnt(0)
	s_barrier
	buffer_gl0_inv
.LBB46_9:                               ; =>This Inner Loop Header: Depth=1
	s_lshl_b32 s11, s22, 2
	v_cndmask_b32_e64 v78, 0, 1, s10
	v_add_nc_u32_e32 v95, s11, v75
	v_add_nc_u32_e32 v103, s11, v76
	s_mov_b32 s10, 0
	s_mov_b32 s22, 2
	v_cmp_ne_u32_e32 vcc_lo, 1, v78
	ds_read2_b64 v[83:86], v95 offset1:16
	ds_read2_b64 v[87:90], v95 offset0:32 offset1:48
	ds_read2_b64 v[91:94], v95 offset0:64 offset1:80
	ds_read2_b64 v[95:98], v95 offset0:96 offset1:112
	ds_read2st64_b64 v[99:102], v103 offset1:1
	ds_read2st64_b64 v[103:106], v103 offset0:2 offset1:3
	s_and_b32 vcc_lo, exec_lo, vcc_lo
	s_waitcnt lgkmcnt(5)
	v_max_f32_e32 v78, v83, v83
	v_max_f32_e32 v83, v84, v84
	v_max_f32_e32 v84, v85, v85
	v_max_f32_e32 v85, v86, v86
	s_waitcnt lgkmcnt(4)
	v_max_f32_e32 v86, v87, v87
	v_max_f32_e32 v87, v88, v88
	v_max_f32_e32 v88, v89, v89
	v_max_f32_e32 v89, v90, v90
	;; [unrolled: 5-line block ×6, first 2 shown]
	v_min_f32_e32 v106, v78, v98
	v_min_f32_e32 v107, v84, v98
	;; [unrolled: 1-line block ×64, first 2 shown]
	v_add_f32_e32 v71, v104, v71
	v_add_f32_e32 v70, v106, v70
	;; [unrolled: 1-line block ×64, first 2 shown]
	s_cbranch_vccz .LBB46_9
; %bb.10:
	v_lshlrev_b32_e32 v78, 2, v13
	ds_write_b32 v82, v77 offset:5120
	v_lshl_add_u32 v77, v0, 4, 0x1400
	s_cmp_lt_i32 s14, 9
	v_lshl_add_u32 v4, v4, 4, v78
	v_lshl_add_u32 v78, v1, 4, 0x800
	ds_write2st64_b32 v4, v5, v81 offset0:8 offset1:12
	s_waitcnt lgkmcnt(0)
	s_barrier
	buffer_gl0_inv
	s_cbranch_scc1 .LBB46_17
; %bb.11:
	v_add_co_u32 v83, vcc_lo, s16, v2
	v_add_nc_u32_e32 v81, 0x1400, v82
	v_or_b32_e32 v82, 0x800, v4
	v_add_co_ci_u32_e64 v84, null, s17, v3, vcc_lo
	v_mov_b32_e32 v3, 0
	s_add_i32 s10, s14, -8
	s_mov_b32 s11, 8
	s_mov_b32 s14, 0
.LBB46_12:                              ; =>This Loop Header: Depth=1
                                        ;     Child Loop BB46_13 Depth 2
                                        ;     Child Loop BB46_15 Depth 2
	v_add_nc_u32_e32 v85, s11, v13
	s_mov_b32 s16, -1
	s_mov_b32 s17, 0
	v_mad_u64_u32 v[4:5], null, v85, s9, 0
	v_mov_b32_e32 v2, v5
	v_mad_u64_u32 v[85:86], null, v85, s15, v[2:3]
	v_or_b32_e32 v2, s11, v12
	v_mov_b32_e32 v5, v85
	v_lshlrev_b64 v[85:86], 2, v[2:3]
	v_lshlrev_b64 v[87:88], 2, v[4:5]
	v_add_co_u32 v4, vcc_lo, v73, v85
	v_add_co_ci_u32_e64 v5, null, v74, v86, vcc_lo
	v_add_co_u32 v86, vcc_lo, v83, v87
	v_add_co_ci_u32_e64 v87, null, v84, v88, vcc_lo
	flat_load_dword v2, v[4:5]
	s_clause 0x1
	flat_load_dword v85, v[86:87]
	flat_load_dword v86, v[86:87] offset:256
.LBB46_13:                              ;   Parent Loop BB46_12 Depth=1
                                        ; =>  This Inner Loop Header: Depth=2
	s_lshl_b32 s17, s17, 2
	v_cndmask_b32_e64 v87, 0, 1, s16
	v_add_nc_u32_e32 v107, s17, v78
	v_add_nc_u32_e32 v103, s17, v77
	s_mov_b32 s16, 0
	s_mov_b32 s17, 2
	v_cmp_ne_u32_e32 vcc_lo, 1, v87
	ds_read2st64_b64 v[87:90], v107 offset1:1
	ds_read2_b64 v[91:94], v103 offset1:16
	ds_read2_b64 v[95:98], v103 offset0:32 offset1:48
	ds_read2_b64 v[99:102], v103 offset0:64 offset1:80
	;; [unrolled: 1-line block ×3, first 2 shown]
	ds_read2st64_b64 v[107:110], v107 offset0:2 offset1:3
	s_and_b32 vcc_lo, exec_lo, vcc_lo
	s_waitcnt lgkmcnt(5)
	v_max_f32_e32 v87, v87, v87
	s_waitcnt lgkmcnt(4)
	v_max_f32_e32 v91, v91, v91
	v_max_f32_e32 v88, v88, v88
	;; [unrolled: 1-line block ×5, first 2 shown]
	s_waitcnt lgkmcnt(3)
	v_max_f32_e32 v95, v95, v95
	v_max_f32_e32 v96, v96, v96
	v_max_f32_e32 v97, v97, v97
	v_max_f32_e32 v98, v98, v98
	s_waitcnt lgkmcnt(2)
	v_max_f32_e32 v99, v99, v99
	v_max_f32_e32 v100, v100, v100
	v_max_f32_e32 v101, v101, v101
	v_max_f32_e32 v102, v102, v102
	;; [unrolled: 5-line block ×3, first 2 shown]
	v_max_f32_e32 v89, v89, v89
	v_max_f32_e32 v90, v90, v90
	s_waitcnt lgkmcnt(0)
	v_max_f32_e32 v107, v107, v107
	v_max_f32_e32 v108, v108, v108
	;; [unrolled: 1-line block ×4, first 2 shown]
	v_min_f32_e32 v111, v91, v87
	v_min_f32_e32 v112, v92, v88
	;; [unrolled: 1-line block ×64, first 2 shown]
	v_add_f32_e32 v71, v112, v71
	v_add_f32_e32 v70, v111, v70
	;; [unrolled: 1-line block ×64, first 2 shown]
	s_cbranch_vccz .LBB46_13
; %bb.14:                               ;   in Loop: Header=BB46_12 Depth=1
	v_add_nc_u32_e32 v89, s11, v72
	s_waitcnt vmcnt(2)
	ds_write_b32 v80, v2
	s_waitcnt vmcnt(0)
	ds_write2st64_b32 v79, v85, v86 offset1:4
	s_waitcnt lgkmcnt(0)
	s_barrier
	buffer_gl0_inv
	v_mad_u64_u32 v[87:88], null, v89, s9, 0
	s_mov_b32 s17, 0
	s_mov_b32 s16, -1
	v_mad_u64_u32 v[88:89], null, v89, s15, v[88:89]
	v_lshlrev_b64 v[87:88], 2, v[87:88]
	v_add_co_u32 v85, vcc_lo, v83, v87
	v_add_co_ci_u32_e64 v86, null, v84, v88, vcc_lo
	flat_load_dword v2, v[4:5] offset:16
	s_clause 0x1
	flat_load_dword v4, v[85:86]
	flat_load_dword v5, v[85:86] offset:256
.LBB46_15:                              ;   Parent Loop BB46_12 Depth=1
                                        ; =>  This Inner Loop Header: Depth=2
	s_lshl_b32 s17, s17, 2
	v_cndmask_b32_e64 v85, 0, 1, s16
	v_add_nc_u32_e32 v105, s17, v76
	v_add_nc_u32_e32 v101, s17, v75
	s_mov_b32 s16, 0
	s_mov_b32 s17, 2
	v_cmp_ne_u32_e32 vcc_lo, 1, v85
	ds_read2st64_b64 v[85:88], v105 offset1:1
	ds_read2_b64 v[89:92], v101 offset1:16
	ds_read2_b64 v[93:96], v101 offset0:32 offset1:48
	ds_read2_b64 v[97:100], v101 offset0:64 offset1:80
	;; [unrolled: 1-line block ×3, first 2 shown]
	ds_read2st64_b64 v[105:108], v105 offset0:2 offset1:3
	s_and_b32 vcc_lo, exec_lo, vcc_lo
	s_waitcnt lgkmcnt(5)
	v_max_f32_e32 v85, v85, v85
	s_waitcnt lgkmcnt(4)
	v_max_f32_e32 v89, v89, v89
	v_max_f32_e32 v86, v86, v86
	;; [unrolled: 1-line block ×5, first 2 shown]
	s_waitcnt lgkmcnt(3)
	v_max_f32_e32 v93, v93, v93
	v_max_f32_e32 v94, v94, v94
	v_max_f32_e32 v95, v95, v95
	v_max_f32_e32 v96, v96, v96
	s_waitcnt lgkmcnt(2)
	v_max_f32_e32 v97, v97, v97
	v_max_f32_e32 v98, v98, v98
	v_max_f32_e32 v99, v99, v99
	v_max_f32_e32 v100, v100, v100
	;; [unrolled: 5-line block ×3, first 2 shown]
	v_max_f32_e32 v87, v87, v87
	v_max_f32_e32 v88, v88, v88
	s_waitcnt lgkmcnt(0)
	v_max_f32_e32 v105, v105, v105
	v_max_f32_e32 v106, v106, v106
	;; [unrolled: 1-line block ×4, first 2 shown]
	v_min_f32_e32 v109, v89, v85
	v_min_f32_e32 v110, v90, v86
	;; [unrolled: 1-line block ×64, first 2 shown]
	v_add_f32_e32 v71, v110, v71
	v_add_f32_e32 v70, v109, v70
	v_add_f32_e32 v69, v112, v69
	v_add_f32_e32 v68, v111, v68
	v_add_f32_e32 v7, v114, v7
	v_add_f32_e32 v6, v113, v6
	v_add_f32_e32 v11, v116, v11
	v_add_f32_e32 v10, v115, v10
	v_add_f32_e32 v15, v118, v15
	v_add_f32_e32 v14, v117, v14
	v_add_f32_e32 v9, v120, v9
	v_add_f32_e32 v8, v119, v8
	v_add_f32_e32 v67, v122, v67
	v_add_f32_e32 v66, v121, v66
	v_add_f32_e32 v65, v86, v65
	v_add_f32_e32 v64, v85, v64
	v_add_f32_e32 v63, v124, v63
	v_add_f32_e32 v62, v123, v62
	v_add_f32_e32 v61, v126, v61
	v_add_f32_e32 v60, v125, v60
	v_add_f32_e32 v59, v128, v59
	v_add_f32_e32 v58, v127, v58
	v_add_f32_e32 v57, v130, v57
	v_add_f32_e32 v56, v129, v56
	v_add_f32_e32 v55, v132, v55
	v_add_f32_e32 v54, v131, v54
	v_add_f32_e32 v53, v134, v53
	v_add_f32_e32 v52, v133, v52
	v_add_f32_e32 v51, v136, v51
	v_add_f32_e32 v50, v135, v50
	v_add_f32_e32 v49, v88, v49
	v_add_f32_e32 v48, v87, v48
	v_add_f32_e32 v47, v138, v47
	v_add_f32_e32 v46, v137, v46
	v_add_f32_e32 v45, v140, v45
	v_add_f32_e32 v44, v139, v44
	v_add_f32_e32 v43, v142, v43
	v_add_f32_e32 v42, v141, v42
	v_add_f32_e32 v41, v144, v41
	v_add_f32_e32 v40, v143, v40
	v_add_f32_e32 v39, v146, v39
	v_add_f32_e32 v38, v145, v38
	v_add_f32_e32 v37, v148, v37
	v_add_f32_e32 v36, v147, v36
	v_add_f32_e32 v35, v150, v35
	v_add_f32_e32 v34, v149, v34
	v_add_f32_e32 v33, v106, v33
	v_add_f32_e32 v32, v105, v32
	v_add_f32_e32 v31, v90, v31
	v_add_f32_e32 v30, v89, v30
	v_add_f32_e32 v29, v92, v29
	v_add_f32_e32 v28, v91, v28
	v_add_f32_e32 v27, v94, v27
	v_add_f32_e32 v26, v93, v26
	v_add_f32_e32 v25, v96, v25
	v_add_f32_e32 v24, v95, v24
	v_add_f32_e32 v23, v98, v23
	v_add_f32_e32 v22, v97, v22
	v_add_f32_e32 v21, v100, v21
	v_add_f32_e32 v20, v99, v20
	v_add_f32_e32 v19, v102, v19
	v_add_f32_e32 v18, v101, v18
	v_add_f32_e32 v17, v104, v17
	v_add_f32_e32 v16, v103, v16
	s_cbranch_vccz .LBB46_15
; %bb.16:                               ;   in Loop: Header=BB46_12 Depth=1
	s_add_i32 s14, s14, 8
	s_add_i32 s11, s11, 8
	s_cmp_ge_i32 s14, s10
	s_waitcnt vmcnt(2)
	ds_write_b32 v81, v2
	s_waitcnt vmcnt(0)
	ds_write2st64_b32 v82, v4, v5 offset1:4
	s_waitcnt lgkmcnt(0)
	s_barrier
	buffer_gl0_inv
	s_cbranch_scc0 .LBB46_12
.LBB46_17:
	s_mov_b32 s10, 0
	s_mov_b32 s9, -1
.LBB46_18:                              ; =>This Inner Loop Header: Depth=1
	s_lshl_b32 s10, s10, 2
	v_cndmask_b32_e64 v2, 0, 1, s9
	v_add_nc_u32_e32 v12, s10, v78
	v_add_nc_u32_e32 v13, s10, v77
	s_mov_b32 s9, 0
	s_mov_b32 s10, 2
	v_cmp_ne_u32_e32 vcc_lo, 1, v2
	ds_read2st64_b64 v[2:5], v12 offset1:1
	ds_read2_b64 v[72:75], v13 offset1:16
	ds_read2_b64 v[79:82], v13 offset0:32 offset1:48
	ds_read2_b64 v[83:86], v13 offset0:64 offset1:80
	;; [unrolled: 1-line block ×3, first 2 shown]
	ds_read2st64_b64 v[91:94], v12 offset0:2 offset1:3
	s_and_b32 vcc_lo, exec_lo, vcc_lo
	s_waitcnt lgkmcnt(5)
	v_max_f32_e32 v2, v2, v2
	s_waitcnt lgkmcnt(4)
	v_max_f32_e32 v12, v72, v72
	v_max_f32_e32 v3, v3, v3
	;; [unrolled: 1-line block ×5, first 2 shown]
	s_waitcnt lgkmcnt(3)
	v_max_f32_e32 v74, v79, v79
	v_max_f32_e32 v75, v80, v80
	v_max_f32_e32 v76, v81, v81
	v_max_f32_e32 v79, v82, v82
	s_waitcnt lgkmcnt(2)
	v_max_f32_e32 v80, v83, v83
	v_max_f32_e32 v81, v84, v84
	v_max_f32_e32 v82, v85, v85
	v_max_f32_e32 v83, v86, v86
	;; [unrolled: 5-line block ×3, first 2 shown]
	v_max_f32_e32 v4, v4, v4
	v_max_f32_e32 v5, v5, v5
	s_waitcnt lgkmcnt(0)
	v_max_f32_e32 v88, v91, v91
	v_max_f32_e32 v89, v92, v92
	;; [unrolled: 1-line block ×4, first 2 shown]
	v_min_f32_e32 v92, v12, v2
	v_min_f32_e32 v93, v13, v3
	;; [unrolled: 1-line block ×64, first 2 shown]
	v_add_f32_e32 v71, v93, v71
	v_add_f32_e32 v70, v92, v70
	;; [unrolled: 1-line block ×64, first 2 shown]
	s_cbranch_vccz .LBB46_18
; %bb.19:
	s_load_dword s9, s[4:5], 0x50
	v_add_nc_u32_e32 v72, s6, v1
	v_add_nc_u32_e32 v12, s1, v0
	v_cndmask_b32_e64 v0, 0, 1, s8
	v_mov_b32_e32 v4, 0
	v_ashrrev_i32_e32 v13, 31, v12
	v_cmp_ne_u32_e64 s1, 1, v0
	s_waitcnt lgkmcnt(0)
	v_mad_i64_i32 v[1:2], null, v72, s9, 0
	v_lshlrev_b64 v[2:3], 2, v[1:2]
	v_lshlrev_b64 v[0:1], 2, v[12:13]
	v_add_co_u32 v73, vcc_lo, s12, v2
	v_add_co_ci_u32_e64 v74, null, s13, v3, vcc_lo
	v_mov_b32_e32 v2, 0
	s_andn2_b32 vcc_lo, exec_lo, s8
	s_cbranch_vccnz .LBB46_21
; %bb.20:
	v_add_co_u32 v2, vcc_lo, v73, v0
	v_add_co_ci_u32_e64 v3, null, v74, v1, vcc_lo
	flat_load_dword v2, v[2:3]
	s_waitcnt vmcnt(0) lgkmcnt(0)
	v_mul_f32_e32 v2, s7, v2
.LBB46_21:
	s_clause 0x1
	s_load_dword s6, s[4:5], 0x68
	s_load_dwordx2 s[4:5], s[4:5], 0x70
	v_add_f32_e32 v3, v70, v71
	v_add_nc_u32_e32 v77, 8, v12
	v_add_f32_e32 v5, v3, v2
	v_ashrrev_i32_e32 v78, 31, v77
	v_lshlrev_b64 v[2:3], 2, v[77:78]
	s_waitcnt lgkmcnt(0)
	v_mad_i64_i32 v[75:76], null, v72, s6, 0
	s_lshl_b64 s[4:5], s[4:5], 2
	s_add_u32 s2, s2, s4
	s_addc_u32 s3, s3, s5
	v_lshlrev_b64 v[70:71], 2, v[75:76]
	v_add_co_u32 v70, vcc_lo, s2, v70
	v_add_co_ci_u32_e64 v71, null, s3, v71, vcc_lo
	v_add_co_u32 v75, vcc_lo, v70, v0
	v_add_co_ci_u32_e64 v76, null, v71, v1, vcc_lo
	s_and_b32 vcc_lo, exec_lo, s1
	flat_store_dword v[75:76], v5
	s_cbranch_vccnz .LBB46_23
; %bb.22:
	v_add_co_u32 v4, vcc_lo, v73, v2
	v_add_co_ci_u32_e64 v5, null, v74, v3, vcc_lo
	flat_load_dword v4, v[4:5]
	s_waitcnt vmcnt(0) lgkmcnt(0)
	v_mul_f32_e32 v4, s7, v4
.LBB46_23:
	v_add_nc_u32_e32 v75, 16, v12
	v_add_f32_e32 v5, v68, v69
	v_add_co_u32 v77, vcc_lo, v70, v2
	v_add_co_ci_u32_e64 v78, null, v71, v3, vcc_lo
	v_ashrrev_i32_e32 v76, 31, v75
	v_add_f32_e32 v69, v5, v4
	v_mov_b32_e32 v13, 0
	v_mov_b32_e32 v68, 0
	s_and_b32 vcc_lo, exec_lo, s1
	v_lshlrev_b64 v[4:5], 2, v[75:76]
	flat_store_dword v[77:78], v69
	s_cbranch_vccnz .LBB46_25
; %bb.24:
	v_add_co_u32 v68, vcc_lo, v73, v4
	v_add_co_ci_u32_e64 v69, null, v74, v5, vcc_lo
	flat_load_dword v68, v[68:69]
	s_waitcnt vmcnt(0) lgkmcnt(0)
	v_mul_f32_e32 v68, s7, v68
.LBB46_25:
	v_add_nc_u32_e32 v75, 24, v12
	v_add_f32_e32 v6, v6, v7
	v_ashrrev_i32_e32 v76, 31, v75
	v_add_f32_e32 v77, v6, v68
	v_add_co_u32 v68, vcc_lo, v70, v4
	v_add_co_ci_u32_e64 v69, null, v71, v5, vcc_lo
	v_lshlrev_b64 v[6:7], 2, v[75:76]
	s_and_b32 vcc_lo, exec_lo, s1
	flat_store_dword v[68:69], v77
	s_cbranch_vccnz .LBB46_27
; %bb.26:
	v_add_co_u32 v68, vcc_lo, v73, v6
	v_add_co_ci_u32_e64 v69, null, v74, v7, vcc_lo
	flat_load_dword v13, v[68:69]
	s_waitcnt vmcnt(0) lgkmcnt(0)
	v_mul_f32_e32 v13, s7, v13
.LBB46_27:
	v_add_nc_u32_e32 v68, 32, v12
	v_add_f32_e32 v10, v10, v11
	v_add_co_u32 v75, vcc_lo, v70, v6
	v_add_co_ci_u32_e64 v76, null, v71, v7, vcc_lo
	v_ashrrev_i32_e32 v69, 31, v68
	v_add_f32_e32 v77, v10, v13
	v_mov_b32_e32 v13, 0
	s_and_b32 vcc_lo, exec_lo, s1
	v_lshlrev_b64 v[10:11], 2, v[68:69]
	v_mov_b32_e32 v68, 0
	flat_store_dword v[75:76], v77
	s_cbranch_vccnz .LBB46_29
; %bb.28:
	v_add_co_u32 v68, vcc_lo, v73, v10
	v_add_co_ci_u32_e64 v69, null, v74, v11, vcc_lo
	flat_load_dword v68, v[68:69]
	s_waitcnt vmcnt(0) lgkmcnt(0)
	v_mul_f32_e32 v68, s7, v68
.LBB46_29:
	v_add_nc_u32_e32 v75, 40, v12
	v_add_f32_e32 v14, v14, v15
	v_ashrrev_i32_e32 v76, 31, v75
	v_add_f32_e32 v77, v14, v68
	v_add_co_u32 v68, vcc_lo, v70, v10
	v_add_co_ci_u32_e64 v69, null, v71, v11, vcc_lo
	v_lshlrev_b64 v[14:15], 2, v[75:76]
	s_and_b32 vcc_lo, exec_lo, s1
	flat_store_dword v[68:69], v77
	s_cbranch_vccnz .LBB46_31
; %bb.30:
	v_add_co_u32 v68, vcc_lo, v73, v14
	v_add_co_ci_u32_e64 v69, null, v74, v15, vcc_lo
	flat_load_dword v13, v[68:69]
	s_waitcnt vmcnt(0) lgkmcnt(0)
	v_mul_f32_e32 v13, s7, v13
.LBB46_31:
	v_add_nc_u32_e32 v75, 48, v12
	v_add_f32_e32 v8, v8, v9
	v_add_co_u32 v77, vcc_lo, v70, v14
	v_add_co_ci_u32_e64 v78, null, v71, v15, vcc_lo
	v_ashrrev_i32_e32 v76, 31, v75
	v_add_f32_e32 v69, v8, v13
	v_mov_b32_e32 v68, 0
	v_mov_b32_e32 v13, 0
	s_and_b32 vcc_lo, exec_lo, s1
	v_lshlrev_b64 v[8:9], 2, v[75:76]
	flat_store_dword v[77:78], v69
	s_cbranch_vccnz .LBB46_33
; %bb.32:
	v_add_co_u32 v75, vcc_lo, v73, v8
	v_add_co_ci_u32_e64 v76, null, v74, v9, vcc_lo
	flat_load_dword v13, v[75:76]
	s_waitcnt vmcnt(0) lgkmcnt(0)
	v_mul_f32_e32 v13, s7, v13
.LBB46_33:
	v_add_nc_u32_e32 v75, 56, v12
	v_add_f32_e32 v12, v66, v67
	v_add_co_u32 v66, vcc_lo, v70, v8
	v_add_co_ci_u32_e64 v67, null, v71, v9, vcc_lo
	v_ashrrev_i32_e32 v76, 31, v75
	v_add_f32_e32 v69, v12, v13
	s_and_b32 vcc_lo, exec_lo, s1
	v_lshlrev_b64 v[12:13], 2, v[75:76]
	flat_store_dword v[66:67], v69
	s_cbranch_vccnz .LBB46_35
; %bb.34:
	v_add_co_u32 v66, vcc_lo, v73, v12
	v_add_co_ci_u32_e64 v67, null, v74, v13, vcc_lo
	flat_load_dword v66, v[66:67]
	s_waitcnt vmcnt(0) lgkmcnt(0)
	v_mul_f32_e32 v68, s7, v66
.LBB46_35:
	v_add_nc_u32_e32 v67, 32, v72
	v_add_f32_e32 v75, v64, v65
	v_add_co_u32 v69, vcc_lo, v70, v12
	v_add_co_ci_u32_e64 v70, null, v71, v13, vcc_lo
	v_mad_i64_i32 v[73:74], null, v67, s9, 0
	v_mov_b32_e32 v66, 0
	v_add_f32_e32 v71, v75, v68
	v_mov_b32_e32 v68, 0
	flat_store_dword v[69:70], v71
	v_lshlrev_b64 v[64:65], 2, v[73:74]
	v_add_co_u32 v64, vcc_lo, s12, v64
	v_add_co_ci_u32_e64 v65, null, s13, v65, vcc_lo
	s_and_b32 vcc_lo, exec_lo, s1
	s_cbranch_vccnz .LBB46_37
; %bb.36:
	v_add_co_u32 v68, vcc_lo, v64, v0
	v_add_co_ci_u32_e64 v69, null, v65, v1, vcc_lo
	flat_load_dword v68, v[68:69]
	s_waitcnt vmcnt(0) lgkmcnt(0)
	v_mul_f32_e32 v68, s7, v68
.LBB46_37:
	v_mad_i64_i32 v[69:70], null, v67, s6, 0
	v_add_f32_e32 v67, v62, v63
	v_lshlrev_b64 v[69:70], 2, v[69:70]
	v_add_co_u32 v62, vcc_lo, s2, v69
	v_add_co_ci_u32_e64 v63, null, s3, v70, vcc_lo
	v_add_f32_e32 v69, v67, v68
	v_add_co_u32 v67, vcc_lo, v62, v0
	v_add_co_ci_u32_e64 v68, null, v63, v1, vcc_lo
	s_and_b32 vcc_lo, exec_lo, s1
	flat_store_dword v[67:68], v69
	s_cbranch_vccnz .LBB46_39
; %bb.38:
	v_add_co_u32 v66, vcc_lo, v64, v2
	v_add_co_ci_u32_e64 v67, null, v65, v3, vcc_lo
	flat_load_dword v66, v[66:67]
	s_waitcnt vmcnt(0) lgkmcnt(0)
	v_mul_f32_e32 v66, s7, v66
.LBB46_39:
	v_add_f32_e32 v60, v60, v61
	v_add_co_u32 v67, vcc_lo, v62, v2
	v_add_co_ci_u32_e64 v68, null, v63, v3, vcc_lo
	v_add_f32_e32 v66, v60, v66
	v_mov_b32_e32 v60, 0
	v_mov_b32_e32 v61, 0
	s_and_b32 vcc_lo, exec_lo, s1
	flat_store_dword v[67:68], v66
	s_cbranch_vccnz .LBB46_41
; %bb.40:
	v_add_co_u32 v66, vcc_lo, v64, v4
	v_add_co_ci_u32_e64 v67, null, v65, v5, vcc_lo
	flat_load_dword v61, v[66:67]
	s_waitcnt vmcnt(0) lgkmcnt(0)
	v_mul_f32_e32 v61, s7, v61
.LBB46_41:
	v_add_f32_e32 v58, v58, v59
	v_add_f32_e32 v61, v58, v61
	v_add_co_u32 v58, vcc_lo, v62, v4
	v_add_co_ci_u32_e64 v59, null, v63, v5, vcc_lo
	s_and_b32 vcc_lo, exec_lo, s1
	flat_store_dword v[58:59], v61
	s_cbranch_vccnz .LBB46_43
; %bb.42:
	v_add_co_u32 v58, vcc_lo, v64, v6
	v_add_co_ci_u32_e64 v59, null, v65, v7, vcc_lo
	flat_load_dword v58, v[58:59]
	s_waitcnt vmcnt(0) lgkmcnt(0)
	v_mul_f32_e32 v60, s7, v58
.LBB46_43:
	v_add_f32_e32 v56, v56, v57
	v_add_co_u32 v58, vcc_lo, v62, v6
	v_add_co_ci_u32_e64 v59, null, v63, v7, vcc_lo
	v_add_f32_e32 v60, v56, v60
	v_mov_b32_e32 v56, 0
	v_mov_b32_e32 v57, 0
	s_and_b32 vcc_lo, exec_lo, s1
	flat_store_dword v[58:59], v60
	s_cbranch_vccnz .LBB46_45
; %bb.44:
	v_add_co_u32 v57, vcc_lo, v64, v10
	v_add_co_ci_u32_e64 v58, null, v65, v11, vcc_lo
	flat_load_dword v57, v[57:58]
	s_waitcnt vmcnt(0) lgkmcnt(0)
	v_mul_f32_e32 v57, s7, v57
.LBB46_45:
	v_add_f32_e32 v54, v54, v55
	;; [unrolled: 30-line block ×3, first 2 shown]
	v_add_f32_e32 v53, v50, v53
	v_add_co_u32 v50, vcc_lo, v62, v8
	v_add_co_ci_u32_e64 v51, null, v63, v9, vcc_lo
	s_and_b32 vcc_lo, exec_lo, s1
	flat_store_dword v[50:51], v53
	s_cbranch_vccnz .LBB46_51
; %bb.50:
	v_add_co_u32 v50, vcc_lo, v64, v12
	v_add_co_ci_u32_e64 v51, null, v65, v13, vcc_lo
	flat_load_dword v50, v[50:51]
	s_waitcnt vmcnt(0) lgkmcnt(0)
	v_mul_f32_e32 v52, s7, v50
.LBB46_51:
	v_add_nc_u32_e32 v51, 64, v72
	v_add_f32_e32 v55, v48, v49
	v_mov_b32_e32 v50, 0
	v_mad_i64_i32 v[53:54], null, v51, s9, 0
	v_add_f32_e32 v55, v55, v52
	v_mov_b32_e32 v52, 0
	v_lshlrev_b64 v[48:49], 2, v[53:54]
	v_add_co_u32 v53, vcc_lo, v62, v12
	v_add_co_ci_u32_e64 v54, null, v63, v13, vcc_lo
	v_add_co_u32 v48, vcc_lo, s12, v48
	v_add_co_ci_u32_e64 v49, null, s13, v49, vcc_lo
	s_and_b32 vcc_lo, exec_lo, s1
	flat_store_dword v[53:54], v55
	s_cbranch_vccnz .LBB46_53
; %bb.52:
	v_add_co_u32 v52, vcc_lo, v48, v0
	v_add_co_ci_u32_e64 v53, null, v49, v1, vcc_lo
	flat_load_dword v52, v[52:53]
	s_waitcnt vmcnt(0) lgkmcnt(0)
	v_mul_f32_e32 v52, s7, v52
.LBB46_53:
	v_mad_i64_i32 v[53:54], null, v51, s6, 0
	v_add_f32_e32 v51, v46, v47
	v_lshlrev_b64 v[53:54], 2, v[53:54]
	v_add_co_u32 v46, vcc_lo, s2, v53
	v_add_co_ci_u32_e64 v47, null, s3, v54, vcc_lo
	v_add_f32_e32 v53, v51, v52
	v_add_co_u32 v51, vcc_lo, v46, v0
	v_add_co_ci_u32_e64 v52, null, v47, v1, vcc_lo
	s_and_b32 vcc_lo, exec_lo, s1
	flat_store_dword v[51:52], v53
	s_cbranch_vccnz .LBB46_55
; %bb.54:
	v_add_co_u32 v50, vcc_lo, v48, v2
	v_add_co_ci_u32_e64 v51, null, v49, v3, vcc_lo
	flat_load_dword v50, v[50:51]
	s_waitcnt vmcnt(0) lgkmcnt(0)
	v_mul_f32_e32 v50, s7, v50
.LBB46_55:
	v_add_f32_e32 v44, v44, v45
	v_add_co_u32 v51, vcc_lo, v46, v2
	v_add_co_ci_u32_e64 v52, null, v47, v3, vcc_lo
	v_add_f32_e32 v50, v44, v50
	v_mov_b32_e32 v44, 0
	v_mov_b32_e32 v45, 0
	s_and_b32 vcc_lo, exec_lo, s1
	flat_store_dword v[51:52], v50
	s_cbranch_vccnz .LBB46_57
; %bb.56:
	v_add_co_u32 v50, vcc_lo, v48, v4
	v_add_co_ci_u32_e64 v51, null, v49, v5, vcc_lo
	flat_load_dword v45, v[50:51]
	s_waitcnt vmcnt(0) lgkmcnt(0)
	v_mul_f32_e32 v45, s7, v45
.LBB46_57:
	v_add_f32_e32 v42, v42, v43
	v_add_f32_e32 v45, v42, v45
	v_add_co_u32 v42, vcc_lo, v46, v4
	v_add_co_ci_u32_e64 v43, null, v47, v5, vcc_lo
	s_and_b32 vcc_lo, exec_lo, s1
	flat_store_dword v[42:43], v45
	s_cbranch_vccnz .LBB46_59
; %bb.58:
	v_add_co_u32 v42, vcc_lo, v48, v6
	v_add_co_ci_u32_e64 v43, null, v49, v7, vcc_lo
	flat_load_dword v42, v[42:43]
	s_waitcnt vmcnt(0) lgkmcnt(0)
	v_mul_f32_e32 v44, s7, v42
.LBB46_59:
	v_add_f32_e32 v40, v40, v41
	v_add_co_u32 v42, vcc_lo, v46, v6
	v_add_co_ci_u32_e64 v43, null, v47, v7, vcc_lo
	v_add_f32_e32 v44, v40, v44
	v_mov_b32_e32 v40, 0
	v_mov_b32_e32 v41, 0
	s_and_b32 vcc_lo, exec_lo, s1
	flat_store_dword v[42:43], v44
	s_cbranch_vccnz .LBB46_61
; %bb.60:
	v_add_co_u32 v41, vcc_lo, v48, v10
	v_add_co_ci_u32_e64 v42, null, v49, v11, vcc_lo
	flat_load_dword v41, v[41:42]
	s_waitcnt vmcnt(0) lgkmcnt(0)
	v_mul_f32_e32 v41, s7, v41
.LBB46_61:
	v_add_f32_e32 v38, v38, v39
	;; [unrolled: 30-line block ×3, first 2 shown]
	v_add_f32_e32 v37, v34, v37
	v_add_co_u32 v34, vcc_lo, v46, v8
	v_add_co_ci_u32_e64 v35, null, v47, v9, vcc_lo
	s_and_b32 vcc_lo, exec_lo, s1
	flat_store_dword v[34:35], v37
	s_cbranch_vccnz .LBB46_67
; %bb.66:
	v_add_co_u32 v34, vcc_lo, v48, v12
	v_add_co_ci_u32_e64 v35, null, v49, v13, vcc_lo
	flat_load_dword v34, v[34:35]
	s_waitcnt vmcnt(0) lgkmcnt(0)
	v_mul_f32_e32 v36, s7, v34
.LBB46_67:
	v_add_nc_u32_e32 v35, 0x60, v72
	v_add_f32_e32 v39, v32, v33
	v_mov_b32_e32 v34, 0
	v_mad_i64_i32 v[37:38], null, v35, s9, 0
	v_add_f32_e32 v39, v39, v36
	v_mov_b32_e32 v36, 0
	v_lshlrev_b64 v[32:33], 2, v[37:38]
	v_add_co_u32 v37, vcc_lo, v46, v12
	v_add_co_ci_u32_e64 v38, null, v47, v13, vcc_lo
	v_add_co_u32 v32, vcc_lo, s12, v32
	v_add_co_ci_u32_e64 v33, null, s13, v33, vcc_lo
	s_and_b32 vcc_lo, exec_lo, s1
	flat_store_dword v[37:38], v39
	s_cbranch_vccnz .LBB46_69
; %bb.68:
	v_add_co_u32 v36, vcc_lo, v32, v0
	v_add_co_ci_u32_e64 v37, null, v33, v1, vcc_lo
	flat_load_dword v36, v[36:37]
	s_waitcnt vmcnt(0) lgkmcnt(0)
	v_mul_f32_e32 v36, s7, v36
.LBB46_69:
	v_mad_i64_i32 v[37:38], null, v35, s6, 0
	v_add_f32_e32 v35, v30, v31
	v_add_f32_e32 v35, v35, v36
	v_lshlrev_b64 v[37:38], 2, v[37:38]
	v_add_co_u32 v30, vcc_lo, s2, v37
	v_add_co_ci_u32_e64 v31, null, s3, v38, vcc_lo
	v_add_co_u32 v0, vcc_lo, v30, v0
	v_add_co_ci_u32_e64 v1, null, v31, v1, vcc_lo
	s_and_b32 vcc_lo, exec_lo, s1
	flat_store_dword v[0:1], v35
	s_cbranch_vccnz .LBB46_71
; %bb.70:
	v_add_co_u32 v0, vcc_lo, v32, v2
	v_add_co_ci_u32_e64 v1, null, v33, v3, vcc_lo
	flat_load_dword v0, v[0:1]
	s_waitcnt vmcnt(0) lgkmcnt(0)
	v_mul_f32_e32 v34, s7, v0
.LBB46_71:
	v_add_f32_e32 v0, v28, v29
	v_add_co_u32 v2, vcc_lo, v30, v2
	v_add_co_ci_u32_e64 v3, null, v31, v3, vcc_lo
	v_add_f32_e32 v28, v0, v34
	v_mov_b32_e32 v0, 0
	v_mov_b32_e32 v1, 0
	s_and_b32 vcc_lo, exec_lo, s1
	flat_store_dword v[2:3], v28
	s_cbranch_vccnz .LBB46_73
; %bb.72:
	v_add_co_u32 v1, vcc_lo, v32, v4
	v_add_co_ci_u32_e64 v2, null, v33, v5, vcc_lo
	flat_load_dword v1, v[1:2]
	s_waitcnt vmcnt(0) lgkmcnt(0)
	v_mul_f32_e32 v1, s7, v1
.LBB46_73:
	v_add_f32_e32 v2, v26, v27
	v_add_f32_e32 v3, v2, v1
	v_add_co_u32 v1, vcc_lo, v30, v4
	v_add_co_ci_u32_e64 v2, null, v31, v5, vcc_lo
	s_and_b32 vcc_lo, exec_lo, s1
	flat_store_dword v[1:2], v3
	s_cbranch_vccnz .LBB46_75
; %bb.74:
	v_add_co_u32 v0, vcc_lo, v32, v6
	v_add_co_ci_u32_e64 v1, null, v33, v7, vcc_lo
	flat_load_dword v0, v[0:1]
	s_waitcnt vmcnt(0) lgkmcnt(0)
	v_mul_f32_e32 v0, s7, v0
.LBB46_75:
	v_add_f32_e32 v1, v24, v25
	v_add_co_u32 v2, vcc_lo, v30, v6
	v_add_co_ci_u32_e64 v3, null, v31, v7, vcc_lo
	v_add_f32_e32 v4, v1, v0
	v_mov_b32_e32 v0, 0
	v_mov_b32_e32 v1, 0
	s_and_b32 vcc_lo, exec_lo, s1
	flat_store_dword v[2:3], v4
	s_cbranch_vccnz .LBB46_77
; %bb.76:
	v_add_co_u32 v1, vcc_lo, v32, v10
	v_add_co_ci_u32_e64 v2, null, v33, v11, vcc_lo
	flat_load_dword v1, v[1:2]
	s_waitcnt vmcnt(0) lgkmcnt(0)
	v_mul_f32_e32 v1, s7, v1
.LBB46_77:
	v_add_f32_e32 v2, v22, v23
	v_add_f32_e32 v3, v2, v1
	v_add_co_u32 v1, vcc_lo, v30, v10
	v_add_co_ci_u32_e64 v2, null, v31, v11, vcc_lo
	s_and_b32 vcc_lo, exec_lo, s1
	flat_store_dword v[1:2], v3
	s_cbranch_vccnz .LBB46_79
; %bb.78:
	v_add_co_u32 v0, vcc_lo, v32, v14
	v_add_co_ci_u32_e64 v1, null, v33, v15, vcc_lo
	flat_load_dword v0, v[0:1]
	s_waitcnt vmcnt(0) lgkmcnt(0)
	v_mul_f32_e32 v0, s7, v0
.LBB46_79:
	v_add_f32_e32 v3, v20, v21
	v_add_co_u32 v1, vcc_lo, v30, v14
	v_add_co_ci_u32_e64 v2, null, v31, v15, vcc_lo
	v_add_f32_e32 v3, v3, v0
	v_add_f32_e32 v0, v18, v19
	s_mov_b32 s1, -1
	s_mov_b32 vcc_lo, s0
	flat_store_dword v[1:2], v3
	s_cbranch_vccz .LBB46_81
; %bb.80:
	v_add_co_u32 v1, vcc_lo, v30, v8
	v_add_f32_e32 v3, 0, v0
	v_add_co_ci_u32_e64 v2, null, v31, v9, vcc_lo
	s_mov_b32 s1, 0
	flat_store_dword v[1:2], v3
.LBB46_81:
	v_mov_b32_e32 v1, 0
	s_andn2_b32 vcc_lo, exec_lo, s1
	s_cbranch_vccnz .LBB46_83
; %bb.82:
	v_add_co_u32 v1, vcc_lo, v32, v8
	v_add_co_ci_u32_e64 v2, null, v33, v9, vcc_lo
	flat_load_dword v3, v[1:2]
	v_add_co_u32 v1, vcc_lo, v30, v8
	v_add_co_ci_u32_e64 v2, null, v31, v9, vcc_lo
	s_waitcnt vmcnt(0) lgkmcnt(0)
	v_fmac_f32_e32 v0, s7, v3
	v_add_co_u32 v3, vcc_lo, v32, v12
	v_add_co_ci_u32_e64 v4, null, v33, v13, vcc_lo
	flat_store_dword v[1:2], v0
	flat_load_dword v0, v[3:4]
	s_waitcnt vmcnt(0) lgkmcnt(0)
	v_mul_f32_e32 v1, s7, v0
.LBB46_83:
	v_add_f32_e32 v0, v16, v17
	v_add_f32_e32 v2, v0, v1
	v_add_co_u32 v0, vcc_lo, v30, v12
	v_add_co_ci_u32_e64 v1, null, v31, v13, vcc_lo
	flat_store_dword v[0:1], v2
	s_endpgm
	.section	.rodata,"a",@progbits
	.p2align	6, 0x0
	.amdhsa_kernel _ZN12_GLOBAL__N_120geam_min_plus_kernelIf15HIP_vector_typeIfLj2EES2_Li8ELi32ELi64ELi128ELi4ELi4ELi64ELi64ELi4ELc84ELc84ELb1ELb0ELb0EfKPKfKPfEEviiiT16_PT17_ilSA_ilS8_SA_ilPT18_ili26rocblas_geam_ex_operation_
		.amdhsa_group_segment_fixed_size 6144
		.amdhsa_private_segment_fixed_size 0
		.amdhsa_kernarg_size 128
		.amdhsa_user_sgpr_count 6
		.amdhsa_user_sgpr_private_segment_buffer 1
		.amdhsa_user_sgpr_dispatch_ptr 0
		.amdhsa_user_sgpr_queue_ptr 0
		.amdhsa_user_sgpr_kernarg_segment_ptr 1
		.amdhsa_user_sgpr_dispatch_id 0
		.amdhsa_user_sgpr_flat_scratch_init 0
		.amdhsa_user_sgpr_private_segment_size 0
		.amdhsa_wavefront_size32 1
		.amdhsa_uses_dynamic_stack 0
		.amdhsa_system_sgpr_private_segment_wavefront_offset 0
		.amdhsa_system_sgpr_workgroup_id_x 1
		.amdhsa_system_sgpr_workgroup_id_y 0
		.amdhsa_system_sgpr_workgroup_id_z 1
		.amdhsa_system_sgpr_workgroup_info 0
		.amdhsa_system_vgpr_workitem_id 1
		.amdhsa_next_free_vgpr 153
		.amdhsa_next_free_sgpr 23
		.amdhsa_reserve_vcc 1
		.amdhsa_reserve_flat_scratch 1
		.amdhsa_float_round_mode_32 0
		.amdhsa_float_round_mode_16_64 0
		.amdhsa_float_denorm_mode_32 3
		.amdhsa_float_denorm_mode_16_64 3
		.amdhsa_dx10_clamp 1
		.amdhsa_ieee_mode 1
		.amdhsa_fp16_overflow 0
		.amdhsa_workgroup_processor_mode 1
		.amdhsa_memory_ordered 1
		.amdhsa_forward_progress 1
		.amdhsa_shared_vgpr_count 0
		.amdhsa_exception_fp_ieee_invalid_op 0
		.amdhsa_exception_fp_denorm_src 0
		.amdhsa_exception_fp_ieee_div_zero 0
		.amdhsa_exception_fp_ieee_overflow 0
		.amdhsa_exception_fp_ieee_underflow 0
		.amdhsa_exception_fp_ieee_inexact 0
		.amdhsa_exception_int_div_zero 0
	.end_amdhsa_kernel
	.section	.text._ZN12_GLOBAL__N_120geam_min_plus_kernelIf15HIP_vector_typeIfLj2EES2_Li8ELi32ELi64ELi128ELi4ELi4ELi64ELi64ELi4ELc84ELc84ELb1ELb0ELb0EfKPKfKPfEEviiiT16_PT17_ilSA_ilS8_SA_ilPT18_ili26rocblas_geam_ex_operation_,"axG",@progbits,_ZN12_GLOBAL__N_120geam_min_plus_kernelIf15HIP_vector_typeIfLj2EES2_Li8ELi32ELi64ELi128ELi4ELi4ELi64ELi64ELi4ELc84ELc84ELb1ELb0ELb0EfKPKfKPfEEviiiT16_PT17_ilSA_ilS8_SA_ilPT18_ili26rocblas_geam_ex_operation_,comdat
.Lfunc_end46:
	.size	_ZN12_GLOBAL__N_120geam_min_plus_kernelIf15HIP_vector_typeIfLj2EES2_Li8ELi32ELi64ELi128ELi4ELi4ELi64ELi64ELi4ELc84ELc84ELb1ELb0ELb0EfKPKfKPfEEviiiT16_PT17_ilSA_ilS8_SA_ilPT18_ili26rocblas_geam_ex_operation_, .Lfunc_end46-_ZN12_GLOBAL__N_120geam_min_plus_kernelIf15HIP_vector_typeIfLj2EES2_Li8ELi32ELi64ELi128ELi4ELi4ELi64ELi64ELi4ELc84ELc84ELb1ELb0ELb0EfKPKfKPfEEviiiT16_PT17_ilSA_ilS8_SA_ilPT18_ili26rocblas_geam_ex_operation_
                                        ; -- End function
	.set _ZN12_GLOBAL__N_120geam_min_plus_kernelIf15HIP_vector_typeIfLj2EES2_Li8ELi32ELi64ELi128ELi4ELi4ELi64ELi64ELi4ELc84ELc84ELb1ELb0ELb0EfKPKfKPfEEviiiT16_PT17_ilSA_ilS8_SA_ilPT18_ili26rocblas_geam_ex_operation_.num_vgpr, 153
	.set _ZN12_GLOBAL__N_120geam_min_plus_kernelIf15HIP_vector_typeIfLj2EES2_Li8ELi32ELi64ELi128ELi4ELi4ELi64ELi64ELi4ELc84ELc84ELb1ELb0ELb0EfKPKfKPfEEviiiT16_PT17_ilSA_ilS8_SA_ilPT18_ili26rocblas_geam_ex_operation_.num_agpr, 0
	.set _ZN12_GLOBAL__N_120geam_min_plus_kernelIf15HIP_vector_typeIfLj2EES2_Li8ELi32ELi64ELi128ELi4ELi4ELi64ELi64ELi4ELc84ELc84ELb1ELb0ELb0EfKPKfKPfEEviiiT16_PT17_ilSA_ilS8_SA_ilPT18_ili26rocblas_geam_ex_operation_.numbered_sgpr, 23
	.set _ZN12_GLOBAL__N_120geam_min_plus_kernelIf15HIP_vector_typeIfLj2EES2_Li8ELi32ELi64ELi128ELi4ELi4ELi64ELi64ELi4ELc84ELc84ELb1ELb0ELb0EfKPKfKPfEEviiiT16_PT17_ilSA_ilS8_SA_ilPT18_ili26rocblas_geam_ex_operation_.num_named_barrier, 0
	.set _ZN12_GLOBAL__N_120geam_min_plus_kernelIf15HIP_vector_typeIfLj2EES2_Li8ELi32ELi64ELi128ELi4ELi4ELi64ELi64ELi4ELc84ELc84ELb1ELb0ELb0EfKPKfKPfEEviiiT16_PT17_ilSA_ilS8_SA_ilPT18_ili26rocblas_geam_ex_operation_.private_seg_size, 0
	.set _ZN12_GLOBAL__N_120geam_min_plus_kernelIf15HIP_vector_typeIfLj2EES2_Li8ELi32ELi64ELi128ELi4ELi4ELi64ELi64ELi4ELc84ELc84ELb1ELb0ELb0EfKPKfKPfEEviiiT16_PT17_ilSA_ilS8_SA_ilPT18_ili26rocblas_geam_ex_operation_.uses_vcc, 1
	.set _ZN12_GLOBAL__N_120geam_min_plus_kernelIf15HIP_vector_typeIfLj2EES2_Li8ELi32ELi64ELi128ELi4ELi4ELi64ELi64ELi4ELc84ELc84ELb1ELb0ELb0EfKPKfKPfEEviiiT16_PT17_ilSA_ilS8_SA_ilPT18_ili26rocblas_geam_ex_operation_.uses_flat_scratch, 1
	.set _ZN12_GLOBAL__N_120geam_min_plus_kernelIf15HIP_vector_typeIfLj2EES2_Li8ELi32ELi64ELi128ELi4ELi4ELi64ELi64ELi4ELc84ELc84ELb1ELb0ELb0EfKPKfKPfEEviiiT16_PT17_ilSA_ilS8_SA_ilPT18_ili26rocblas_geam_ex_operation_.has_dyn_sized_stack, 0
	.set _ZN12_GLOBAL__N_120geam_min_plus_kernelIf15HIP_vector_typeIfLj2EES2_Li8ELi32ELi64ELi128ELi4ELi4ELi64ELi64ELi4ELc84ELc84ELb1ELb0ELb0EfKPKfKPfEEviiiT16_PT17_ilSA_ilS8_SA_ilPT18_ili26rocblas_geam_ex_operation_.has_recursion, 0
	.set _ZN12_GLOBAL__N_120geam_min_plus_kernelIf15HIP_vector_typeIfLj2EES2_Li8ELi32ELi64ELi128ELi4ELi4ELi64ELi64ELi4ELc84ELc84ELb1ELb0ELb0EfKPKfKPfEEviiiT16_PT17_ilSA_ilS8_SA_ilPT18_ili26rocblas_geam_ex_operation_.has_indirect_call, 0
	.section	.AMDGPU.csdata,"",@progbits
; Kernel info:
; codeLenInByte = 7320
; TotalNumSgprs: 25
; NumVgprs: 153
; ScratchSize: 0
; MemoryBound: 0
; FloatMode: 240
; IeeeMode: 1
; LDSByteSize: 6144 bytes/workgroup (compile time only)
; SGPRBlocks: 0
; VGPRBlocks: 19
; NumSGPRsForWavesPerEU: 25
; NumVGPRsForWavesPerEU: 153
; Occupancy: 6
; WaveLimiterHint : 1
; COMPUTE_PGM_RSRC2:SCRATCH_EN: 0
; COMPUTE_PGM_RSRC2:USER_SGPR: 6
; COMPUTE_PGM_RSRC2:TRAP_HANDLER: 0
; COMPUTE_PGM_RSRC2:TGID_X_EN: 1
; COMPUTE_PGM_RSRC2:TGID_Y_EN: 0
; COMPUTE_PGM_RSRC2:TGID_Z_EN: 1
; COMPUTE_PGM_RSRC2:TIDIG_COMP_CNT: 1
	.section	.text._ZN12_GLOBAL__N_120geam_min_plus_kernelIf15HIP_vector_typeIfLj2EES2_Li8ELi32ELi64ELi128ELi4ELi4ELi64ELi64ELi4ELc84ELc84ELb0ELb0ELb0EfKPKfKPfEEviiiT16_PT17_ilSA_ilS8_SA_ilPT18_ili26rocblas_geam_ex_operation_,"axG",@progbits,_ZN12_GLOBAL__N_120geam_min_plus_kernelIf15HIP_vector_typeIfLj2EES2_Li8ELi32ELi64ELi128ELi4ELi4ELi64ELi64ELi4ELc84ELc84ELb0ELb0ELb0EfKPKfKPfEEviiiT16_PT17_ilSA_ilS8_SA_ilPT18_ili26rocblas_geam_ex_operation_,comdat
	.globl	_ZN12_GLOBAL__N_120geam_min_plus_kernelIf15HIP_vector_typeIfLj2EES2_Li8ELi32ELi64ELi128ELi4ELi4ELi64ELi64ELi4ELc84ELc84ELb0ELb0ELb0EfKPKfKPfEEviiiT16_PT17_ilSA_ilS8_SA_ilPT18_ili26rocblas_geam_ex_operation_ ; -- Begin function _ZN12_GLOBAL__N_120geam_min_plus_kernelIf15HIP_vector_typeIfLj2EES2_Li8ELi32ELi64ELi128ELi4ELi4ELi64ELi64ELi4ELc84ELc84ELb0ELb0ELb0EfKPKfKPfEEviiiT16_PT17_ilSA_ilS8_SA_ilPT18_ili26rocblas_geam_ex_operation_
	.p2align	8
	.type	_ZN12_GLOBAL__N_120geam_min_plus_kernelIf15HIP_vector_typeIfLj2EES2_Li8ELi32ELi64ELi128ELi4ELi4ELi64ELi64ELi4ELc84ELc84ELb0ELb0ELb0EfKPKfKPfEEviiiT16_PT17_ilSA_ilS8_SA_ilPT18_ili26rocblas_geam_ex_operation_,@function
_ZN12_GLOBAL__N_120geam_min_plus_kernelIf15HIP_vector_typeIfLj2EES2_Li8ELi32ELi64ELi128ELi4ELi4ELi64ELi64ELi4ELc84ELc84ELb0ELb0ELb0EfKPKfKPfEEviiiT16_PT17_ilSA_ilS8_SA_ilPT18_ili26rocblas_geam_ex_operation_: ; @_ZN12_GLOBAL__N_120geam_min_plus_kernelIf15HIP_vector_typeIfLj2EES2_Li8ELi32ELi64ELi128ELi4ELi4ELi64ELi64ELi4ELc84ELc84ELb0ELb0ELb0EfKPKfKPfEEviiiT16_PT17_ilSA_ilS8_SA_ilPT18_ili26rocblas_geam_ex_operation_
; %bb.0:
	s_clause 0x1
	s_load_dwordx2 s[14:15], s[4:5], 0x8
	s_load_dwordx4 s[8:11], s[4:5], 0x20
	s_mov_b32 s20, s7
	s_mov_b32 s21, 0
	s_waitcnt lgkmcnt(0)
	v_cmp_eq_f32_e64 s0, s15, 0
	s_and_b32 s1, exec_lo, s0
	s_mov_b32 vcc_lo, s1
	s_cbranch_vccnz .LBB47_3
; %bb.1:
	s_load_dwordx2 s[2:3], s[4:5], 0x10
	s_lshl_b64 s[12:13], s[20:21], 3
	s_waitcnt lgkmcnt(0)
	s_add_u32 s2, s2, s12
	s_addc_u32 s3, s3, s13
	s_lshl_b64 s[8:9], s[8:9], 2
	s_load_dwordx2 s[2:3], s[2:3], 0x0
	s_waitcnt lgkmcnt(0)
	s_add_u32 s16, s2, s8
	s_addc_u32 s17, s3, s9
	s_andn2_b32 vcc_lo, exec_lo, s0
	s_cbranch_vccnz .LBB47_4
.LBB47_2:
	s_mov_b32 s3, 0
	s_mov_b32 s2, s20
	s_mov_b32 s0, s3
	s_mov_b64 s[12:13], 0
	s_andn2_b32 vcc_lo, exec_lo, s0
	s_mov_b64 s[18:19], 0
	s_cbranch_vccz .LBB47_5
	s_branch .LBB47_6
.LBB47_3:
	s_mov_b64 s[16:17], 0
	s_andn2_b32 vcc_lo, exec_lo, s0
	s_cbranch_vccz .LBB47_2
.LBB47_4:
	s_mov_b64 s[2:3], s[20:21]
	s_mov_b64 s[12:13], 0
	;; [unrolled: 1-line block ×3, first 2 shown]
.LBB47_5:
	s_lshl_b64 s[8:9], s[20:21], 3
	s_load_dwordx2 s[18:19], s[4:5], 0x38
	s_add_u32 s8, s10, s8
	s_addc_u32 s9, s11, s9
	s_load_dwordx2 s[8:9], s[8:9], 0x0
	s_waitcnt lgkmcnt(0)
	s_lshl_b64 s[10:11], s[18:19], 2
	s_add_u32 s18, s8, s10
	s_addc_u32 s19, s9, s11
.LBB47_6:
	s_clause 0x1
	s_load_dword s20, s[4:5], 0x40
	s_load_dwordx4 s[8:11], s[4:5], 0x58
	v_cmp_neq_f32_e64 s7, s15, 0
	s_waitcnt lgkmcnt(0)
	v_cmp_eq_f32_e64 s0, s20, 0
	s_and_b32 s0, exec_lo, s0
	s_mov_b32 vcc_lo, s0
	s_cbranch_vccnz .LBB47_8
; %bb.7:
	s_load_dwordx2 s[12:13], s[4:5], 0x48
	s_lshl_b64 s[22:23], s[2:3], 3
	s_waitcnt lgkmcnt(0)
	s_add_u32 s12, s12, s22
	s_addc_u32 s13, s13, s23
	s_lshl_b64 s[8:9], s[8:9], 2
	s_load_dwordx2 s[12:13], s[12:13], 0x0
	s_waitcnt lgkmcnt(0)
	s_add_u32 s12, s12, s8
	s_addc_u32 s13, s13, s9
.LBB47_8:
	s_clause 0x2
	s_load_dword s21, s[4:5], 0x30
	s_load_dword s24, s[4:5], 0x0
	;; [unrolled: 1-line block ×3, first 2 shown]
	s_lshl_b64 s[2:3], s[2:3], 3
	v_and_b32_e32 v12, 3, v0
	v_cndmask_b32_e64 v3, 0, 1, s7
	v_mov_b32_e32 v77, 0
	v_mov_b32_e32 v7, 0
	;; [unrolled: 1-line block ×3, first 2 shown]
	v_lshlrev_b32_e32 v8, 2, v12
	v_mov_b32_e32 v10, 0
	s_waitcnt lgkmcnt(0)
	s_ashr_i32 s22, s21, 31
	s_add_u32 s8, s10, s2
	s_addc_u32 s9, s11, s3
	s_add_i32 s2, s24, -1
	s_ashr_i32 s3, s2, 31
	s_lshr_b32 s3, s3, 26
	s_add_i32 s2, s2, s3
	s_ashr_i32 s2, s2, 6
	s_add_i32 s3, s2, 1
	s_not_b32 s2, s2
	v_cvt_f32_u32_e32 v2, s3
	v_rcp_iflag_f32_e32 v2, v2
	v_mul_f32_e32 v2, 0x4f7ffffe, v2
	v_cvt_u32_f32_e32 v2, v2
	v_readfirstlane_b32 s10, v2
	v_lshl_add_u32 v2, v1, 3, v0
	s_mul_i32 s2, s2, s10
	v_and_b32_e32 v5, 63, v2
	s_mul_hi_u32 s2, s10, s2
	v_lshrrev_b32_e32 v6, 2, v2
	s_add_i32 s10, s10, s2
	v_lshrrev_b32_e32 v13, 6, v2
	s_mul_hi_u32 s2, s6, s10
	s_mul_i32 s10, s2, s3
	s_add_i32 s11, s2, 1
	s_sub_i32 s10, s6, s10
	s_sub_i32 s24, s10, s3
	s_cmp_ge_u32 s10, s3
	s_cselect_b32 s2, s11, s2
	s_cselect_b32 s10, s24, s10
	s_add_i32 s11, s2, 1
	s_cmp_ge_u32 s10, s3
	s_cselect_b32 s2, s11, s2
	s_andn2_b32 vcc_lo, exec_lo, s7
	s_lshl_b32 s10, s2, 7
	s_mul_i32 s3, s2, s3
	v_or_b32_e32 v2, s10, v5
	s_sub_i32 s3, s6, s3
	v_cmp_ne_u32_e64 s2, 1, v3
	s_lshl_b32 s3, s3, 6
	v_add_nc_u32_e32 v4, s3, v6
	v_ashrrev_i32_e32 v3, 31, v2
	s_cbranch_vccnz .LBB47_10
; %bb.9:
	v_mad_i64_i32 v[9:10], null, v4, s23, 0
	v_mad_i64_i32 v[14:15], null, s21, v13, 0
	v_lshlrev_b64 v[16:17], 2, v[2:3]
	v_lshlrev_b64 v[9:10], 2, v[9:10]
	;; [unrolled: 1-line block ×3, first 2 shown]
	v_add_co_u32 v7, vcc_lo, s16, v9
	v_add_co_ci_u32_e64 v10, null, s17, v10, vcc_lo
	v_add_co_u32 v11, vcc_lo, s18, v14
	v_add_co_ci_u32_e64 v15, null, s19, v15, vcc_lo
	;; [unrolled: 2-line block ×4, first 2 shown]
	flat_load_dword v7, v[9:10]
	s_clause 0x1
	flat_load_dword v9, v[14:15]
	flat_load_dword v11, v[14:15] offset:256
	s_waitcnt vmcnt(2) lgkmcnt(2)
	v_mul_f32_e32 v7, s15, v7
	s_waitcnt vmcnt(1) lgkmcnt(1)
	v_mul_f32_e32 v10, s15, v9
	;; [unrolled: 2-line block ×3, first 2 shown]
.LBB47_10:
	s_load_dwordx2 s[6:7], s[8:9], 0x0
	v_add_nc_u32_e32 v72, 4, v13
	v_mov_b32_e32 v79, 0
	v_mov_b32_e32 v80, 0
	s_and_b32 vcc_lo, exec_lo, s2
	s_cbranch_vccnz .LBB47_12
; %bb.11:
	v_mad_i64_i32 v[14:15], null, v4, s23, 0
	v_mad_i64_i32 v[16:17], null, s21, v72, 0
	v_lshlrev_b64 v[18:19], 2, v[2:3]
	v_lshlrev_b64 v[14:15], 2, v[14:15]
	;; [unrolled: 1-line block ×3, first 2 shown]
	v_add_co_u32 v11, vcc_lo, s16, v14
	v_add_co_ci_u32_e64 v15, null, s17, v15, vcc_lo
	v_add_co_u32 v16, vcc_lo, s18, v16
	v_add_co_ci_u32_e64 v17, null, s19, v17, vcc_lo
	;; [unrolled: 2-line block ×4, first 2 shown]
	flat_load_dword v11, v[14:15] offset:16
	s_clause 0x1
	flat_load_dword v14, v[16:17]
	flat_load_dword v15, v[16:17] offset:256
	s_waitcnt vmcnt(2) lgkmcnt(0)
	v_mul_f32_e32 v77, s15, v11
	s_waitcnt vmcnt(1)
	v_mul_f32_e32 v80, s15, v14
	s_waitcnt vmcnt(0)
	v_mul_f32_e32 v79, s15, v15
.LBB47_12:
	v_lshlrev_b32_e32 v11, 4, v5
	v_lshl_or_b32 v81, v6, 4, v8
	v_mov_b32_e32 v70, 0
	v_cmp_neq_f32_e64 s2, s20, 0
	v_lshl_or_b32 v74, v0, 4, 0x1000
	v_lshl_add_u32 v73, v13, 2, v11
	v_lshlrev_b32_e32 v75, 4, v1
	v_add_nc_u32_e32 v76, 0x1000, v81
	v_mov_b32_e32 v71, v70
	ds_write_b32 v81, v7 offset:4096
	ds_write2st64_b32 v73, v10, v9 offset1:4
	v_mov_b32_e32 v68, v70
	v_mov_b32_e32 v69, v70
	;; [unrolled: 1-line block ×62, first 2 shown]
	s_mov_b32 s9, 0
	s_mov_b32 s8, -1
	s_waitcnt lgkmcnt(0)
	s_barrier
	buffer_gl0_inv
.LBB47_13:                              ; =>This Inner Loop Header: Depth=1
	s_lshl_b32 s9, s9, 2
	v_cndmask_b32_e64 v78, 0, 1, s8
	v_add_nc_u32_e32 v94, s9, v74
	v_add_nc_u32_e32 v102, s9, v75
	s_mov_b32 s8, 0
	s_mov_b32 s9, 2
	v_cmp_ne_u32_e32 vcc_lo, 1, v78
	ds_read2_b64 v[82:85], v94 offset1:16
	ds_read2_b64 v[86:89], v94 offset0:32 offset1:48
	ds_read2_b64 v[90:93], v94 offset0:64 offset1:80
	;; [unrolled: 1-line block ×3, first 2 shown]
	ds_read2st64_b64 v[98:101], v102 offset1:1
	ds_read2st64_b64 v[102:105], v102 offset0:2 offset1:3
	s_and_b32 vcc_lo, exec_lo, vcc_lo
	s_waitcnt lgkmcnt(5)
	v_max_f32_e32 v78, v82, v82
	v_max_f32_e32 v82, v83, v83
	v_max_f32_e32 v83, v84, v84
	v_max_f32_e32 v84, v85, v85
	s_waitcnt lgkmcnt(4)
	v_max_f32_e32 v85, v86, v86
	v_max_f32_e32 v86, v87, v87
	v_max_f32_e32 v87, v88, v88
	v_max_f32_e32 v88, v89, v89
	;; [unrolled: 5-line block ×6, first 2 shown]
	v_min_f32_e32 v105, v78, v97
	v_min_f32_e32 v106, v83, v97
	v_min_f32_e32 v107, v85, v97
	v_min_f32_e32 v108, v87, v97
	v_min_f32_e32 v109, v89, v97
	v_min_f32_e32 v110, v91, v97
	v_min_f32_e32 v111, v93, v97
	v_min_f32_e32 v97, v95, v97
	v_min_f32_e32 v112, v78, v99
	v_min_f32_e32 v113, v83, v99
	v_min_f32_e32 v114, v85, v99
	v_min_f32_e32 v115, v87, v99
	v_min_f32_e32 v116, v89, v99
	v_min_f32_e32 v117, v91, v99
	v_min_f32_e32 v118, v93, v99
	v_min_f32_e32 v99, v95, v99
	v_min_f32_e32 v119, v78, v101
	v_min_f32_e32 v120, v83, v101
	v_min_f32_e32 v121, v85, v101
	v_min_f32_e32 v122, v87, v101
	v_min_f32_e32 v123, v89, v101
	v_min_f32_e32 v124, v91, v101
	v_min_f32_e32 v125, v93, v101
	v_min_f32_e32 v101, v95, v101
	v_min_f32_e32 v78, v78, v103
	v_min_f32_e32 v83, v83, v103
	v_min_f32_e32 v85, v85, v103
	v_min_f32_e32 v87, v87, v103
	v_min_f32_e32 v89, v89, v103
	v_min_f32_e32 v91, v91, v103
	v_min_f32_e32 v93, v93, v103
	v_min_f32_e32 v95, v95, v103
	v_min_f32_e32 v103, v82, v98
	v_min_f32_e32 v126, v84, v98
	v_min_f32_e32 v127, v86, v98
	v_min_f32_e32 v128, v88, v98
	v_min_f32_e32 v129, v90, v98
	v_min_f32_e32 v130, v92, v98
	v_min_f32_e32 v131, v94, v98
	v_min_f32_e32 v98, v96, v98
	v_min_f32_e32 v132, v82, v100
	v_min_f32_e32 v133, v84, v100
	v_min_f32_e32 v134, v86, v100
	v_min_f32_e32 v135, v88, v100
	v_min_f32_e32 v136, v90, v100
	v_min_f32_e32 v137, v92, v100
	v_min_f32_e32 v138, v94, v100
	v_min_f32_e32 v100, v96, v100
	v_min_f32_e32 v139, v82, v102
	v_min_f32_e32 v140, v84, v102
	v_min_f32_e32 v141, v86, v102
	v_min_f32_e32 v142, v88, v102
	v_min_f32_e32 v143, v90, v102
	v_min_f32_e32 v144, v92, v102
	v_min_f32_e32 v145, v94, v102
	v_min_f32_e32 v102, v96, v102
	v_min_f32_e32 v82, v82, v104
	v_min_f32_e32 v84, v84, v104
	v_min_f32_e32 v86, v86, v104
	v_min_f32_e32 v88, v88, v104
	v_min_f32_e32 v90, v90, v104
	v_min_f32_e32 v92, v92, v104
	v_min_f32_e32 v94, v94, v104
	v_min_f32_e32 v96, v96, v104
	v_add_f32_e32 v71, v103, v71
	v_add_f32_e32 v70, v105, v70
	;; [unrolled: 1-line block ×64, first 2 shown]
	s_cbranch_vccz .LBB47_13
; %bb.14:
	v_lshlrev_b32_e32 v78, 2, v13
	ds_write_b32 v81, v77 offset:5120
	v_lshl_add_u32 v77, v0, 4, 0x1400
	s_cmp_lt_i32 s14, 9
	v_lshl_add_u32 v5, v5, 4, v78
	v_lshl_add_u32 v78, v1, 4, 0x800
	ds_write2st64_b32 v5, v80, v79 offset0:8 offset1:12
	s_waitcnt lgkmcnt(0)
	s_barrier
	buffer_gl0_inv
	s_cbranch_scc1 .LBB47_29
; %bb.15:
	v_mad_i64_i32 v[82:83], null, v4, s23, 0
	v_lshlrev_b64 v[2:3], 2, v[2:3]
	v_or_b32_e32 v80, 0x800, v5
	v_add_nc_u32_e32 v79, 0x1400, v81
	s_add_i32 s8, s14, -8
	s_mov_b32 s9, 8
	s_mov_b32 s11, 0
	v_lshlrev_b64 v[4:5], 2, v[82:83]
	v_add_co_u32 v81, vcc_lo, s18, v2
	v_add_co_ci_u32_e64 v82, null, s19, v3, vcc_lo
	v_mov_b32_e32 v3, 0
	v_add_co_u32 v83, vcc_lo, s16, v4
	v_add_co_ci_u32_e64 v84, null, s17, v5, vcc_lo
.LBB47_16:                              ; =>This Loop Header: Depth=1
                                        ;     Child Loop BB47_21 Depth 2
                                        ;     Child Loop BB47_27 Depth 2
	s_mov_b32 s14, -1
	s_mov_b32 vcc_lo, s1
                                        ; implicit-def: $vgpr4_vgpr5
	s_cbranch_vccz .LBB47_18
; %bb.17:                               ;   in Loop: Header=BB47_16 Depth=1
	v_mov_b32_e32 v4, v3
	s_mov_b32 s14, 0
.LBB47_18:                              ;   in Loop: Header=BB47_16 Depth=1
	v_mov_b32_e32 v2, 0
	v_mov_b32_e32 v5, 0
	s_andn2_b32 vcc_lo, exec_lo, s14
	s_cbranch_vccnz .LBB47_20
; %bb.19:                               ;   in Loop: Header=BB47_16 Depth=1
	v_add_nc_u32_e32 v85, s9, v13
	v_mad_u64_u32 v[4:5], null, v85, s21, 0
	v_mov_b32_e32 v2, v5
	v_mad_u64_u32 v[85:86], null, v85, s22, v[2:3]
	v_or_b32_e32 v2, s9, v12
	v_mov_b32_e32 v5, v85
	v_lshlrev_b64 v[85:86], 2, v[2:3]
	v_lshlrev_b64 v[4:5], 2, v[4:5]
	v_add_co_u32 v85, vcc_lo, v83, v85
	v_add_co_ci_u32_e64 v86, null, v84, v86, vcc_lo
	v_add_co_u32 v4, vcc_lo, v81, v4
	v_add_co_ci_u32_e64 v5, null, v82, v5, vcc_lo
	flat_load_dword v2, v[85:86]
	s_clause 0x1
	flat_load_dword v85, v[4:5]
	flat_load_dword v5, v[4:5] offset:256
	s_waitcnt vmcnt(2) lgkmcnt(2)
	v_mul_f32_e32 v2, s15, v2
	s_waitcnt vmcnt(1) lgkmcnt(1)
	v_mul_f32_e32 v4, s15, v85
	;; [unrolled: 2-line block ×3, first 2 shown]
.LBB47_20:                              ;   in Loop: Header=BB47_16 Depth=1
	s_mov_b32 s16, 0
	s_mov_b32 s14, -1
.LBB47_21:                              ;   Parent Loop BB47_16 Depth=1
                                        ; =>  This Inner Loop Header: Depth=2
	s_lshl_b32 s16, s16, 2
	v_cndmask_b32_e64 v85, 0, 1, s14
	v_add_nc_u32_e32 v105, s16, v78
	v_add_nc_u32_e32 v101, s16, v77
	s_mov_b32 s14, 0
	s_mov_b32 s16, 2
	v_cmp_ne_u32_e32 vcc_lo, 1, v85
	ds_read2st64_b64 v[85:88], v105 offset1:1
	ds_read2_b64 v[89:92], v101 offset1:16
	ds_read2_b64 v[93:96], v101 offset0:32 offset1:48
	ds_read2_b64 v[97:100], v101 offset0:64 offset1:80
	ds_read2_b64 v[101:104], v101 offset0:96 offset1:112
	ds_read2st64_b64 v[105:108], v105 offset0:2 offset1:3
	s_and_b32 vcc_lo, exec_lo, vcc_lo
	s_waitcnt lgkmcnt(5)
	v_max_f32_e32 v85, v85, v85
	s_waitcnt lgkmcnt(4)
	v_max_f32_e32 v89, v89, v89
	v_max_f32_e32 v86, v86, v86
	v_max_f32_e32 v90, v90, v90
	v_max_f32_e32 v91, v91, v91
	v_max_f32_e32 v92, v92, v92
	s_waitcnt lgkmcnt(3)
	v_max_f32_e32 v93, v93, v93
	v_max_f32_e32 v94, v94, v94
	v_max_f32_e32 v95, v95, v95
	v_max_f32_e32 v96, v96, v96
	s_waitcnt lgkmcnt(2)
	v_max_f32_e32 v97, v97, v97
	v_max_f32_e32 v98, v98, v98
	v_max_f32_e32 v99, v99, v99
	v_max_f32_e32 v100, v100, v100
	;; [unrolled: 5-line block ×3, first 2 shown]
	v_max_f32_e32 v87, v87, v87
	v_max_f32_e32 v88, v88, v88
	s_waitcnt lgkmcnt(0)
	v_max_f32_e32 v105, v105, v105
	v_max_f32_e32 v106, v106, v106
	;; [unrolled: 1-line block ×4, first 2 shown]
	v_min_f32_e32 v109, v89, v85
	v_min_f32_e32 v110, v90, v86
	;; [unrolled: 1-line block ×64, first 2 shown]
	v_add_f32_e32 v71, v110, v71
	v_add_f32_e32 v70, v109, v70
	;; [unrolled: 1-line block ×64, first 2 shown]
	s_cbranch_vccz .LBB47_21
; %bb.22:                               ;   in Loop: Header=BB47_16 Depth=1
	s_mov_b32 s14, -1
	s_mov_b32 vcc_lo, s1
	ds_write_b32 v76, v2
	ds_write2st64_b32 v73, v4, v5 offset1:4
	s_waitcnt lgkmcnt(0)
	s_barrier
	buffer_gl0_inv
                                        ; implicit-def: $vgpr4_vgpr5
	s_cbranch_vccz .LBB47_24
; %bb.23:                               ;   in Loop: Header=BB47_16 Depth=1
	v_mov_b32_e32 v4, v3
	s_mov_b32 s14, 0
.LBB47_24:                              ;   in Loop: Header=BB47_16 Depth=1
	v_mov_b32_e32 v2, 0
	v_mov_b32_e32 v5, 0
	s_andn2_b32 vcc_lo, exec_lo, s14
	s_cbranch_vccnz .LBB47_26
; %bb.25:                               ;   in Loop: Header=BB47_16 Depth=1
	v_add_nc_u32_e32 v85, s9, v72
	v_mad_u64_u32 v[4:5], null, v85, s21, 0
	v_mov_b32_e32 v2, v5
	v_mad_u64_u32 v[85:86], null, v85, s22, v[2:3]
	v_or_b32_e32 v2, s9, v12
	v_mov_b32_e32 v5, v85
	v_lshlrev_b64 v[85:86], 2, v[2:3]
	v_lshlrev_b64 v[4:5], 2, v[4:5]
	v_add_co_u32 v85, vcc_lo, v83, v85
	v_add_co_ci_u32_e64 v86, null, v84, v86, vcc_lo
	v_add_co_u32 v4, vcc_lo, v81, v4
	v_add_co_ci_u32_e64 v5, null, v82, v5, vcc_lo
	flat_load_dword v2, v[85:86] offset:16
	s_clause 0x1
	flat_load_dword v85, v[4:5]
	flat_load_dword v5, v[4:5] offset:256
	s_waitcnt vmcnt(2) lgkmcnt(2)
	v_mul_f32_e32 v2, s15, v2
	s_waitcnt vmcnt(1) lgkmcnt(1)
	v_mul_f32_e32 v4, s15, v85
	;; [unrolled: 2-line block ×3, first 2 shown]
.LBB47_26:                              ;   in Loop: Header=BB47_16 Depth=1
	s_mov_b32 s16, 0
	s_mov_b32 s14, -1
.LBB47_27:                              ;   Parent Loop BB47_16 Depth=1
                                        ; =>  This Inner Loop Header: Depth=2
	s_lshl_b32 s16, s16, 2
	v_cndmask_b32_e64 v85, 0, 1, s14
	v_add_nc_u32_e32 v105, s16, v75
	v_add_nc_u32_e32 v101, s16, v74
	s_mov_b32 s14, 0
	s_mov_b32 s16, 2
	v_cmp_ne_u32_e32 vcc_lo, 1, v85
	ds_read2st64_b64 v[85:88], v105 offset1:1
	ds_read2_b64 v[89:92], v101 offset1:16
	ds_read2_b64 v[93:96], v101 offset0:32 offset1:48
	ds_read2_b64 v[97:100], v101 offset0:64 offset1:80
	;; [unrolled: 1-line block ×3, first 2 shown]
	ds_read2st64_b64 v[105:108], v105 offset0:2 offset1:3
	s_and_b32 vcc_lo, exec_lo, vcc_lo
	s_waitcnt lgkmcnt(5)
	v_max_f32_e32 v85, v85, v85
	s_waitcnt lgkmcnt(4)
	v_max_f32_e32 v89, v89, v89
	v_max_f32_e32 v86, v86, v86
	;; [unrolled: 1-line block ×5, first 2 shown]
	s_waitcnt lgkmcnt(3)
	v_max_f32_e32 v93, v93, v93
	v_max_f32_e32 v94, v94, v94
	v_max_f32_e32 v95, v95, v95
	v_max_f32_e32 v96, v96, v96
	s_waitcnt lgkmcnt(2)
	v_max_f32_e32 v97, v97, v97
	v_max_f32_e32 v98, v98, v98
	v_max_f32_e32 v99, v99, v99
	v_max_f32_e32 v100, v100, v100
	;; [unrolled: 5-line block ×3, first 2 shown]
	v_max_f32_e32 v87, v87, v87
	v_max_f32_e32 v88, v88, v88
	s_waitcnt lgkmcnt(0)
	v_max_f32_e32 v105, v105, v105
	v_max_f32_e32 v106, v106, v106
	;; [unrolled: 1-line block ×4, first 2 shown]
	v_min_f32_e32 v109, v89, v85
	v_min_f32_e32 v110, v90, v86
	;; [unrolled: 1-line block ×64, first 2 shown]
	v_add_f32_e32 v71, v110, v71
	v_add_f32_e32 v70, v109, v70
	;; [unrolled: 1-line block ×64, first 2 shown]
	s_cbranch_vccz .LBB47_27
; %bb.28:                               ;   in Loop: Header=BB47_16 Depth=1
	s_add_i32 s11, s11, 8
	s_add_i32 s9, s9, 8
	s_cmp_ge_i32 s11, s8
	ds_write_b32 v79, v2
	ds_write2st64_b32 v80, v4, v5 offset1:4
	s_waitcnt lgkmcnt(0)
	s_barrier
	buffer_gl0_inv
	s_cbranch_scc0 .LBB47_16
.LBB47_29:
	s_mov_b32 s8, 0
	s_mov_b32 s1, -1
.LBB47_30:                              ; =>This Inner Loop Header: Depth=1
	s_lshl_b32 s8, s8, 2
	v_cndmask_b32_e64 v2, 0, 1, s1
	v_add_nc_u32_e32 v12, s8, v78
	v_add_nc_u32_e32 v13, s8, v77
	s_mov_b32 s1, 0
	s_mov_b32 s8, 2
	v_cmp_ne_u32_e32 vcc_lo, 1, v2
	ds_read2st64_b64 v[2:5], v12 offset1:1
	ds_read2_b64 v[72:75], v13 offset1:16
	ds_read2_b64 v[79:82], v13 offset0:32 offset1:48
	ds_read2_b64 v[83:86], v13 offset0:64 offset1:80
	;; [unrolled: 1-line block ×3, first 2 shown]
	ds_read2st64_b64 v[91:94], v12 offset0:2 offset1:3
	s_and_b32 vcc_lo, exec_lo, vcc_lo
	s_waitcnt lgkmcnt(5)
	v_max_f32_e32 v2, v2, v2
	s_waitcnt lgkmcnt(4)
	v_max_f32_e32 v12, v72, v72
	v_max_f32_e32 v3, v3, v3
	;; [unrolled: 1-line block ×5, first 2 shown]
	s_waitcnt lgkmcnt(3)
	v_max_f32_e32 v74, v79, v79
	v_max_f32_e32 v75, v80, v80
	v_max_f32_e32 v76, v81, v81
	v_max_f32_e32 v79, v82, v82
	s_waitcnt lgkmcnt(2)
	v_max_f32_e32 v80, v83, v83
	v_max_f32_e32 v81, v84, v84
	v_max_f32_e32 v82, v85, v85
	v_max_f32_e32 v83, v86, v86
	;; [unrolled: 5-line block ×3, first 2 shown]
	v_max_f32_e32 v4, v4, v4
	v_max_f32_e32 v5, v5, v5
	s_waitcnt lgkmcnt(0)
	v_max_f32_e32 v88, v91, v91
	v_max_f32_e32 v89, v92, v92
	;; [unrolled: 1-line block ×4, first 2 shown]
	v_min_f32_e32 v92, v12, v2
	v_min_f32_e32 v93, v13, v3
	;; [unrolled: 1-line block ×64, first 2 shown]
	v_add_f32_e32 v71, v93, v71
	v_add_f32_e32 v70, v92, v70
	;; [unrolled: 1-line block ×64, first 2 shown]
	s_cbranch_vccz .LBB47_30
; %bb.31:
	s_load_dword s8, s[4:5], 0x50
	v_add_nc_u32_e32 v72, s10, v1
	v_add_nc_u32_e32 v12, s3, v0
	v_cndmask_b32_e64 v0, 0, 1, s2
	v_mov_b32_e32 v4, 0
	v_ashrrev_i32_e32 v13, 31, v12
	v_cmp_ne_u32_e64 s1, 1, v0
	s_waitcnt lgkmcnt(0)
	v_mad_i64_i32 v[1:2], null, v72, s8, 0
	v_lshlrev_b64 v[2:3], 2, v[1:2]
	v_lshlrev_b64 v[0:1], 2, v[12:13]
	v_add_co_u32 v73, vcc_lo, s12, v2
	v_add_co_ci_u32_e64 v74, null, s13, v3, vcc_lo
	v_mov_b32_e32 v2, 0
	s_andn2_b32 vcc_lo, exec_lo, s2
	s_cbranch_vccnz .LBB47_33
; %bb.32:
	v_add_co_u32 v2, vcc_lo, v73, v0
	v_add_co_ci_u32_e64 v3, null, v74, v1, vcc_lo
	flat_load_dword v2, v[2:3]
	s_waitcnt vmcnt(0) lgkmcnt(0)
	v_mul_f32_e32 v2, s20, v2
.LBB47_33:
	s_clause 0x1
	s_load_dword s2, s[4:5], 0x68
	s_load_dwordx2 s[4:5], s[4:5], 0x70
	v_add_f32_e32 v3, v70, v71
	v_add_nc_u32_e32 v77, 8, v12
	v_add_f32_e32 v5, v3, v2
	v_ashrrev_i32_e32 v78, 31, v77
	v_lshlrev_b64 v[2:3], 2, v[77:78]
	s_waitcnt lgkmcnt(0)
	v_mad_i64_i32 v[75:76], null, v72, s2, 0
	s_lshl_b64 s[4:5], s[4:5], 2
	s_add_u32 s3, s6, s4
	s_addc_u32 s4, s7, s5
	v_lshlrev_b64 v[70:71], 2, v[75:76]
	v_add_co_u32 v70, vcc_lo, s3, v70
	v_add_co_ci_u32_e64 v71, null, s4, v71, vcc_lo
	v_add_co_u32 v75, vcc_lo, v70, v0
	v_add_co_ci_u32_e64 v76, null, v71, v1, vcc_lo
	s_and_b32 vcc_lo, exec_lo, s1
	flat_store_dword v[75:76], v5
	s_cbranch_vccnz .LBB47_35
; %bb.34:
	v_add_co_u32 v4, vcc_lo, v73, v2
	v_add_co_ci_u32_e64 v5, null, v74, v3, vcc_lo
	flat_load_dword v4, v[4:5]
	s_waitcnt vmcnt(0) lgkmcnt(0)
	v_mul_f32_e32 v4, s20, v4
.LBB47_35:
	v_add_nc_u32_e32 v75, 16, v12
	v_add_f32_e32 v5, v68, v69
	v_add_co_u32 v77, vcc_lo, v70, v2
	v_add_co_ci_u32_e64 v78, null, v71, v3, vcc_lo
	v_ashrrev_i32_e32 v76, 31, v75
	v_add_f32_e32 v69, v5, v4
	v_mov_b32_e32 v13, 0
	v_mov_b32_e32 v68, 0
	s_and_b32 vcc_lo, exec_lo, s1
	v_lshlrev_b64 v[4:5], 2, v[75:76]
	flat_store_dword v[77:78], v69
	s_cbranch_vccnz .LBB47_37
; %bb.36:
	v_add_co_u32 v68, vcc_lo, v73, v4
	v_add_co_ci_u32_e64 v69, null, v74, v5, vcc_lo
	flat_load_dword v68, v[68:69]
	s_waitcnt vmcnt(0) lgkmcnt(0)
	v_mul_f32_e32 v68, s20, v68
.LBB47_37:
	v_add_nc_u32_e32 v75, 24, v12
	v_add_f32_e32 v6, v6, v7
	v_ashrrev_i32_e32 v76, 31, v75
	v_add_f32_e32 v77, v6, v68
	v_add_co_u32 v68, vcc_lo, v70, v4
	v_add_co_ci_u32_e64 v69, null, v71, v5, vcc_lo
	v_lshlrev_b64 v[6:7], 2, v[75:76]
	s_and_b32 vcc_lo, exec_lo, s1
	flat_store_dword v[68:69], v77
	s_cbranch_vccnz .LBB47_39
; %bb.38:
	v_add_co_u32 v68, vcc_lo, v73, v6
	v_add_co_ci_u32_e64 v69, null, v74, v7, vcc_lo
	flat_load_dword v13, v[68:69]
	s_waitcnt vmcnt(0) lgkmcnt(0)
	v_mul_f32_e32 v13, s20, v13
.LBB47_39:
	v_add_nc_u32_e32 v68, 32, v12
	v_add_f32_e32 v10, v10, v11
	v_add_co_u32 v75, vcc_lo, v70, v6
	v_add_co_ci_u32_e64 v76, null, v71, v7, vcc_lo
	v_ashrrev_i32_e32 v69, 31, v68
	v_add_f32_e32 v77, v10, v13
	v_mov_b32_e32 v13, 0
	s_and_b32 vcc_lo, exec_lo, s1
	v_lshlrev_b64 v[10:11], 2, v[68:69]
	v_mov_b32_e32 v68, 0
	flat_store_dword v[75:76], v77
	s_cbranch_vccnz .LBB47_41
; %bb.40:
	v_add_co_u32 v68, vcc_lo, v73, v10
	v_add_co_ci_u32_e64 v69, null, v74, v11, vcc_lo
	flat_load_dword v68, v[68:69]
	s_waitcnt vmcnt(0) lgkmcnt(0)
	v_mul_f32_e32 v68, s20, v68
.LBB47_41:
	v_add_nc_u32_e32 v75, 40, v12
	v_add_f32_e32 v14, v14, v15
	v_ashrrev_i32_e32 v76, 31, v75
	v_add_f32_e32 v77, v14, v68
	v_add_co_u32 v68, vcc_lo, v70, v10
	v_add_co_ci_u32_e64 v69, null, v71, v11, vcc_lo
	v_lshlrev_b64 v[14:15], 2, v[75:76]
	s_and_b32 vcc_lo, exec_lo, s1
	flat_store_dword v[68:69], v77
	s_cbranch_vccnz .LBB47_43
; %bb.42:
	v_add_co_u32 v68, vcc_lo, v73, v14
	v_add_co_ci_u32_e64 v69, null, v74, v15, vcc_lo
	flat_load_dword v13, v[68:69]
	s_waitcnt vmcnt(0) lgkmcnt(0)
	v_mul_f32_e32 v13, s20, v13
.LBB47_43:
	v_add_nc_u32_e32 v75, 48, v12
	v_add_f32_e32 v8, v8, v9
	v_add_co_u32 v77, vcc_lo, v70, v14
	v_add_co_ci_u32_e64 v78, null, v71, v15, vcc_lo
	v_ashrrev_i32_e32 v76, 31, v75
	v_add_f32_e32 v69, v8, v13
	v_mov_b32_e32 v68, 0
	v_mov_b32_e32 v13, 0
	s_and_b32 vcc_lo, exec_lo, s1
	v_lshlrev_b64 v[8:9], 2, v[75:76]
	flat_store_dword v[77:78], v69
	s_cbranch_vccnz .LBB47_45
; %bb.44:
	v_add_co_u32 v75, vcc_lo, v73, v8
	v_add_co_ci_u32_e64 v76, null, v74, v9, vcc_lo
	flat_load_dword v13, v[75:76]
	s_waitcnt vmcnt(0) lgkmcnt(0)
	v_mul_f32_e32 v13, s20, v13
.LBB47_45:
	v_add_nc_u32_e32 v75, 56, v12
	v_add_f32_e32 v12, v66, v67
	v_add_co_u32 v66, vcc_lo, v70, v8
	v_add_co_ci_u32_e64 v67, null, v71, v9, vcc_lo
	v_ashrrev_i32_e32 v76, 31, v75
	v_add_f32_e32 v69, v12, v13
	s_and_b32 vcc_lo, exec_lo, s1
	v_lshlrev_b64 v[12:13], 2, v[75:76]
	flat_store_dword v[66:67], v69
	s_cbranch_vccnz .LBB47_47
; %bb.46:
	v_add_co_u32 v66, vcc_lo, v73, v12
	v_add_co_ci_u32_e64 v67, null, v74, v13, vcc_lo
	flat_load_dword v66, v[66:67]
	s_waitcnt vmcnt(0) lgkmcnt(0)
	v_mul_f32_e32 v68, s20, v66
.LBB47_47:
	v_add_nc_u32_e32 v67, 32, v72
	v_add_f32_e32 v75, v64, v65
	v_add_co_u32 v69, vcc_lo, v70, v12
	v_add_co_ci_u32_e64 v70, null, v71, v13, vcc_lo
	v_mad_i64_i32 v[73:74], null, v67, s8, 0
	v_mov_b32_e32 v66, 0
	v_add_f32_e32 v71, v75, v68
	v_mov_b32_e32 v68, 0
	flat_store_dword v[69:70], v71
	v_lshlrev_b64 v[64:65], 2, v[73:74]
	v_add_co_u32 v64, vcc_lo, s12, v64
	v_add_co_ci_u32_e64 v65, null, s13, v65, vcc_lo
	s_and_b32 vcc_lo, exec_lo, s1
	s_cbranch_vccnz .LBB47_49
; %bb.48:
	v_add_co_u32 v68, vcc_lo, v64, v0
	v_add_co_ci_u32_e64 v69, null, v65, v1, vcc_lo
	flat_load_dword v68, v[68:69]
	s_waitcnt vmcnt(0) lgkmcnt(0)
	v_mul_f32_e32 v68, s20, v68
.LBB47_49:
	v_mad_i64_i32 v[69:70], null, v67, s2, 0
	v_add_f32_e32 v67, v62, v63
	v_lshlrev_b64 v[69:70], 2, v[69:70]
	v_add_co_u32 v62, vcc_lo, s3, v69
	v_add_co_ci_u32_e64 v63, null, s4, v70, vcc_lo
	v_add_f32_e32 v69, v67, v68
	v_add_co_u32 v67, vcc_lo, v62, v0
	v_add_co_ci_u32_e64 v68, null, v63, v1, vcc_lo
	s_and_b32 vcc_lo, exec_lo, s1
	flat_store_dword v[67:68], v69
	s_cbranch_vccnz .LBB47_51
; %bb.50:
	v_add_co_u32 v66, vcc_lo, v64, v2
	v_add_co_ci_u32_e64 v67, null, v65, v3, vcc_lo
	flat_load_dword v66, v[66:67]
	s_waitcnt vmcnt(0) lgkmcnt(0)
	v_mul_f32_e32 v66, s20, v66
.LBB47_51:
	v_add_f32_e32 v60, v60, v61
	v_add_co_u32 v67, vcc_lo, v62, v2
	v_add_co_ci_u32_e64 v68, null, v63, v3, vcc_lo
	v_add_f32_e32 v66, v60, v66
	v_mov_b32_e32 v60, 0
	v_mov_b32_e32 v61, 0
	s_and_b32 vcc_lo, exec_lo, s1
	flat_store_dword v[67:68], v66
	s_cbranch_vccnz .LBB47_53
; %bb.52:
	v_add_co_u32 v66, vcc_lo, v64, v4
	v_add_co_ci_u32_e64 v67, null, v65, v5, vcc_lo
	flat_load_dword v61, v[66:67]
	s_waitcnt vmcnt(0) lgkmcnt(0)
	v_mul_f32_e32 v61, s20, v61
.LBB47_53:
	v_add_f32_e32 v58, v58, v59
	v_add_f32_e32 v61, v58, v61
	v_add_co_u32 v58, vcc_lo, v62, v4
	v_add_co_ci_u32_e64 v59, null, v63, v5, vcc_lo
	s_and_b32 vcc_lo, exec_lo, s1
	flat_store_dword v[58:59], v61
	s_cbranch_vccnz .LBB47_55
; %bb.54:
	v_add_co_u32 v58, vcc_lo, v64, v6
	v_add_co_ci_u32_e64 v59, null, v65, v7, vcc_lo
	flat_load_dword v58, v[58:59]
	s_waitcnt vmcnt(0) lgkmcnt(0)
	v_mul_f32_e32 v60, s20, v58
.LBB47_55:
	v_add_f32_e32 v56, v56, v57
	v_add_co_u32 v58, vcc_lo, v62, v6
	v_add_co_ci_u32_e64 v59, null, v63, v7, vcc_lo
	v_add_f32_e32 v60, v56, v60
	v_mov_b32_e32 v56, 0
	v_mov_b32_e32 v57, 0
	s_and_b32 vcc_lo, exec_lo, s1
	flat_store_dword v[58:59], v60
	s_cbranch_vccnz .LBB47_57
; %bb.56:
	v_add_co_u32 v57, vcc_lo, v64, v10
	v_add_co_ci_u32_e64 v58, null, v65, v11, vcc_lo
	flat_load_dword v57, v[57:58]
	s_waitcnt vmcnt(0) lgkmcnt(0)
	v_mul_f32_e32 v57, s20, v57
.LBB47_57:
	v_add_f32_e32 v54, v54, v55
	;; [unrolled: 30-line block ×3, first 2 shown]
	v_add_f32_e32 v53, v50, v53
	v_add_co_u32 v50, vcc_lo, v62, v8
	v_add_co_ci_u32_e64 v51, null, v63, v9, vcc_lo
	s_and_b32 vcc_lo, exec_lo, s1
	flat_store_dword v[50:51], v53
	s_cbranch_vccnz .LBB47_63
; %bb.62:
	v_add_co_u32 v50, vcc_lo, v64, v12
	v_add_co_ci_u32_e64 v51, null, v65, v13, vcc_lo
	flat_load_dword v50, v[50:51]
	s_waitcnt vmcnt(0) lgkmcnt(0)
	v_mul_f32_e32 v52, s20, v50
.LBB47_63:
	v_add_nc_u32_e32 v51, 64, v72
	v_add_f32_e32 v55, v48, v49
	v_mov_b32_e32 v50, 0
	v_mad_i64_i32 v[53:54], null, v51, s8, 0
	v_add_f32_e32 v55, v55, v52
	v_mov_b32_e32 v52, 0
	v_lshlrev_b64 v[48:49], 2, v[53:54]
	v_add_co_u32 v53, vcc_lo, v62, v12
	v_add_co_ci_u32_e64 v54, null, v63, v13, vcc_lo
	v_add_co_u32 v48, vcc_lo, s12, v48
	v_add_co_ci_u32_e64 v49, null, s13, v49, vcc_lo
	s_and_b32 vcc_lo, exec_lo, s1
	flat_store_dword v[53:54], v55
	s_cbranch_vccnz .LBB47_65
; %bb.64:
	v_add_co_u32 v52, vcc_lo, v48, v0
	v_add_co_ci_u32_e64 v53, null, v49, v1, vcc_lo
	flat_load_dword v52, v[52:53]
	s_waitcnt vmcnt(0) lgkmcnt(0)
	v_mul_f32_e32 v52, s20, v52
.LBB47_65:
	v_mad_i64_i32 v[53:54], null, v51, s2, 0
	v_add_f32_e32 v51, v46, v47
	v_lshlrev_b64 v[53:54], 2, v[53:54]
	v_add_co_u32 v46, vcc_lo, s3, v53
	v_add_co_ci_u32_e64 v47, null, s4, v54, vcc_lo
	v_add_f32_e32 v53, v51, v52
	v_add_co_u32 v51, vcc_lo, v46, v0
	v_add_co_ci_u32_e64 v52, null, v47, v1, vcc_lo
	s_and_b32 vcc_lo, exec_lo, s1
	flat_store_dword v[51:52], v53
	s_cbranch_vccnz .LBB47_67
; %bb.66:
	v_add_co_u32 v50, vcc_lo, v48, v2
	v_add_co_ci_u32_e64 v51, null, v49, v3, vcc_lo
	flat_load_dword v50, v[50:51]
	s_waitcnt vmcnt(0) lgkmcnt(0)
	v_mul_f32_e32 v50, s20, v50
.LBB47_67:
	v_add_f32_e32 v44, v44, v45
	v_add_co_u32 v51, vcc_lo, v46, v2
	v_add_co_ci_u32_e64 v52, null, v47, v3, vcc_lo
	v_add_f32_e32 v50, v44, v50
	v_mov_b32_e32 v44, 0
	v_mov_b32_e32 v45, 0
	s_and_b32 vcc_lo, exec_lo, s1
	flat_store_dword v[51:52], v50
	s_cbranch_vccnz .LBB47_69
; %bb.68:
	v_add_co_u32 v50, vcc_lo, v48, v4
	v_add_co_ci_u32_e64 v51, null, v49, v5, vcc_lo
	flat_load_dword v45, v[50:51]
	s_waitcnt vmcnt(0) lgkmcnt(0)
	v_mul_f32_e32 v45, s20, v45
.LBB47_69:
	v_add_f32_e32 v42, v42, v43
	v_add_f32_e32 v45, v42, v45
	v_add_co_u32 v42, vcc_lo, v46, v4
	v_add_co_ci_u32_e64 v43, null, v47, v5, vcc_lo
	s_and_b32 vcc_lo, exec_lo, s1
	flat_store_dword v[42:43], v45
	s_cbranch_vccnz .LBB47_71
; %bb.70:
	v_add_co_u32 v42, vcc_lo, v48, v6
	v_add_co_ci_u32_e64 v43, null, v49, v7, vcc_lo
	flat_load_dword v42, v[42:43]
	s_waitcnt vmcnt(0) lgkmcnt(0)
	v_mul_f32_e32 v44, s20, v42
.LBB47_71:
	v_add_f32_e32 v40, v40, v41
	v_add_co_u32 v42, vcc_lo, v46, v6
	v_add_co_ci_u32_e64 v43, null, v47, v7, vcc_lo
	v_add_f32_e32 v44, v40, v44
	v_mov_b32_e32 v40, 0
	v_mov_b32_e32 v41, 0
	s_and_b32 vcc_lo, exec_lo, s1
	flat_store_dword v[42:43], v44
	s_cbranch_vccnz .LBB47_73
; %bb.72:
	v_add_co_u32 v41, vcc_lo, v48, v10
	v_add_co_ci_u32_e64 v42, null, v49, v11, vcc_lo
	flat_load_dword v41, v[41:42]
	s_waitcnt vmcnt(0) lgkmcnt(0)
	v_mul_f32_e32 v41, s20, v41
.LBB47_73:
	v_add_f32_e32 v38, v38, v39
	;; [unrolled: 30-line block ×3, first 2 shown]
	v_add_f32_e32 v37, v34, v37
	v_add_co_u32 v34, vcc_lo, v46, v8
	v_add_co_ci_u32_e64 v35, null, v47, v9, vcc_lo
	s_and_b32 vcc_lo, exec_lo, s1
	flat_store_dword v[34:35], v37
	s_cbranch_vccnz .LBB47_79
; %bb.78:
	v_add_co_u32 v34, vcc_lo, v48, v12
	v_add_co_ci_u32_e64 v35, null, v49, v13, vcc_lo
	flat_load_dword v34, v[34:35]
	s_waitcnt vmcnt(0) lgkmcnt(0)
	v_mul_f32_e32 v36, s20, v34
.LBB47_79:
	v_add_nc_u32_e32 v35, 0x60, v72
	v_add_f32_e32 v39, v32, v33
	v_mov_b32_e32 v34, 0
	v_mad_i64_i32 v[37:38], null, v35, s8, 0
	v_add_f32_e32 v39, v39, v36
	v_mov_b32_e32 v36, 0
	v_lshlrev_b64 v[32:33], 2, v[37:38]
	v_add_co_u32 v37, vcc_lo, v46, v12
	v_add_co_ci_u32_e64 v38, null, v47, v13, vcc_lo
	v_add_co_u32 v32, vcc_lo, s12, v32
	v_add_co_ci_u32_e64 v33, null, s13, v33, vcc_lo
	s_and_b32 vcc_lo, exec_lo, s1
	flat_store_dword v[37:38], v39
	s_cbranch_vccnz .LBB47_81
; %bb.80:
	v_add_co_u32 v36, vcc_lo, v32, v0
	v_add_co_ci_u32_e64 v37, null, v33, v1, vcc_lo
	flat_load_dword v36, v[36:37]
	s_waitcnt vmcnt(0) lgkmcnt(0)
	v_mul_f32_e32 v36, s20, v36
.LBB47_81:
	v_mad_i64_i32 v[37:38], null, v35, s2, 0
	v_add_f32_e32 v35, v30, v31
	v_add_f32_e32 v35, v35, v36
	v_lshlrev_b64 v[37:38], 2, v[37:38]
	v_add_co_u32 v30, vcc_lo, s3, v37
	v_add_co_ci_u32_e64 v31, null, s4, v38, vcc_lo
	v_add_co_u32 v0, vcc_lo, v30, v0
	v_add_co_ci_u32_e64 v1, null, v31, v1, vcc_lo
	s_and_b32 vcc_lo, exec_lo, s1
	flat_store_dword v[0:1], v35
	s_cbranch_vccnz .LBB47_83
; %bb.82:
	v_add_co_u32 v0, vcc_lo, v32, v2
	v_add_co_ci_u32_e64 v1, null, v33, v3, vcc_lo
	flat_load_dword v0, v[0:1]
	s_waitcnt vmcnt(0) lgkmcnt(0)
	v_mul_f32_e32 v34, s20, v0
.LBB47_83:
	v_add_f32_e32 v0, v28, v29
	v_add_co_u32 v2, vcc_lo, v30, v2
	v_add_co_ci_u32_e64 v3, null, v31, v3, vcc_lo
	v_add_f32_e32 v28, v0, v34
	v_mov_b32_e32 v0, 0
	v_mov_b32_e32 v1, 0
	s_and_b32 vcc_lo, exec_lo, s1
	flat_store_dword v[2:3], v28
	s_cbranch_vccnz .LBB47_85
; %bb.84:
	v_add_co_u32 v1, vcc_lo, v32, v4
	v_add_co_ci_u32_e64 v2, null, v33, v5, vcc_lo
	flat_load_dword v1, v[1:2]
	s_waitcnt vmcnt(0) lgkmcnt(0)
	v_mul_f32_e32 v1, s20, v1
.LBB47_85:
	v_add_f32_e32 v2, v26, v27
	v_add_f32_e32 v3, v2, v1
	v_add_co_u32 v1, vcc_lo, v30, v4
	v_add_co_ci_u32_e64 v2, null, v31, v5, vcc_lo
	s_and_b32 vcc_lo, exec_lo, s1
	flat_store_dword v[1:2], v3
	s_cbranch_vccnz .LBB47_87
; %bb.86:
	v_add_co_u32 v0, vcc_lo, v32, v6
	v_add_co_ci_u32_e64 v1, null, v33, v7, vcc_lo
	flat_load_dword v0, v[0:1]
	s_waitcnt vmcnt(0) lgkmcnt(0)
	v_mul_f32_e32 v0, s20, v0
.LBB47_87:
	v_add_f32_e32 v1, v24, v25
	v_add_co_u32 v2, vcc_lo, v30, v6
	v_add_co_ci_u32_e64 v3, null, v31, v7, vcc_lo
	v_add_f32_e32 v4, v1, v0
	v_mov_b32_e32 v0, 0
	v_mov_b32_e32 v1, 0
	s_and_b32 vcc_lo, exec_lo, s1
	flat_store_dword v[2:3], v4
	s_cbranch_vccnz .LBB47_89
; %bb.88:
	v_add_co_u32 v1, vcc_lo, v32, v10
	v_add_co_ci_u32_e64 v2, null, v33, v11, vcc_lo
	flat_load_dword v1, v[1:2]
	s_waitcnt vmcnt(0) lgkmcnt(0)
	v_mul_f32_e32 v1, s20, v1
.LBB47_89:
	v_add_f32_e32 v2, v22, v23
	v_add_f32_e32 v3, v2, v1
	v_add_co_u32 v1, vcc_lo, v30, v10
	v_add_co_ci_u32_e64 v2, null, v31, v11, vcc_lo
	s_and_b32 vcc_lo, exec_lo, s1
	flat_store_dword v[1:2], v3
	s_cbranch_vccnz .LBB47_91
; %bb.90:
	v_add_co_u32 v0, vcc_lo, v32, v14
	v_add_co_ci_u32_e64 v1, null, v33, v15, vcc_lo
	flat_load_dword v0, v[0:1]
	s_waitcnt vmcnt(0) lgkmcnt(0)
	v_mul_f32_e32 v0, s20, v0
.LBB47_91:
	v_add_f32_e32 v3, v20, v21
	v_add_co_u32 v1, vcc_lo, v30, v14
	v_add_co_ci_u32_e64 v2, null, v31, v15, vcc_lo
	v_add_f32_e32 v3, v3, v0
	v_add_f32_e32 v0, v18, v19
	s_mov_b32 s1, -1
	s_mov_b32 vcc_lo, s0
	flat_store_dword v[1:2], v3
	s_cbranch_vccz .LBB47_93
; %bb.92:
	v_add_co_u32 v1, vcc_lo, v30, v8
	v_add_f32_e32 v3, 0, v0
	v_add_co_ci_u32_e64 v2, null, v31, v9, vcc_lo
	s_mov_b32 s1, 0
	flat_store_dword v[1:2], v3
.LBB47_93:
	v_mov_b32_e32 v1, 0
	s_andn2_b32 vcc_lo, exec_lo, s1
	s_cbranch_vccnz .LBB47_95
; %bb.94:
	v_add_co_u32 v1, vcc_lo, v32, v8
	v_add_co_ci_u32_e64 v2, null, v33, v9, vcc_lo
	flat_load_dword v3, v[1:2]
	v_add_co_u32 v1, vcc_lo, v30, v8
	v_add_co_ci_u32_e64 v2, null, v31, v9, vcc_lo
	s_waitcnt vmcnt(0) lgkmcnt(0)
	v_fmac_f32_e32 v0, s20, v3
	v_add_co_u32 v3, vcc_lo, v32, v12
	v_add_co_ci_u32_e64 v4, null, v33, v13, vcc_lo
	flat_store_dword v[1:2], v0
	flat_load_dword v0, v[3:4]
	s_waitcnt vmcnt(0) lgkmcnt(0)
	v_mul_f32_e32 v1, s20, v0
.LBB47_95:
	v_add_f32_e32 v0, v16, v17
	v_add_f32_e32 v2, v0, v1
	v_add_co_u32 v0, vcc_lo, v30, v12
	v_add_co_ci_u32_e64 v1, null, v31, v13, vcc_lo
	flat_store_dword v[0:1], v2
	s_endpgm
	.section	.rodata,"a",@progbits
	.p2align	6, 0x0
	.amdhsa_kernel _ZN12_GLOBAL__N_120geam_min_plus_kernelIf15HIP_vector_typeIfLj2EES2_Li8ELi32ELi64ELi128ELi4ELi4ELi64ELi64ELi4ELc84ELc84ELb0ELb0ELb0EfKPKfKPfEEviiiT16_PT17_ilSA_ilS8_SA_ilPT18_ili26rocblas_geam_ex_operation_
		.amdhsa_group_segment_fixed_size 6144
		.amdhsa_private_segment_fixed_size 0
		.amdhsa_kernarg_size 128
		.amdhsa_user_sgpr_count 6
		.amdhsa_user_sgpr_private_segment_buffer 1
		.amdhsa_user_sgpr_dispatch_ptr 0
		.amdhsa_user_sgpr_queue_ptr 0
		.amdhsa_user_sgpr_kernarg_segment_ptr 1
		.amdhsa_user_sgpr_dispatch_id 0
		.amdhsa_user_sgpr_flat_scratch_init 0
		.amdhsa_user_sgpr_private_segment_size 0
		.amdhsa_wavefront_size32 1
		.amdhsa_uses_dynamic_stack 0
		.amdhsa_system_sgpr_private_segment_wavefront_offset 0
		.amdhsa_system_sgpr_workgroup_id_x 1
		.amdhsa_system_sgpr_workgroup_id_y 0
		.amdhsa_system_sgpr_workgroup_id_z 1
		.amdhsa_system_sgpr_workgroup_info 0
		.amdhsa_system_vgpr_workitem_id 1
		.amdhsa_next_free_vgpr 151
		.amdhsa_next_free_sgpr 25
		.amdhsa_reserve_vcc 1
		.amdhsa_reserve_flat_scratch 1
		.amdhsa_float_round_mode_32 0
		.amdhsa_float_round_mode_16_64 0
		.amdhsa_float_denorm_mode_32 3
		.amdhsa_float_denorm_mode_16_64 3
		.amdhsa_dx10_clamp 1
		.amdhsa_ieee_mode 1
		.amdhsa_fp16_overflow 0
		.amdhsa_workgroup_processor_mode 1
		.amdhsa_memory_ordered 1
		.amdhsa_forward_progress 1
		.amdhsa_shared_vgpr_count 0
		.amdhsa_exception_fp_ieee_invalid_op 0
		.amdhsa_exception_fp_denorm_src 0
		.amdhsa_exception_fp_ieee_div_zero 0
		.amdhsa_exception_fp_ieee_overflow 0
		.amdhsa_exception_fp_ieee_underflow 0
		.amdhsa_exception_fp_ieee_inexact 0
		.amdhsa_exception_int_div_zero 0
	.end_amdhsa_kernel
	.section	.text._ZN12_GLOBAL__N_120geam_min_plus_kernelIf15HIP_vector_typeIfLj2EES2_Li8ELi32ELi64ELi128ELi4ELi4ELi64ELi64ELi4ELc84ELc84ELb0ELb0ELb0EfKPKfKPfEEviiiT16_PT17_ilSA_ilS8_SA_ilPT18_ili26rocblas_geam_ex_operation_,"axG",@progbits,_ZN12_GLOBAL__N_120geam_min_plus_kernelIf15HIP_vector_typeIfLj2EES2_Li8ELi32ELi64ELi128ELi4ELi4ELi64ELi64ELi4ELc84ELc84ELb0ELb0ELb0EfKPKfKPfEEviiiT16_PT17_ilSA_ilS8_SA_ilPT18_ili26rocblas_geam_ex_operation_,comdat
.Lfunc_end47:
	.size	_ZN12_GLOBAL__N_120geam_min_plus_kernelIf15HIP_vector_typeIfLj2EES2_Li8ELi32ELi64ELi128ELi4ELi4ELi64ELi64ELi4ELc84ELc84ELb0ELb0ELb0EfKPKfKPfEEviiiT16_PT17_ilSA_ilS8_SA_ilPT18_ili26rocblas_geam_ex_operation_, .Lfunc_end47-_ZN12_GLOBAL__N_120geam_min_plus_kernelIf15HIP_vector_typeIfLj2EES2_Li8ELi32ELi64ELi128ELi4ELi4ELi64ELi64ELi4ELc84ELc84ELb0ELb0ELb0EfKPKfKPfEEviiiT16_PT17_ilSA_ilS8_SA_ilPT18_ili26rocblas_geam_ex_operation_
                                        ; -- End function
	.set _ZN12_GLOBAL__N_120geam_min_plus_kernelIf15HIP_vector_typeIfLj2EES2_Li8ELi32ELi64ELi128ELi4ELi4ELi64ELi64ELi4ELc84ELc84ELb0ELb0ELb0EfKPKfKPfEEviiiT16_PT17_ilSA_ilS8_SA_ilPT18_ili26rocblas_geam_ex_operation_.num_vgpr, 151
	.set _ZN12_GLOBAL__N_120geam_min_plus_kernelIf15HIP_vector_typeIfLj2EES2_Li8ELi32ELi64ELi128ELi4ELi4ELi64ELi64ELi4ELc84ELc84ELb0ELb0ELb0EfKPKfKPfEEviiiT16_PT17_ilSA_ilS8_SA_ilPT18_ili26rocblas_geam_ex_operation_.num_agpr, 0
	.set _ZN12_GLOBAL__N_120geam_min_plus_kernelIf15HIP_vector_typeIfLj2EES2_Li8ELi32ELi64ELi128ELi4ELi4ELi64ELi64ELi4ELc84ELc84ELb0ELb0ELb0EfKPKfKPfEEviiiT16_PT17_ilSA_ilS8_SA_ilPT18_ili26rocblas_geam_ex_operation_.numbered_sgpr, 25
	.set _ZN12_GLOBAL__N_120geam_min_plus_kernelIf15HIP_vector_typeIfLj2EES2_Li8ELi32ELi64ELi128ELi4ELi4ELi64ELi64ELi4ELc84ELc84ELb0ELb0ELb0EfKPKfKPfEEviiiT16_PT17_ilSA_ilS8_SA_ilPT18_ili26rocblas_geam_ex_operation_.num_named_barrier, 0
	.set _ZN12_GLOBAL__N_120geam_min_plus_kernelIf15HIP_vector_typeIfLj2EES2_Li8ELi32ELi64ELi128ELi4ELi4ELi64ELi64ELi4ELc84ELc84ELb0ELb0ELb0EfKPKfKPfEEviiiT16_PT17_ilSA_ilS8_SA_ilPT18_ili26rocblas_geam_ex_operation_.private_seg_size, 0
	.set _ZN12_GLOBAL__N_120geam_min_plus_kernelIf15HIP_vector_typeIfLj2EES2_Li8ELi32ELi64ELi128ELi4ELi4ELi64ELi64ELi4ELc84ELc84ELb0ELb0ELb0EfKPKfKPfEEviiiT16_PT17_ilSA_ilS8_SA_ilPT18_ili26rocblas_geam_ex_operation_.uses_vcc, 1
	.set _ZN12_GLOBAL__N_120geam_min_plus_kernelIf15HIP_vector_typeIfLj2EES2_Li8ELi32ELi64ELi128ELi4ELi4ELi64ELi64ELi4ELc84ELc84ELb0ELb0ELb0EfKPKfKPfEEviiiT16_PT17_ilSA_ilS8_SA_ilPT18_ili26rocblas_geam_ex_operation_.uses_flat_scratch, 1
	.set _ZN12_GLOBAL__N_120geam_min_plus_kernelIf15HIP_vector_typeIfLj2EES2_Li8ELi32ELi64ELi128ELi4ELi4ELi64ELi64ELi4ELc84ELc84ELb0ELb0ELb0EfKPKfKPfEEviiiT16_PT17_ilSA_ilS8_SA_ilPT18_ili26rocblas_geam_ex_operation_.has_dyn_sized_stack, 0
	.set _ZN12_GLOBAL__N_120geam_min_plus_kernelIf15HIP_vector_typeIfLj2EES2_Li8ELi32ELi64ELi128ELi4ELi4ELi64ELi64ELi4ELc84ELc84ELb0ELb0ELb0EfKPKfKPfEEviiiT16_PT17_ilSA_ilS8_SA_ilPT18_ili26rocblas_geam_ex_operation_.has_recursion, 0
	.set _ZN12_GLOBAL__N_120geam_min_plus_kernelIf15HIP_vector_typeIfLj2EES2_Li8ELi32ELi64ELi128ELi4ELi4ELi64ELi64ELi4ELc84ELc84ELb0ELb0ELb0EfKPKfKPfEEviiiT16_PT17_ilSA_ilS8_SA_ilPT18_ili26rocblas_geam_ex_operation_.has_indirect_call, 0
	.section	.AMDGPU.csdata,"",@progbits
; Kernel info:
; codeLenInByte = 7664
; TotalNumSgprs: 27
; NumVgprs: 151
; ScratchSize: 0
; MemoryBound: 0
; FloatMode: 240
; IeeeMode: 1
; LDSByteSize: 6144 bytes/workgroup (compile time only)
; SGPRBlocks: 0
; VGPRBlocks: 18
; NumSGPRsForWavesPerEU: 27
; NumVGPRsForWavesPerEU: 151
; Occupancy: 6
; WaveLimiterHint : 1
; COMPUTE_PGM_RSRC2:SCRATCH_EN: 0
; COMPUTE_PGM_RSRC2:USER_SGPR: 6
; COMPUTE_PGM_RSRC2:TRAP_HANDLER: 0
; COMPUTE_PGM_RSRC2:TGID_X_EN: 1
; COMPUTE_PGM_RSRC2:TGID_Y_EN: 0
; COMPUTE_PGM_RSRC2:TGID_Z_EN: 1
; COMPUTE_PGM_RSRC2:TIDIG_COMP_CNT: 1
	.section	.text._ZN12_GLOBAL__N_120geam_min_plus_kernelIf15HIP_vector_typeIfLj2EES2_Li8ELi32ELi64ELi128ELi4ELi4ELi64ELi64ELi4ELc84ELc84ELb0ELb1ELb0EPKfKS4_KPfEEviiiT16_PT17_ilSA_ilS8_SA_ilPT18_ili26rocblas_geam_ex_operation_,"axG",@progbits,_ZN12_GLOBAL__N_120geam_min_plus_kernelIf15HIP_vector_typeIfLj2EES2_Li8ELi32ELi64ELi128ELi4ELi4ELi64ELi64ELi4ELc84ELc84ELb0ELb1ELb0EPKfKS4_KPfEEviiiT16_PT17_ilSA_ilS8_SA_ilPT18_ili26rocblas_geam_ex_operation_,comdat
	.globl	_ZN12_GLOBAL__N_120geam_min_plus_kernelIf15HIP_vector_typeIfLj2EES2_Li8ELi32ELi64ELi128ELi4ELi4ELi64ELi64ELi4ELc84ELc84ELb0ELb1ELb0EPKfKS4_KPfEEviiiT16_PT17_ilSA_ilS8_SA_ilPT18_ili26rocblas_geam_ex_operation_ ; -- Begin function _ZN12_GLOBAL__N_120geam_min_plus_kernelIf15HIP_vector_typeIfLj2EES2_Li8ELi32ELi64ELi128ELi4ELi4ELi64ELi64ELi4ELc84ELc84ELb0ELb1ELb0EPKfKS4_KPfEEviiiT16_PT17_ilSA_ilS8_SA_ilPT18_ili26rocblas_geam_ex_operation_
	.p2align	8
	.type	_ZN12_GLOBAL__N_120geam_min_plus_kernelIf15HIP_vector_typeIfLj2EES2_Li8ELi32ELi64ELi128ELi4ELi4ELi64ELi64ELi4ELc84ELc84ELb0ELb1ELb0EPKfKS4_KPfEEviiiT16_PT17_ilSA_ilS8_SA_ilPT18_ili26rocblas_geam_ex_operation_,@function
_ZN12_GLOBAL__N_120geam_min_plus_kernelIf15HIP_vector_typeIfLj2EES2_Li8ELi32ELi64ELi128ELi4ELi4ELi64ELi64ELi4ELc84ELc84ELb0ELb1ELb0EPKfKS4_KPfEEviiiT16_PT17_ilSA_ilS8_SA_ilPT18_ili26rocblas_geam_ex_operation_: ; @_ZN12_GLOBAL__N_120geam_min_plus_kernelIf15HIP_vector_typeIfLj2EES2_Li8ELi32ELi64ELi128ELi4ELi4ELi64ELi64ELi4ELc84ELc84ELb0ELb1ELb0EPKfKS4_KPfEEviiiT16_PT17_ilSA_ilS8_SA_ilPT18_ili26rocblas_geam_ex_operation_
; %bb.0:
	s_clause 0x1
	s_load_dwordx4 s[12:15], s[4:5], 0x10
	s_load_dwordx4 s[0:3], s[4:5], 0x28
	s_mov_b32 s20, s7
	s_mov_b32 s21, 0
	s_mov_b64 s[18:19], 0
	s_lshl_b64 s[16:17], s[20:21], 2
	s_waitcnt lgkmcnt(0)
	s_add_u32 s8, s12, s16
	s_addc_u32 s9, s13, s17
	s_load_dword s24, s[8:9], 0x0
	s_clause 0x1
	s_load_dwordx4 s[8:11], s[4:5], 0x40
	s_load_dwordx2 s[12:13], s[4:5], 0x50
	s_waitcnt lgkmcnt(0)
	v_cmp_eq_f32_e64 s7, s24, 0
	v_cmp_neq_f32_e64 s25, s24, 0
	s_add_u32 s10, s10, s16
	s_addc_u32 s11, s11, s17
	s_mov_b64 s[16:17], 0
	s_and_b32 vcc_lo, exec_lo, s7
	s_cbranch_vccnz .LBB48_2
; %bb.1:
	s_lshl_b64 s[18:19], s[20:21], 3
	s_add_u32 s14, s14, s18
	s_addc_u32 s15, s15, s19
	s_lshl_b64 s[0:1], s[0:1], 2
	s_load_dwordx2 s[14:15], s[14:15], 0x0
	s_waitcnt lgkmcnt(0)
	s_add_u32 s18, s14, s0
	s_addc_u32 s19, s15, s1
.LBB48_2:
	s_load_dword s22, s[10:11], 0x0
	s_andn2_b32 vcc_lo, exec_lo, s25
	s_cbranch_vccnz .LBB48_4
; %bb.3:
	s_lshl_b64 s[0:1], s[20:21], 3
	s_add_u32 s0, s2, s0
	s_addc_u32 s1, s3, s1
	s_lshl_b64 s[2:3], s[8:9], 2
	s_load_dwordx2 s[0:1], s[0:1], 0x0
	s_waitcnt lgkmcnt(0)
	s_add_u32 s16, s0, s2
	s_addc_u32 s17, s1, s3
.LBB48_4:
	s_load_dwordx4 s[0:3], s[4:5], 0x60
	s_waitcnt lgkmcnt(0)
	v_cmp_eq_f32_e64 s7, s22, 0
	v_cmp_neq_f32_e64 s23, s22, 0
	s_and_b32 vcc_lo, exec_lo, s7
	s_cbranch_vccnz .LBB48_6
; %bb.5:
	s_lshl_b64 s[8:9], s[20:21], 3
	s_add_u32 s8, s12, s8
	s_addc_u32 s9, s13, s9
	s_lshl_b64 s[0:1], s[0:1], 2
	s_load_dwordx2 s[8:9], s[8:9], 0x0
	s_waitcnt lgkmcnt(0)
	s_add_u32 s10, s8, s0
	s_addc_u32 s11, s9, s1
	s_branch .LBB48_7
.LBB48_6:
	s_mov_b64 s[10:11], 0
.LBB48_7:
	s_clause 0x1
	s_load_dwordx4 s[12:15], s[4:5], 0x0
	s_load_dword s28, s[4:5], 0x20
	s_lshl_b64 s[0:1], s[20:21], 3
	v_and_b32_e32 v70, 3, v0
	s_add_u32 s8, s2, s0
	s_addc_u32 s9, s3, s1
	v_mov_b32_e32 v6, 0
	v_mov_b32_e32 v8, 0
	v_lshlrev_b32_e32 v9, 2, v70
	s_waitcnt lgkmcnt(0)
	s_add_i32 s0, s12, -1
	v_cmp_gt_i32_e32 vcc_lo, s14, v70
	s_ashr_i32 s1, s0, 31
	s_lshr_b32 s1, s1, 26
	s_add_i32 s0, s0, s1
	s_ashr_i32 s0, s0, 6
	s_add_i32 s2, s0, 1
	s_not_b32 s0, s0
	v_cvt_f32_u32_e32 v2, s2
	v_rcp_iflag_f32_e32 v2, v2
	v_mul_f32_e32 v2, 0x4f7ffffe, v2
	v_cvt_u32_f32_e32 v2, v2
	v_readfirstlane_b32 s1, v2
	v_lshl_add_u32 v2, v1, 3, v0
	s_mul_i32 s0, s0, s1
	v_lshrrev_b32_e32 v7, 2, v2
	s_mul_hi_u32 s0, s1, s0
	s_add_i32 s1, s1, s0
	s_mul_hi_u32 s0, s6, s1
	s_mul_i32 s1, s0, s2
	s_add_i32 s3, s0, 1
	s_sub_i32 s1, s6, s1
	s_sub_i32 s7, s1, s2
	s_cmp_ge_u32 s1, s2
	s_cselect_b32 s0, s3, s0
	s_cselect_b32 s1, s7, s1
	s_add_i32 s3, s0, 1
	s_cmp_ge_u32 s1, s2
	s_cselect_b32 s1, s3, s0
	s_mul_i32 s0, s1, s2
	s_sub_i32 s0, s6, s0
	s_lshl_b32 s15, s0, 6
	v_add_nc_u32_e32 v4, s15, v7
	v_cmp_gt_i32_e64 s0, s12, v4
	s_and_b32 s2, vcc_lo, s0
	s_and_b32 s3, s25, s2
	s_and_saveexec_b32 s2, s3
	s_cbranch_execz .LBB48_9
; %bb.8:
	v_mad_i64_i32 v[10:11], null, v4, s28, 0
	v_lshlrev_b64 v[10:11], 2, v[10:11]
	v_add_co_u32 v3, vcc_lo, s18, v10
	v_add_co_ci_u32_e64 v5, null, s19, v11, vcc_lo
	v_add_co_u32 v10, vcc_lo, v3, v9
	v_add_co_ci_u32_e64 v11, null, 0, v5, vcc_lo
	flat_load_dword v3, v[10:11]
	s_waitcnt vmcnt(0) lgkmcnt(0)
	v_mul_f32_e32 v8, s24, v3
.LBB48_9:
	s_or_b32 exec_lo, exec_lo, s2
	s_load_dword s21, s[4:5], 0x38
	v_lshrrev_b32_e32 v71, 6, v2
	s_add_i32 s26, s14, -1
	v_and_b32_e32 v10, 63, v2
	s_lshl_b32 s20, s1, 7
	s_xor_b32 s27, s25, -1
	v_min_i32_e32 v3, s26, v71
	v_cmp_le_i32_e32 vcc_lo, s14, v71
	v_or_b32_e32 v2, s20, v10
	v_cmp_le_i32_e64 s1, s13, v2
	s_or_b32 s3, s1, vcc_lo
	s_waitcnt lgkmcnt(0)
	v_mad_i64_i32 v[11:12], null, s21, v3, 0
	v_ashrrev_i32_e32 v3, 31, v2
	v_lshlrev_b64 v[12:13], 2, v[11:12]
	v_add_co_u32 v12, s2, s16, v12
	v_add_co_ci_u32_e64 v13, null, s17, v13, s2
	s_nor_b32 s2, s3, s27
	s_and_saveexec_b32 s3, s2
	s_cbranch_execz .LBB48_11
; %bb.10:
	v_lshlrev_b64 v[5:6], 2, v[2:3]
	v_add_co_u32 v5, s2, v12, v5
	v_add_co_ci_u32_e64 v6, null, v13, v6, s2
	flat_load_dword v5, v[5:6]
	s_waitcnt vmcnt(0) lgkmcnt(0)
	v_mul_f32_e32 v6, s24, v5
.LBB48_11:
	s_or_b32 exec_lo, exec_lo, s3
	v_or_b32_e32 v5, 64, v2
	v_mov_b32_e32 v11, 0
	v_cmp_le_i32_e64 s2, s13, v5
	v_mov_b32_e32 v5, 0
	s_or_b32 s3, s2, vcc_lo
	s_nor_b32 s6, s3, s27
	s_and_saveexec_b32 s3, s6
	s_cbranch_execz .LBB48_13
; %bb.12:
	v_lshlrev_b64 v[14:15], 2, v[2:3]
	v_add_co_u32 v11, vcc_lo, v12, v14
	v_add_co_ci_u32_e64 v12, null, v13, v15, vcc_lo
	flat_load_dword v11, v[11:12] offset:256
	s_waitcnt vmcnt(0) lgkmcnt(0)
	v_mul_f32_e32 v11, s24, v11
.LBB48_13:
	s_or_b32 exec_lo, exec_lo, s3
	v_or_b32_e32 v12, 4, v70
	v_cmp_gt_i32_e32 vcc_lo, s14, v12
	s_and_b32 s3, vcc_lo, s0
	s_and_b32 s6, s25, s3
	s_and_saveexec_b32 s3, s6
	s_cbranch_execz .LBB48_15
; %bb.14:
	v_mad_i64_i32 v[12:13], null, v4, s28, 0
	v_lshlrev_b64 v[12:13], 2, v[12:13]
	v_add_co_u32 v5, vcc_lo, s18, v12
	v_add_co_ci_u32_e64 v13, null, s19, v13, vcc_lo
	v_add_co_u32 v12, vcc_lo, v5, v9
	v_add_co_ci_u32_e64 v13, null, 0, v13, vcc_lo
	flat_load_dword v5, v[12:13] offset:16
	s_waitcnt vmcnt(0) lgkmcnt(0)
	v_mul_f32_e32 v5, s24, v5
.LBB48_15:
	s_or_b32 exec_lo, exec_lo, s3
	v_add_nc_u32_e32 v14, 4, v71
	v_mov_b32_e32 v76, 0
	v_mov_b32_e32 v77, 0
	v_min_i32_e32 v12, s26, v14
	v_cmp_le_i32_e32 vcc_lo, s14, v14
	v_mad_i64_i32 v[12:13], null, s21, v12, 0
	v_lshlrev_b64 v[12:13], 2, v[12:13]
	v_add_co_u32 v12, s3, s16, v12
	v_add_co_ci_u32_e64 v13, null, s17, v13, s3
	s_or_b32 s3, s1, vcc_lo
	s_nor_b32 s3, s3, s27
	s_and_saveexec_b32 s6, s3
	s_cbranch_execz .LBB48_17
; %bb.16:
	v_lshlrev_b64 v[14:15], 2, v[2:3]
	v_add_co_u32 v14, s3, v12, v14
	v_add_co_ci_u32_e64 v15, null, v13, v15, s3
	flat_load_dword v14, v[14:15]
	s_waitcnt vmcnt(0) lgkmcnt(0)
	v_mul_f32_e32 v77, s24, v14
.LBB48_17:
	s_or_b32 exec_lo, exec_lo, s6
	s_load_dwordx2 s[6:7], s[8:9], 0x0
	s_or_b32 s3, s2, vcc_lo
	s_nor_b32 s8, s3, s27
	s_and_saveexec_b32 s3, s8
	s_cbranch_execz .LBB48_19
; %bb.18:
	v_lshlrev_b64 v[14:15], 2, v[2:3]
	v_add_co_u32 v12, vcc_lo, v12, v14
	v_add_co_ci_u32_e64 v13, null, v13, v15, vcc_lo
	flat_load_dword v12, v[12:13] offset:256
	s_waitcnt vmcnt(0) lgkmcnt(0)
	v_mul_f32_e32 v76, s24, v12
.LBB48_19:
	s_or_b32 exec_lo, exec_lo, s3
	v_lshlrev_b32_e32 v10, 4, v10
	v_lshl_or_b32 v78, v7, 4, v9
	v_mov_b32_e32 v68, 0
	v_lshl_or_b32 v72, v0, 4, 0x1000
	v_lshlrev_b32_e32 v74, 4, v1
	v_lshl_add_u32 v73, v71, 2, v10
	v_add_nc_u32_e32 v75, 0x1000, v78
	ds_write_b32 v78, v8 offset:4096
	v_mov_b32_e32 v69, v68
	v_mov_b32_e32 v7, v68
	ds_write2st64_b32 v73, v6, v11 offset1:4
	v_mov_b32_e32 v6, v68
	v_mov_b32_e32 v8, v68
	;; [unrolled: 1-line block ×61, first 2 shown]
	s_mov_b32 s8, 0
	s_mov_b32 s3, -1
	s_waitcnt lgkmcnt(0)
	s_barrier
	buffer_gl0_inv
.LBB48_20:                              ; =>This Inner Loop Header: Depth=1
	s_lshl_b32 s8, s8, 2
	v_cndmask_b32_e64 v79, 0, 1, s3
	v_add_nc_u32_e32 v91, s8, v72
	v_add_nc_u32_e32 v99, s8, v74
	s_mov_b32 s3, 0
	s_mov_b32 s8, 2
	v_cmp_ne_u32_e32 vcc_lo, 1, v79
	ds_read2_b64 v[79:82], v91 offset1:16
	ds_read2_b64 v[83:86], v91 offset0:32 offset1:48
	ds_read2_b64 v[87:90], v91 offset0:64 offset1:80
	;; [unrolled: 1-line block ×3, first 2 shown]
	ds_read2st64_b64 v[95:98], v99 offset1:1
	ds_read2st64_b64 v[99:102], v99 offset0:2 offset1:3
	s_and_b32 vcc_lo, exec_lo, vcc_lo
	s_waitcnt lgkmcnt(5)
	v_max_f32_e32 v79, v79, v79
	v_max_f32_e32 v80, v80, v80
	v_max_f32_e32 v81, v81, v81
	v_max_f32_e32 v82, v82, v82
	s_waitcnt lgkmcnt(4)
	v_max_f32_e32 v83, v83, v83
	v_max_f32_e32 v84, v84, v84
	v_max_f32_e32 v85, v85, v85
	v_max_f32_e32 v86, v86, v86
	;; [unrolled: 5-line block ×6, first 2 shown]
	v_min_f32_e32 v103, v79, v95
	v_min_f32_e32 v104, v81, v95
	;; [unrolled: 1-line block ×64, first 2 shown]
	v_add_f32_e32 v69, v69, v101
	v_add_f32_e32 v68, v68, v103
	;; [unrolled: 1-line block ×64, first 2 shown]
	s_cbranch_vccz .LBB48_20
; %bb.21:
	ds_write_b32 v78, v5 offset:5120
	ds_write2st64_b32 v73, v77, v76 offset0:8 offset1:12
	v_lshl_add_u32 v76, v0, 4, 0x1400
	v_lshl_add_u32 v77, v1, 4, 0x800
	s_cmp_lt_i32 s14, 9
	s_waitcnt lgkmcnt(0)
	s_barrier
	buffer_gl0_inv
	s_cbranch_scc1 .LBB48_40
; %bb.22:
	v_mad_i64_i32 v[4:5], null, v4, s28, 0
	v_lshlrev_b64 v[2:3], 2, v[2:3]
	v_add_nc_u32_e32 v78, 0x1400, v78
	v_add_nc_u32_e32 v79, 0x800, v73
	s_add_i32 s8, s14, -8
	s_mov_b32 s9, 8
	v_lshlrev_b64 v[4:5], 2, v[4:5]
	v_add_co_u32 v80, vcc_lo, s18, v4
	v_add_co_ci_u32_e64 v81, null, s19, v5, vcc_lo
	v_mov_b32_e32 v5, 0
	s_mov_b32 s18, 0
.LBB48_23:                              ; =>This Loop Header: Depth=1
                                        ;     Child Loop BB48_30 Depth 2
                                        ;     Child Loop BB48_38 Depth 2
	v_or_b32_e32 v4, s9, v70
	v_mov_b32_e32 v82, 0
	v_cmp_gt_i32_e32 vcc_lo, s14, v4
	s_and_b32 s3, vcc_lo, s0
	s_and_b32 s19, s25, s3
	s_and_saveexec_b32 s3, s19
	s_cbranch_execz .LBB48_25
; %bb.24:                               ;   in Loop: Header=BB48_23 Depth=1
	v_lshlrev_b64 v[82:83], 2, v[4:5]
	v_add_co_u32 v82, vcc_lo, v80, v82
	v_add_co_ci_u32_e64 v83, null, v81, v83, vcc_lo
	flat_load_dword v82, v[82:83]
	s_waitcnt vmcnt(0) lgkmcnt(0)
	v_mul_f32_e32 v82, s24, v82
.LBB48_25:                              ;   in Loop: Header=BB48_23 Depth=1
	s_or_b32 exec_lo, exec_lo, s3
	v_add_nc_u32_e32 v87, s9, v71
	v_min_i32_e32 v83, s26, v87
	v_cmp_le_i32_e32 vcc_lo, s14, v87
	v_mad_i64_i32 v[83:84], null, v83, s21, 0
	v_lshlrev_b64 v[85:86], 2, v[83:84]
	v_mov_b32_e32 v83, 0
	v_mov_b32_e32 v84, 0
	v_add_co_u32 v85, s3, s16, v85
	v_add_co_ci_u32_e64 v86, null, s17, v86, s3
	s_or_b32 s3, s1, vcc_lo
	s_nor_b32 s3, s3, s27
	s_and_saveexec_b32 s19, s3
	s_cbranch_execz .LBB48_27
; %bb.26:                               ;   in Loop: Header=BB48_23 Depth=1
	v_add_co_u32 v87, s3, v85, v2
	v_add_co_ci_u32_e64 v88, null, v86, v3, s3
	flat_load_dword v84, v[87:88]
	s_waitcnt vmcnt(0) lgkmcnt(0)
	v_mul_f32_e32 v84, s24, v84
.LBB48_27:                              ;   in Loop: Header=BB48_23 Depth=1
	s_or_b32 exec_lo, exec_lo, s19
	s_or_b32 s3, s2, vcc_lo
	s_nor_b32 s19, s3, s27
	s_and_saveexec_b32 s3, s19
	s_cbranch_execz .LBB48_29
; %bb.28:                               ;   in Loop: Header=BB48_23 Depth=1
	v_add_co_u32 v85, vcc_lo, v85, v2
	v_add_co_ci_u32_e64 v86, null, v86, v3, vcc_lo
	flat_load_dword v83, v[85:86] offset:256
	s_waitcnt vmcnt(0) lgkmcnt(0)
	v_mul_f32_e32 v83, s24, v83
.LBB48_29:                              ;   in Loop: Header=BB48_23 Depth=1
	s_or_b32 exec_lo, exec_lo, s3
	s_mov_b32 s19, 0
	s_mov_b32 s3, -1
.LBB48_30:                              ;   Parent Loop BB48_23 Depth=1
                                        ; =>  This Inner Loop Header: Depth=2
	s_lshl_b32 s19, s19, 2
	v_cndmask_b32_e64 v85, 0, 1, s3
	v_add_nc_u32_e32 v105, s19, v77
	v_add_nc_u32_e32 v101, s19, v76
	s_mov_b32 s3, 0
	s_mov_b32 s19, 2
	v_cmp_ne_u32_e32 vcc_lo, 1, v85
	ds_read2st64_b64 v[85:88], v105 offset1:1
	ds_read2_b64 v[89:92], v101 offset1:16
	ds_read2_b64 v[93:96], v101 offset0:32 offset1:48
	ds_read2_b64 v[97:100], v101 offset0:64 offset1:80
	;; [unrolled: 1-line block ×3, first 2 shown]
	ds_read2st64_b64 v[105:108], v105 offset0:2 offset1:3
	s_and_b32 vcc_lo, exec_lo, vcc_lo
	s_waitcnt lgkmcnt(5)
	v_max_f32_e32 v85, v85, v85
	s_waitcnt lgkmcnt(4)
	v_max_f32_e32 v89, v89, v89
	v_max_f32_e32 v86, v86, v86
	v_max_f32_e32 v90, v90, v90
	v_max_f32_e32 v91, v91, v91
	v_max_f32_e32 v92, v92, v92
	s_waitcnt lgkmcnt(3)
	v_max_f32_e32 v93, v93, v93
	v_max_f32_e32 v94, v94, v94
	v_max_f32_e32 v95, v95, v95
	v_max_f32_e32 v96, v96, v96
	s_waitcnt lgkmcnt(2)
	v_max_f32_e32 v97, v97, v97
	v_max_f32_e32 v98, v98, v98
	v_max_f32_e32 v99, v99, v99
	v_max_f32_e32 v100, v100, v100
	;; [unrolled: 5-line block ×3, first 2 shown]
	v_max_f32_e32 v87, v87, v87
	v_max_f32_e32 v88, v88, v88
	s_waitcnt lgkmcnt(0)
	v_max_f32_e32 v105, v105, v105
	v_max_f32_e32 v106, v106, v106
	;; [unrolled: 1-line block ×4, first 2 shown]
	v_min_f32_e32 v109, v89, v85
	v_min_f32_e32 v110, v90, v86
	;; [unrolled: 1-line block ×64, first 2 shown]
	v_add_f32_e32 v69, v69, v110
	v_add_f32_e32 v68, v68, v109
	;; [unrolled: 1-line block ×64, first 2 shown]
	s_cbranch_vccz .LBB48_30
; %bb.31:                               ;   in Loop: Header=BB48_23 Depth=1
	v_or_b32_e32 v85, 4, v4
	ds_write_b32 v75, v82
	ds_write2st64_b32 v73, v84, v83 offset1:4
	v_mov_b32_e32 v82, 0
	v_mov_b32_e32 v83, 0
	v_cmp_gt_i32_e32 vcc_lo, s14, v85
	s_waitcnt lgkmcnt(0)
	s_barrier
	buffer_gl0_inv
	s_and_b32 s3, vcc_lo, s0
	s_and_b32 s19, s25, s3
	s_and_saveexec_b32 s3, s19
	s_cbranch_execz .LBB48_33
; %bb.32:                               ;   in Loop: Header=BB48_23 Depth=1
	v_lshlrev_b64 v[83:84], 2, v[4:5]
	v_add_co_u32 v83, vcc_lo, v80, v83
	v_add_co_ci_u32_e64 v84, null, v81, v84, vcc_lo
	flat_load_dword v4, v[83:84] offset:16
	s_waitcnt vmcnt(0) lgkmcnt(0)
	v_mul_f32_e32 v83, s24, v4
.LBB48_33:                              ;   in Loop: Header=BB48_23 Depth=1
	s_or_b32 exec_lo, exec_lo, s3
	v_add3_u32 v4, v71, s9, 4
	v_min_i32_e32 v84, s26, v4
	v_cmp_le_i32_e32 vcc_lo, s14, v4
	v_mad_i64_i32 v[84:85], null, v84, s21, 0
	v_lshlrev_b64 v[84:85], 2, v[84:85]
	v_add_co_u32 v84, s3, s16, v84
	v_add_co_ci_u32_e64 v85, null, s17, v85, s3
	s_or_b32 s3, s1, vcc_lo
	s_nor_b32 s3, s3, s27
	s_and_saveexec_b32 s19, s3
	s_cbranch_execz .LBB48_35
; %bb.34:                               ;   in Loop: Header=BB48_23 Depth=1
	v_add_co_u32 v86, s3, v84, v2
	v_add_co_ci_u32_e64 v87, null, v85, v3, s3
	flat_load_dword v4, v[86:87]
	s_waitcnt vmcnt(0) lgkmcnt(0)
	v_mul_f32_e32 v82, s24, v4
.LBB48_35:                              ;   in Loop: Header=BB48_23 Depth=1
	s_or_b32 exec_lo, exec_lo, s19
	v_mov_b32_e32 v4, 0
	s_or_b32 s3, s2, vcc_lo
	s_nor_b32 s19, s3, s27
	s_and_saveexec_b32 s3, s19
	s_cbranch_execz .LBB48_37
; %bb.36:                               ;   in Loop: Header=BB48_23 Depth=1
	v_add_co_u32 v84, vcc_lo, v84, v2
	v_add_co_ci_u32_e64 v85, null, v85, v3, vcc_lo
	flat_load_dword v4, v[84:85] offset:256
	s_waitcnt vmcnt(0) lgkmcnt(0)
	v_mul_f32_e32 v4, s24, v4
.LBB48_37:                              ;   in Loop: Header=BB48_23 Depth=1
	s_or_b32 exec_lo, exec_lo, s3
	s_mov_b32 s19, 0
	s_mov_b32 s3, -1
.LBB48_38:                              ;   Parent Loop BB48_23 Depth=1
                                        ; =>  This Inner Loop Header: Depth=2
	s_lshl_b32 s19, s19, 2
	v_cndmask_b32_e64 v84, 0, 1, s3
	v_add_nc_u32_e32 v104, s19, v74
	v_add_nc_u32_e32 v100, s19, v72
	s_mov_b32 s3, 0
	s_mov_b32 s19, 2
	v_cmp_ne_u32_e32 vcc_lo, 1, v84
	ds_read2st64_b64 v[84:87], v104 offset1:1
	ds_read2_b64 v[88:91], v100 offset1:16
	ds_read2_b64 v[92:95], v100 offset0:32 offset1:48
	ds_read2_b64 v[96:99], v100 offset0:64 offset1:80
	;; [unrolled: 1-line block ×3, first 2 shown]
	ds_read2st64_b64 v[104:107], v104 offset0:2 offset1:3
	s_and_b32 vcc_lo, exec_lo, vcc_lo
	s_waitcnt lgkmcnt(5)
	v_max_f32_e32 v84, v84, v84
	s_waitcnt lgkmcnt(4)
	v_max_f32_e32 v88, v88, v88
	v_max_f32_e32 v85, v85, v85
	;; [unrolled: 1-line block ×5, first 2 shown]
	s_waitcnt lgkmcnt(3)
	v_max_f32_e32 v92, v92, v92
	v_max_f32_e32 v93, v93, v93
	v_max_f32_e32 v94, v94, v94
	v_max_f32_e32 v95, v95, v95
	s_waitcnt lgkmcnt(2)
	v_max_f32_e32 v96, v96, v96
	v_max_f32_e32 v97, v97, v97
	v_max_f32_e32 v98, v98, v98
	v_max_f32_e32 v99, v99, v99
	;; [unrolled: 5-line block ×3, first 2 shown]
	v_max_f32_e32 v86, v86, v86
	v_max_f32_e32 v87, v87, v87
	s_waitcnt lgkmcnt(0)
	v_max_f32_e32 v104, v104, v104
	v_max_f32_e32 v105, v105, v105
	;; [unrolled: 1-line block ×4, first 2 shown]
	v_min_f32_e32 v108, v88, v84
	v_min_f32_e32 v109, v89, v85
	;; [unrolled: 1-line block ×64, first 2 shown]
	v_add_f32_e32 v69, v69, v109
	v_add_f32_e32 v68, v68, v108
	;; [unrolled: 1-line block ×64, first 2 shown]
	s_cbranch_vccz .LBB48_38
; %bb.39:                               ;   in Loop: Header=BB48_23 Depth=1
	s_add_i32 s18, s18, 8
	s_add_i32 s9, s9, 8
	s_cmp_ge_i32 s18, s8
	ds_write_b32 v78, v83
	ds_write2st64_b32 v79, v82, v4 offset1:4
	s_waitcnt lgkmcnt(0)
	s_barrier
	buffer_gl0_inv
	s_cbranch_scc0 .LBB48_23
.LBB48_40:
	s_mov_b32 s1, 0
	s_mov_b32 s0, -1
.LBB48_41:                              ; =>This Inner Loop Header: Depth=1
	s_lshl_b32 s1, s1, 2
	v_cndmask_b32_e64 v2, 0, 1, s0
	v_add_nc_u32_e32 v74, s1, v77
	v_add_nc_u32_e32 v75, s1, v76
	s_mov_b32 s0, 0
	s_mov_b32 s1, 2
	v_cmp_ne_u32_e32 vcc_lo, 1, v2
	ds_read2st64_b64 v[2:5], v74 offset1:1
	ds_read2_b64 v[70:73], v75 offset1:16
	ds_read2_b64 v[78:81], v75 offset0:32 offset1:48
	ds_read2_b64 v[82:85], v75 offset0:64 offset1:80
	;; [unrolled: 1-line block ×3, first 2 shown]
	ds_read2st64_b64 v[90:93], v74 offset0:2 offset1:3
	s_and_b32 vcc_lo, exec_lo, vcc_lo
	s_waitcnt lgkmcnt(5)
	v_max_f32_e32 v2, v2, v2
	s_waitcnt lgkmcnt(4)
	v_max_f32_e32 v70, v70, v70
	v_max_f32_e32 v3, v3, v3
	;; [unrolled: 1-line block ×5, first 2 shown]
	s_waitcnt lgkmcnt(3)
	v_max_f32_e32 v74, v78, v78
	v_max_f32_e32 v75, v79, v79
	v_max_f32_e32 v78, v80, v80
	v_max_f32_e32 v79, v81, v81
	s_waitcnt lgkmcnt(2)
	v_max_f32_e32 v80, v82, v82
	v_max_f32_e32 v81, v83, v83
	v_max_f32_e32 v82, v84, v84
	v_max_f32_e32 v83, v85, v85
	;; [unrolled: 5-line block ×3, first 2 shown]
	v_max_f32_e32 v4, v4, v4
	v_max_f32_e32 v5, v5, v5
	s_waitcnt lgkmcnt(0)
	v_max_f32_e32 v88, v90, v90
	v_max_f32_e32 v89, v91, v91
	;; [unrolled: 1-line block ×4, first 2 shown]
	v_min_f32_e32 v92, v70, v2
	v_min_f32_e32 v93, v71, v3
	;; [unrolled: 1-line block ×64, first 2 shown]
	v_add_f32_e32 v69, v69, v93
	v_add_f32_e32 v68, v68, v92
	;; [unrolled: 1-line block ×64, first 2 shown]
	s_cbranch_vccz .LBB48_41
; %bb.42:
	s_clause 0x2
	s_load_dword s14, s[4:5], 0x58
	s_load_dword s9, s[4:5], 0x70
	s_load_dwordx2 s[2:3], s[4:5], 0x78
	v_add_nc_u32_e32 v71, s20, v1
	v_add_nc_u32_e32 v0, s15, v0
	v_cndmask_b32_e64 v70, 0, 1, s23
	v_cmp_gt_i32_e64 s8, s13, v71
	v_cmp_gt_i32_e64 s0, s12, v0
	s_waitcnt lgkmcnt(0)
	v_mad_i64_i32 v[1:2], null, v71, s14, 0
	v_mad_i64_i32 v[3:4], null, v71, s9, 0
	s_lshl_b64 s[2:3], s[2:3], 2
	s_add_u32 s15, s6, s2
	s_addc_u32 s16, s7, s3
	v_lshlrev_b64 v[72:73], 2, v[1:2]
	v_ashrrev_i32_e32 v1, 31, v0
	v_lshlrev_b64 v[2:3], 2, v[3:4]
	s_and_b32 s2, s0, s8
	v_add_co_u32 v74, vcc_lo, s10, v72
	v_add_co_ci_u32_e64 v75, null, s11, v73, vcc_lo
	v_add_co_u32 v72, vcc_lo, s15, v2
	v_add_co_ci_u32_e64 v73, null, s16, v3, vcc_lo
	s_and_saveexec_b32 s1, s2
	s_cbranch_execz .LBB48_47
; %bb.43:
	v_lshlrev_b64 v[2:3], 2, v[0:1]
	s_andn2_b32 vcc_lo, exec_lo, s23
	s_cbranch_vccnz .LBB48_45
; %bb.44:
	v_add_co_u32 v4, vcc_lo, v74, v2
	v_add_co_ci_u32_e64 v5, null, v75, v3, vcc_lo
	flat_load_dword v4, v[4:5]
	s_waitcnt vmcnt(0) lgkmcnt(0)
	v_mul_f32_e32 v4, s22, v4
	s_branch .LBB48_46
.LBB48_45:
	v_mov_b32_e32 v4, 0
.LBB48_46:
	v_add_f32_e32 v5, v68, v69
	v_add_co_u32 v2, vcc_lo, v72, v2
	v_add_co_ci_u32_e64 v3, null, v73, v3, vcc_lo
	v_add_f32_e32 v4, v5, v4
	flat_store_dword v[2:3], v4
.LBB48_47:
	s_or_b32 exec_lo, exec_lo, s1
	v_add_nc_u32_e32 v2, 8, v0
	v_cmp_gt_i32_e64 s1, s12, v2
	v_ashrrev_i32_e32 v3, 31, v2
	s_and_b32 s3, s1, s8
	s_and_saveexec_b32 s2, s3
	s_cbranch_execz .LBB48_52
; %bb.48:
	v_cmp_ne_u32_e32 vcc_lo, 1, v70
	v_lshlrev_b64 v[4:5], 2, v[2:3]
	s_cbranch_vccnz .LBB48_50
; %bb.49:
	v_add_co_u32 v68, vcc_lo, v74, v4
	v_add_co_ci_u32_e64 v69, null, v75, v5, vcc_lo
	flat_load_dword v68, v[68:69]
	s_waitcnt vmcnt(0) lgkmcnt(0)
	v_mul_f32_e32 v68, s22, v68
	s_branch .LBB48_51
.LBB48_50:
	v_mov_b32_e32 v68, 0
.LBB48_51:
	v_add_f32_e32 v6, v6, v7
	v_add_co_u32 v4, vcc_lo, v72, v4
	v_add_co_ci_u32_e64 v5, null, v73, v5, vcc_lo
	v_add_f32_e32 v6, v6, v68
	flat_store_dword v[4:5], v6
.LBB48_52:
	s_or_b32 exec_lo, exec_lo, s2
	v_add_nc_u32_e32 v4, 16, v0
	v_cmp_gt_i32_e64 s2, s12, v4
	v_ashrrev_i32_e32 v5, 31, v4
	s_and_b32 s4, s2, s8
	s_and_saveexec_b32 s3, s4
	s_cbranch_execz .LBB48_57
; %bb.53:
	v_cmp_ne_u32_e32 vcc_lo, 1, v70
	v_lshlrev_b64 v[6:7], 2, v[4:5]
	s_cbranch_vccnz .LBB48_55
; %bb.54:
	v_add_co_u32 v68, vcc_lo, v74, v6
	v_add_co_ci_u32_e64 v69, null, v75, v7, vcc_lo
	flat_load_dword v68, v[68:69]
	s_waitcnt vmcnt(0) lgkmcnt(0)
	v_mul_f32_e32 v68, s22, v68
	s_branch .LBB48_56
.LBB48_55:
	v_mov_b32_e32 v68, 0
.LBB48_56:
	v_add_f32_e32 v8, v8, v9
	v_add_co_u32 v6, vcc_lo, v72, v6
	v_add_co_ci_u32_e64 v7, null, v73, v7, vcc_lo
	v_add_f32_e32 v8, v8, v68
	flat_store_dword v[6:7], v8
.LBB48_57:
	;; [unrolled: 27-line block ×7, first 2 shown]
	s_or_b32 exec_lo, exec_lo, s8
	v_add_nc_u32_e32 v68, 32, v71
	v_mad_i64_i32 v[16:17], null, v68, s14, 0
	v_mad_i64_i32 v[66:67], null, v68, s9, 0
	v_cmp_gt_i32_e64 s8, s13, v68
	v_lshlrev_b64 v[16:17], 2, v[16:17]
	s_and_b32 s17, s0, s8
	v_lshlrev_b64 v[66:67], 2, v[66:67]
	v_add_co_u32 v68, vcc_lo, s10, v16
	v_add_co_ci_u32_e64 v69, null, s11, v17, vcc_lo
	v_add_co_u32 v66, vcc_lo, s15, v66
	v_add_co_ci_u32_e64 v67, null, s16, v67, vcc_lo
	s_and_saveexec_b32 s12, s17
	s_cbranch_execnz .LBB48_90
; %bb.83:
	s_or_b32 exec_lo, exec_lo, s12
	s_and_b32 s17, s1, s8
	s_and_saveexec_b32 s12, s17
	s_cbranch_execnz .LBB48_94
.LBB48_84:
	s_or_b32 exec_lo, exec_lo, s12
	s_and_b32 s17, s2, s8
	s_and_saveexec_b32 s12, s17
	s_cbranch_execnz .LBB48_98
.LBB48_85:
	s_or_b32 exec_lo, exec_lo, s12
	s_and_b32 s17, s3, s8
	s_and_saveexec_b32 s12, s17
	s_cbranch_execnz .LBB48_102
.LBB48_86:
	s_or_b32 exec_lo, exec_lo, s12
	s_and_b32 s17, s4, s8
	s_and_saveexec_b32 s12, s17
	s_cbranch_execnz .LBB48_106
.LBB48_87:
	s_or_b32 exec_lo, exec_lo, s12
	s_and_b32 s17, s5, s8
	s_and_saveexec_b32 s12, s17
	s_cbranch_execnz .LBB48_110
.LBB48_88:
	s_or_b32 exec_lo, exec_lo, s12
	s_and_b32 s17, s6, s8
	s_and_saveexec_b32 s12, s17
	s_cbranch_execnz .LBB48_114
.LBB48_89:
	s_or_b32 exec_lo, exec_lo, s12
	s_and_b32 s12, s7, s8
	s_and_saveexec_b32 s8, s12
	s_cbranch_execnz .LBB48_118
	s_branch .LBB48_122
.LBB48_90:
	v_cmp_ne_u32_e32 vcc_lo, 1, v70
	v_lshlrev_b64 v[16:17], 2, v[0:1]
	s_cbranch_vccnz .LBB48_92
; %bb.91:
	v_add_co_u32 v72, vcc_lo, v68, v16
	v_add_co_ci_u32_e64 v73, null, v69, v17, vcc_lo
	flat_load_dword v72, v[72:73]
	s_waitcnt vmcnt(0) lgkmcnt(0)
	v_mul_f32_e32 v72, s22, v72
	s_branch .LBB48_93
.LBB48_92:
	v_mov_b32_e32 v72, 0
.LBB48_93:
	v_add_f32_e32 v64, v64, v65
	v_add_co_u32 v16, vcc_lo, v66, v16
	v_add_co_ci_u32_e64 v17, null, v67, v17, vcc_lo
	v_add_f32_e32 v64, v64, v72
	flat_store_dword v[16:17], v64
	s_or_b32 exec_lo, exec_lo, s12
	s_and_b32 s17, s1, s8
	s_and_saveexec_b32 s12, s17
	s_cbranch_execz .LBB48_84
.LBB48_94:
	v_cmp_ne_u32_e32 vcc_lo, 1, v70
	v_lshlrev_b64 v[16:17], 2, v[2:3]
	s_cbranch_vccnz .LBB48_96
; %bb.95:
	v_add_co_u32 v64, vcc_lo, v68, v16
	v_add_co_ci_u32_e64 v65, null, v69, v17, vcc_lo
	flat_load_dword v64, v[64:65]
	s_waitcnt vmcnt(0) lgkmcnt(0)
	v_mul_f32_e32 v64, s22, v64
	s_branch .LBB48_97
.LBB48_96:
	v_mov_b32_e32 v64, 0
.LBB48_97:
	v_add_f32_e32 v62, v62, v63
	v_add_co_u32 v16, vcc_lo, v66, v16
	v_add_co_ci_u32_e64 v17, null, v67, v17, vcc_lo
	v_add_f32_e32 v62, v62, v64
	flat_store_dword v[16:17], v62
	s_or_b32 exec_lo, exec_lo, s12
	s_and_b32 s17, s2, s8
	s_and_saveexec_b32 s12, s17
	s_cbranch_execz .LBB48_85
.LBB48_98:
	v_cmp_ne_u32_e32 vcc_lo, 1, v70
	v_lshlrev_b64 v[16:17], 2, v[4:5]
	s_cbranch_vccnz .LBB48_100
; %bb.99:
	v_add_co_u32 v62, vcc_lo, v68, v16
	v_add_co_ci_u32_e64 v63, null, v69, v17, vcc_lo
	flat_load_dword v62, v[62:63]
	s_waitcnt vmcnt(0) lgkmcnt(0)
	v_mul_f32_e32 v62, s22, v62
	s_branch .LBB48_101
.LBB48_100:
	v_mov_b32_e32 v62, 0
.LBB48_101:
	v_add_f32_e32 v60, v60, v61
	v_add_co_u32 v16, vcc_lo, v66, v16
	v_add_co_ci_u32_e64 v17, null, v67, v17, vcc_lo
	v_add_f32_e32 v60, v60, v62
	flat_store_dword v[16:17], v60
	s_or_b32 exec_lo, exec_lo, s12
	s_and_b32 s17, s3, s8
	s_and_saveexec_b32 s12, s17
	s_cbranch_execz .LBB48_86
.LBB48_102:
	v_cmp_ne_u32_e32 vcc_lo, 1, v70
	v_lshlrev_b64 v[16:17], 2, v[6:7]
	s_cbranch_vccnz .LBB48_104
; %bb.103:
	v_add_co_u32 v60, vcc_lo, v68, v16
	v_add_co_ci_u32_e64 v61, null, v69, v17, vcc_lo
	flat_load_dword v60, v[60:61]
	s_waitcnt vmcnt(0) lgkmcnt(0)
	v_mul_f32_e32 v60, s22, v60
	s_branch .LBB48_105
.LBB48_104:
	v_mov_b32_e32 v60, 0
.LBB48_105:
	v_add_f32_e32 v58, v58, v59
	v_add_co_u32 v16, vcc_lo, v66, v16
	v_add_co_ci_u32_e64 v17, null, v67, v17, vcc_lo
	v_add_f32_e32 v58, v58, v60
	flat_store_dword v[16:17], v58
	s_or_b32 exec_lo, exec_lo, s12
	s_and_b32 s17, s4, s8
	s_and_saveexec_b32 s12, s17
	s_cbranch_execz .LBB48_87
.LBB48_106:
	v_cmp_ne_u32_e32 vcc_lo, 1, v70
	v_lshlrev_b64 v[16:17], 2, v[8:9]
	s_cbranch_vccnz .LBB48_108
; %bb.107:
	v_add_co_u32 v58, vcc_lo, v68, v16
	v_add_co_ci_u32_e64 v59, null, v69, v17, vcc_lo
	flat_load_dword v58, v[58:59]
	s_waitcnt vmcnt(0) lgkmcnt(0)
	v_mul_f32_e32 v58, s22, v58
	s_branch .LBB48_109
.LBB48_108:
	v_mov_b32_e32 v58, 0
.LBB48_109:
	v_add_f32_e32 v56, v56, v57
	v_add_co_u32 v16, vcc_lo, v66, v16
	v_add_co_ci_u32_e64 v17, null, v67, v17, vcc_lo
	v_add_f32_e32 v56, v56, v58
	flat_store_dword v[16:17], v56
	s_or_b32 exec_lo, exec_lo, s12
	s_and_b32 s17, s5, s8
	s_and_saveexec_b32 s12, s17
	s_cbranch_execz .LBB48_88
.LBB48_110:
	v_cmp_ne_u32_e32 vcc_lo, 1, v70
	v_lshlrev_b64 v[16:17], 2, v[10:11]
	s_cbranch_vccnz .LBB48_112
; %bb.111:
	v_add_co_u32 v56, vcc_lo, v68, v16
	v_add_co_ci_u32_e64 v57, null, v69, v17, vcc_lo
	flat_load_dword v56, v[56:57]
	s_waitcnt vmcnt(0) lgkmcnt(0)
	v_mul_f32_e32 v56, s22, v56
	s_branch .LBB48_113
.LBB48_112:
	v_mov_b32_e32 v56, 0
.LBB48_113:
	v_add_f32_e32 v54, v54, v55
	v_add_co_u32 v16, vcc_lo, v66, v16
	v_add_co_ci_u32_e64 v17, null, v67, v17, vcc_lo
	v_add_f32_e32 v54, v54, v56
	flat_store_dword v[16:17], v54
	s_or_b32 exec_lo, exec_lo, s12
	s_and_b32 s17, s6, s8
	s_and_saveexec_b32 s12, s17
	s_cbranch_execz .LBB48_89
.LBB48_114:
	v_cmp_ne_u32_e32 vcc_lo, 1, v70
	v_lshlrev_b64 v[16:17], 2, v[12:13]
	s_cbranch_vccnz .LBB48_116
; %bb.115:
	v_add_co_u32 v54, vcc_lo, v68, v16
	v_add_co_ci_u32_e64 v55, null, v69, v17, vcc_lo
	flat_load_dword v54, v[54:55]
	s_waitcnt vmcnt(0) lgkmcnt(0)
	v_mul_f32_e32 v54, s22, v54
	s_branch .LBB48_117
.LBB48_116:
	v_mov_b32_e32 v54, 0
.LBB48_117:
	v_add_f32_e32 v52, v52, v53
	v_add_co_u32 v16, vcc_lo, v66, v16
	v_add_co_ci_u32_e64 v17, null, v67, v17, vcc_lo
	v_add_f32_e32 v52, v52, v54
	flat_store_dword v[16:17], v52
	s_or_b32 exec_lo, exec_lo, s12
	s_and_b32 s12, s7, s8
	s_and_saveexec_b32 s8, s12
	s_cbranch_execz .LBB48_122
.LBB48_118:
	v_cmp_ne_u32_e32 vcc_lo, 1, v70
	v_lshlrev_b64 v[16:17], 2, v[14:15]
	s_cbranch_vccnz .LBB48_120
; %bb.119:
	v_add_co_u32 v52, vcc_lo, v68, v16
	v_add_co_ci_u32_e64 v53, null, v69, v17, vcc_lo
	flat_load_dword v52, v[52:53]
	s_waitcnt vmcnt(0) lgkmcnt(0)
	v_mul_f32_e32 v52, s22, v52
	s_branch .LBB48_121
.LBB48_120:
	v_mov_b32_e32 v52, 0
.LBB48_121:
	v_add_f32_e32 v50, v50, v51
	v_add_co_u32 v16, vcc_lo, v66, v16
	v_add_co_ci_u32_e64 v17, null, v67, v17, vcc_lo
	v_add_f32_e32 v50, v50, v52
	flat_store_dword v[16:17], v50
.LBB48_122:
	s_or_b32 exec_lo, exec_lo, s8
	v_add_nc_u32_e32 v52, 64, v71
	v_mad_i64_i32 v[16:17], null, v52, s14, 0
	v_mad_i64_i32 v[50:51], null, v52, s9, 0
	v_cmp_gt_i32_e64 s8, s13, v52
	v_lshlrev_b64 v[16:17], 2, v[16:17]
	s_and_b32 s17, s0, s8
	v_lshlrev_b64 v[50:51], 2, v[50:51]
	v_add_co_u32 v52, vcc_lo, s10, v16
	v_add_co_ci_u32_e64 v53, null, s11, v17, vcc_lo
	v_add_co_u32 v50, vcc_lo, s15, v50
	v_add_co_ci_u32_e64 v51, null, s16, v51, vcc_lo
	s_and_saveexec_b32 s12, s17
	s_cbranch_execnz .LBB48_130
; %bb.123:
	s_or_b32 exec_lo, exec_lo, s12
	s_and_b32 s17, s1, s8
	s_and_saveexec_b32 s12, s17
	s_cbranch_execnz .LBB48_134
.LBB48_124:
	s_or_b32 exec_lo, exec_lo, s12
	s_and_b32 s17, s2, s8
	s_and_saveexec_b32 s12, s17
	s_cbranch_execnz .LBB48_138
.LBB48_125:
	s_or_b32 exec_lo, exec_lo, s12
	s_and_b32 s17, s3, s8
	s_and_saveexec_b32 s12, s17
	s_cbranch_execnz .LBB48_142
.LBB48_126:
	s_or_b32 exec_lo, exec_lo, s12
	s_and_b32 s17, s4, s8
	s_and_saveexec_b32 s12, s17
	s_cbranch_execnz .LBB48_146
.LBB48_127:
	s_or_b32 exec_lo, exec_lo, s12
	s_and_b32 s17, s5, s8
	s_and_saveexec_b32 s12, s17
	s_cbranch_execnz .LBB48_150
.LBB48_128:
	s_or_b32 exec_lo, exec_lo, s12
	s_and_b32 s17, s6, s8
	s_and_saveexec_b32 s12, s17
	s_cbranch_execnz .LBB48_154
.LBB48_129:
	s_or_b32 exec_lo, exec_lo, s12
	s_and_b32 s12, s7, s8
	s_and_saveexec_b32 s8, s12
	s_cbranch_execnz .LBB48_158
	s_branch .LBB48_162
.LBB48_130:
	v_cmp_ne_u32_e32 vcc_lo, 1, v70
	v_lshlrev_b64 v[16:17], 2, v[0:1]
	s_cbranch_vccnz .LBB48_132
; %bb.131:
	v_add_co_u32 v54, vcc_lo, v52, v16
	v_add_co_ci_u32_e64 v55, null, v53, v17, vcc_lo
	flat_load_dword v54, v[54:55]
	s_waitcnt vmcnt(0) lgkmcnt(0)
	v_mul_f32_e32 v54, s22, v54
	s_branch .LBB48_133
.LBB48_132:
	v_mov_b32_e32 v54, 0
.LBB48_133:
	v_add_f32_e32 v48, v48, v49
	v_add_co_u32 v16, vcc_lo, v50, v16
	v_add_co_ci_u32_e64 v17, null, v51, v17, vcc_lo
	v_add_f32_e32 v48, v48, v54
	flat_store_dword v[16:17], v48
	s_or_b32 exec_lo, exec_lo, s12
	s_and_b32 s17, s1, s8
	s_and_saveexec_b32 s12, s17
	s_cbranch_execz .LBB48_124
.LBB48_134:
	v_cmp_ne_u32_e32 vcc_lo, 1, v70
	v_lshlrev_b64 v[16:17], 2, v[2:3]
	s_cbranch_vccnz .LBB48_136
; %bb.135:
	v_add_co_u32 v48, vcc_lo, v52, v16
	v_add_co_ci_u32_e64 v49, null, v53, v17, vcc_lo
	flat_load_dword v48, v[48:49]
	s_waitcnt vmcnt(0) lgkmcnt(0)
	v_mul_f32_e32 v48, s22, v48
	s_branch .LBB48_137
.LBB48_136:
	v_mov_b32_e32 v48, 0
.LBB48_137:
	v_add_f32_e32 v46, v46, v47
	v_add_co_u32 v16, vcc_lo, v50, v16
	v_add_co_ci_u32_e64 v17, null, v51, v17, vcc_lo
	v_add_f32_e32 v46, v46, v48
	flat_store_dword v[16:17], v46
	s_or_b32 exec_lo, exec_lo, s12
	s_and_b32 s17, s2, s8
	s_and_saveexec_b32 s12, s17
	s_cbranch_execz .LBB48_125
.LBB48_138:
	v_cmp_ne_u32_e32 vcc_lo, 1, v70
	v_lshlrev_b64 v[16:17], 2, v[4:5]
	s_cbranch_vccnz .LBB48_140
; %bb.139:
	v_add_co_u32 v46, vcc_lo, v52, v16
	v_add_co_ci_u32_e64 v47, null, v53, v17, vcc_lo
	flat_load_dword v46, v[46:47]
	s_waitcnt vmcnt(0) lgkmcnt(0)
	v_mul_f32_e32 v46, s22, v46
	s_branch .LBB48_141
.LBB48_140:
	v_mov_b32_e32 v46, 0
.LBB48_141:
	v_add_f32_e32 v44, v44, v45
	v_add_co_u32 v16, vcc_lo, v50, v16
	v_add_co_ci_u32_e64 v17, null, v51, v17, vcc_lo
	v_add_f32_e32 v44, v44, v46
	flat_store_dword v[16:17], v44
	s_or_b32 exec_lo, exec_lo, s12
	s_and_b32 s17, s3, s8
	s_and_saveexec_b32 s12, s17
	s_cbranch_execz .LBB48_126
.LBB48_142:
	v_cmp_ne_u32_e32 vcc_lo, 1, v70
	v_lshlrev_b64 v[16:17], 2, v[6:7]
	s_cbranch_vccnz .LBB48_144
; %bb.143:
	v_add_co_u32 v44, vcc_lo, v52, v16
	v_add_co_ci_u32_e64 v45, null, v53, v17, vcc_lo
	flat_load_dword v44, v[44:45]
	s_waitcnt vmcnt(0) lgkmcnt(0)
	v_mul_f32_e32 v44, s22, v44
	s_branch .LBB48_145
.LBB48_144:
	v_mov_b32_e32 v44, 0
.LBB48_145:
	v_add_f32_e32 v42, v42, v43
	v_add_co_u32 v16, vcc_lo, v50, v16
	v_add_co_ci_u32_e64 v17, null, v51, v17, vcc_lo
	v_add_f32_e32 v42, v42, v44
	flat_store_dword v[16:17], v42
	s_or_b32 exec_lo, exec_lo, s12
	s_and_b32 s17, s4, s8
	s_and_saveexec_b32 s12, s17
	s_cbranch_execz .LBB48_127
.LBB48_146:
	v_cmp_ne_u32_e32 vcc_lo, 1, v70
	v_lshlrev_b64 v[16:17], 2, v[8:9]
	s_cbranch_vccnz .LBB48_148
; %bb.147:
	v_add_co_u32 v42, vcc_lo, v52, v16
	v_add_co_ci_u32_e64 v43, null, v53, v17, vcc_lo
	flat_load_dword v42, v[42:43]
	s_waitcnt vmcnt(0) lgkmcnt(0)
	v_mul_f32_e32 v42, s22, v42
	s_branch .LBB48_149
.LBB48_148:
	v_mov_b32_e32 v42, 0
.LBB48_149:
	v_add_f32_e32 v40, v40, v41
	v_add_co_u32 v16, vcc_lo, v50, v16
	v_add_co_ci_u32_e64 v17, null, v51, v17, vcc_lo
	v_add_f32_e32 v40, v40, v42
	flat_store_dword v[16:17], v40
	s_or_b32 exec_lo, exec_lo, s12
	s_and_b32 s17, s5, s8
	s_and_saveexec_b32 s12, s17
	s_cbranch_execz .LBB48_128
.LBB48_150:
	v_cmp_ne_u32_e32 vcc_lo, 1, v70
	v_lshlrev_b64 v[16:17], 2, v[10:11]
	s_cbranch_vccnz .LBB48_152
; %bb.151:
	v_add_co_u32 v40, vcc_lo, v52, v16
	v_add_co_ci_u32_e64 v41, null, v53, v17, vcc_lo
	flat_load_dword v40, v[40:41]
	s_waitcnt vmcnt(0) lgkmcnt(0)
	v_mul_f32_e32 v40, s22, v40
	s_branch .LBB48_153
.LBB48_152:
	v_mov_b32_e32 v40, 0
.LBB48_153:
	v_add_f32_e32 v38, v38, v39
	v_add_co_u32 v16, vcc_lo, v50, v16
	v_add_co_ci_u32_e64 v17, null, v51, v17, vcc_lo
	v_add_f32_e32 v38, v38, v40
	flat_store_dword v[16:17], v38
	s_or_b32 exec_lo, exec_lo, s12
	s_and_b32 s17, s6, s8
	s_and_saveexec_b32 s12, s17
	s_cbranch_execz .LBB48_129
.LBB48_154:
	v_cmp_ne_u32_e32 vcc_lo, 1, v70
	v_lshlrev_b64 v[16:17], 2, v[12:13]
	s_cbranch_vccnz .LBB48_156
; %bb.155:
	v_add_co_u32 v38, vcc_lo, v52, v16
	v_add_co_ci_u32_e64 v39, null, v53, v17, vcc_lo
	flat_load_dword v38, v[38:39]
	s_waitcnt vmcnt(0) lgkmcnt(0)
	v_mul_f32_e32 v38, s22, v38
	s_branch .LBB48_157
.LBB48_156:
	v_mov_b32_e32 v38, 0
.LBB48_157:
	v_add_f32_e32 v36, v36, v37
	v_add_co_u32 v16, vcc_lo, v50, v16
	v_add_co_ci_u32_e64 v17, null, v51, v17, vcc_lo
	v_add_f32_e32 v36, v36, v38
	flat_store_dword v[16:17], v36
	s_or_b32 exec_lo, exec_lo, s12
	s_and_b32 s12, s7, s8
	s_and_saveexec_b32 s8, s12
	s_cbranch_execz .LBB48_162
.LBB48_158:
	v_cmp_ne_u32_e32 vcc_lo, 1, v70
	v_lshlrev_b64 v[16:17], 2, v[14:15]
	s_cbranch_vccnz .LBB48_160
; %bb.159:
	v_add_co_u32 v36, vcc_lo, v52, v16
	v_add_co_ci_u32_e64 v37, null, v53, v17, vcc_lo
	flat_load_dword v36, v[36:37]
	s_waitcnt vmcnt(0) lgkmcnt(0)
	v_mul_f32_e32 v36, s22, v36
	s_branch .LBB48_161
.LBB48_160:
	v_mov_b32_e32 v36, 0
.LBB48_161:
	v_add_f32_e32 v34, v34, v35
	v_add_co_u32 v16, vcc_lo, v50, v16
	v_add_co_ci_u32_e64 v17, null, v51, v17, vcc_lo
	v_add_f32_e32 v34, v34, v36
	flat_store_dword v[16:17], v34
.LBB48_162:
	s_or_b32 exec_lo, exec_lo, s8
	v_add_nc_u32_e32 v36, 0x60, v71
	v_mad_i64_i32 v[16:17], null, v36, s14, 0
	v_mad_i64_i32 v[34:35], null, v36, s9, 0
	v_cmp_gt_i32_e64 s8, s13, v36
	v_lshlrev_b64 v[16:17], 2, v[16:17]
	s_and_b32 s9, s0, s8
	v_lshlrev_b64 v[36:37], 2, v[34:35]
	v_add_co_u32 v34, vcc_lo, s10, v16
	v_add_co_ci_u32_e64 v35, null, s11, v17, vcc_lo
	v_add_co_u32 v16, vcc_lo, s15, v36
	v_add_co_ci_u32_e64 v17, null, s16, v37, vcc_lo
	s_and_saveexec_b32 s0, s9
	s_cbranch_execnz .LBB48_171
; %bb.163:
	s_or_b32 exec_lo, exec_lo, s0
	s_and_b32 s1, s1, s8
	s_and_saveexec_b32 s0, s1
	s_cbranch_execnz .LBB48_175
.LBB48_164:
	s_or_b32 exec_lo, exec_lo, s0
	s_and_b32 s1, s2, s8
	s_and_saveexec_b32 s0, s1
	s_cbranch_execnz .LBB48_179
.LBB48_165:
	s_or_b32 exec_lo, exec_lo, s0
	s_and_b32 s1, s3, s8
	s_and_saveexec_b32 s0, s1
	s_cbranch_execnz .LBB48_183
.LBB48_166:
	s_or_b32 exec_lo, exec_lo, s0
	s_and_b32 s1, s4, s8
	s_and_saveexec_b32 s0, s1
	s_cbranch_execnz .LBB48_187
.LBB48_167:
	s_or_b32 exec_lo, exec_lo, s0
	s_and_b32 s1, s5, s8
	s_and_saveexec_b32 s0, s1
	s_cbranch_execnz .LBB48_191
.LBB48_168:
	s_or_b32 exec_lo, exec_lo, s0
	s_and_b32 s1, s6, s8
	s_and_saveexec_b32 s0, s1
	s_cbranch_execnz .LBB48_195
.LBB48_169:
	s_or_b32 exec_lo, exec_lo, s0
	s_and_b32 s0, s7, s8
	s_and_saveexec_b32 s1, s0
	s_cbranch_execnz .LBB48_199
.LBB48_170:
	s_endpgm
.LBB48_171:
	v_cmp_ne_u32_e32 vcc_lo, 1, v70
	v_lshlrev_b64 v[0:1], 2, v[0:1]
	s_cbranch_vccnz .LBB48_173
; %bb.172:
	v_add_co_u32 v36, vcc_lo, v34, v0
	v_add_co_ci_u32_e64 v37, null, v35, v1, vcc_lo
	flat_load_dword v36, v[36:37]
	s_waitcnt vmcnt(0) lgkmcnt(0)
	v_mul_f32_e32 v36, s22, v36
	s_branch .LBB48_174
.LBB48_173:
	v_mov_b32_e32 v36, 0
.LBB48_174:
	v_add_f32_e32 v32, v32, v33
	v_add_co_u32 v0, vcc_lo, v16, v0
	v_add_co_ci_u32_e64 v1, null, v17, v1, vcc_lo
	v_add_f32_e32 v32, v32, v36
	flat_store_dword v[0:1], v32
	s_or_b32 exec_lo, exec_lo, s0
	s_and_b32 s1, s1, s8
	s_and_saveexec_b32 s0, s1
	s_cbranch_execz .LBB48_164
.LBB48_175:
	v_cmp_ne_u32_e32 vcc_lo, 1, v70
	v_lshlrev_b64 v[0:1], 2, v[2:3]
	s_cbranch_vccnz .LBB48_177
; %bb.176:
	v_add_co_u32 v2, vcc_lo, v34, v0
	v_add_co_ci_u32_e64 v3, null, v35, v1, vcc_lo
	flat_load_dword v2, v[2:3]
	s_waitcnt vmcnt(0) lgkmcnt(0)
	v_mul_f32_e32 v2, s22, v2
	s_branch .LBB48_178
.LBB48_177:
	v_mov_b32_e32 v2, 0
.LBB48_178:
	v_add_f32_e32 v3, v30, v31
	v_add_co_u32 v0, vcc_lo, v16, v0
	v_add_co_ci_u32_e64 v1, null, v17, v1, vcc_lo
	v_add_f32_e32 v2, v3, v2
	flat_store_dword v[0:1], v2
	s_or_b32 exec_lo, exec_lo, s0
	s_and_b32 s1, s2, s8
	s_and_saveexec_b32 s0, s1
	s_cbranch_execz .LBB48_165
.LBB48_179:
	v_cmp_ne_u32_e32 vcc_lo, 1, v70
	v_lshlrev_b64 v[0:1], 2, v[4:5]
	s_cbranch_vccnz .LBB48_181
; %bb.180:
	v_add_co_u32 v2, vcc_lo, v34, v0
	v_add_co_ci_u32_e64 v3, null, v35, v1, vcc_lo
	flat_load_dword v2, v[2:3]
	s_waitcnt vmcnt(0) lgkmcnt(0)
	v_mul_f32_e32 v2, s22, v2
	s_branch .LBB48_182
.LBB48_181:
	v_mov_b32_e32 v2, 0
.LBB48_182:
	v_add_f32_e32 v3, v28, v29
	v_add_co_u32 v0, vcc_lo, v16, v0
	v_add_co_ci_u32_e64 v1, null, v17, v1, vcc_lo
	v_add_f32_e32 v2, v3, v2
	flat_store_dword v[0:1], v2
	s_or_b32 exec_lo, exec_lo, s0
	s_and_b32 s1, s3, s8
	s_and_saveexec_b32 s0, s1
	s_cbranch_execz .LBB48_166
.LBB48_183:
	v_cmp_ne_u32_e32 vcc_lo, 1, v70
	v_lshlrev_b64 v[0:1], 2, v[6:7]
	s_cbranch_vccnz .LBB48_185
; %bb.184:
	v_add_co_u32 v2, vcc_lo, v34, v0
	v_add_co_ci_u32_e64 v3, null, v35, v1, vcc_lo
	flat_load_dword v2, v[2:3]
	s_waitcnt vmcnt(0) lgkmcnt(0)
	v_mul_f32_e32 v2, s22, v2
	s_branch .LBB48_186
.LBB48_185:
	v_mov_b32_e32 v2, 0
.LBB48_186:
	v_add_f32_e32 v3, v26, v27
	v_add_co_u32 v0, vcc_lo, v16, v0
	v_add_co_ci_u32_e64 v1, null, v17, v1, vcc_lo
	v_add_f32_e32 v2, v3, v2
	flat_store_dword v[0:1], v2
	s_or_b32 exec_lo, exec_lo, s0
	s_and_b32 s1, s4, s8
	s_and_saveexec_b32 s0, s1
	s_cbranch_execz .LBB48_167
.LBB48_187:
	v_cmp_ne_u32_e32 vcc_lo, 1, v70
	v_lshlrev_b64 v[0:1], 2, v[8:9]
	s_cbranch_vccnz .LBB48_189
; %bb.188:
	v_add_co_u32 v2, vcc_lo, v34, v0
	v_add_co_ci_u32_e64 v3, null, v35, v1, vcc_lo
	flat_load_dword v2, v[2:3]
	s_waitcnt vmcnt(0) lgkmcnt(0)
	v_mul_f32_e32 v2, s22, v2
	s_branch .LBB48_190
.LBB48_189:
	v_mov_b32_e32 v2, 0
.LBB48_190:
	v_add_f32_e32 v3, v24, v25
	v_add_co_u32 v0, vcc_lo, v16, v0
	v_add_co_ci_u32_e64 v1, null, v17, v1, vcc_lo
	v_add_f32_e32 v2, v3, v2
	flat_store_dword v[0:1], v2
	s_or_b32 exec_lo, exec_lo, s0
	s_and_b32 s1, s5, s8
	s_and_saveexec_b32 s0, s1
	s_cbranch_execz .LBB48_168
.LBB48_191:
	v_cmp_ne_u32_e32 vcc_lo, 1, v70
	v_lshlrev_b64 v[0:1], 2, v[10:11]
	s_cbranch_vccnz .LBB48_193
; %bb.192:
	v_add_co_u32 v2, vcc_lo, v34, v0
	v_add_co_ci_u32_e64 v3, null, v35, v1, vcc_lo
	flat_load_dword v2, v[2:3]
	s_waitcnt vmcnt(0) lgkmcnt(0)
	v_mul_f32_e32 v2, s22, v2
	s_branch .LBB48_194
.LBB48_193:
	v_mov_b32_e32 v2, 0
.LBB48_194:
	v_add_f32_e32 v3, v22, v23
	v_add_co_u32 v0, vcc_lo, v16, v0
	v_add_co_ci_u32_e64 v1, null, v17, v1, vcc_lo
	v_add_f32_e32 v2, v3, v2
	flat_store_dword v[0:1], v2
	s_or_b32 exec_lo, exec_lo, s0
	s_and_b32 s1, s6, s8
	s_and_saveexec_b32 s0, s1
	s_cbranch_execz .LBB48_169
.LBB48_195:
	v_cmp_ne_u32_e32 vcc_lo, 1, v70
	v_lshlrev_b64 v[0:1], 2, v[12:13]
	s_cbranch_vccnz .LBB48_197
; %bb.196:
	v_add_co_u32 v2, vcc_lo, v34, v0
	v_add_co_ci_u32_e64 v3, null, v35, v1, vcc_lo
	flat_load_dword v2, v[2:3]
	s_waitcnt vmcnt(0) lgkmcnt(0)
	v_mul_f32_e32 v2, s22, v2
	s_branch .LBB48_198
.LBB48_197:
	v_mov_b32_e32 v2, 0
.LBB48_198:
	v_add_f32_e32 v3, v20, v21
	v_add_co_u32 v0, vcc_lo, v16, v0
	v_add_co_ci_u32_e64 v1, null, v17, v1, vcc_lo
	v_add_f32_e32 v2, v3, v2
	flat_store_dword v[0:1], v2
	s_or_b32 exec_lo, exec_lo, s0
	s_and_b32 s0, s7, s8
	s_and_saveexec_b32 s1, s0
	s_cbranch_execz .LBB48_170
.LBB48_199:
	v_cmp_ne_u32_e32 vcc_lo, 1, v70
	v_lshlrev_b64 v[0:1], 2, v[14:15]
	s_cbranch_vccnz .LBB48_201
; %bb.200:
	v_add_co_u32 v2, vcc_lo, v34, v0
	v_add_co_ci_u32_e64 v3, null, v35, v1, vcc_lo
	flat_load_dword v2, v[2:3]
	s_waitcnt vmcnt(0) lgkmcnt(0)
	v_mul_f32_e32 v2, s22, v2
	s_branch .LBB48_202
.LBB48_201:
	v_mov_b32_e32 v2, 0
.LBB48_202:
	v_add_f32_e32 v3, v18, v19
	v_add_co_u32 v0, vcc_lo, v16, v0
	v_add_co_ci_u32_e64 v1, null, v17, v1, vcc_lo
	v_add_f32_e32 v2, v3, v2
	flat_store_dword v[0:1], v2
	s_endpgm
	.section	.rodata,"a",@progbits
	.p2align	6, 0x0
	.amdhsa_kernel _ZN12_GLOBAL__N_120geam_min_plus_kernelIf15HIP_vector_typeIfLj2EES2_Li8ELi32ELi64ELi128ELi4ELi4ELi64ELi64ELi4ELc84ELc84ELb0ELb1ELb0EPKfKS4_KPfEEviiiT16_PT17_ilSA_ilS8_SA_ilPT18_ili26rocblas_geam_ex_operation_
		.amdhsa_group_segment_fixed_size 6144
		.amdhsa_private_segment_fixed_size 0
		.amdhsa_kernarg_size 136
		.amdhsa_user_sgpr_count 6
		.amdhsa_user_sgpr_private_segment_buffer 1
		.amdhsa_user_sgpr_dispatch_ptr 0
		.amdhsa_user_sgpr_queue_ptr 0
		.amdhsa_user_sgpr_kernarg_segment_ptr 1
		.amdhsa_user_sgpr_dispatch_id 0
		.amdhsa_user_sgpr_flat_scratch_init 0
		.amdhsa_user_sgpr_private_segment_size 0
		.amdhsa_wavefront_size32 1
		.amdhsa_uses_dynamic_stack 0
		.amdhsa_system_sgpr_private_segment_wavefront_offset 0
		.amdhsa_system_sgpr_workgroup_id_x 1
		.amdhsa_system_sgpr_workgroup_id_y 0
		.amdhsa_system_sgpr_workgroup_id_z 1
		.amdhsa_system_sgpr_workgroup_info 0
		.amdhsa_system_vgpr_workitem_id 1
		.amdhsa_next_free_vgpr 151
		.amdhsa_next_free_sgpr 29
		.amdhsa_reserve_vcc 1
		.amdhsa_reserve_flat_scratch 0
		.amdhsa_float_round_mode_32 0
		.amdhsa_float_round_mode_16_64 0
		.amdhsa_float_denorm_mode_32 3
		.amdhsa_float_denorm_mode_16_64 3
		.amdhsa_dx10_clamp 1
		.amdhsa_ieee_mode 1
		.amdhsa_fp16_overflow 0
		.amdhsa_workgroup_processor_mode 1
		.amdhsa_memory_ordered 1
		.amdhsa_forward_progress 1
		.amdhsa_shared_vgpr_count 0
		.amdhsa_exception_fp_ieee_invalid_op 0
		.amdhsa_exception_fp_denorm_src 0
		.amdhsa_exception_fp_ieee_div_zero 0
		.amdhsa_exception_fp_ieee_overflow 0
		.amdhsa_exception_fp_ieee_underflow 0
		.amdhsa_exception_fp_ieee_inexact 0
		.amdhsa_exception_int_div_zero 0
	.end_amdhsa_kernel
	.section	.text._ZN12_GLOBAL__N_120geam_min_plus_kernelIf15HIP_vector_typeIfLj2EES2_Li8ELi32ELi64ELi128ELi4ELi4ELi64ELi64ELi4ELc84ELc84ELb0ELb1ELb0EPKfKS4_KPfEEviiiT16_PT17_ilSA_ilS8_SA_ilPT18_ili26rocblas_geam_ex_operation_,"axG",@progbits,_ZN12_GLOBAL__N_120geam_min_plus_kernelIf15HIP_vector_typeIfLj2EES2_Li8ELi32ELi64ELi128ELi4ELi4ELi64ELi64ELi4ELc84ELc84ELb0ELb1ELb0EPKfKS4_KPfEEviiiT16_PT17_ilSA_ilS8_SA_ilPT18_ili26rocblas_geam_ex_operation_,comdat
.Lfunc_end48:
	.size	_ZN12_GLOBAL__N_120geam_min_plus_kernelIf15HIP_vector_typeIfLj2EES2_Li8ELi32ELi64ELi128ELi4ELi4ELi64ELi64ELi4ELc84ELc84ELb0ELb1ELb0EPKfKS4_KPfEEviiiT16_PT17_ilSA_ilS8_SA_ilPT18_ili26rocblas_geam_ex_operation_, .Lfunc_end48-_ZN12_GLOBAL__N_120geam_min_plus_kernelIf15HIP_vector_typeIfLj2EES2_Li8ELi32ELi64ELi128ELi4ELi4ELi64ELi64ELi4ELc84ELc84ELb0ELb1ELb0EPKfKS4_KPfEEviiiT16_PT17_ilSA_ilS8_SA_ilPT18_ili26rocblas_geam_ex_operation_
                                        ; -- End function
	.set _ZN12_GLOBAL__N_120geam_min_plus_kernelIf15HIP_vector_typeIfLj2EES2_Li8ELi32ELi64ELi128ELi4ELi4ELi64ELi64ELi4ELc84ELc84ELb0ELb1ELb0EPKfKS4_KPfEEviiiT16_PT17_ilSA_ilS8_SA_ilPT18_ili26rocblas_geam_ex_operation_.num_vgpr, 151
	.set _ZN12_GLOBAL__N_120geam_min_plus_kernelIf15HIP_vector_typeIfLj2EES2_Li8ELi32ELi64ELi128ELi4ELi4ELi64ELi64ELi4ELc84ELc84ELb0ELb1ELb0EPKfKS4_KPfEEviiiT16_PT17_ilSA_ilS8_SA_ilPT18_ili26rocblas_geam_ex_operation_.num_agpr, 0
	.set _ZN12_GLOBAL__N_120geam_min_plus_kernelIf15HIP_vector_typeIfLj2EES2_Li8ELi32ELi64ELi128ELi4ELi4ELi64ELi64ELi4ELc84ELc84ELb0ELb1ELb0EPKfKS4_KPfEEviiiT16_PT17_ilSA_ilS8_SA_ilPT18_ili26rocblas_geam_ex_operation_.numbered_sgpr, 29
	.set _ZN12_GLOBAL__N_120geam_min_plus_kernelIf15HIP_vector_typeIfLj2EES2_Li8ELi32ELi64ELi128ELi4ELi4ELi64ELi64ELi4ELc84ELc84ELb0ELb1ELb0EPKfKS4_KPfEEviiiT16_PT17_ilSA_ilS8_SA_ilPT18_ili26rocblas_geam_ex_operation_.num_named_barrier, 0
	.set _ZN12_GLOBAL__N_120geam_min_plus_kernelIf15HIP_vector_typeIfLj2EES2_Li8ELi32ELi64ELi128ELi4ELi4ELi64ELi64ELi4ELc84ELc84ELb0ELb1ELb0EPKfKS4_KPfEEviiiT16_PT17_ilSA_ilS8_SA_ilPT18_ili26rocblas_geam_ex_operation_.private_seg_size, 0
	.set _ZN12_GLOBAL__N_120geam_min_plus_kernelIf15HIP_vector_typeIfLj2EES2_Li8ELi32ELi64ELi128ELi4ELi4ELi64ELi64ELi4ELc84ELc84ELb0ELb1ELb0EPKfKS4_KPfEEviiiT16_PT17_ilSA_ilS8_SA_ilPT18_ili26rocblas_geam_ex_operation_.uses_vcc, 1
	.set _ZN12_GLOBAL__N_120geam_min_plus_kernelIf15HIP_vector_typeIfLj2EES2_Li8ELi32ELi64ELi128ELi4ELi4ELi64ELi64ELi4ELc84ELc84ELb0ELb1ELb0EPKfKS4_KPfEEviiiT16_PT17_ilSA_ilS8_SA_ilPT18_ili26rocblas_geam_ex_operation_.uses_flat_scratch, 0
	.set _ZN12_GLOBAL__N_120geam_min_plus_kernelIf15HIP_vector_typeIfLj2EES2_Li8ELi32ELi64ELi128ELi4ELi4ELi64ELi64ELi4ELc84ELc84ELb0ELb1ELb0EPKfKS4_KPfEEviiiT16_PT17_ilSA_ilS8_SA_ilPT18_ili26rocblas_geam_ex_operation_.has_dyn_sized_stack, 0
	.set _ZN12_GLOBAL__N_120geam_min_plus_kernelIf15HIP_vector_typeIfLj2EES2_Li8ELi32ELi64ELi128ELi4ELi4ELi64ELi64ELi4ELc84ELc84ELb0ELb1ELb0EPKfKS4_KPfEEviiiT16_PT17_ilSA_ilS8_SA_ilPT18_ili26rocblas_geam_ex_operation_.has_recursion, 0
	.set _ZN12_GLOBAL__N_120geam_min_plus_kernelIf15HIP_vector_typeIfLj2EES2_Li8ELi32ELi64ELi128ELi4ELi4ELi64ELi64ELi4ELc84ELc84ELb0ELb1ELb0EPKfKS4_KPfEEviiiT16_PT17_ilSA_ilS8_SA_ilPT18_ili26rocblas_geam_ex_operation_.has_indirect_call, 0
	.section	.AMDGPU.csdata,"",@progbits
; Kernel info:
; codeLenInByte = 9152
; TotalNumSgprs: 31
; NumVgprs: 151
; ScratchSize: 0
; MemoryBound: 0
; FloatMode: 240
; IeeeMode: 1
; LDSByteSize: 6144 bytes/workgroup (compile time only)
; SGPRBlocks: 0
; VGPRBlocks: 18
; NumSGPRsForWavesPerEU: 31
; NumVGPRsForWavesPerEU: 151
; Occupancy: 6
; WaveLimiterHint : 1
; COMPUTE_PGM_RSRC2:SCRATCH_EN: 0
; COMPUTE_PGM_RSRC2:USER_SGPR: 6
; COMPUTE_PGM_RSRC2:TRAP_HANDLER: 0
; COMPUTE_PGM_RSRC2:TGID_X_EN: 1
; COMPUTE_PGM_RSRC2:TGID_Y_EN: 0
; COMPUTE_PGM_RSRC2:TGID_Z_EN: 1
; COMPUTE_PGM_RSRC2:TIDIG_COMP_CNT: 1
	.section	.text._ZN12_GLOBAL__N_120geam_min_plus_kernelIf15HIP_vector_typeIfLj2EES2_Li8ELi32ELi64ELi128ELi4ELi4ELi64ELi64ELi4ELc84ELc84ELb1ELb1ELb0EfKPKfKPfEEviiiT16_PT17_ilSA_ilS8_SA_ilPT18_ili26rocblas_geam_ex_operation_,"axG",@progbits,_ZN12_GLOBAL__N_120geam_min_plus_kernelIf15HIP_vector_typeIfLj2EES2_Li8ELi32ELi64ELi128ELi4ELi4ELi64ELi64ELi4ELc84ELc84ELb1ELb1ELb0EfKPKfKPfEEviiiT16_PT17_ilSA_ilS8_SA_ilPT18_ili26rocblas_geam_ex_operation_,comdat
	.globl	_ZN12_GLOBAL__N_120geam_min_plus_kernelIf15HIP_vector_typeIfLj2EES2_Li8ELi32ELi64ELi128ELi4ELi4ELi64ELi64ELi4ELc84ELc84ELb1ELb1ELb0EfKPKfKPfEEviiiT16_PT17_ilSA_ilS8_SA_ilPT18_ili26rocblas_geam_ex_operation_ ; -- Begin function _ZN12_GLOBAL__N_120geam_min_plus_kernelIf15HIP_vector_typeIfLj2EES2_Li8ELi32ELi64ELi128ELi4ELi4ELi64ELi64ELi4ELc84ELc84ELb1ELb1ELb0EfKPKfKPfEEviiiT16_PT17_ilSA_ilS8_SA_ilPT18_ili26rocblas_geam_ex_operation_
	.p2align	8
	.type	_ZN12_GLOBAL__N_120geam_min_plus_kernelIf15HIP_vector_typeIfLj2EES2_Li8ELi32ELi64ELi128ELi4ELi4ELi64ELi64ELi4ELc84ELc84ELb1ELb1ELb0EfKPKfKPfEEviiiT16_PT17_ilSA_ilS8_SA_ilPT18_ili26rocblas_geam_ex_operation_,@function
_ZN12_GLOBAL__N_120geam_min_plus_kernelIf15HIP_vector_typeIfLj2EES2_Li8ELi32ELi64ELi128ELi4ELi4ELi64ELi64ELi4ELc84ELc84ELb1ELb1ELb0EfKPKfKPfEEviiiT16_PT17_ilSA_ilS8_SA_ilPT18_ili26rocblas_geam_ex_operation_: ; @_ZN12_GLOBAL__N_120geam_min_plus_kernelIf15HIP_vector_typeIfLj2EES2_Li8ELi32ELi64ELi128ELi4ELi4ELi64ELi64ELi4ELc84ELc84ELb1ELb1ELb0EfKPKfKPfEEviiiT16_PT17_ilSA_ilS8_SA_ilPT18_ili26rocblas_geam_ex_operation_
; %bb.0:
	s_clause 0x1
	s_load_dwordx4 s[12:15], s[4:5], 0x0
	s_load_dwordx4 s[0:3], s[4:5], 0x20
	s_mov_b32 s18, s7
	s_mov_b32 s19, 0
	s_waitcnt lgkmcnt(0)
	v_cmp_eq_f32_e64 s7, s15, 0
	s_and_b32 vcc_lo, exec_lo, s7
	s_cbranch_vccnz .LBB49_3
; %bb.1:
	s_load_dwordx2 s[8:9], s[4:5], 0x10
	s_lshl_b64 s[10:11], s[18:19], 3
	s_waitcnt lgkmcnt(0)
	s_add_u32 s8, s8, s10
	s_addc_u32 s9, s9, s11
	s_lshl_b64 s[0:1], s[0:1], 2
	s_load_dwordx2 s[8:9], s[8:9], 0x0
	s_waitcnt lgkmcnt(0)
	s_add_u32 s16, s8, s0
	s_addc_u32 s17, s9, s1
	s_andn2_b32 vcc_lo, exec_lo, s7
	s_cbranch_vccnz .LBB49_4
.LBB49_2:
	s_mov_b32 s21, 0
	s_mov_b32 s20, s18
	;; [unrolled: 1-line block ×3, first 2 shown]
	s_mov_b64 s[10:11], 0
	s_andn2_b32 vcc_lo, exec_lo, s0
	s_mov_b64 s[8:9], 0
	s_cbranch_vccz .LBB49_5
	s_branch .LBB49_6
.LBB49_3:
	s_mov_b64 s[16:17], 0
	s_andn2_b32 vcc_lo, exec_lo, s7
	s_cbranch_vccz .LBB49_2
.LBB49_4:
	s_mov_b64 s[20:21], s[18:19]
	s_mov_b64 s[10:11], 0
	;; [unrolled: 1-line block ×3, first 2 shown]
.LBB49_5:
	s_lshl_b64 s[0:1], s[18:19], 3
	s_load_dwordx2 s[8:9], s[4:5], 0x38
	s_add_u32 s0, s2, s0
	s_addc_u32 s1, s3, s1
	s_load_dwordx2 s[0:1], s[0:1], 0x0
	s_waitcnt lgkmcnt(0)
	s_lshl_b64 s[2:3], s[8:9], 2
	s_add_u32 s8, s0, s2
	s_addc_u32 s9, s1, s3
.LBB49_6:
	s_clause 0x1
	s_load_dword s15, s[4:5], 0x40
	s_load_dwordx4 s[0:3], s[4:5], 0x58
	s_waitcnt lgkmcnt(0)
	v_cmp_eq_f32_e64 s7, s15, 0
	v_cmp_neq_f32_e64 s22, s15, 0
	s_and_b32 vcc_lo, exec_lo, s7
	s_cbranch_vccnz .LBB49_8
; %bb.7:
	s_load_dwordx2 s[10:11], s[4:5], 0x48
	s_lshl_b64 s[18:19], s[20:21], 3
	s_waitcnt lgkmcnt(0)
	s_add_u32 s10, s10, s18
	s_addc_u32 s11, s11, s19
	s_lshl_b64 s[0:1], s[0:1], 2
	s_load_dwordx2 s[10:11], s[10:11], 0x0
	s_waitcnt lgkmcnt(0)
	s_add_u32 s10, s10, s0
	s_addc_u32 s11, s11, s1
.LBB49_8:
	s_lshl_b64 s[0:1], s[20:21], 3
	s_load_dword s25, s[4:5], 0x18
	s_add_u32 s18, s2, s0
	s_addc_u32 s19, s3, s1
	s_add_i32 s0, s12, -1
	v_and_b32_e32 v70, 3, v0
	s_ashr_i32 s1, s0, 31
	v_mov_b32_e32 v6, 0
	s_lshr_b32 s1, s1, 26
	v_mov_b32_e32 v8, 0
	s_add_i32 s0, s0, s1
	v_lshlrev_b32_e32 v9, 2, v70
	s_ashr_i32 s0, s0, 6
	s_add_i32 s1, s0, 1
	s_not_b32 s0, s0
	v_cvt_f32_u32_e32 v2, s1
	v_rcp_iflag_f32_e32 v2, v2
	v_mul_f32_e32 v2, 0x4f7ffffe, v2
	v_cvt_u32_f32_e32 v2, v2
	v_readfirstlane_b32 s2, v2
	v_lshl_add_u32 v2, v1, 3, v0
	s_mul_i32 s0, s0, s2
	v_lshrrev_b32_e32 v7, 2, v2
	s_mul_hi_u32 s0, s2, s0
	s_add_i32 s2, s2, s0
	s_mul_hi_u32 s0, s6, s2
	s_mul_i32 s2, s0, s1
	s_add_i32 s3, s0, 1
	s_sub_i32 s2, s6, s2
	s_sub_i32 s7, s2, s1
	s_cmp_ge_u32 s2, s1
	s_cselect_b32 s0, s3, s0
	s_cselect_b32 s2, s7, s2
	s_add_i32 s3, s0, 1
	s_cmp_ge_u32 s2, s1
	s_cselect_b32 s2, s3, s0
	s_mul_i32 s0, s2, s1
	s_sub_i32 s0, s6, s0
	s_lshl_b32 s3, s0, 6
	v_cmp_gt_i32_e64 s0, s14, v70
	v_add_nc_u32_e32 v4, s3, v7
	v_cmp_gt_i32_e64 s1, s12, v4
	v_cmp_le_i32_e32 vcc_lo, s12, v4
	s_and_b32 s0, s0, s1
	s_and_saveexec_b32 s1, s0
	s_cbranch_execz .LBB49_10
; %bb.9:
	s_waitcnt lgkmcnt(0)
	v_mad_i64_i32 v[10:11], null, v4, s25, 0
	v_lshlrev_b64 v[10:11], 2, v[10:11]
	v_add_co_u32 v3, s0, s16, v10
	v_add_co_ci_u32_e64 v5, null, s17, v11, s0
	v_add_co_u32 v10, s0, v3, v9
	v_add_co_ci_u32_e64 v11, null, 0, v5, s0
	flat_load_dword v8, v[10:11]
.LBB49_10:
	s_or_b32 exec_lo, exec_lo, s1
	s_load_dword s21, s[4:5], 0x30
	v_lshrrev_b32_e32 v71, 6, v2
	v_and_b32_e32 v10, 63, v2
	s_lshl_b32 s20, s2, 7
	v_cmp_le_i32_e64 s2, s14, v71
	v_or_b32_e32 v2, s20, v10
	v_cmp_le_i32_e64 s0, s13, v2
	v_ashrrev_i32_e32 v3, 31, v2
	s_waitcnt lgkmcnt(0)
	v_mad_i64_i32 v[11:12], null, s21, v71, 0
	s_ashr_i32 s23, s21, 31
	v_lshlrev_b64 v[12:13], 2, v[11:12]
	v_add_co_u32 v12, s1, s8, v12
	v_add_co_ci_u32_e64 v13, null, s9, v13, s1
	s_nor_b32 s1, s0, s2
	s_and_saveexec_b32 s6, s1
	s_cbranch_execz .LBB49_12
; %bb.11:
	v_lshlrev_b64 v[5:6], 2, v[2:3]
	v_add_co_u32 v5, s1, v12, v5
	v_add_co_ci_u32_e64 v6, null, v13, v6, s1
	flat_load_dword v6, v[5:6]
.LBB49_12:
	s_or_b32 exec_lo, exec_lo, s6
	v_or_b32_e32 v5, 64, v2
	v_mov_b32_e32 v11, 0
	v_cmp_le_i32_e64 s1, s13, v5
	v_mov_b32_e32 v5, 0
	s_nor_b32 s2, s1, s2
	s_and_saveexec_b32 s6, s2
	s_cbranch_execz .LBB49_14
; %bb.13:
	v_lshlrev_b64 v[14:15], 2, v[2:3]
	v_add_co_u32 v11, s2, v12, v14
	v_add_co_ci_u32_e64 v12, null, v13, v15, s2
	flat_load_dword v11, v[11:12] offset:256
.LBB49_14:
	s_or_b32 exec_lo, exec_lo, s6
	v_or_b32_e32 v12, 4, v70
	s_xor_b32 s24, vcc_lo, -1
	v_cmp_gt_i32_e64 s2, s14, v12
	s_and_b32 s6, s2, s24
	s_and_saveexec_b32 s2, s6
	s_cbranch_execz .LBB49_16
; %bb.15:
	v_mad_i64_i32 v[12:13], null, v4, s25, 0
	v_lshlrev_b64 v[12:13], 2, v[12:13]
	v_add_co_u32 v5, vcc_lo, s16, v12
	v_add_co_ci_u32_e64 v13, null, s17, v13, vcc_lo
	v_add_co_u32 v12, vcc_lo, v5, v9
	v_add_co_ci_u32_e64 v13, null, 0, v13, vcc_lo
	flat_load_dword v5, v[12:13] offset:16
.LBB49_16:
	s_or_b32 exec_lo, exec_lo, s2
	v_add_nc_u32_e32 v15, 4, v71
	v_mov_b32_e32 v76, 0
	v_mov_b32_e32 v77, 0
	v_mad_u64_u32 v[12:13], null, s21, v15, 0
	v_cmp_le_i32_e32 vcc_lo, s14, v15
	v_mad_u64_u32 v[13:14], null, s23, v15, v[13:14]
	v_lshlrev_b64 v[12:13], 2, v[12:13]
	v_add_co_u32 v12, s2, s8, v12
	v_add_co_ci_u32_e64 v13, null, s9, v13, s2
	s_nor_b32 s2, s0, vcc_lo
	s_and_saveexec_b32 s6, s2
	s_cbranch_execz .LBB49_18
; %bb.17:
	v_lshlrev_b64 v[14:15], 2, v[2:3]
	v_add_co_u32 v14, s2, v12, v14
	v_add_co_ci_u32_e64 v15, null, v13, v15, s2
	flat_load_dword v77, v[14:15]
.LBB49_18:
	s_or_b32 exec_lo, exec_lo, s6
	s_load_dwordx2 s[6:7], s[18:19], 0x0
	s_nor_b32 s18, s1, vcc_lo
	s_and_saveexec_b32 s2, s18
	s_cbranch_execz .LBB49_20
; %bb.19:
	v_lshlrev_b64 v[14:15], 2, v[2:3]
	v_add_co_u32 v12, vcc_lo, v12, v14
	v_add_co_ci_u32_e64 v13, null, v13, v15, vcc_lo
	flat_load_dword v76, v[12:13] offset:256
.LBB49_20:
	s_or_b32 exec_lo, exec_lo, s2
	v_lshlrev_b32_e32 v10, 4, v10
	v_lshl_or_b32 v78, v7, 4, v9
	v_mov_b32_e32 v68, 0
	v_lshl_or_b32 v72, v0, 4, 0x1000
	v_lshlrev_b32_e32 v74, 4, v1
	v_lshl_add_u32 v73, v71, 2, v10
	v_add_nc_u32_e32 v75, 0x1000, v78
	s_waitcnt vmcnt(0)
	ds_write_b32 v78, v8 offset:4096
	v_mov_b32_e32 v69, v68
	v_mov_b32_e32 v7, v68
	s_waitcnt lgkmcnt(0)
	ds_write2st64_b32 v73, v6, v11 offset1:4
	v_mov_b32_e32 v6, v68
	v_mov_b32_e32 v8, v68
	;; [unrolled: 1-line block ×61, first 2 shown]
	s_mov_b32 s18, 0
	s_mov_b32 s2, -1
	s_waitcnt lgkmcnt(0)
	s_barrier
	buffer_gl0_inv
.LBB49_21:                              ; =>This Inner Loop Header: Depth=1
	s_lshl_b32 s18, s18, 2
	v_cndmask_b32_e64 v79, 0, 1, s2
	v_add_nc_u32_e32 v91, s18, v72
	v_add_nc_u32_e32 v99, s18, v74
	s_mov_b32 s2, 0
	s_mov_b32 s18, 2
	v_cmp_ne_u32_e32 vcc_lo, 1, v79
	ds_read2_b64 v[79:82], v91 offset1:16
	ds_read2_b64 v[83:86], v91 offset0:32 offset1:48
	ds_read2_b64 v[87:90], v91 offset0:64 offset1:80
	ds_read2_b64 v[91:94], v91 offset0:96 offset1:112
	ds_read2st64_b64 v[95:98], v99 offset1:1
	ds_read2st64_b64 v[99:102], v99 offset0:2 offset1:3
	s_and_b32 vcc_lo, exec_lo, vcc_lo
	s_waitcnt lgkmcnt(5)
	v_max_f32_e32 v79, v79, v79
	v_max_f32_e32 v80, v80, v80
	v_max_f32_e32 v81, v81, v81
	v_max_f32_e32 v82, v82, v82
	s_waitcnt lgkmcnt(4)
	v_max_f32_e32 v83, v83, v83
	v_max_f32_e32 v84, v84, v84
	v_max_f32_e32 v85, v85, v85
	v_max_f32_e32 v86, v86, v86
	;; [unrolled: 5-line block ×6, first 2 shown]
	v_min_f32_e32 v103, v79, v95
	v_min_f32_e32 v104, v81, v95
	;; [unrolled: 1-line block ×64, first 2 shown]
	v_add_f32_e32 v69, v69, v101
	v_add_f32_e32 v68, v68, v103
	;; [unrolled: 1-line block ×64, first 2 shown]
	s_cbranch_vccz .LBB49_21
; %bb.22:
	ds_write_b32 v78, v5 offset:5120
	ds_write2st64_b32 v73, v77, v76 offset0:8 offset1:12
	v_lshl_add_u32 v76, v0, 4, 0x1400
	v_lshl_add_u32 v77, v1, 4, 0x800
	s_cmp_lt_i32 s14, 9
	s_waitcnt lgkmcnt(0)
	s_barrier
	buffer_gl0_inv
	s_cbranch_scc1 .LBB49_41
; %bb.23:
	v_mad_i64_i32 v[4:5], null, v4, s25, 0
	v_lshlrev_b64 v[2:3], 2, v[2:3]
	v_add_nc_u32_e32 v78, 0x1400, v78
	v_add_nc_u32_e32 v79, 0x800, v73
	s_mov_b32 s18, 0
	v_lshlrev_b64 v[4:5], 2, v[4:5]
	v_add_co_u32 v80, vcc_lo, s16, v4
	v_add_co_ci_u32_e64 v81, null, s17, v5, vcc_lo
	v_mov_b32_e32 v5, 0
	s_add_i32 s16, s14, -8
	s_mov_b32 s17, 8
.LBB49_24:                              ; =>This Loop Header: Depth=1
                                        ;     Child Loop BB49_31 Depth 2
                                        ;     Child Loop BB49_39 Depth 2
	v_or_b32_e32 v4, s17, v70
	v_mov_b32_e32 v82, 0
	v_cmp_gt_i32_e32 vcc_lo, s14, v4
	s_and_b32 s19, vcc_lo, s24
	s_and_saveexec_b32 s2, s19
	s_cbranch_execz .LBB49_26
; %bb.25:                               ;   in Loop: Header=BB49_24 Depth=1
	v_lshlrev_b64 v[82:83], 2, v[4:5]
	v_add_co_u32 v82, vcc_lo, v80, v82
	v_add_co_ci_u32_e64 v83, null, v81, v83, vcc_lo
	flat_load_dword v82, v[82:83]
.LBB49_26:                              ;   in Loop: Header=BB49_24 Depth=1
	s_or_b32 exec_lo, exec_lo, s2
	v_add_nc_u32_e32 v87, s17, v71
	v_mad_u64_u32 v[83:84], null, v87, s21, 0
	v_cmp_le_i32_e32 vcc_lo, s14, v87
	v_mad_u64_u32 v[84:85], null, v87, s23, v[84:85]
	v_lshlrev_b64 v[85:86], 2, v[83:84]
	v_mov_b32_e32 v83, 0
	v_mov_b32_e32 v84, 0
	v_add_co_u32 v85, s2, s8, v85
	v_add_co_ci_u32_e64 v86, null, s9, v86, s2
	s_nor_b32 s2, s0, vcc_lo
	s_and_saveexec_b32 s19, s2
	s_cbranch_execz .LBB49_28
; %bb.27:                               ;   in Loop: Header=BB49_24 Depth=1
	v_add_co_u32 v87, s2, v85, v2
	v_add_co_ci_u32_e64 v88, null, v86, v3, s2
	flat_load_dword v84, v[87:88]
.LBB49_28:                              ;   in Loop: Header=BB49_24 Depth=1
	s_or_b32 exec_lo, exec_lo, s19
	s_nor_b32 s19, s1, vcc_lo
	s_and_saveexec_b32 s2, s19
	s_cbranch_execz .LBB49_30
; %bb.29:                               ;   in Loop: Header=BB49_24 Depth=1
	v_add_co_u32 v85, vcc_lo, v85, v2
	v_add_co_ci_u32_e64 v86, null, v86, v3, vcc_lo
	flat_load_dword v83, v[85:86] offset:256
.LBB49_30:                              ;   in Loop: Header=BB49_24 Depth=1
	s_or_b32 exec_lo, exec_lo, s2
	s_mov_b32 s19, 0
	s_mov_b32 s2, -1
.LBB49_31:                              ;   Parent Loop BB49_24 Depth=1
                                        ; =>  This Inner Loop Header: Depth=2
	s_lshl_b32 s19, s19, 2
	v_cndmask_b32_e64 v85, 0, 1, s2
	v_add_nc_u32_e32 v105, s19, v77
	v_add_nc_u32_e32 v101, s19, v76
	s_mov_b32 s2, 0
	s_mov_b32 s19, 2
	v_cmp_ne_u32_e32 vcc_lo, 1, v85
	ds_read2st64_b64 v[85:88], v105 offset1:1
	ds_read2_b64 v[89:92], v101 offset1:16
	ds_read2_b64 v[93:96], v101 offset0:32 offset1:48
	ds_read2_b64 v[97:100], v101 offset0:64 offset1:80
	ds_read2_b64 v[101:104], v101 offset0:96 offset1:112
	ds_read2st64_b64 v[105:108], v105 offset0:2 offset1:3
	s_and_b32 vcc_lo, exec_lo, vcc_lo
	s_waitcnt lgkmcnt(5)
	v_max_f32_e32 v85, v85, v85
	s_waitcnt lgkmcnt(4)
	v_max_f32_e32 v89, v89, v89
	v_max_f32_e32 v86, v86, v86
	;; [unrolled: 1-line block ×5, first 2 shown]
	s_waitcnt lgkmcnt(3)
	v_max_f32_e32 v93, v93, v93
	v_max_f32_e32 v94, v94, v94
	v_max_f32_e32 v95, v95, v95
	v_max_f32_e32 v96, v96, v96
	s_waitcnt lgkmcnt(2)
	v_max_f32_e32 v97, v97, v97
	v_max_f32_e32 v98, v98, v98
	v_max_f32_e32 v99, v99, v99
	v_max_f32_e32 v100, v100, v100
	;; [unrolled: 5-line block ×3, first 2 shown]
	v_max_f32_e32 v87, v87, v87
	v_max_f32_e32 v88, v88, v88
	s_waitcnt lgkmcnt(0)
	v_max_f32_e32 v105, v105, v105
	v_max_f32_e32 v106, v106, v106
	;; [unrolled: 1-line block ×4, first 2 shown]
	v_min_f32_e32 v109, v89, v85
	v_min_f32_e32 v110, v90, v86
	;; [unrolled: 1-line block ×64, first 2 shown]
	v_add_f32_e32 v69, v69, v110
	v_add_f32_e32 v68, v68, v109
	v_add_f32_e32 v7, v7, v112
	v_add_f32_e32 v6, v6, v111
	v_add_f32_e32 v9, v9, v114
	v_add_f32_e32 v8, v8, v113
	v_add_f32_e32 v11, v11, v116
	v_add_f32_e32 v10, v10, v115
	v_add_f32_e32 v13, v13, v118
	v_add_f32_e32 v12, v12, v117
	v_add_f32_e32 v15, v15, v120
	v_add_f32_e32 v14, v14, v119
	v_add_f32_e32 v17, v17, v122
	v_add_f32_e32 v16, v16, v121
	v_add_f32_e32 v67, v67, v86
	v_add_f32_e32 v66, v66, v85
	v_add_f32_e32 v65, v65, v124
	v_add_f32_e32 v64, v64, v123
	v_add_f32_e32 v63, v63, v126
	v_add_f32_e32 v62, v62, v125
	v_add_f32_e32 v61, v61, v128
	v_add_f32_e32 v60, v60, v127
	v_add_f32_e32 v59, v59, v130
	v_add_f32_e32 v58, v58, v129
	v_add_f32_e32 v57, v57, v132
	v_add_f32_e32 v56, v56, v131
	v_add_f32_e32 v55, v55, v134
	v_add_f32_e32 v54, v54, v133
	v_add_f32_e32 v53, v53, v136
	v_add_f32_e32 v52, v52, v135
	v_add_f32_e32 v51, v51, v88
	v_add_f32_e32 v50, v50, v87
	v_add_f32_e32 v49, v49, v138
	v_add_f32_e32 v48, v48, v137
	v_add_f32_e32 v47, v47, v140
	v_add_f32_e32 v46, v46, v139
	v_add_f32_e32 v45, v45, v142
	v_add_f32_e32 v44, v44, v141
	v_add_f32_e32 v43, v43, v144
	v_add_f32_e32 v42, v42, v143
	v_add_f32_e32 v41, v41, v146
	v_add_f32_e32 v40, v40, v145
	v_add_f32_e32 v39, v39, v148
	v_add_f32_e32 v38, v38, v147
	v_add_f32_e32 v37, v37, v150
	v_add_f32_e32 v36, v36, v149
	v_add_f32_e32 v35, v35, v106
	v_add_f32_e32 v34, v34, v105
	v_add_f32_e32 v33, v33, v90
	v_add_f32_e32 v32, v32, v89
	v_add_f32_e32 v31, v31, v92
	v_add_f32_e32 v30, v30, v91
	v_add_f32_e32 v29, v29, v94
	v_add_f32_e32 v28, v28, v93
	v_add_f32_e32 v27, v27, v96
	v_add_f32_e32 v26, v26, v95
	v_add_f32_e32 v25, v25, v98
	v_add_f32_e32 v24, v24, v97
	v_add_f32_e32 v23, v23, v100
	v_add_f32_e32 v22, v22, v99
	v_add_f32_e32 v21, v21, v102
	v_add_f32_e32 v20, v20, v101
	v_add_f32_e32 v19, v19, v104
	v_add_f32_e32 v18, v18, v103
	s_cbranch_vccz .LBB49_31
; %bb.32:                               ;   in Loop: Header=BB49_24 Depth=1
	v_or_b32_e32 v85, 4, v4
	s_waitcnt vmcnt(0)
	ds_write_b32 v75, v82
	ds_write2st64_b32 v73, v84, v83 offset1:4
	v_mov_b32_e32 v82, 0
	v_mov_b32_e32 v83, 0
	s_waitcnt lgkmcnt(0)
	v_cmp_gt_i32_e32 vcc_lo, s14, v85
	s_barrier
	buffer_gl0_inv
	s_and_b32 s19, vcc_lo, s24
	s_and_saveexec_b32 s2, s19
	s_cbranch_execz .LBB49_34
; %bb.33:                               ;   in Loop: Header=BB49_24 Depth=1
	v_lshlrev_b64 v[83:84], 2, v[4:5]
	v_add_co_u32 v83, vcc_lo, v80, v83
	v_add_co_ci_u32_e64 v84, null, v81, v84, vcc_lo
	flat_load_dword v83, v[83:84] offset:16
.LBB49_34:                              ;   in Loop: Header=BB49_24 Depth=1
	s_or_b32 exec_lo, exec_lo, s2
	v_add3_u32 v87, v71, s17, 4
	v_mad_u64_u32 v[84:85], null, v87, s21, 0
	v_cmp_le_i32_e32 vcc_lo, s14, v87
	v_mov_b32_e32 v4, v85
	v_mad_u64_u32 v[85:86], null, v87, s23, v[4:5]
	v_lshlrev_b64 v[84:85], 2, v[84:85]
	v_add_co_u32 v84, s2, s8, v84
	v_add_co_ci_u32_e64 v85, null, s9, v85, s2
	s_nor_b32 s2, s0, vcc_lo
	s_and_saveexec_b32 s19, s2
	s_cbranch_execz .LBB49_36
; %bb.35:                               ;   in Loop: Header=BB49_24 Depth=1
	v_add_co_u32 v86, s2, v84, v2
	v_add_co_ci_u32_e64 v87, null, v85, v3, s2
	flat_load_dword v82, v[86:87]
.LBB49_36:                              ;   in Loop: Header=BB49_24 Depth=1
	s_or_b32 exec_lo, exec_lo, s19
	v_mov_b32_e32 v4, 0
	s_nor_b32 s19, s1, vcc_lo
	s_and_saveexec_b32 s2, s19
	s_cbranch_execz .LBB49_38
; %bb.37:                               ;   in Loop: Header=BB49_24 Depth=1
	v_add_co_u32 v84, vcc_lo, v84, v2
	v_add_co_ci_u32_e64 v85, null, v85, v3, vcc_lo
	flat_load_dword v4, v[84:85] offset:256
.LBB49_38:                              ;   in Loop: Header=BB49_24 Depth=1
	s_or_b32 exec_lo, exec_lo, s2
	s_mov_b32 s19, 0
	s_mov_b32 s2, -1
.LBB49_39:                              ;   Parent Loop BB49_24 Depth=1
                                        ; =>  This Inner Loop Header: Depth=2
	s_lshl_b32 s19, s19, 2
	v_cndmask_b32_e64 v84, 0, 1, s2
	v_add_nc_u32_e32 v104, s19, v74
	v_add_nc_u32_e32 v100, s19, v72
	s_mov_b32 s2, 0
	s_mov_b32 s19, 2
	v_cmp_ne_u32_e32 vcc_lo, 1, v84
	ds_read2st64_b64 v[84:87], v104 offset1:1
	ds_read2_b64 v[88:91], v100 offset1:16
	ds_read2_b64 v[92:95], v100 offset0:32 offset1:48
	ds_read2_b64 v[96:99], v100 offset0:64 offset1:80
	;; [unrolled: 1-line block ×3, first 2 shown]
	ds_read2st64_b64 v[104:107], v104 offset0:2 offset1:3
	s_and_b32 vcc_lo, exec_lo, vcc_lo
	s_waitcnt lgkmcnt(5)
	v_max_f32_e32 v84, v84, v84
	s_waitcnt lgkmcnt(4)
	v_max_f32_e32 v88, v88, v88
	v_max_f32_e32 v85, v85, v85
	;; [unrolled: 1-line block ×5, first 2 shown]
	s_waitcnt lgkmcnt(3)
	v_max_f32_e32 v92, v92, v92
	v_max_f32_e32 v93, v93, v93
	v_max_f32_e32 v94, v94, v94
	v_max_f32_e32 v95, v95, v95
	s_waitcnt lgkmcnt(2)
	v_max_f32_e32 v96, v96, v96
	v_max_f32_e32 v97, v97, v97
	v_max_f32_e32 v98, v98, v98
	v_max_f32_e32 v99, v99, v99
	;; [unrolled: 5-line block ×3, first 2 shown]
	v_max_f32_e32 v86, v86, v86
	v_max_f32_e32 v87, v87, v87
	s_waitcnt lgkmcnt(0)
	v_max_f32_e32 v104, v104, v104
	v_max_f32_e32 v105, v105, v105
	;; [unrolled: 1-line block ×4, first 2 shown]
	v_min_f32_e32 v108, v88, v84
	v_min_f32_e32 v109, v89, v85
	;; [unrolled: 1-line block ×64, first 2 shown]
	v_add_f32_e32 v69, v69, v109
	v_add_f32_e32 v68, v68, v108
	;; [unrolled: 1-line block ×64, first 2 shown]
	s_cbranch_vccz .LBB49_39
; %bb.40:                               ;   in Loop: Header=BB49_24 Depth=1
	s_add_i32 s18, s18, 8
	s_add_i32 s17, s17, 8
	s_cmp_ge_i32 s18, s16
	s_waitcnt vmcnt(0)
	ds_write_b32 v78, v83
	ds_write2st64_b32 v79, v82, v4 offset1:4
	s_waitcnt lgkmcnt(0)
	s_barrier
	buffer_gl0_inv
	s_cbranch_scc0 .LBB49_24
.LBB49_41:
	s_mov_b32 s1, 0
	s_mov_b32 s0, -1
.LBB49_42:                              ; =>This Inner Loop Header: Depth=1
	s_lshl_b32 s1, s1, 2
	v_cndmask_b32_e64 v2, 0, 1, s0
	v_add_nc_u32_e32 v74, s1, v77
	v_add_nc_u32_e32 v75, s1, v76
	s_mov_b32 s0, 0
	s_mov_b32 s1, 2
	v_cmp_ne_u32_e32 vcc_lo, 1, v2
	ds_read2st64_b64 v[2:5], v74 offset1:1
	ds_read2_b64 v[70:73], v75 offset1:16
	ds_read2_b64 v[78:81], v75 offset0:32 offset1:48
	ds_read2_b64 v[82:85], v75 offset0:64 offset1:80
	;; [unrolled: 1-line block ×3, first 2 shown]
	ds_read2st64_b64 v[90:93], v74 offset0:2 offset1:3
	s_and_b32 vcc_lo, exec_lo, vcc_lo
	s_waitcnt lgkmcnt(5)
	v_max_f32_e32 v2, v2, v2
	s_waitcnt lgkmcnt(4)
	v_max_f32_e32 v70, v70, v70
	v_max_f32_e32 v3, v3, v3
	;; [unrolled: 1-line block ×5, first 2 shown]
	s_waitcnt lgkmcnt(3)
	v_max_f32_e32 v74, v78, v78
	v_max_f32_e32 v75, v79, v79
	v_max_f32_e32 v78, v80, v80
	v_max_f32_e32 v79, v81, v81
	s_waitcnt lgkmcnt(2)
	v_max_f32_e32 v80, v82, v82
	v_max_f32_e32 v81, v83, v83
	v_max_f32_e32 v82, v84, v84
	v_max_f32_e32 v83, v85, v85
	;; [unrolled: 5-line block ×3, first 2 shown]
	v_max_f32_e32 v4, v4, v4
	v_max_f32_e32 v5, v5, v5
	s_waitcnt lgkmcnt(0)
	v_max_f32_e32 v88, v90, v90
	v_max_f32_e32 v89, v91, v91
	;; [unrolled: 1-line block ×4, first 2 shown]
	v_min_f32_e32 v92, v70, v2
	v_min_f32_e32 v93, v71, v3
	;; [unrolled: 1-line block ×64, first 2 shown]
	v_add_f32_e32 v69, v69, v93
	v_add_f32_e32 v68, v68, v92
	v_add_f32_e32 v7, v7, v95
	v_add_f32_e32 v6, v6, v94
	v_add_f32_e32 v9, v9, v97
	v_add_f32_e32 v8, v8, v96
	v_add_f32_e32 v11, v11, v99
	v_add_f32_e32 v10, v10, v98
	v_add_f32_e32 v13, v13, v101
	v_add_f32_e32 v12, v12, v100
	v_add_f32_e32 v15, v15, v103
	v_add_f32_e32 v14, v14, v102
	v_add_f32_e32 v17, v17, v105
	v_add_f32_e32 v16, v16, v104
	v_add_f32_e32 v67, v67, v3
	v_add_f32_e32 v66, v66, v2
	v_add_f32_e32 v65, v65, v107
	v_add_f32_e32 v64, v64, v106
	v_add_f32_e32 v63, v63, v109
	v_add_f32_e32 v62, v62, v108
	v_add_f32_e32 v61, v61, v111
	v_add_f32_e32 v60, v60, v110
	v_add_f32_e32 v59, v59, v113
	v_add_f32_e32 v58, v58, v112
	v_add_f32_e32 v57, v57, v115
	v_add_f32_e32 v56, v56, v114
	v_add_f32_e32 v55, v55, v117
	v_add_f32_e32 v54, v54, v116
	v_add_f32_e32 v53, v53, v119
	v_add_f32_e32 v52, v52, v118
	v_add_f32_e32 v51, v51, v5
	v_add_f32_e32 v50, v50, v4
	v_add_f32_e32 v49, v49, v121
	v_add_f32_e32 v48, v48, v120
	v_add_f32_e32 v47, v47, v123
	v_add_f32_e32 v46, v46, v122
	v_add_f32_e32 v45, v45, v125
	v_add_f32_e32 v44, v44, v124
	v_add_f32_e32 v43, v43, v127
	v_add_f32_e32 v42, v42, v126
	v_add_f32_e32 v41, v41, v129
	v_add_f32_e32 v40, v40, v128
	v_add_f32_e32 v39, v39, v131
	v_add_f32_e32 v38, v38, v130
	v_add_f32_e32 v37, v37, v133
	v_add_f32_e32 v36, v36, v132
	v_add_f32_e32 v35, v35, v89
	v_add_f32_e32 v34, v34, v88
	v_add_f32_e32 v33, v33, v71
	v_add_f32_e32 v32, v32, v70
	v_add_f32_e32 v31, v31, v73
	v_add_f32_e32 v30, v30, v72
	v_add_f32_e32 v29, v29, v75
	v_add_f32_e32 v28, v28, v74
	v_add_f32_e32 v27, v27, v79
	v_add_f32_e32 v26, v26, v78
	v_add_f32_e32 v25, v25, v81
	v_add_f32_e32 v24, v24, v80
	v_add_f32_e32 v23, v23, v83
	v_add_f32_e32 v22, v22, v82
	v_add_f32_e32 v21, v21, v85
	v_add_f32_e32 v20, v20, v84
	v_add_f32_e32 v19, v19, v87
	v_add_f32_e32 v18, v18, v86
	s_cbranch_vccz .LBB49_42
; %bb.43:
	s_clause 0x2
	s_load_dword s14, s[4:5], 0x50
	s_load_dword s9, s[4:5], 0x68
	s_load_dwordx2 s[4:5], s[4:5], 0x70
	v_add_nc_u32_e32 v71, s20, v1
	v_add_nc_u32_e32 v0, s3, v0
	v_cndmask_b32_e64 v70, 0, 1, s22
	v_cmp_gt_i32_e64 s8, s13, v71
	v_cmp_gt_i32_e64 s0, s12, v0
	s_waitcnt lgkmcnt(0)
	v_mad_i64_i32 v[1:2], null, v71, s14, 0
	v_mad_i64_i32 v[3:4], null, v71, s9, 0
	s_lshl_b64 s[2:3], s[4:5], 2
	s_add_u32 s16, s6, s2
	s_addc_u32 s17, s7, s3
	v_lshlrev_b64 v[72:73], 2, v[1:2]
	v_ashrrev_i32_e32 v1, 31, v0
	v_lshlrev_b64 v[2:3], 2, v[3:4]
	s_and_b32 s2, s0, s8
	v_add_co_u32 v74, vcc_lo, s10, v72
	v_add_co_ci_u32_e64 v75, null, s11, v73, vcc_lo
	v_add_co_u32 v72, vcc_lo, s16, v2
	v_add_co_ci_u32_e64 v73, null, s17, v3, vcc_lo
	s_and_saveexec_b32 s1, s2
	s_cbranch_execz .LBB49_48
; %bb.44:
	v_lshlrev_b64 v[2:3], 2, v[0:1]
	s_andn2_b32 vcc_lo, exec_lo, s22
	s_cbranch_vccnz .LBB49_46
; %bb.45:
	v_add_co_u32 v4, vcc_lo, v74, v2
	v_add_co_ci_u32_e64 v5, null, v75, v3, vcc_lo
	flat_load_dword v4, v[4:5]
	s_waitcnt vmcnt(0) lgkmcnt(0)
	v_mul_f32_e32 v4, s15, v4
	s_branch .LBB49_47
.LBB49_46:
	v_mov_b32_e32 v4, 0
.LBB49_47:
	v_add_f32_e32 v5, v68, v69
	v_add_co_u32 v2, vcc_lo, v72, v2
	v_add_co_ci_u32_e64 v3, null, v73, v3, vcc_lo
	v_add_f32_e32 v4, v5, v4
	flat_store_dword v[2:3], v4
.LBB49_48:
	s_or_b32 exec_lo, exec_lo, s1
	v_add_nc_u32_e32 v2, 8, v0
	v_cmp_gt_i32_e64 s1, s12, v2
	v_ashrrev_i32_e32 v3, 31, v2
	s_and_b32 s3, s1, s8
	s_and_saveexec_b32 s2, s3
	s_cbranch_execz .LBB49_53
; %bb.49:
	v_cmp_ne_u32_e32 vcc_lo, 1, v70
	v_lshlrev_b64 v[4:5], 2, v[2:3]
	s_cbranch_vccnz .LBB49_51
; %bb.50:
	v_add_co_u32 v68, vcc_lo, v74, v4
	v_add_co_ci_u32_e64 v69, null, v75, v5, vcc_lo
	flat_load_dword v68, v[68:69]
	s_waitcnt vmcnt(0) lgkmcnt(0)
	v_mul_f32_e32 v68, s15, v68
	s_branch .LBB49_52
.LBB49_51:
	v_mov_b32_e32 v68, 0
.LBB49_52:
	v_add_f32_e32 v6, v6, v7
	v_add_co_u32 v4, vcc_lo, v72, v4
	v_add_co_ci_u32_e64 v5, null, v73, v5, vcc_lo
	v_add_f32_e32 v6, v6, v68
	flat_store_dword v[4:5], v6
.LBB49_53:
	s_or_b32 exec_lo, exec_lo, s2
	v_add_nc_u32_e32 v4, 16, v0
	v_cmp_gt_i32_e64 s2, s12, v4
	v_ashrrev_i32_e32 v5, 31, v4
	s_and_b32 s4, s2, s8
	s_and_saveexec_b32 s3, s4
	s_cbranch_execz .LBB49_58
; %bb.54:
	v_cmp_ne_u32_e32 vcc_lo, 1, v70
	v_lshlrev_b64 v[6:7], 2, v[4:5]
	s_cbranch_vccnz .LBB49_56
; %bb.55:
	v_add_co_u32 v68, vcc_lo, v74, v6
	v_add_co_ci_u32_e64 v69, null, v75, v7, vcc_lo
	flat_load_dword v68, v[68:69]
	s_waitcnt vmcnt(0) lgkmcnt(0)
	v_mul_f32_e32 v68, s15, v68
	s_branch .LBB49_57
.LBB49_56:
	v_mov_b32_e32 v68, 0
.LBB49_57:
	v_add_f32_e32 v8, v8, v9
	v_add_co_u32 v6, vcc_lo, v72, v6
	v_add_co_ci_u32_e64 v7, null, v73, v7, vcc_lo
	v_add_f32_e32 v8, v8, v68
	flat_store_dword v[6:7], v8
.LBB49_58:
	;; [unrolled: 27-line block ×7, first 2 shown]
	s_or_b32 exec_lo, exec_lo, s8
	v_add_nc_u32_e32 v68, 32, v71
	v_mad_i64_i32 v[16:17], null, v68, s14, 0
	v_mad_i64_i32 v[66:67], null, v68, s9, 0
	v_cmp_gt_i32_e64 s8, s13, v68
	v_lshlrev_b64 v[16:17], 2, v[16:17]
	s_and_b32 s18, s0, s8
	v_lshlrev_b64 v[66:67], 2, v[66:67]
	v_add_co_u32 v68, vcc_lo, s10, v16
	v_add_co_ci_u32_e64 v69, null, s11, v17, vcc_lo
	v_add_co_u32 v66, vcc_lo, s16, v66
	v_add_co_ci_u32_e64 v67, null, s17, v67, vcc_lo
	s_and_saveexec_b32 s12, s18
	s_cbranch_execnz .LBB49_91
; %bb.84:
	s_or_b32 exec_lo, exec_lo, s12
	s_and_b32 s18, s1, s8
	s_and_saveexec_b32 s12, s18
	s_cbranch_execnz .LBB49_95
.LBB49_85:
	s_or_b32 exec_lo, exec_lo, s12
	s_and_b32 s18, s2, s8
	s_and_saveexec_b32 s12, s18
	s_cbranch_execnz .LBB49_99
.LBB49_86:
	s_or_b32 exec_lo, exec_lo, s12
	s_and_b32 s18, s3, s8
	s_and_saveexec_b32 s12, s18
	s_cbranch_execnz .LBB49_103
.LBB49_87:
	s_or_b32 exec_lo, exec_lo, s12
	s_and_b32 s18, s4, s8
	s_and_saveexec_b32 s12, s18
	s_cbranch_execnz .LBB49_107
.LBB49_88:
	s_or_b32 exec_lo, exec_lo, s12
	s_and_b32 s18, s5, s8
	s_and_saveexec_b32 s12, s18
	s_cbranch_execnz .LBB49_111
.LBB49_89:
	s_or_b32 exec_lo, exec_lo, s12
	s_and_b32 s18, s6, s8
	s_and_saveexec_b32 s12, s18
	s_cbranch_execnz .LBB49_115
.LBB49_90:
	s_or_b32 exec_lo, exec_lo, s12
	s_and_b32 s12, s7, s8
	s_and_saveexec_b32 s8, s12
	s_cbranch_execnz .LBB49_119
	s_branch .LBB49_123
.LBB49_91:
	v_cmp_ne_u32_e32 vcc_lo, 1, v70
	v_lshlrev_b64 v[16:17], 2, v[0:1]
	s_cbranch_vccnz .LBB49_93
; %bb.92:
	v_add_co_u32 v72, vcc_lo, v68, v16
	v_add_co_ci_u32_e64 v73, null, v69, v17, vcc_lo
	flat_load_dword v72, v[72:73]
	s_waitcnt vmcnt(0) lgkmcnt(0)
	v_mul_f32_e32 v72, s15, v72
	s_branch .LBB49_94
.LBB49_93:
	v_mov_b32_e32 v72, 0
.LBB49_94:
	v_add_f32_e32 v64, v64, v65
	v_add_co_u32 v16, vcc_lo, v66, v16
	v_add_co_ci_u32_e64 v17, null, v67, v17, vcc_lo
	v_add_f32_e32 v64, v64, v72
	flat_store_dword v[16:17], v64
	s_or_b32 exec_lo, exec_lo, s12
	s_and_b32 s18, s1, s8
	s_and_saveexec_b32 s12, s18
	s_cbranch_execz .LBB49_85
.LBB49_95:
	v_cmp_ne_u32_e32 vcc_lo, 1, v70
	v_lshlrev_b64 v[16:17], 2, v[2:3]
	s_cbranch_vccnz .LBB49_97
; %bb.96:
	v_add_co_u32 v64, vcc_lo, v68, v16
	v_add_co_ci_u32_e64 v65, null, v69, v17, vcc_lo
	flat_load_dword v64, v[64:65]
	s_waitcnt vmcnt(0) lgkmcnt(0)
	v_mul_f32_e32 v64, s15, v64
	s_branch .LBB49_98
.LBB49_97:
	v_mov_b32_e32 v64, 0
.LBB49_98:
	v_add_f32_e32 v62, v62, v63
	v_add_co_u32 v16, vcc_lo, v66, v16
	v_add_co_ci_u32_e64 v17, null, v67, v17, vcc_lo
	v_add_f32_e32 v62, v62, v64
	flat_store_dword v[16:17], v62
	s_or_b32 exec_lo, exec_lo, s12
	s_and_b32 s18, s2, s8
	s_and_saveexec_b32 s12, s18
	s_cbranch_execz .LBB49_86
.LBB49_99:
	v_cmp_ne_u32_e32 vcc_lo, 1, v70
	v_lshlrev_b64 v[16:17], 2, v[4:5]
	s_cbranch_vccnz .LBB49_101
; %bb.100:
	v_add_co_u32 v62, vcc_lo, v68, v16
	v_add_co_ci_u32_e64 v63, null, v69, v17, vcc_lo
	flat_load_dword v62, v[62:63]
	s_waitcnt vmcnt(0) lgkmcnt(0)
	v_mul_f32_e32 v62, s15, v62
	s_branch .LBB49_102
.LBB49_101:
	v_mov_b32_e32 v62, 0
.LBB49_102:
	v_add_f32_e32 v60, v60, v61
	v_add_co_u32 v16, vcc_lo, v66, v16
	v_add_co_ci_u32_e64 v17, null, v67, v17, vcc_lo
	v_add_f32_e32 v60, v60, v62
	flat_store_dword v[16:17], v60
	s_or_b32 exec_lo, exec_lo, s12
	s_and_b32 s18, s3, s8
	s_and_saveexec_b32 s12, s18
	s_cbranch_execz .LBB49_87
.LBB49_103:
	v_cmp_ne_u32_e32 vcc_lo, 1, v70
	v_lshlrev_b64 v[16:17], 2, v[6:7]
	s_cbranch_vccnz .LBB49_105
; %bb.104:
	v_add_co_u32 v60, vcc_lo, v68, v16
	v_add_co_ci_u32_e64 v61, null, v69, v17, vcc_lo
	flat_load_dword v60, v[60:61]
	s_waitcnt vmcnt(0) lgkmcnt(0)
	v_mul_f32_e32 v60, s15, v60
	s_branch .LBB49_106
.LBB49_105:
	v_mov_b32_e32 v60, 0
.LBB49_106:
	v_add_f32_e32 v58, v58, v59
	v_add_co_u32 v16, vcc_lo, v66, v16
	v_add_co_ci_u32_e64 v17, null, v67, v17, vcc_lo
	v_add_f32_e32 v58, v58, v60
	flat_store_dword v[16:17], v58
	s_or_b32 exec_lo, exec_lo, s12
	s_and_b32 s18, s4, s8
	s_and_saveexec_b32 s12, s18
	s_cbranch_execz .LBB49_88
.LBB49_107:
	v_cmp_ne_u32_e32 vcc_lo, 1, v70
	v_lshlrev_b64 v[16:17], 2, v[8:9]
	s_cbranch_vccnz .LBB49_109
; %bb.108:
	v_add_co_u32 v58, vcc_lo, v68, v16
	v_add_co_ci_u32_e64 v59, null, v69, v17, vcc_lo
	flat_load_dword v58, v[58:59]
	s_waitcnt vmcnt(0) lgkmcnt(0)
	v_mul_f32_e32 v58, s15, v58
	s_branch .LBB49_110
.LBB49_109:
	v_mov_b32_e32 v58, 0
.LBB49_110:
	v_add_f32_e32 v56, v56, v57
	v_add_co_u32 v16, vcc_lo, v66, v16
	v_add_co_ci_u32_e64 v17, null, v67, v17, vcc_lo
	v_add_f32_e32 v56, v56, v58
	flat_store_dword v[16:17], v56
	s_or_b32 exec_lo, exec_lo, s12
	s_and_b32 s18, s5, s8
	s_and_saveexec_b32 s12, s18
	s_cbranch_execz .LBB49_89
.LBB49_111:
	v_cmp_ne_u32_e32 vcc_lo, 1, v70
	v_lshlrev_b64 v[16:17], 2, v[10:11]
	s_cbranch_vccnz .LBB49_113
; %bb.112:
	v_add_co_u32 v56, vcc_lo, v68, v16
	v_add_co_ci_u32_e64 v57, null, v69, v17, vcc_lo
	flat_load_dword v56, v[56:57]
	s_waitcnt vmcnt(0) lgkmcnt(0)
	v_mul_f32_e32 v56, s15, v56
	s_branch .LBB49_114
.LBB49_113:
	v_mov_b32_e32 v56, 0
.LBB49_114:
	v_add_f32_e32 v54, v54, v55
	v_add_co_u32 v16, vcc_lo, v66, v16
	v_add_co_ci_u32_e64 v17, null, v67, v17, vcc_lo
	v_add_f32_e32 v54, v54, v56
	flat_store_dword v[16:17], v54
	s_or_b32 exec_lo, exec_lo, s12
	s_and_b32 s18, s6, s8
	s_and_saveexec_b32 s12, s18
	s_cbranch_execz .LBB49_90
.LBB49_115:
	v_cmp_ne_u32_e32 vcc_lo, 1, v70
	v_lshlrev_b64 v[16:17], 2, v[12:13]
	s_cbranch_vccnz .LBB49_117
; %bb.116:
	v_add_co_u32 v54, vcc_lo, v68, v16
	v_add_co_ci_u32_e64 v55, null, v69, v17, vcc_lo
	flat_load_dword v54, v[54:55]
	s_waitcnt vmcnt(0) lgkmcnt(0)
	v_mul_f32_e32 v54, s15, v54
	s_branch .LBB49_118
.LBB49_117:
	v_mov_b32_e32 v54, 0
.LBB49_118:
	v_add_f32_e32 v52, v52, v53
	v_add_co_u32 v16, vcc_lo, v66, v16
	v_add_co_ci_u32_e64 v17, null, v67, v17, vcc_lo
	v_add_f32_e32 v52, v52, v54
	flat_store_dword v[16:17], v52
	s_or_b32 exec_lo, exec_lo, s12
	s_and_b32 s12, s7, s8
	s_and_saveexec_b32 s8, s12
	s_cbranch_execz .LBB49_123
.LBB49_119:
	v_cmp_ne_u32_e32 vcc_lo, 1, v70
	v_lshlrev_b64 v[16:17], 2, v[14:15]
	s_cbranch_vccnz .LBB49_121
; %bb.120:
	v_add_co_u32 v52, vcc_lo, v68, v16
	v_add_co_ci_u32_e64 v53, null, v69, v17, vcc_lo
	flat_load_dword v52, v[52:53]
	s_waitcnt vmcnt(0) lgkmcnt(0)
	v_mul_f32_e32 v52, s15, v52
	s_branch .LBB49_122
.LBB49_121:
	v_mov_b32_e32 v52, 0
.LBB49_122:
	v_add_f32_e32 v50, v50, v51
	v_add_co_u32 v16, vcc_lo, v66, v16
	v_add_co_ci_u32_e64 v17, null, v67, v17, vcc_lo
	v_add_f32_e32 v50, v50, v52
	flat_store_dword v[16:17], v50
.LBB49_123:
	s_or_b32 exec_lo, exec_lo, s8
	v_add_nc_u32_e32 v52, 64, v71
	v_mad_i64_i32 v[16:17], null, v52, s14, 0
	v_mad_i64_i32 v[50:51], null, v52, s9, 0
	v_cmp_gt_i32_e64 s8, s13, v52
	v_lshlrev_b64 v[16:17], 2, v[16:17]
	s_and_b32 s18, s0, s8
	v_lshlrev_b64 v[50:51], 2, v[50:51]
	v_add_co_u32 v52, vcc_lo, s10, v16
	v_add_co_ci_u32_e64 v53, null, s11, v17, vcc_lo
	v_add_co_u32 v50, vcc_lo, s16, v50
	v_add_co_ci_u32_e64 v51, null, s17, v51, vcc_lo
	s_and_saveexec_b32 s12, s18
	s_cbranch_execnz .LBB49_131
; %bb.124:
	s_or_b32 exec_lo, exec_lo, s12
	s_and_b32 s18, s1, s8
	s_and_saveexec_b32 s12, s18
	s_cbranch_execnz .LBB49_135
.LBB49_125:
	s_or_b32 exec_lo, exec_lo, s12
	s_and_b32 s18, s2, s8
	s_and_saveexec_b32 s12, s18
	s_cbranch_execnz .LBB49_139
.LBB49_126:
	s_or_b32 exec_lo, exec_lo, s12
	s_and_b32 s18, s3, s8
	s_and_saveexec_b32 s12, s18
	s_cbranch_execnz .LBB49_143
.LBB49_127:
	s_or_b32 exec_lo, exec_lo, s12
	s_and_b32 s18, s4, s8
	s_and_saveexec_b32 s12, s18
	s_cbranch_execnz .LBB49_147
.LBB49_128:
	s_or_b32 exec_lo, exec_lo, s12
	s_and_b32 s18, s5, s8
	s_and_saveexec_b32 s12, s18
	s_cbranch_execnz .LBB49_151
.LBB49_129:
	s_or_b32 exec_lo, exec_lo, s12
	s_and_b32 s18, s6, s8
	s_and_saveexec_b32 s12, s18
	s_cbranch_execnz .LBB49_155
.LBB49_130:
	s_or_b32 exec_lo, exec_lo, s12
	s_and_b32 s12, s7, s8
	s_and_saveexec_b32 s8, s12
	s_cbranch_execnz .LBB49_159
	s_branch .LBB49_163
.LBB49_131:
	v_cmp_ne_u32_e32 vcc_lo, 1, v70
	v_lshlrev_b64 v[16:17], 2, v[0:1]
	s_cbranch_vccnz .LBB49_133
; %bb.132:
	v_add_co_u32 v54, vcc_lo, v52, v16
	v_add_co_ci_u32_e64 v55, null, v53, v17, vcc_lo
	flat_load_dword v54, v[54:55]
	s_waitcnt vmcnt(0) lgkmcnt(0)
	v_mul_f32_e32 v54, s15, v54
	s_branch .LBB49_134
.LBB49_133:
	v_mov_b32_e32 v54, 0
.LBB49_134:
	v_add_f32_e32 v48, v48, v49
	v_add_co_u32 v16, vcc_lo, v50, v16
	v_add_co_ci_u32_e64 v17, null, v51, v17, vcc_lo
	v_add_f32_e32 v48, v48, v54
	flat_store_dword v[16:17], v48
	s_or_b32 exec_lo, exec_lo, s12
	s_and_b32 s18, s1, s8
	s_and_saveexec_b32 s12, s18
	s_cbranch_execz .LBB49_125
.LBB49_135:
	v_cmp_ne_u32_e32 vcc_lo, 1, v70
	v_lshlrev_b64 v[16:17], 2, v[2:3]
	s_cbranch_vccnz .LBB49_137
; %bb.136:
	v_add_co_u32 v48, vcc_lo, v52, v16
	v_add_co_ci_u32_e64 v49, null, v53, v17, vcc_lo
	flat_load_dword v48, v[48:49]
	s_waitcnt vmcnt(0) lgkmcnt(0)
	v_mul_f32_e32 v48, s15, v48
	s_branch .LBB49_138
.LBB49_137:
	v_mov_b32_e32 v48, 0
.LBB49_138:
	v_add_f32_e32 v46, v46, v47
	v_add_co_u32 v16, vcc_lo, v50, v16
	v_add_co_ci_u32_e64 v17, null, v51, v17, vcc_lo
	v_add_f32_e32 v46, v46, v48
	flat_store_dword v[16:17], v46
	s_or_b32 exec_lo, exec_lo, s12
	s_and_b32 s18, s2, s8
	s_and_saveexec_b32 s12, s18
	s_cbranch_execz .LBB49_126
.LBB49_139:
	v_cmp_ne_u32_e32 vcc_lo, 1, v70
	v_lshlrev_b64 v[16:17], 2, v[4:5]
	s_cbranch_vccnz .LBB49_141
; %bb.140:
	v_add_co_u32 v46, vcc_lo, v52, v16
	v_add_co_ci_u32_e64 v47, null, v53, v17, vcc_lo
	flat_load_dword v46, v[46:47]
	s_waitcnt vmcnt(0) lgkmcnt(0)
	v_mul_f32_e32 v46, s15, v46
	s_branch .LBB49_142
.LBB49_141:
	v_mov_b32_e32 v46, 0
.LBB49_142:
	v_add_f32_e32 v44, v44, v45
	v_add_co_u32 v16, vcc_lo, v50, v16
	v_add_co_ci_u32_e64 v17, null, v51, v17, vcc_lo
	v_add_f32_e32 v44, v44, v46
	flat_store_dword v[16:17], v44
	s_or_b32 exec_lo, exec_lo, s12
	s_and_b32 s18, s3, s8
	s_and_saveexec_b32 s12, s18
	s_cbranch_execz .LBB49_127
.LBB49_143:
	v_cmp_ne_u32_e32 vcc_lo, 1, v70
	v_lshlrev_b64 v[16:17], 2, v[6:7]
	s_cbranch_vccnz .LBB49_145
; %bb.144:
	v_add_co_u32 v44, vcc_lo, v52, v16
	v_add_co_ci_u32_e64 v45, null, v53, v17, vcc_lo
	flat_load_dword v44, v[44:45]
	s_waitcnt vmcnt(0) lgkmcnt(0)
	v_mul_f32_e32 v44, s15, v44
	s_branch .LBB49_146
.LBB49_145:
	v_mov_b32_e32 v44, 0
.LBB49_146:
	v_add_f32_e32 v42, v42, v43
	v_add_co_u32 v16, vcc_lo, v50, v16
	v_add_co_ci_u32_e64 v17, null, v51, v17, vcc_lo
	v_add_f32_e32 v42, v42, v44
	flat_store_dword v[16:17], v42
	s_or_b32 exec_lo, exec_lo, s12
	s_and_b32 s18, s4, s8
	s_and_saveexec_b32 s12, s18
	s_cbranch_execz .LBB49_128
.LBB49_147:
	v_cmp_ne_u32_e32 vcc_lo, 1, v70
	v_lshlrev_b64 v[16:17], 2, v[8:9]
	s_cbranch_vccnz .LBB49_149
; %bb.148:
	v_add_co_u32 v42, vcc_lo, v52, v16
	v_add_co_ci_u32_e64 v43, null, v53, v17, vcc_lo
	flat_load_dword v42, v[42:43]
	s_waitcnt vmcnt(0) lgkmcnt(0)
	v_mul_f32_e32 v42, s15, v42
	s_branch .LBB49_150
.LBB49_149:
	v_mov_b32_e32 v42, 0
.LBB49_150:
	v_add_f32_e32 v40, v40, v41
	v_add_co_u32 v16, vcc_lo, v50, v16
	v_add_co_ci_u32_e64 v17, null, v51, v17, vcc_lo
	v_add_f32_e32 v40, v40, v42
	flat_store_dword v[16:17], v40
	s_or_b32 exec_lo, exec_lo, s12
	s_and_b32 s18, s5, s8
	s_and_saveexec_b32 s12, s18
	s_cbranch_execz .LBB49_129
.LBB49_151:
	v_cmp_ne_u32_e32 vcc_lo, 1, v70
	v_lshlrev_b64 v[16:17], 2, v[10:11]
	s_cbranch_vccnz .LBB49_153
; %bb.152:
	v_add_co_u32 v40, vcc_lo, v52, v16
	v_add_co_ci_u32_e64 v41, null, v53, v17, vcc_lo
	flat_load_dword v40, v[40:41]
	s_waitcnt vmcnt(0) lgkmcnt(0)
	v_mul_f32_e32 v40, s15, v40
	s_branch .LBB49_154
.LBB49_153:
	v_mov_b32_e32 v40, 0
.LBB49_154:
	v_add_f32_e32 v38, v38, v39
	v_add_co_u32 v16, vcc_lo, v50, v16
	v_add_co_ci_u32_e64 v17, null, v51, v17, vcc_lo
	v_add_f32_e32 v38, v38, v40
	flat_store_dword v[16:17], v38
	s_or_b32 exec_lo, exec_lo, s12
	s_and_b32 s18, s6, s8
	s_and_saveexec_b32 s12, s18
	s_cbranch_execz .LBB49_130
.LBB49_155:
	v_cmp_ne_u32_e32 vcc_lo, 1, v70
	v_lshlrev_b64 v[16:17], 2, v[12:13]
	s_cbranch_vccnz .LBB49_157
; %bb.156:
	v_add_co_u32 v38, vcc_lo, v52, v16
	v_add_co_ci_u32_e64 v39, null, v53, v17, vcc_lo
	flat_load_dword v38, v[38:39]
	s_waitcnt vmcnt(0) lgkmcnt(0)
	v_mul_f32_e32 v38, s15, v38
	s_branch .LBB49_158
.LBB49_157:
	v_mov_b32_e32 v38, 0
.LBB49_158:
	v_add_f32_e32 v36, v36, v37
	v_add_co_u32 v16, vcc_lo, v50, v16
	v_add_co_ci_u32_e64 v17, null, v51, v17, vcc_lo
	v_add_f32_e32 v36, v36, v38
	flat_store_dword v[16:17], v36
	s_or_b32 exec_lo, exec_lo, s12
	s_and_b32 s12, s7, s8
	s_and_saveexec_b32 s8, s12
	s_cbranch_execz .LBB49_163
.LBB49_159:
	v_cmp_ne_u32_e32 vcc_lo, 1, v70
	v_lshlrev_b64 v[16:17], 2, v[14:15]
	s_cbranch_vccnz .LBB49_161
; %bb.160:
	v_add_co_u32 v36, vcc_lo, v52, v16
	v_add_co_ci_u32_e64 v37, null, v53, v17, vcc_lo
	flat_load_dword v36, v[36:37]
	s_waitcnt vmcnt(0) lgkmcnt(0)
	v_mul_f32_e32 v36, s15, v36
	s_branch .LBB49_162
.LBB49_161:
	v_mov_b32_e32 v36, 0
.LBB49_162:
	v_add_f32_e32 v34, v34, v35
	v_add_co_u32 v16, vcc_lo, v50, v16
	v_add_co_ci_u32_e64 v17, null, v51, v17, vcc_lo
	v_add_f32_e32 v34, v34, v36
	flat_store_dword v[16:17], v34
.LBB49_163:
	s_or_b32 exec_lo, exec_lo, s8
	v_add_nc_u32_e32 v36, 0x60, v71
	v_mad_i64_i32 v[16:17], null, v36, s14, 0
	v_mad_i64_i32 v[34:35], null, v36, s9, 0
	v_cmp_gt_i32_e64 s8, s13, v36
	v_lshlrev_b64 v[16:17], 2, v[16:17]
	s_and_b32 s9, s0, s8
	v_lshlrev_b64 v[36:37], 2, v[34:35]
	v_add_co_u32 v34, vcc_lo, s10, v16
	v_add_co_ci_u32_e64 v35, null, s11, v17, vcc_lo
	v_add_co_u32 v16, vcc_lo, s16, v36
	v_add_co_ci_u32_e64 v17, null, s17, v37, vcc_lo
	s_and_saveexec_b32 s0, s9
	s_cbranch_execnz .LBB49_172
; %bb.164:
	s_or_b32 exec_lo, exec_lo, s0
	s_and_b32 s1, s1, s8
	s_and_saveexec_b32 s0, s1
	s_cbranch_execnz .LBB49_176
.LBB49_165:
	s_or_b32 exec_lo, exec_lo, s0
	s_and_b32 s1, s2, s8
	s_and_saveexec_b32 s0, s1
	s_cbranch_execnz .LBB49_180
.LBB49_166:
	s_or_b32 exec_lo, exec_lo, s0
	s_and_b32 s1, s3, s8
	s_and_saveexec_b32 s0, s1
	s_cbranch_execnz .LBB49_184
.LBB49_167:
	s_or_b32 exec_lo, exec_lo, s0
	s_and_b32 s1, s4, s8
	s_and_saveexec_b32 s0, s1
	s_cbranch_execnz .LBB49_188
.LBB49_168:
	s_or_b32 exec_lo, exec_lo, s0
	s_and_b32 s1, s5, s8
	s_and_saveexec_b32 s0, s1
	s_cbranch_execnz .LBB49_192
.LBB49_169:
	s_or_b32 exec_lo, exec_lo, s0
	s_and_b32 s1, s6, s8
	s_and_saveexec_b32 s0, s1
	s_cbranch_execnz .LBB49_196
.LBB49_170:
	s_or_b32 exec_lo, exec_lo, s0
	s_and_b32 s0, s7, s8
	s_and_saveexec_b32 s1, s0
	s_cbranch_execnz .LBB49_200
.LBB49_171:
	s_endpgm
.LBB49_172:
	v_cmp_ne_u32_e32 vcc_lo, 1, v70
	v_lshlrev_b64 v[0:1], 2, v[0:1]
	s_cbranch_vccnz .LBB49_174
; %bb.173:
	v_add_co_u32 v36, vcc_lo, v34, v0
	v_add_co_ci_u32_e64 v37, null, v35, v1, vcc_lo
	flat_load_dword v36, v[36:37]
	s_waitcnt vmcnt(0) lgkmcnt(0)
	v_mul_f32_e32 v36, s15, v36
	s_branch .LBB49_175
.LBB49_174:
	v_mov_b32_e32 v36, 0
.LBB49_175:
	v_add_f32_e32 v32, v32, v33
	v_add_co_u32 v0, vcc_lo, v16, v0
	v_add_co_ci_u32_e64 v1, null, v17, v1, vcc_lo
	v_add_f32_e32 v32, v32, v36
	flat_store_dword v[0:1], v32
	s_or_b32 exec_lo, exec_lo, s0
	s_and_b32 s1, s1, s8
	s_and_saveexec_b32 s0, s1
	s_cbranch_execz .LBB49_165
.LBB49_176:
	v_cmp_ne_u32_e32 vcc_lo, 1, v70
	v_lshlrev_b64 v[0:1], 2, v[2:3]
	s_cbranch_vccnz .LBB49_178
; %bb.177:
	v_add_co_u32 v2, vcc_lo, v34, v0
	v_add_co_ci_u32_e64 v3, null, v35, v1, vcc_lo
	flat_load_dword v2, v[2:3]
	s_waitcnt vmcnt(0) lgkmcnt(0)
	v_mul_f32_e32 v2, s15, v2
	s_branch .LBB49_179
.LBB49_178:
	v_mov_b32_e32 v2, 0
.LBB49_179:
	v_add_f32_e32 v3, v30, v31
	v_add_co_u32 v0, vcc_lo, v16, v0
	v_add_co_ci_u32_e64 v1, null, v17, v1, vcc_lo
	v_add_f32_e32 v2, v3, v2
	flat_store_dword v[0:1], v2
	s_or_b32 exec_lo, exec_lo, s0
	s_and_b32 s1, s2, s8
	s_and_saveexec_b32 s0, s1
	s_cbranch_execz .LBB49_166
.LBB49_180:
	v_cmp_ne_u32_e32 vcc_lo, 1, v70
	v_lshlrev_b64 v[0:1], 2, v[4:5]
	s_cbranch_vccnz .LBB49_182
; %bb.181:
	v_add_co_u32 v2, vcc_lo, v34, v0
	v_add_co_ci_u32_e64 v3, null, v35, v1, vcc_lo
	flat_load_dword v2, v[2:3]
	s_waitcnt vmcnt(0) lgkmcnt(0)
	v_mul_f32_e32 v2, s15, v2
	s_branch .LBB49_183
.LBB49_182:
	v_mov_b32_e32 v2, 0
.LBB49_183:
	v_add_f32_e32 v3, v28, v29
	v_add_co_u32 v0, vcc_lo, v16, v0
	v_add_co_ci_u32_e64 v1, null, v17, v1, vcc_lo
	v_add_f32_e32 v2, v3, v2
	flat_store_dword v[0:1], v2
	s_or_b32 exec_lo, exec_lo, s0
	s_and_b32 s1, s3, s8
	s_and_saveexec_b32 s0, s1
	s_cbranch_execz .LBB49_167
.LBB49_184:
	v_cmp_ne_u32_e32 vcc_lo, 1, v70
	v_lshlrev_b64 v[0:1], 2, v[6:7]
	s_cbranch_vccnz .LBB49_186
; %bb.185:
	v_add_co_u32 v2, vcc_lo, v34, v0
	v_add_co_ci_u32_e64 v3, null, v35, v1, vcc_lo
	flat_load_dword v2, v[2:3]
	s_waitcnt vmcnt(0) lgkmcnt(0)
	v_mul_f32_e32 v2, s15, v2
	s_branch .LBB49_187
.LBB49_186:
	v_mov_b32_e32 v2, 0
.LBB49_187:
	v_add_f32_e32 v3, v26, v27
	v_add_co_u32 v0, vcc_lo, v16, v0
	v_add_co_ci_u32_e64 v1, null, v17, v1, vcc_lo
	v_add_f32_e32 v2, v3, v2
	flat_store_dword v[0:1], v2
	s_or_b32 exec_lo, exec_lo, s0
	s_and_b32 s1, s4, s8
	s_and_saveexec_b32 s0, s1
	s_cbranch_execz .LBB49_168
.LBB49_188:
	v_cmp_ne_u32_e32 vcc_lo, 1, v70
	v_lshlrev_b64 v[0:1], 2, v[8:9]
	s_cbranch_vccnz .LBB49_190
; %bb.189:
	v_add_co_u32 v2, vcc_lo, v34, v0
	v_add_co_ci_u32_e64 v3, null, v35, v1, vcc_lo
	flat_load_dword v2, v[2:3]
	s_waitcnt vmcnt(0) lgkmcnt(0)
	v_mul_f32_e32 v2, s15, v2
	s_branch .LBB49_191
.LBB49_190:
	v_mov_b32_e32 v2, 0
.LBB49_191:
	v_add_f32_e32 v3, v24, v25
	v_add_co_u32 v0, vcc_lo, v16, v0
	v_add_co_ci_u32_e64 v1, null, v17, v1, vcc_lo
	v_add_f32_e32 v2, v3, v2
	flat_store_dword v[0:1], v2
	s_or_b32 exec_lo, exec_lo, s0
	s_and_b32 s1, s5, s8
	s_and_saveexec_b32 s0, s1
	s_cbranch_execz .LBB49_169
.LBB49_192:
	v_cmp_ne_u32_e32 vcc_lo, 1, v70
	v_lshlrev_b64 v[0:1], 2, v[10:11]
	s_cbranch_vccnz .LBB49_194
; %bb.193:
	v_add_co_u32 v2, vcc_lo, v34, v0
	v_add_co_ci_u32_e64 v3, null, v35, v1, vcc_lo
	flat_load_dword v2, v[2:3]
	s_waitcnt vmcnt(0) lgkmcnt(0)
	v_mul_f32_e32 v2, s15, v2
	s_branch .LBB49_195
.LBB49_194:
	v_mov_b32_e32 v2, 0
.LBB49_195:
	v_add_f32_e32 v3, v22, v23
	v_add_co_u32 v0, vcc_lo, v16, v0
	v_add_co_ci_u32_e64 v1, null, v17, v1, vcc_lo
	v_add_f32_e32 v2, v3, v2
	flat_store_dword v[0:1], v2
	s_or_b32 exec_lo, exec_lo, s0
	s_and_b32 s1, s6, s8
	s_and_saveexec_b32 s0, s1
	s_cbranch_execz .LBB49_170
.LBB49_196:
	v_cmp_ne_u32_e32 vcc_lo, 1, v70
	v_lshlrev_b64 v[0:1], 2, v[12:13]
	s_cbranch_vccnz .LBB49_198
; %bb.197:
	v_add_co_u32 v2, vcc_lo, v34, v0
	v_add_co_ci_u32_e64 v3, null, v35, v1, vcc_lo
	flat_load_dword v2, v[2:3]
	s_waitcnt vmcnt(0) lgkmcnt(0)
	v_mul_f32_e32 v2, s15, v2
	s_branch .LBB49_199
.LBB49_198:
	v_mov_b32_e32 v2, 0
.LBB49_199:
	v_add_f32_e32 v3, v20, v21
	v_add_co_u32 v0, vcc_lo, v16, v0
	v_add_co_ci_u32_e64 v1, null, v17, v1, vcc_lo
	v_add_f32_e32 v2, v3, v2
	flat_store_dword v[0:1], v2
	s_or_b32 exec_lo, exec_lo, s0
	s_and_b32 s0, s7, s8
	s_and_saveexec_b32 s1, s0
	s_cbranch_execz .LBB49_171
.LBB49_200:
	v_cmp_ne_u32_e32 vcc_lo, 1, v70
	v_lshlrev_b64 v[0:1], 2, v[14:15]
	s_cbranch_vccnz .LBB49_202
; %bb.201:
	v_add_co_u32 v2, vcc_lo, v34, v0
	v_add_co_ci_u32_e64 v3, null, v35, v1, vcc_lo
	flat_load_dword v2, v[2:3]
	s_waitcnt vmcnt(0) lgkmcnt(0)
	v_mul_f32_e32 v2, s15, v2
	s_branch .LBB49_203
.LBB49_202:
	v_mov_b32_e32 v2, 0
.LBB49_203:
	v_add_f32_e32 v3, v18, v19
	v_add_co_u32 v0, vcc_lo, v16, v0
	v_add_co_ci_u32_e64 v1, null, v17, v1, vcc_lo
	v_add_f32_e32 v2, v3, v2
	flat_store_dword v[0:1], v2
	s_endpgm
	.section	.rodata,"a",@progbits
	.p2align	6, 0x0
	.amdhsa_kernel _ZN12_GLOBAL__N_120geam_min_plus_kernelIf15HIP_vector_typeIfLj2EES2_Li8ELi32ELi64ELi128ELi4ELi4ELi64ELi64ELi4ELc84ELc84ELb1ELb1ELb0EfKPKfKPfEEviiiT16_PT17_ilSA_ilS8_SA_ilPT18_ili26rocblas_geam_ex_operation_
		.amdhsa_group_segment_fixed_size 6144
		.amdhsa_private_segment_fixed_size 0
		.amdhsa_kernarg_size 128
		.amdhsa_user_sgpr_count 6
		.amdhsa_user_sgpr_private_segment_buffer 1
		.amdhsa_user_sgpr_dispatch_ptr 0
		.amdhsa_user_sgpr_queue_ptr 0
		.amdhsa_user_sgpr_kernarg_segment_ptr 1
		.amdhsa_user_sgpr_dispatch_id 0
		.amdhsa_user_sgpr_flat_scratch_init 0
		.amdhsa_user_sgpr_private_segment_size 0
		.amdhsa_wavefront_size32 1
		.amdhsa_uses_dynamic_stack 0
		.amdhsa_system_sgpr_private_segment_wavefront_offset 0
		.amdhsa_system_sgpr_workgroup_id_x 1
		.amdhsa_system_sgpr_workgroup_id_y 0
		.amdhsa_system_sgpr_workgroup_id_z 1
		.amdhsa_system_sgpr_workgroup_info 0
		.amdhsa_system_vgpr_workitem_id 1
		.amdhsa_next_free_vgpr 151
		.amdhsa_next_free_sgpr 26
		.amdhsa_reserve_vcc 1
		.amdhsa_reserve_flat_scratch 0
		.amdhsa_float_round_mode_32 0
		.amdhsa_float_round_mode_16_64 0
		.amdhsa_float_denorm_mode_32 3
		.amdhsa_float_denorm_mode_16_64 3
		.amdhsa_dx10_clamp 1
		.amdhsa_ieee_mode 1
		.amdhsa_fp16_overflow 0
		.amdhsa_workgroup_processor_mode 1
		.amdhsa_memory_ordered 1
		.amdhsa_forward_progress 1
		.amdhsa_shared_vgpr_count 0
		.amdhsa_exception_fp_ieee_invalid_op 0
		.amdhsa_exception_fp_denorm_src 0
		.amdhsa_exception_fp_ieee_div_zero 0
		.amdhsa_exception_fp_ieee_overflow 0
		.amdhsa_exception_fp_ieee_underflow 0
		.amdhsa_exception_fp_ieee_inexact 0
		.amdhsa_exception_int_div_zero 0
	.end_amdhsa_kernel
	.section	.text._ZN12_GLOBAL__N_120geam_min_plus_kernelIf15HIP_vector_typeIfLj2EES2_Li8ELi32ELi64ELi128ELi4ELi4ELi64ELi64ELi4ELc84ELc84ELb1ELb1ELb0EfKPKfKPfEEviiiT16_PT17_ilSA_ilS8_SA_ilPT18_ili26rocblas_geam_ex_operation_,"axG",@progbits,_ZN12_GLOBAL__N_120geam_min_plus_kernelIf15HIP_vector_typeIfLj2EES2_Li8ELi32ELi64ELi128ELi4ELi4ELi64ELi64ELi4ELc84ELc84ELb1ELb1ELb0EfKPKfKPfEEviiiT16_PT17_ilSA_ilS8_SA_ilPT18_ili26rocblas_geam_ex_operation_,comdat
.Lfunc_end49:
	.size	_ZN12_GLOBAL__N_120geam_min_plus_kernelIf15HIP_vector_typeIfLj2EES2_Li8ELi32ELi64ELi128ELi4ELi4ELi64ELi64ELi4ELc84ELc84ELb1ELb1ELb0EfKPKfKPfEEviiiT16_PT17_ilSA_ilS8_SA_ilPT18_ili26rocblas_geam_ex_operation_, .Lfunc_end49-_ZN12_GLOBAL__N_120geam_min_plus_kernelIf15HIP_vector_typeIfLj2EES2_Li8ELi32ELi64ELi128ELi4ELi4ELi64ELi64ELi4ELc84ELc84ELb1ELb1ELb0EfKPKfKPfEEviiiT16_PT17_ilSA_ilS8_SA_ilPT18_ili26rocblas_geam_ex_operation_
                                        ; -- End function
	.set _ZN12_GLOBAL__N_120geam_min_plus_kernelIf15HIP_vector_typeIfLj2EES2_Li8ELi32ELi64ELi128ELi4ELi4ELi64ELi64ELi4ELc84ELc84ELb1ELb1ELb0EfKPKfKPfEEviiiT16_PT17_ilSA_ilS8_SA_ilPT18_ili26rocblas_geam_ex_operation_.num_vgpr, 151
	.set _ZN12_GLOBAL__N_120geam_min_plus_kernelIf15HIP_vector_typeIfLj2EES2_Li8ELi32ELi64ELi128ELi4ELi4ELi64ELi64ELi4ELc84ELc84ELb1ELb1ELb0EfKPKfKPfEEviiiT16_PT17_ilSA_ilS8_SA_ilPT18_ili26rocblas_geam_ex_operation_.num_agpr, 0
	.set _ZN12_GLOBAL__N_120geam_min_plus_kernelIf15HIP_vector_typeIfLj2EES2_Li8ELi32ELi64ELi128ELi4ELi4ELi64ELi64ELi4ELc84ELc84ELb1ELb1ELb0EfKPKfKPfEEviiiT16_PT17_ilSA_ilS8_SA_ilPT18_ili26rocblas_geam_ex_operation_.numbered_sgpr, 26
	.set _ZN12_GLOBAL__N_120geam_min_plus_kernelIf15HIP_vector_typeIfLj2EES2_Li8ELi32ELi64ELi128ELi4ELi4ELi64ELi64ELi4ELc84ELc84ELb1ELb1ELb0EfKPKfKPfEEviiiT16_PT17_ilSA_ilS8_SA_ilPT18_ili26rocblas_geam_ex_operation_.num_named_barrier, 0
	.set _ZN12_GLOBAL__N_120geam_min_plus_kernelIf15HIP_vector_typeIfLj2EES2_Li8ELi32ELi64ELi128ELi4ELi4ELi64ELi64ELi4ELc84ELc84ELb1ELb1ELb0EfKPKfKPfEEviiiT16_PT17_ilSA_ilS8_SA_ilPT18_ili26rocblas_geam_ex_operation_.private_seg_size, 0
	.set _ZN12_GLOBAL__N_120geam_min_plus_kernelIf15HIP_vector_typeIfLj2EES2_Li8ELi32ELi64ELi128ELi4ELi4ELi64ELi64ELi4ELc84ELc84ELb1ELb1ELb0EfKPKfKPfEEviiiT16_PT17_ilSA_ilS8_SA_ilPT18_ili26rocblas_geam_ex_operation_.uses_vcc, 1
	.set _ZN12_GLOBAL__N_120geam_min_plus_kernelIf15HIP_vector_typeIfLj2EES2_Li8ELi32ELi64ELi128ELi4ELi4ELi64ELi64ELi4ELc84ELc84ELb1ELb1ELb0EfKPKfKPfEEviiiT16_PT17_ilSA_ilS8_SA_ilPT18_ili26rocblas_geam_ex_operation_.uses_flat_scratch, 0
	.set _ZN12_GLOBAL__N_120geam_min_plus_kernelIf15HIP_vector_typeIfLj2EES2_Li8ELi32ELi64ELi128ELi4ELi4ELi64ELi64ELi4ELc84ELc84ELb1ELb1ELb0EfKPKfKPfEEviiiT16_PT17_ilSA_ilS8_SA_ilPT18_ili26rocblas_geam_ex_operation_.has_dyn_sized_stack, 0
	.set _ZN12_GLOBAL__N_120geam_min_plus_kernelIf15HIP_vector_typeIfLj2EES2_Li8ELi32ELi64ELi128ELi4ELi4ELi64ELi64ELi4ELc84ELc84ELb1ELb1ELb0EfKPKfKPfEEviiiT16_PT17_ilSA_ilS8_SA_ilPT18_ili26rocblas_geam_ex_operation_.has_recursion, 0
	.set _ZN12_GLOBAL__N_120geam_min_plus_kernelIf15HIP_vector_typeIfLj2EES2_Li8ELi32ELi64ELi128ELi4ELi4ELi64ELi64ELi4ELc84ELc84ELb1ELb1ELb0EfKPKfKPfEEviiiT16_PT17_ilSA_ilS8_SA_ilPT18_ili26rocblas_geam_ex_operation_.has_indirect_call, 0
	.section	.AMDGPU.csdata,"",@progbits
; Kernel info:
; codeLenInByte = 9056
; TotalNumSgprs: 28
; NumVgprs: 151
; ScratchSize: 0
; MemoryBound: 0
; FloatMode: 240
; IeeeMode: 1
; LDSByteSize: 6144 bytes/workgroup (compile time only)
; SGPRBlocks: 0
; VGPRBlocks: 18
; NumSGPRsForWavesPerEU: 28
; NumVGPRsForWavesPerEU: 151
; Occupancy: 6
; WaveLimiterHint : 1
; COMPUTE_PGM_RSRC2:SCRATCH_EN: 0
; COMPUTE_PGM_RSRC2:USER_SGPR: 6
; COMPUTE_PGM_RSRC2:TRAP_HANDLER: 0
; COMPUTE_PGM_RSRC2:TGID_X_EN: 1
; COMPUTE_PGM_RSRC2:TGID_Y_EN: 0
; COMPUTE_PGM_RSRC2:TGID_Z_EN: 1
; COMPUTE_PGM_RSRC2:TIDIG_COMP_CNT: 1
	.section	.text._ZN12_GLOBAL__N_120geam_min_plus_kernelIf15HIP_vector_typeIfLj2EES2_Li8ELi32ELi64ELi128ELi4ELi4ELi64ELi64ELi4ELc84ELc84ELb0ELb1ELb0EfKPKfKPfEEviiiT16_PT17_ilSA_ilS8_SA_ilPT18_ili26rocblas_geam_ex_operation_,"axG",@progbits,_ZN12_GLOBAL__N_120geam_min_plus_kernelIf15HIP_vector_typeIfLj2EES2_Li8ELi32ELi64ELi128ELi4ELi4ELi64ELi64ELi4ELc84ELc84ELb0ELb1ELb0EfKPKfKPfEEviiiT16_PT17_ilSA_ilS8_SA_ilPT18_ili26rocblas_geam_ex_operation_,comdat
	.globl	_ZN12_GLOBAL__N_120geam_min_plus_kernelIf15HIP_vector_typeIfLj2EES2_Li8ELi32ELi64ELi128ELi4ELi4ELi64ELi64ELi4ELc84ELc84ELb0ELb1ELb0EfKPKfKPfEEviiiT16_PT17_ilSA_ilS8_SA_ilPT18_ili26rocblas_geam_ex_operation_ ; -- Begin function _ZN12_GLOBAL__N_120geam_min_plus_kernelIf15HIP_vector_typeIfLj2EES2_Li8ELi32ELi64ELi128ELi4ELi4ELi64ELi64ELi4ELc84ELc84ELb0ELb1ELb0EfKPKfKPfEEviiiT16_PT17_ilSA_ilS8_SA_ilPT18_ili26rocblas_geam_ex_operation_
	.p2align	8
	.type	_ZN12_GLOBAL__N_120geam_min_plus_kernelIf15HIP_vector_typeIfLj2EES2_Li8ELi32ELi64ELi128ELi4ELi4ELi64ELi64ELi4ELc84ELc84ELb0ELb1ELb0EfKPKfKPfEEviiiT16_PT17_ilSA_ilS8_SA_ilPT18_ili26rocblas_geam_ex_operation_,@function
_ZN12_GLOBAL__N_120geam_min_plus_kernelIf15HIP_vector_typeIfLj2EES2_Li8ELi32ELi64ELi128ELi4ELi4ELi64ELi64ELi4ELc84ELc84ELb0ELb1ELb0EfKPKfKPfEEviiiT16_PT17_ilSA_ilS8_SA_ilPT18_ili26rocblas_geam_ex_operation_: ; @_ZN12_GLOBAL__N_120geam_min_plus_kernelIf15HIP_vector_typeIfLj2EES2_Li8ELi32ELi64ELi128ELi4ELi4ELi64ELi64ELi4ELc84ELc84ELb0ELb1ELb0EfKPKfKPfEEviiiT16_PT17_ilSA_ilS8_SA_ilPT18_ili26rocblas_geam_ex_operation_
; %bb.0:
	s_clause 0x1
	s_load_dwordx4 s[12:15], s[4:5], 0x0
	s_load_dwordx4 s[0:3], s[4:5], 0x20
	s_mov_b32 s18, s7
	s_mov_b32 s19, 0
	s_waitcnt lgkmcnt(0)
	v_cmp_eq_f32_e64 s7, s15, 0
	v_cmp_neq_f32_e64 s24, s15, 0
	s_and_b32 vcc_lo, exec_lo, s7
	s_cbranch_vccnz .LBB50_3
; %bb.1:
	s_load_dwordx2 s[8:9], s[4:5], 0x10
	s_lshl_b64 s[10:11], s[18:19], 3
	s_waitcnt lgkmcnt(0)
	s_add_u32 s8, s8, s10
	s_addc_u32 s9, s9, s11
	s_lshl_b64 s[0:1], s[0:1], 2
	s_load_dwordx2 s[8:9], s[8:9], 0x0
	s_waitcnt lgkmcnt(0)
	s_add_u32 s16, s8, s0
	s_addc_u32 s17, s9, s1
	s_andn2_b32 vcc_lo, exec_lo, s7
	s_cbranch_vccnz .LBB50_4
.LBB50_2:
	s_mov_b32 s21, 0
	s_mov_b32 s20, s18
	;; [unrolled: 1-line block ×3, first 2 shown]
	s_mov_b64 s[10:11], 0
	s_andn2_b32 vcc_lo, exec_lo, s0
	s_mov_b64 s[8:9], 0
	s_cbranch_vccz .LBB50_5
	s_branch .LBB50_6
.LBB50_3:
	s_mov_b64 s[16:17], 0
	s_andn2_b32 vcc_lo, exec_lo, s7
	s_cbranch_vccz .LBB50_2
.LBB50_4:
	s_mov_b64 s[20:21], s[18:19]
	s_mov_b64 s[10:11], 0
	;; [unrolled: 1-line block ×3, first 2 shown]
.LBB50_5:
	s_lshl_b64 s[0:1], s[18:19], 3
	s_load_dwordx2 s[8:9], s[4:5], 0x38
	s_add_u32 s0, s2, s0
	s_addc_u32 s1, s3, s1
	s_load_dwordx2 s[0:1], s[0:1], 0x0
	s_waitcnt lgkmcnt(0)
	s_lshl_b64 s[2:3], s[8:9], 2
	s_add_u32 s8, s0, s2
	s_addc_u32 s9, s1, s3
.LBB50_6:
	s_clause 0x1
	s_load_dword s22, s[4:5], 0x40
	s_load_dwordx4 s[0:3], s[4:5], 0x58
	s_waitcnt lgkmcnt(0)
	v_cmp_eq_f32_e64 s7, s22, 0
	v_cmp_neq_f32_e64 s23, s22, 0
	s_and_b32 vcc_lo, exec_lo, s7
	s_cbranch_vccnz .LBB50_8
; %bb.7:
	s_load_dwordx2 s[10:11], s[4:5], 0x48
	s_lshl_b64 s[18:19], s[20:21], 3
	s_waitcnt lgkmcnt(0)
	s_add_u32 s10, s10, s18
	s_addc_u32 s11, s11, s19
	s_lshl_b64 s[0:1], s[0:1], 2
	s_load_dwordx2 s[10:11], s[10:11], 0x0
	s_waitcnt lgkmcnt(0)
	s_add_u32 s10, s10, s0
	s_addc_u32 s11, s11, s1
.LBB50_8:
	s_lshl_b64 s[0:1], s[20:21], 3
	s_load_dword s28, s[4:5], 0x18
	s_add_u32 s18, s2, s0
	s_addc_u32 s19, s3, s1
	s_add_i32 s0, s12, -1
	v_and_b32_e32 v70, 3, v0
	s_ashr_i32 s1, s0, 31
	v_mov_b32_e32 v6, 0
	s_lshr_b32 s1, s1, 26
	v_mov_b32_e32 v8, 0
	s_add_i32 s0, s0, s1
	v_cmp_gt_i32_e32 vcc_lo, s14, v70
	s_ashr_i32 s0, s0, 6
	v_lshlrev_b32_e32 v9, 2, v70
	s_add_i32 s2, s0, 1
	s_not_b32 s0, s0
	v_cvt_f32_u32_e32 v2, s2
	v_rcp_iflag_f32_e32 v2, v2
	v_mul_f32_e32 v2, 0x4f7ffffe, v2
	v_cvt_u32_f32_e32 v2, v2
	v_readfirstlane_b32 s1, v2
	v_lshl_add_u32 v2, v1, 3, v0
	s_mul_i32 s0, s0, s1
	v_lshrrev_b32_e32 v7, 2, v2
	s_mul_hi_u32 s0, s1, s0
	s_add_i32 s1, s1, s0
	s_mul_hi_u32 s0, s6, s1
	s_mul_i32 s1, s0, s2
	s_add_i32 s3, s0, 1
	s_sub_i32 s1, s6, s1
	s_sub_i32 s7, s1, s2
	s_cmp_ge_u32 s1, s2
	s_cselect_b32 s0, s3, s0
	s_cselect_b32 s1, s7, s1
	s_add_i32 s3, s0, 1
	s_cmp_ge_u32 s1, s2
	s_cselect_b32 s1, s3, s0
	s_mul_i32 s0, s1, s2
	s_sub_i32 s0, s6, s0
	s_lshl_b32 s20, s0, 6
	v_add_nc_u32_e32 v4, s20, v7
	v_cmp_gt_i32_e64 s0, s12, v4
	s_and_b32 s2, vcc_lo, s0
	s_and_b32 s3, s24, s2
	s_and_saveexec_b32 s2, s3
	s_cbranch_execz .LBB50_10
; %bb.9:
	s_waitcnt lgkmcnt(0)
	v_mad_i64_i32 v[10:11], null, v4, s28, 0
	v_lshlrev_b64 v[10:11], 2, v[10:11]
	v_add_co_u32 v3, vcc_lo, s16, v10
	v_add_co_ci_u32_e64 v5, null, s17, v11, vcc_lo
	v_add_co_u32 v10, vcc_lo, v3, v9
	v_add_co_ci_u32_e64 v11, null, 0, v5, vcc_lo
	flat_load_dword v3, v[10:11]
	s_waitcnt vmcnt(0) lgkmcnt(0)
	v_mul_f32_e32 v8, s15, v3
.LBB50_10:
	s_or_b32 exec_lo, exec_lo, s2
	s_load_dword s25, s[4:5], 0x30
	v_lshrrev_b32_e32 v71, 6, v2
	s_add_i32 s26, s14, -1
	v_and_b32_e32 v10, 63, v2
	s_lshl_b32 s21, s1, 7
	s_xor_b32 s27, s24, -1
	v_min_i32_e32 v3, s26, v71
	v_cmp_le_i32_e32 vcc_lo, s14, v71
	v_or_b32_e32 v2, s21, v10
	v_cmp_le_i32_e64 s1, s13, v2
	s_or_b32 s3, s1, vcc_lo
	s_waitcnt lgkmcnt(0)
	v_mad_i64_i32 v[11:12], null, s25, v3, 0
	v_ashrrev_i32_e32 v3, 31, v2
	v_lshlrev_b64 v[12:13], 2, v[11:12]
	v_add_co_u32 v12, s2, s8, v12
	v_add_co_ci_u32_e64 v13, null, s9, v13, s2
	s_nor_b32 s2, s3, s27
	s_and_saveexec_b32 s3, s2
	s_cbranch_execz .LBB50_12
; %bb.11:
	v_lshlrev_b64 v[5:6], 2, v[2:3]
	v_add_co_u32 v5, s2, v12, v5
	v_add_co_ci_u32_e64 v6, null, v13, v6, s2
	flat_load_dword v5, v[5:6]
	s_waitcnt vmcnt(0) lgkmcnt(0)
	v_mul_f32_e32 v6, s15, v5
.LBB50_12:
	s_or_b32 exec_lo, exec_lo, s3
	v_or_b32_e32 v5, 64, v2
	v_mov_b32_e32 v11, 0
	v_cmp_le_i32_e64 s2, s13, v5
	v_mov_b32_e32 v5, 0
	s_or_b32 s3, s2, vcc_lo
	s_nor_b32 s6, s3, s27
	s_and_saveexec_b32 s3, s6
	s_cbranch_execz .LBB50_14
; %bb.13:
	v_lshlrev_b64 v[14:15], 2, v[2:3]
	v_add_co_u32 v11, vcc_lo, v12, v14
	v_add_co_ci_u32_e64 v12, null, v13, v15, vcc_lo
	flat_load_dword v11, v[11:12] offset:256
	s_waitcnt vmcnt(0) lgkmcnt(0)
	v_mul_f32_e32 v11, s15, v11
.LBB50_14:
	s_or_b32 exec_lo, exec_lo, s3
	v_or_b32_e32 v12, 4, v70
	v_cmp_gt_i32_e32 vcc_lo, s14, v12
	s_and_b32 s3, vcc_lo, s0
	s_and_b32 s6, s24, s3
	s_and_saveexec_b32 s3, s6
	s_cbranch_execz .LBB50_16
; %bb.15:
	v_mad_i64_i32 v[12:13], null, v4, s28, 0
	v_lshlrev_b64 v[12:13], 2, v[12:13]
	v_add_co_u32 v5, vcc_lo, s16, v12
	v_add_co_ci_u32_e64 v13, null, s17, v13, vcc_lo
	v_add_co_u32 v12, vcc_lo, v5, v9
	v_add_co_ci_u32_e64 v13, null, 0, v13, vcc_lo
	flat_load_dword v5, v[12:13] offset:16
	s_waitcnt vmcnt(0) lgkmcnt(0)
	v_mul_f32_e32 v5, s15, v5
.LBB50_16:
	s_or_b32 exec_lo, exec_lo, s3
	v_add_nc_u32_e32 v14, 4, v71
	v_mov_b32_e32 v76, 0
	v_mov_b32_e32 v77, 0
	v_min_i32_e32 v12, s26, v14
	v_cmp_le_i32_e32 vcc_lo, s14, v14
	v_mad_i64_i32 v[12:13], null, s25, v12, 0
	v_lshlrev_b64 v[12:13], 2, v[12:13]
	v_add_co_u32 v12, s3, s8, v12
	v_add_co_ci_u32_e64 v13, null, s9, v13, s3
	s_or_b32 s3, s1, vcc_lo
	s_nor_b32 s3, s3, s27
	s_and_saveexec_b32 s6, s3
	s_cbranch_execz .LBB50_18
; %bb.17:
	v_lshlrev_b64 v[14:15], 2, v[2:3]
	v_add_co_u32 v14, s3, v12, v14
	v_add_co_ci_u32_e64 v15, null, v13, v15, s3
	flat_load_dword v14, v[14:15]
	s_waitcnt vmcnt(0) lgkmcnt(0)
	v_mul_f32_e32 v77, s15, v14
.LBB50_18:
	s_or_b32 exec_lo, exec_lo, s6
	s_load_dwordx2 s[6:7], s[18:19], 0x0
	s_or_b32 s3, s2, vcc_lo
	s_nor_b32 s18, s3, s27
	s_and_saveexec_b32 s3, s18
	s_cbranch_execz .LBB50_20
; %bb.19:
	v_lshlrev_b64 v[14:15], 2, v[2:3]
	v_add_co_u32 v12, vcc_lo, v12, v14
	v_add_co_ci_u32_e64 v13, null, v13, v15, vcc_lo
	flat_load_dword v12, v[12:13] offset:256
	s_waitcnt vmcnt(0) lgkmcnt(0)
	v_mul_f32_e32 v76, s15, v12
.LBB50_20:
	s_or_b32 exec_lo, exec_lo, s3
	v_lshlrev_b32_e32 v10, 4, v10
	v_lshl_or_b32 v78, v7, 4, v9
	v_mov_b32_e32 v68, 0
	v_lshl_or_b32 v72, v0, 4, 0x1000
	v_lshlrev_b32_e32 v74, 4, v1
	v_lshl_add_u32 v73, v71, 2, v10
	v_add_nc_u32_e32 v75, 0x1000, v78
	ds_write_b32 v78, v8 offset:4096
	v_mov_b32_e32 v69, v68
	v_mov_b32_e32 v7, v68
	ds_write2st64_b32 v73, v6, v11 offset1:4
	v_mov_b32_e32 v6, v68
	v_mov_b32_e32 v8, v68
	;; [unrolled: 1-line block ×61, first 2 shown]
	s_mov_b32 s18, 0
	s_mov_b32 s3, -1
	s_waitcnt lgkmcnt(0)
	s_barrier
	buffer_gl0_inv
.LBB50_21:                              ; =>This Inner Loop Header: Depth=1
	s_lshl_b32 s18, s18, 2
	v_cndmask_b32_e64 v79, 0, 1, s3
	v_add_nc_u32_e32 v91, s18, v72
	v_add_nc_u32_e32 v99, s18, v74
	s_mov_b32 s3, 0
	s_mov_b32 s18, 2
	v_cmp_ne_u32_e32 vcc_lo, 1, v79
	ds_read2_b64 v[79:82], v91 offset1:16
	ds_read2_b64 v[83:86], v91 offset0:32 offset1:48
	ds_read2_b64 v[87:90], v91 offset0:64 offset1:80
	;; [unrolled: 1-line block ×3, first 2 shown]
	ds_read2st64_b64 v[95:98], v99 offset1:1
	ds_read2st64_b64 v[99:102], v99 offset0:2 offset1:3
	s_and_b32 vcc_lo, exec_lo, vcc_lo
	s_waitcnt lgkmcnt(5)
	v_max_f32_e32 v79, v79, v79
	v_max_f32_e32 v80, v80, v80
	v_max_f32_e32 v81, v81, v81
	v_max_f32_e32 v82, v82, v82
	s_waitcnt lgkmcnt(4)
	v_max_f32_e32 v83, v83, v83
	v_max_f32_e32 v84, v84, v84
	v_max_f32_e32 v85, v85, v85
	v_max_f32_e32 v86, v86, v86
	;; [unrolled: 5-line block ×6, first 2 shown]
	v_min_f32_e32 v103, v79, v95
	v_min_f32_e32 v104, v81, v95
	;; [unrolled: 1-line block ×64, first 2 shown]
	v_add_f32_e32 v69, v69, v101
	v_add_f32_e32 v68, v68, v103
	;; [unrolled: 1-line block ×64, first 2 shown]
	s_cbranch_vccz .LBB50_21
; %bb.22:
	ds_write_b32 v78, v5 offset:5120
	ds_write2st64_b32 v73, v77, v76 offset0:8 offset1:12
	v_lshl_add_u32 v76, v0, 4, 0x1400
	v_lshl_add_u32 v77, v1, 4, 0x800
	s_cmp_lt_i32 s14, 9
	s_waitcnt lgkmcnt(0)
	s_barrier
	buffer_gl0_inv
	s_cbranch_scc1 .LBB50_41
; %bb.23:
	v_mad_i64_i32 v[4:5], null, v4, s28, 0
	v_lshlrev_b64 v[2:3], 2, v[2:3]
	v_add_nc_u32_e32 v78, 0x1400, v78
	v_add_nc_u32_e32 v79, 0x800, v73
	s_mov_b32 s18, 0
	v_lshlrev_b64 v[4:5], 2, v[4:5]
	v_add_co_u32 v80, vcc_lo, s16, v4
	v_add_co_ci_u32_e64 v81, null, s17, v5, vcc_lo
	v_mov_b32_e32 v5, 0
	s_add_i32 s16, s14, -8
	s_mov_b32 s17, 8
.LBB50_24:                              ; =>This Loop Header: Depth=1
                                        ;     Child Loop BB50_31 Depth 2
                                        ;     Child Loop BB50_39 Depth 2
	v_or_b32_e32 v4, s17, v70
	v_mov_b32_e32 v82, 0
	v_cmp_gt_i32_e32 vcc_lo, s14, v4
	s_and_b32 s3, vcc_lo, s0
	s_and_b32 s19, s24, s3
	s_and_saveexec_b32 s3, s19
	s_cbranch_execz .LBB50_26
; %bb.25:                               ;   in Loop: Header=BB50_24 Depth=1
	v_lshlrev_b64 v[82:83], 2, v[4:5]
	v_add_co_u32 v82, vcc_lo, v80, v82
	v_add_co_ci_u32_e64 v83, null, v81, v83, vcc_lo
	flat_load_dword v82, v[82:83]
	s_waitcnt vmcnt(0) lgkmcnt(0)
	v_mul_f32_e32 v82, s15, v82
.LBB50_26:                              ;   in Loop: Header=BB50_24 Depth=1
	s_or_b32 exec_lo, exec_lo, s3
	v_add_nc_u32_e32 v87, s17, v71
	v_min_i32_e32 v83, s26, v87
	v_cmp_le_i32_e32 vcc_lo, s14, v87
	v_mad_i64_i32 v[83:84], null, v83, s25, 0
	v_lshlrev_b64 v[85:86], 2, v[83:84]
	v_mov_b32_e32 v83, 0
	v_mov_b32_e32 v84, 0
	v_add_co_u32 v85, s3, s8, v85
	v_add_co_ci_u32_e64 v86, null, s9, v86, s3
	s_or_b32 s3, s1, vcc_lo
	s_nor_b32 s3, s3, s27
	s_and_saveexec_b32 s19, s3
	s_cbranch_execz .LBB50_28
; %bb.27:                               ;   in Loop: Header=BB50_24 Depth=1
	v_add_co_u32 v87, s3, v85, v2
	v_add_co_ci_u32_e64 v88, null, v86, v3, s3
	flat_load_dword v84, v[87:88]
	s_waitcnt vmcnt(0) lgkmcnt(0)
	v_mul_f32_e32 v84, s15, v84
.LBB50_28:                              ;   in Loop: Header=BB50_24 Depth=1
	s_or_b32 exec_lo, exec_lo, s19
	s_or_b32 s3, s2, vcc_lo
	s_nor_b32 s19, s3, s27
	s_and_saveexec_b32 s3, s19
	s_cbranch_execz .LBB50_30
; %bb.29:                               ;   in Loop: Header=BB50_24 Depth=1
	v_add_co_u32 v85, vcc_lo, v85, v2
	v_add_co_ci_u32_e64 v86, null, v86, v3, vcc_lo
	flat_load_dword v83, v[85:86] offset:256
	s_waitcnt vmcnt(0) lgkmcnt(0)
	v_mul_f32_e32 v83, s15, v83
.LBB50_30:                              ;   in Loop: Header=BB50_24 Depth=1
	s_or_b32 exec_lo, exec_lo, s3
	s_mov_b32 s19, 0
	s_mov_b32 s3, -1
.LBB50_31:                              ;   Parent Loop BB50_24 Depth=1
                                        ; =>  This Inner Loop Header: Depth=2
	s_lshl_b32 s19, s19, 2
	v_cndmask_b32_e64 v85, 0, 1, s3
	v_add_nc_u32_e32 v105, s19, v77
	v_add_nc_u32_e32 v101, s19, v76
	s_mov_b32 s3, 0
	s_mov_b32 s19, 2
	v_cmp_ne_u32_e32 vcc_lo, 1, v85
	ds_read2st64_b64 v[85:88], v105 offset1:1
	ds_read2_b64 v[89:92], v101 offset1:16
	ds_read2_b64 v[93:96], v101 offset0:32 offset1:48
	ds_read2_b64 v[97:100], v101 offset0:64 offset1:80
	;; [unrolled: 1-line block ×3, first 2 shown]
	ds_read2st64_b64 v[105:108], v105 offset0:2 offset1:3
	s_and_b32 vcc_lo, exec_lo, vcc_lo
	s_waitcnt lgkmcnt(5)
	v_max_f32_e32 v85, v85, v85
	s_waitcnt lgkmcnt(4)
	v_max_f32_e32 v89, v89, v89
	v_max_f32_e32 v86, v86, v86
	v_max_f32_e32 v90, v90, v90
	v_max_f32_e32 v91, v91, v91
	v_max_f32_e32 v92, v92, v92
	s_waitcnt lgkmcnt(3)
	v_max_f32_e32 v93, v93, v93
	v_max_f32_e32 v94, v94, v94
	v_max_f32_e32 v95, v95, v95
	v_max_f32_e32 v96, v96, v96
	s_waitcnt lgkmcnt(2)
	v_max_f32_e32 v97, v97, v97
	v_max_f32_e32 v98, v98, v98
	v_max_f32_e32 v99, v99, v99
	v_max_f32_e32 v100, v100, v100
	;; [unrolled: 5-line block ×3, first 2 shown]
	v_max_f32_e32 v87, v87, v87
	v_max_f32_e32 v88, v88, v88
	s_waitcnt lgkmcnt(0)
	v_max_f32_e32 v105, v105, v105
	v_max_f32_e32 v106, v106, v106
	;; [unrolled: 1-line block ×4, first 2 shown]
	v_min_f32_e32 v109, v89, v85
	v_min_f32_e32 v110, v90, v86
	;; [unrolled: 1-line block ×64, first 2 shown]
	v_add_f32_e32 v69, v69, v110
	v_add_f32_e32 v68, v68, v109
	;; [unrolled: 1-line block ×64, first 2 shown]
	s_cbranch_vccz .LBB50_31
; %bb.32:                               ;   in Loop: Header=BB50_24 Depth=1
	v_or_b32_e32 v85, 4, v4
	ds_write_b32 v75, v82
	ds_write2st64_b32 v73, v84, v83 offset1:4
	v_mov_b32_e32 v82, 0
	v_mov_b32_e32 v83, 0
	v_cmp_gt_i32_e32 vcc_lo, s14, v85
	s_waitcnt lgkmcnt(0)
	s_barrier
	buffer_gl0_inv
	s_and_b32 s3, vcc_lo, s0
	s_and_b32 s19, s24, s3
	s_and_saveexec_b32 s3, s19
	s_cbranch_execz .LBB50_34
; %bb.33:                               ;   in Loop: Header=BB50_24 Depth=1
	v_lshlrev_b64 v[83:84], 2, v[4:5]
	v_add_co_u32 v83, vcc_lo, v80, v83
	v_add_co_ci_u32_e64 v84, null, v81, v84, vcc_lo
	flat_load_dword v4, v[83:84] offset:16
	s_waitcnt vmcnt(0) lgkmcnt(0)
	v_mul_f32_e32 v83, s15, v4
.LBB50_34:                              ;   in Loop: Header=BB50_24 Depth=1
	s_or_b32 exec_lo, exec_lo, s3
	v_add3_u32 v4, v71, s17, 4
	v_min_i32_e32 v84, s26, v4
	v_cmp_le_i32_e32 vcc_lo, s14, v4
	v_mad_i64_i32 v[84:85], null, v84, s25, 0
	v_lshlrev_b64 v[84:85], 2, v[84:85]
	v_add_co_u32 v84, s3, s8, v84
	v_add_co_ci_u32_e64 v85, null, s9, v85, s3
	s_or_b32 s3, s1, vcc_lo
	s_nor_b32 s3, s3, s27
	s_and_saveexec_b32 s19, s3
	s_cbranch_execz .LBB50_36
; %bb.35:                               ;   in Loop: Header=BB50_24 Depth=1
	v_add_co_u32 v86, s3, v84, v2
	v_add_co_ci_u32_e64 v87, null, v85, v3, s3
	flat_load_dword v4, v[86:87]
	s_waitcnt vmcnt(0) lgkmcnt(0)
	v_mul_f32_e32 v82, s15, v4
.LBB50_36:                              ;   in Loop: Header=BB50_24 Depth=1
	s_or_b32 exec_lo, exec_lo, s19
	v_mov_b32_e32 v4, 0
	s_or_b32 s3, s2, vcc_lo
	s_nor_b32 s19, s3, s27
	s_and_saveexec_b32 s3, s19
	s_cbranch_execz .LBB50_38
; %bb.37:                               ;   in Loop: Header=BB50_24 Depth=1
	v_add_co_u32 v84, vcc_lo, v84, v2
	v_add_co_ci_u32_e64 v85, null, v85, v3, vcc_lo
	flat_load_dword v4, v[84:85] offset:256
	s_waitcnt vmcnt(0) lgkmcnt(0)
	v_mul_f32_e32 v4, s15, v4
.LBB50_38:                              ;   in Loop: Header=BB50_24 Depth=1
	s_or_b32 exec_lo, exec_lo, s3
	s_mov_b32 s19, 0
	s_mov_b32 s3, -1
.LBB50_39:                              ;   Parent Loop BB50_24 Depth=1
                                        ; =>  This Inner Loop Header: Depth=2
	s_lshl_b32 s19, s19, 2
	v_cndmask_b32_e64 v84, 0, 1, s3
	v_add_nc_u32_e32 v104, s19, v74
	v_add_nc_u32_e32 v100, s19, v72
	s_mov_b32 s3, 0
	s_mov_b32 s19, 2
	v_cmp_ne_u32_e32 vcc_lo, 1, v84
	ds_read2st64_b64 v[84:87], v104 offset1:1
	ds_read2_b64 v[88:91], v100 offset1:16
	ds_read2_b64 v[92:95], v100 offset0:32 offset1:48
	ds_read2_b64 v[96:99], v100 offset0:64 offset1:80
	;; [unrolled: 1-line block ×3, first 2 shown]
	ds_read2st64_b64 v[104:107], v104 offset0:2 offset1:3
	s_and_b32 vcc_lo, exec_lo, vcc_lo
	s_waitcnt lgkmcnt(5)
	v_max_f32_e32 v84, v84, v84
	s_waitcnt lgkmcnt(4)
	v_max_f32_e32 v88, v88, v88
	v_max_f32_e32 v85, v85, v85
	v_max_f32_e32 v89, v89, v89
	v_max_f32_e32 v90, v90, v90
	v_max_f32_e32 v91, v91, v91
	s_waitcnt lgkmcnt(3)
	v_max_f32_e32 v92, v92, v92
	v_max_f32_e32 v93, v93, v93
	v_max_f32_e32 v94, v94, v94
	v_max_f32_e32 v95, v95, v95
	s_waitcnt lgkmcnt(2)
	v_max_f32_e32 v96, v96, v96
	v_max_f32_e32 v97, v97, v97
	v_max_f32_e32 v98, v98, v98
	v_max_f32_e32 v99, v99, v99
	;; [unrolled: 5-line block ×3, first 2 shown]
	v_max_f32_e32 v86, v86, v86
	v_max_f32_e32 v87, v87, v87
	s_waitcnt lgkmcnt(0)
	v_max_f32_e32 v104, v104, v104
	v_max_f32_e32 v105, v105, v105
	;; [unrolled: 1-line block ×4, first 2 shown]
	v_min_f32_e32 v108, v88, v84
	v_min_f32_e32 v109, v89, v85
	;; [unrolled: 1-line block ×64, first 2 shown]
	v_add_f32_e32 v69, v69, v109
	v_add_f32_e32 v68, v68, v108
	;; [unrolled: 1-line block ×64, first 2 shown]
	s_cbranch_vccz .LBB50_39
; %bb.40:                               ;   in Loop: Header=BB50_24 Depth=1
	s_add_i32 s18, s18, 8
	s_add_i32 s17, s17, 8
	s_cmp_ge_i32 s18, s16
	ds_write_b32 v78, v83
	ds_write2st64_b32 v79, v82, v4 offset1:4
	s_waitcnt lgkmcnt(0)
	s_barrier
	buffer_gl0_inv
	s_cbranch_scc0 .LBB50_24
.LBB50_41:
	s_mov_b32 s1, 0
	s_mov_b32 s0, -1
.LBB50_42:                              ; =>This Inner Loop Header: Depth=1
	s_lshl_b32 s1, s1, 2
	v_cndmask_b32_e64 v2, 0, 1, s0
	v_add_nc_u32_e32 v74, s1, v77
	v_add_nc_u32_e32 v75, s1, v76
	s_mov_b32 s0, 0
	s_mov_b32 s1, 2
	v_cmp_ne_u32_e32 vcc_lo, 1, v2
	ds_read2st64_b64 v[2:5], v74 offset1:1
	ds_read2_b64 v[70:73], v75 offset1:16
	ds_read2_b64 v[78:81], v75 offset0:32 offset1:48
	ds_read2_b64 v[82:85], v75 offset0:64 offset1:80
	;; [unrolled: 1-line block ×3, first 2 shown]
	ds_read2st64_b64 v[90:93], v74 offset0:2 offset1:3
	s_and_b32 vcc_lo, exec_lo, vcc_lo
	s_waitcnt lgkmcnt(5)
	v_max_f32_e32 v2, v2, v2
	s_waitcnt lgkmcnt(4)
	v_max_f32_e32 v70, v70, v70
	v_max_f32_e32 v3, v3, v3
	;; [unrolled: 1-line block ×5, first 2 shown]
	s_waitcnt lgkmcnt(3)
	v_max_f32_e32 v74, v78, v78
	v_max_f32_e32 v75, v79, v79
	v_max_f32_e32 v78, v80, v80
	v_max_f32_e32 v79, v81, v81
	s_waitcnt lgkmcnt(2)
	v_max_f32_e32 v80, v82, v82
	v_max_f32_e32 v81, v83, v83
	v_max_f32_e32 v82, v84, v84
	v_max_f32_e32 v83, v85, v85
	;; [unrolled: 5-line block ×3, first 2 shown]
	v_max_f32_e32 v4, v4, v4
	v_max_f32_e32 v5, v5, v5
	s_waitcnt lgkmcnt(0)
	v_max_f32_e32 v88, v90, v90
	v_max_f32_e32 v89, v91, v91
	;; [unrolled: 1-line block ×4, first 2 shown]
	v_min_f32_e32 v92, v70, v2
	v_min_f32_e32 v93, v71, v3
	;; [unrolled: 1-line block ×64, first 2 shown]
	v_add_f32_e32 v69, v69, v93
	v_add_f32_e32 v68, v68, v92
	;; [unrolled: 1-line block ×64, first 2 shown]
	s_cbranch_vccz .LBB50_42
; %bb.43:
	s_clause 0x2
	s_load_dword s14, s[4:5], 0x50
	s_load_dword s9, s[4:5], 0x68
	s_load_dwordx2 s[2:3], s[4:5], 0x70
	v_add_nc_u32_e32 v71, s21, v1
	v_add_nc_u32_e32 v0, s20, v0
	v_cndmask_b32_e64 v70, 0, 1, s23
	v_cmp_gt_i32_e64 s8, s13, v71
	v_cmp_gt_i32_e64 s0, s12, v0
	s_waitcnt lgkmcnt(0)
	v_mad_i64_i32 v[1:2], null, v71, s14, 0
	v_mad_i64_i32 v[3:4], null, v71, s9, 0
	s_lshl_b64 s[2:3], s[2:3], 2
	s_add_u32 s15, s6, s2
	s_addc_u32 s16, s7, s3
	v_lshlrev_b64 v[72:73], 2, v[1:2]
	v_ashrrev_i32_e32 v1, 31, v0
	v_lshlrev_b64 v[2:3], 2, v[3:4]
	s_and_b32 s2, s0, s8
	v_add_co_u32 v74, vcc_lo, s10, v72
	v_add_co_ci_u32_e64 v75, null, s11, v73, vcc_lo
	v_add_co_u32 v72, vcc_lo, s15, v2
	v_add_co_ci_u32_e64 v73, null, s16, v3, vcc_lo
	s_and_saveexec_b32 s1, s2
	s_cbranch_execz .LBB50_48
; %bb.44:
	v_lshlrev_b64 v[2:3], 2, v[0:1]
	s_andn2_b32 vcc_lo, exec_lo, s23
	s_cbranch_vccnz .LBB50_46
; %bb.45:
	v_add_co_u32 v4, vcc_lo, v74, v2
	v_add_co_ci_u32_e64 v5, null, v75, v3, vcc_lo
	flat_load_dword v4, v[4:5]
	s_waitcnt vmcnt(0) lgkmcnt(0)
	v_mul_f32_e32 v4, s22, v4
	s_branch .LBB50_47
.LBB50_46:
	v_mov_b32_e32 v4, 0
.LBB50_47:
	v_add_f32_e32 v5, v68, v69
	v_add_co_u32 v2, vcc_lo, v72, v2
	v_add_co_ci_u32_e64 v3, null, v73, v3, vcc_lo
	v_add_f32_e32 v4, v5, v4
	flat_store_dword v[2:3], v4
.LBB50_48:
	s_or_b32 exec_lo, exec_lo, s1
	v_add_nc_u32_e32 v2, 8, v0
	v_cmp_gt_i32_e64 s1, s12, v2
	v_ashrrev_i32_e32 v3, 31, v2
	s_and_b32 s3, s1, s8
	s_and_saveexec_b32 s2, s3
	s_cbranch_execz .LBB50_53
; %bb.49:
	v_cmp_ne_u32_e32 vcc_lo, 1, v70
	v_lshlrev_b64 v[4:5], 2, v[2:3]
	s_cbranch_vccnz .LBB50_51
; %bb.50:
	v_add_co_u32 v68, vcc_lo, v74, v4
	v_add_co_ci_u32_e64 v69, null, v75, v5, vcc_lo
	flat_load_dword v68, v[68:69]
	s_waitcnt vmcnt(0) lgkmcnt(0)
	v_mul_f32_e32 v68, s22, v68
	s_branch .LBB50_52
.LBB50_51:
	v_mov_b32_e32 v68, 0
.LBB50_52:
	v_add_f32_e32 v6, v6, v7
	v_add_co_u32 v4, vcc_lo, v72, v4
	v_add_co_ci_u32_e64 v5, null, v73, v5, vcc_lo
	v_add_f32_e32 v6, v6, v68
	flat_store_dword v[4:5], v6
.LBB50_53:
	s_or_b32 exec_lo, exec_lo, s2
	v_add_nc_u32_e32 v4, 16, v0
	v_cmp_gt_i32_e64 s2, s12, v4
	v_ashrrev_i32_e32 v5, 31, v4
	s_and_b32 s4, s2, s8
	s_and_saveexec_b32 s3, s4
	s_cbranch_execz .LBB50_58
; %bb.54:
	v_cmp_ne_u32_e32 vcc_lo, 1, v70
	v_lshlrev_b64 v[6:7], 2, v[4:5]
	s_cbranch_vccnz .LBB50_56
; %bb.55:
	v_add_co_u32 v68, vcc_lo, v74, v6
	v_add_co_ci_u32_e64 v69, null, v75, v7, vcc_lo
	flat_load_dword v68, v[68:69]
	s_waitcnt vmcnt(0) lgkmcnt(0)
	v_mul_f32_e32 v68, s22, v68
	s_branch .LBB50_57
.LBB50_56:
	v_mov_b32_e32 v68, 0
.LBB50_57:
	v_add_f32_e32 v8, v8, v9
	v_add_co_u32 v6, vcc_lo, v72, v6
	v_add_co_ci_u32_e64 v7, null, v73, v7, vcc_lo
	v_add_f32_e32 v8, v8, v68
	flat_store_dword v[6:7], v8
.LBB50_58:
	;; [unrolled: 27-line block ×7, first 2 shown]
	s_or_b32 exec_lo, exec_lo, s8
	v_add_nc_u32_e32 v68, 32, v71
	v_mad_i64_i32 v[16:17], null, v68, s14, 0
	v_mad_i64_i32 v[66:67], null, v68, s9, 0
	v_cmp_gt_i32_e64 s8, s13, v68
	v_lshlrev_b64 v[16:17], 2, v[16:17]
	s_and_b32 s17, s0, s8
	v_lshlrev_b64 v[66:67], 2, v[66:67]
	v_add_co_u32 v68, vcc_lo, s10, v16
	v_add_co_ci_u32_e64 v69, null, s11, v17, vcc_lo
	v_add_co_u32 v66, vcc_lo, s15, v66
	v_add_co_ci_u32_e64 v67, null, s16, v67, vcc_lo
	s_and_saveexec_b32 s12, s17
	s_cbranch_execnz .LBB50_91
; %bb.84:
	s_or_b32 exec_lo, exec_lo, s12
	s_and_b32 s17, s1, s8
	s_and_saveexec_b32 s12, s17
	s_cbranch_execnz .LBB50_95
.LBB50_85:
	s_or_b32 exec_lo, exec_lo, s12
	s_and_b32 s17, s2, s8
	s_and_saveexec_b32 s12, s17
	s_cbranch_execnz .LBB50_99
.LBB50_86:
	s_or_b32 exec_lo, exec_lo, s12
	s_and_b32 s17, s3, s8
	s_and_saveexec_b32 s12, s17
	s_cbranch_execnz .LBB50_103
.LBB50_87:
	s_or_b32 exec_lo, exec_lo, s12
	s_and_b32 s17, s4, s8
	s_and_saveexec_b32 s12, s17
	s_cbranch_execnz .LBB50_107
.LBB50_88:
	s_or_b32 exec_lo, exec_lo, s12
	s_and_b32 s17, s5, s8
	s_and_saveexec_b32 s12, s17
	s_cbranch_execnz .LBB50_111
.LBB50_89:
	s_or_b32 exec_lo, exec_lo, s12
	s_and_b32 s17, s6, s8
	s_and_saveexec_b32 s12, s17
	s_cbranch_execnz .LBB50_115
.LBB50_90:
	s_or_b32 exec_lo, exec_lo, s12
	s_and_b32 s12, s7, s8
	s_and_saveexec_b32 s8, s12
	s_cbranch_execnz .LBB50_119
	s_branch .LBB50_123
.LBB50_91:
	v_cmp_ne_u32_e32 vcc_lo, 1, v70
	v_lshlrev_b64 v[16:17], 2, v[0:1]
	s_cbranch_vccnz .LBB50_93
; %bb.92:
	v_add_co_u32 v72, vcc_lo, v68, v16
	v_add_co_ci_u32_e64 v73, null, v69, v17, vcc_lo
	flat_load_dword v72, v[72:73]
	s_waitcnt vmcnt(0) lgkmcnt(0)
	v_mul_f32_e32 v72, s22, v72
	s_branch .LBB50_94
.LBB50_93:
	v_mov_b32_e32 v72, 0
.LBB50_94:
	v_add_f32_e32 v64, v64, v65
	v_add_co_u32 v16, vcc_lo, v66, v16
	v_add_co_ci_u32_e64 v17, null, v67, v17, vcc_lo
	v_add_f32_e32 v64, v64, v72
	flat_store_dword v[16:17], v64
	s_or_b32 exec_lo, exec_lo, s12
	s_and_b32 s17, s1, s8
	s_and_saveexec_b32 s12, s17
	s_cbranch_execz .LBB50_85
.LBB50_95:
	v_cmp_ne_u32_e32 vcc_lo, 1, v70
	v_lshlrev_b64 v[16:17], 2, v[2:3]
	s_cbranch_vccnz .LBB50_97
; %bb.96:
	v_add_co_u32 v64, vcc_lo, v68, v16
	v_add_co_ci_u32_e64 v65, null, v69, v17, vcc_lo
	flat_load_dword v64, v[64:65]
	s_waitcnt vmcnt(0) lgkmcnt(0)
	v_mul_f32_e32 v64, s22, v64
	s_branch .LBB50_98
.LBB50_97:
	v_mov_b32_e32 v64, 0
.LBB50_98:
	v_add_f32_e32 v62, v62, v63
	v_add_co_u32 v16, vcc_lo, v66, v16
	v_add_co_ci_u32_e64 v17, null, v67, v17, vcc_lo
	v_add_f32_e32 v62, v62, v64
	flat_store_dword v[16:17], v62
	s_or_b32 exec_lo, exec_lo, s12
	s_and_b32 s17, s2, s8
	s_and_saveexec_b32 s12, s17
	s_cbranch_execz .LBB50_86
.LBB50_99:
	v_cmp_ne_u32_e32 vcc_lo, 1, v70
	v_lshlrev_b64 v[16:17], 2, v[4:5]
	s_cbranch_vccnz .LBB50_101
; %bb.100:
	v_add_co_u32 v62, vcc_lo, v68, v16
	v_add_co_ci_u32_e64 v63, null, v69, v17, vcc_lo
	flat_load_dword v62, v[62:63]
	s_waitcnt vmcnt(0) lgkmcnt(0)
	v_mul_f32_e32 v62, s22, v62
	s_branch .LBB50_102
.LBB50_101:
	v_mov_b32_e32 v62, 0
.LBB50_102:
	v_add_f32_e32 v60, v60, v61
	v_add_co_u32 v16, vcc_lo, v66, v16
	v_add_co_ci_u32_e64 v17, null, v67, v17, vcc_lo
	v_add_f32_e32 v60, v60, v62
	flat_store_dword v[16:17], v60
	s_or_b32 exec_lo, exec_lo, s12
	s_and_b32 s17, s3, s8
	s_and_saveexec_b32 s12, s17
	s_cbranch_execz .LBB50_87
.LBB50_103:
	v_cmp_ne_u32_e32 vcc_lo, 1, v70
	v_lshlrev_b64 v[16:17], 2, v[6:7]
	s_cbranch_vccnz .LBB50_105
; %bb.104:
	v_add_co_u32 v60, vcc_lo, v68, v16
	v_add_co_ci_u32_e64 v61, null, v69, v17, vcc_lo
	flat_load_dword v60, v[60:61]
	s_waitcnt vmcnt(0) lgkmcnt(0)
	v_mul_f32_e32 v60, s22, v60
	s_branch .LBB50_106
.LBB50_105:
	v_mov_b32_e32 v60, 0
.LBB50_106:
	v_add_f32_e32 v58, v58, v59
	v_add_co_u32 v16, vcc_lo, v66, v16
	v_add_co_ci_u32_e64 v17, null, v67, v17, vcc_lo
	v_add_f32_e32 v58, v58, v60
	flat_store_dword v[16:17], v58
	s_or_b32 exec_lo, exec_lo, s12
	s_and_b32 s17, s4, s8
	s_and_saveexec_b32 s12, s17
	s_cbranch_execz .LBB50_88
.LBB50_107:
	v_cmp_ne_u32_e32 vcc_lo, 1, v70
	v_lshlrev_b64 v[16:17], 2, v[8:9]
	s_cbranch_vccnz .LBB50_109
; %bb.108:
	v_add_co_u32 v58, vcc_lo, v68, v16
	v_add_co_ci_u32_e64 v59, null, v69, v17, vcc_lo
	flat_load_dword v58, v[58:59]
	s_waitcnt vmcnt(0) lgkmcnt(0)
	v_mul_f32_e32 v58, s22, v58
	s_branch .LBB50_110
.LBB50_109:
	v_mov_b32_e32 v58, 0
.LBB50_110:
	v_add_f32_e32 v56, v56, v57
	v_add_co_u32 v16, vcc_lo, v66, v16
	v_add_co_ci_u32_e64 v17, null, v67, v17, vcc_lo
	v_add_f32_e32 v56, v56, v58
	flat_store_dword v[16:17], v56
	s_or_b32 exec_lo, exec_lo, s12
	s_and_b32 s17, s5, s8
	s_and_saveexec_b32 s12, s17
	s_cbranch_execz .LBB50_89
.LBB50_111:
	v_cmp_ne_u32_e32 vcc_lo, 1, v70
	v_lshlrev_b64 v[16:17], 2, v[10:11]
	s_cbranch_vccnz .LBB50_113
; %bb.112:
	v_add_co_u32 v56, vcc_lo, v68, v16
	v_add_co_ci_u32_e64 v57, null, v69, v17, vcc_lo
	flat_load_dword v56, v[56:57]
	s_waitcnt vmcnt(0) lgkmcnt(0)
	v_mul_f32_e32 v56, s22, v56
	s_branch .LBB50_114
.LBB50_113:
	v_mov_b32_e32 v56, 0
.LBB50_114:
	v_add_f32_e32 v54, v54, v55
	v_add_co_u32 v16, vcc_lo, v66, v16
	v_add_co_ci_u32_e64 v17, null, v67, v17, vcc_lo
	v_add_f32_e32 v54, v54, v56
	flat_store_dword v[16:17], v54
	s_or_b32 exec_lo, exec_lo, s12
	s_and_b32 s17, s6, s8
	s_and_saveexec_b32 s12, s17
	s_cbranch_execz .LBB50_90
.LBB50_115:
	v_cmp_ne_u32_e32 vcc_lo, 1, v70
	v_lshlrev_b64 v[16:17], 2, v[12:13]
	s_cbranch_vccnz .LBB50_117
; %bb.116:
	v_add_co_u32 v54, vcc_lo, v68, v16
	v_add_co_ci_u32_e64 v55, null, v69, v17, vcc_lo
	flat_load_dword v54, v[54:55]
	s_waitcnt vmcnt(0) lgkmcnt(0)
	v_mul_f32_e32 v54, s22, v54
	s_branch .LBB50_118
.LBB50_117:
	v_mov_b32_e32 v54, 0
.LBB50_118:
	v_add_f32_e32 v52, v52, v53
	v_add_co_u32 v16, vcc_lo, v66, v16
	v_add_co_ci_u32_e64 v17, null, v67, v17, vcc_lo
	v_add_f32_e32 v52, v52, v54
	flat_store_dword v[16:17], v52
	s_or_b32 exec_lo, exec_lo, s12
	s_and_b32 s12, s7, s8
	s_and_saveexec_b32 s8, s12
	s_cbranch_execz .LBB50_123
.LBB50_119:
	v_cmp_ne_u32_e32 vcc_lo, 1, v70
	v_lshlrev_b64 v[16:17], 2, v[14:15]
	s_cbranch_vccnz .LBB50_121
; %bb.120:
	v_add_co_u32 v52, vcc_lo, v68, v16
	v_add_co_ci_u32_e64 v53, null, v69, v17, vcc_lo
	flat_load_dword v52, v[52:53]
	s_waitcnt vmcnt(0) lgkmcnt(0)
	v_mul_f32_e32 v52, s22, v52
	s_branch .LBB50_122
.LBB50_121:
	v_mov_b32_e32 v52, 0
.LBB50_122:
	v_add_f32_e32 v50, v50, v51
	v_add_co_u32 v16, vcc_lo, v66, v16
	v_add_co_ci_u32_e64 v17, null, v67, v17, vcc_lo
	v_add_f32_e32 v50, v50, v52
	flat_store_dword v[16:17], v50
.LBB50_123:
	s_or_b32 exec_lo, exec_lo, s8
	v_add_nc_u32_e32 v52, 64, v71
	v_mad_i64_i32 v[16:17], null, v52, s14, 0
	v_mad_i64_i32 v[50:51], null, v52, s9, 0
	v_cmp_gt_i32_e64 s8, s13, v52
	v_lshlrev_b64 v[16:17], 2, v[16:17]
	s_and_b32 s17, s0, s8
	v_lshlrev_b64 v[50:51], 2, v[50:51]
	v_add_co_u32 v52, vcc_lo, s10, v16
	v_add_co_ci_u32_e64 v53, null, s11, v17, vcc_lo
	v_add_co_u32 v50, vcc_lo, s15, v50
	v_add_co_ci_u32_e64 v51, null, s16, v51, vcc_lo
	s_and_saveexec_b32 s12, s17
	s_cbranch_execnz .LBB50_131
; %bb.124:
	s_or_b32 exec_lo, exec_lo, s12
	s_and_b32 s17, s1, s8
	s_and_saveexec_b32 s12, s17
	s_cbranch_execnz .LBB50_135
.LBB50_125:
	s_or_b32 exec_lo, exec_lo, s12
	s_and_b32 s17, s2, s8
	s_and_saveexec_b32 s12, s17
	s_cbranch_execnz .LBB50_139
.LBB50_126:
	s_or_b32 exec_lo, exec_lo, s12
	s_and_b32 s17, s3, s8
	s_and_saveexec_b32 s12, s17
	s_cbranch_execnz .LBB50_143
.LBB50_127:
	s_or_b32 exec_lo, exec_lo, s12
	s_and_b32 s17, s4, s8
	s_and_saveexec_b32 s12, s17
	s_cbranch_execnz .LBB50_147
.LBB50_128:
	s_or_b32 exec_lo, exec_lo, s12
	s_and_b32 s17, s5, s8
	s_and_saveexec_b32 s12, s17
	s_cbranch_execnz .LBB50_151
.LBB50_129:
	s_or_b32 exec_lo, exec_lo, s12
	s_and_b32 s17, s6, s8
	s_and_saveexec_b32 s12, s17
	s_cbranch_execnz .LBB50_155
.LBB50_130:
	s_or_b32 exec_lo, exec_lo, s12
	s_and_b32 s12, s7, s8
	s_and_saveexec_b32 s8, s12
	s_cbranch_execnz .LBB50_159
	s_branch .LBB50_163
.LBB50_131:
	v_cmp_ne_u32_e32 vcc_lo, 1, v70
	v_lshlrev_b64 v[16:17], 2, v[0:1]
	s_cbranch_vccnz .LBB50_133
; %bb.132:
	v_add_co_u32 v54, vcc_lo, v52, v16
	v_add_co_ci_u32_e64 v55, null, v53, v17, vcc_lo
	flat_load_dword v54, v[54:55]
	s_waitcnt vmcnt(0) lgkmcnt(0)
	v_mul_f32_e32 v54, s22, v54
	s_branch .LBB50_134
.LBB50_133:
	v_mov_b32_e32 v54, 0
.LBB50_134:
	v_add_f32_e32 v48, v48, v49
	v_add_co_u32 v16, vcc_lo, v50, v16
	v_add_co_ci_u32_e64 v17, null, v51, v17, vcc_lo
	v_add_f32_e32 v48, v48, v54
	flat_store_dword v[16:17], v48
	s_or_b32 exec_lo, exec_lo, s12
	s_and_b32 s17, s1, s8
	s_and_saveexec_b32 s12, s17
	s_cbranch_execz .LBB50_125
.LBB50_135:
	v_cmp_ne_u32_e32 vcc_lo, 1, v70
	v_lshlrev_b64 v[16:17], 2, v[2:3]
	s_cbranch_vccnz .LBB50_137
; %bb.136:
	v_add_co_u32 v48, vcc_lo, v52, v16
	v_add_co_ci_u32_e64 v49, null, v53, v17, vcc_lo
	flat_load_dword v48, v[48:49]
	s_waitcnt vmcnt(0) lgkmcnt(0)
	v_mul_f32_e32 v48, s22, v48
	s_branch .LBB50_138
.LBB50_137:
	v_mov_b32_e32 v48, 0
.LBB50_138:
	v_add_f32_e32 v46, v46, v47
	v_add_co_u32 v16, vcc_lo, v50, v16
	v_add_co_ci_u32_e64 v17, null, v51, v17, vcc_lo
	v_add_f32_e32 v46, v46, v48
	flat_store_dword v[16:17], v46
	s_or_b32 exec_lo, exec_lo, s12
	s_and_b32 s17, s2, s8
	s_and_saveexec_b32 s12, s17
	s_cbranch_execz .LBB50_126
.LBB50_139:
	v_cmp_ne_u32_e32 vcc_lo, 1, v70
	v_lshlrev_b64 v[16:17], 2, v[4:5]
	s_cbranch_vccnz .LBB50_141
; %bb.140:
	v_add_co_u32 v46, vcc_lo, v52, v16
	v_add_co_ci_u32_e64 v47, null, v53, v17, vcc_lo
	flat_load_dword v46, v[46:47]
	s_waitcnt vmcnt(0) lgkmcnt(0)
	v_mul_f32_e32 v46, s22, v46
	s_branch .LBB50_142
.LBB50_141:
	v_mov_b32_e32 v46, 0
.LBB50_142:
	v_add_f32_e32 v44, v44, v45
	v_add_co_u32 v16, vcc_lo, v50, v16
	v_add_co_ci_u32_e64 v17, null, v51, v17, vcc_lo
	v_add_f32_e32 v44, v44, v46
	flat_store_dword v[16:17], v44
	s_or_b32 exec_lo, exec_lo, s12
	s_and_b32 s17, s3, s8
	s_and_saveexec_b32 s12, s17
	s_cbranch_execz .LBB50_127
.LBB50_143:
	v_cmp_ne_u32_e32 vcc_lo, 1, v70
	v_lshlrev_b64 v[16:17], 2, v[6:7]
	s_cbranch_vccnz .LBB50_145
; %bb.144:
	v_add_co_u32 v44, vcc_lo, v52, v16
	v_add_co_ci_u32_e64 v45, null, v53, v17, vcc_lo
	flat_load_dword v44, v[44:45]
	s_waitcnt vmcnt(0) lgkmcnt(0)
	v_mul_f32_e32 v44, s22, v44
	s_branch .LBB50_146
.LBB50_145:
	v_mov_b32_e32 v44, 0
.LBB50_146:
	v_add_f32_e32 v42, v42, v43
	v_add_co_u32 v16, vcc_lo, v50, v16
	v_add_co_ci_u32_e64 v17, null, v51, v17, vcc_lo
	v_add_f32_e32 v42, v42, v44
	flat_store_dword v[16:17], v42
	s_or_b32 exec_lo, exec_lo, s12
	s_and_b32 s17, s4, s8
	s_and_saveexec_b32 s12, s17
	s_cbranch_execz .LBB50_128
.LBB50_147:
	v_cmp_ne_u32_e32 vcc_lo, 1, v70
	v_lshlrev_b64 v[16:17], 2, v[8:9]
	s_cbranch_vccnz .LBB50_149
; %bb.148:
	v_add_co_u32 v42, vcc_lo, v52, v16
	v_add_co_ci_u32_e64 v43, null, v53, v17, vcc_lo
	flat_load_dword v42, v[42:43]
	s_waitcnt vmcnt(0) lgkmcnt(0)
	v_mul_f32_e32 v42, s22, v42
	s_branch .LBB50_150
.LBB50_149:
	v_mov_b32_e32 v42, 0
.LBB50_150:
	v_add_f32_e32 v40, v40, v41
	v_add_co_u32 v16, vcc_lo, v50, v16
	v_add_co_ci_u32_e64 v17, null, v51, v17, vcc_lo
	v_add_f32_e32 v40, v40, v42
	flat_store_dword v[16:17], v40
	s_or_b32 exec_lo, exec_lo, s12
	s_and_b32 s17, s5, s8
	s_and_saveexec_b32 s12, s17
	s_cbranch_execz .LBB50_129
.LBB50_151:
	v_cmp_ne_u32_e32 vcc_lo, 1, v70
	v_lshlrev_b64 v[16:17], 2, v[10:11]
	s_cbranch_vccnz .LBB50_153
; %bb.152:
	v_add_co_u32 v40, vcc_lo, v52, v16
	v_add_co_ci_u32_e64 v41, null, v53, v17, vcc_lo
	flat_load_dword v40, v[40:41]
	s_waitcnt vmcnt(0) lgkmcnt(0)
	v_mul_f32_e32 v40, s22, v40
	s_branch .LBB50_154
.LBB50_153:
	v_mov_b32_e32 v40, 0
.LBB50_154:
	v_add_f32_e32 v38, v38, v39
	v_add_co_u32 v16, vcc_lo, v50, v16
	v_add_co_ci_u32_e64 v17, null, v51, v17, vcc_lo
	v_add_f32_e32 v38, v38, v40
	flat_store_dword v[16:17], v38
	s_or_b32 exec_lo, exec_lo, s12
	s_and_b32 s17, s6, s8
	s_and_saveexec_b32 s12, s17
	s_cbranch_execz .LBB50_130
.LBB50_155:
	v_cmp_ne_u32_e32 vcc_lo, 1, v70
	v_lshlrev_b64 v[16:17], 2, v[12:13]
	s_cbranch_vccnz .LBB50_157
; %bb.156:
	v_add_co_u32 v38, vcc_lo, v52, v16
	v_add_co_ci_u32_e64 v39, null, v53, v17, vcc_lo
	flat_load_dword v38, v[38:39]
	s_waitcnt vmcnt(0) lgkmcnt(0)
	v_mul_f32_e32 v38, s22, v38
	s_branch .LBB50_158
.LBB50_157:
	v_mov_b32_e32 v38, 0
.LBB50_158:
	v_add_f32_e32 v36, v36, v37
	v_add_co_u32 v16, vcc_lo, v50, v16
	v_add_co_ci_u32_e64 v17, null, v51, v17, vcc_lo
	v_add_f32_e32 v36, v36, v38
	flat_store_dword v[16:17], v36
	s_or_b32 exec_lo, exec_lo, s12
	s_and_b32 s12, s7, s8
	s_and_saveexec_b32 s8, s12
	s_cbranch_execz .LBB50_163
.LBB50_159:
	v_cmp_ne_u32_e32 vcc_lo, 1, v70
	v_lshlrev_b64 v[16:17], 2, v[14:15]
	s_cbranch_vccnz .LBB50_161
; %bb.160:
	v_add_co_u32 v36, vcc_lo, v52, v16
	v_add_co_ci_u32_e64 v37, null, v53, v17, vcc_lo
	flat_load_dword v36, v[36:37]
	s_waitcnt vmcnt(0) lgkmcnt(0)
	v_mul_f32_e32 v36, s22, v36
	s_branch .LBB50_162
.LBB50_161:
	v_mov_b32_e32 v36, 0
.LBB50_162:
	v_add_f32_e32 v34, v34, v35
	v_add_co_u32 v16, vcc_lo, v50, v16
	v_add_co_ci_u32_e64 v17, null, v51, v17, vcc_lo
	v_add_f32_e32 v34, v34, v36
	flat_store_dword v[16:17], v34
.LBB50_163:
	s_or_b32 exec_lo, exec_lo, s8
	v_add_nc_u32_e32 v36, 0x60, v71
	v_mad_i64_i32 v[16:17], null, v36, s14, 0
	v_mad_i64_i32 v[34:35], null, v36, s9, 0
	v_cmp_gt_i32_e64 s8, s13, v36
	v_lshlrev_b64 v[16:17], 2, v[16:17]
	s_and_b32 s9, s0, s8
	v_lshlrev_b64 v[36:37], 2, v[34:35]
	v_add_co_u32 v34, vcc_lo, s10, v16
	v_add_co_ci_u32_e64 v35, null, s11, v17, vcc_lo
	v_add_co_u32 v16, vcc_lo, s15, v36
	v_add_co_ci_u32_e64 v17, null, s16, v37, vcc_lo
	s_and_saveexec_b32 s0, s9
	s_cbranch_execnz .LBB50_172
; %bb.164:
	s_or_b32 exec_lo, exec_lo, s0
	s_and_b32 s1, s1, s8
	s_and_saveexec_b32 s0, s1
	s_cbranch_execnz .LBB50_176
.LBB50_165:
	s_or_b32 exec_lo, exec_lo, s0
	s_and_b32 s1, s2, s8
	s_and_saveexec_b32 s0, s1
	s_cbranch_execnz .LBB50_180
.LBB50_166:
	s_or_b32 exec_lo, exec_lo, s0
	s_and_b32 s1, s3, s8
	s_and_saveexec_b32 s0, s1
	s_cbranch_execnz .LBB50_184
.LBB50_167:
	s_or_b32 exec_lo, exec_lo, s0
	s_and_b32 s1, s4, s8
	s_and_saveexec_b32 s0, s1
	s_cbranch_execnz .LBB50_188
.LBB50_168:
	s_or_b32 exec_lo, exec_lo, s0
	s_and_b32 s1, s5, s8
	s_and_saveexec_b32 s0, s1
	s_cbranch_execnz .LBB50_192
.LBB50_169:
	s_or_b32 exec_lo, exec_lo, s0
	s_and_b32 s1, s6, s8
	s_and_saveexec_b32 s0, s1
	s_cbranch_execnz .LBB50_196
.LBB50_170:
	s_or_b32 exec_lo, exec_lo, s0
	s_and_b32 s0, s7, s8
	s_and_saveexec_b32 s1, s0
	s_cbranch_execnz .LBB50_200
.LBB50_171:
	s_endpgm
.LBB50_172:
	v_cmp_ne_u32_e32 vcc_lo, 1, v70
	v_lshlrev_b64 v[0:1], 2, v[0:1]
	s_cbranch_vccnz .LBB50_174
; %bb.173:
	v_add_co_u32 v36, vcc_lo, v34, v0
	v_add_co_ci_u32_e64 v37, null, v35, v1, vcc_lo
	flat_load_dword v36, v[36:37]
	s_waitcnt vmcnt(0) lgkmcnt(0)
	v_mul_f32_e32 v36, s22, v36
	s_branch .LBB50_175
.LBB50_174:
	v_mov_b32_e32 v36, 0
.LBB50_175:
	v_add_f32_e32 v32, v32, v33
	v_add_co_u32 v0, vcc_lo, v16, v0
	v_add_co_ci_u32_e64 v1, null, v17, v1, vcc_lo
	v_add_f32_e32 v32, v32, v36
	flat_store_dword v[0:1], v32
	s_or_b32 exec_lo, exec_lo, s0
	s_and_b32 s1, s1, s8
	s_and_saveexec_b32 s0, s1
	s_cbranch_execz .LBB50_165
.LBB50_176:
	v_cmp_ne_u32_e32 vcc_lo, 1, v70
	v_lshlrev_b64 v[0:1], 2, v[2:3]
	s_cbranch_vccnz .LBB50_178
; %bb.177:
	v_add_co_u32 v2, vcc_lo, v34, v0
	v_add_co_ci_u32_e64 v3, null, v35, v1, vcc_lo
	flat_load_dword v2, v[2:3]
	s_waitcnt vmcnt(0) lgkmcnt(0)
	v_mul_f32_e32 v2, s22, v2
	s_branch .LBB50_179
.LBB50_178:
	v_mov_b32_e32 v2, 0
.LBB50_179:
	v_add_f32_e32 v3, v30, v31
	v_add_co_u32 v0, vcc_lo, v16, v0
	v_add_co_ci_u32_e64 v1, null, v17, v1, vcc_lo
	v_add_f32_e32 v2, v3, v2
	flat_store_dword v[0:1], v2
	s_or_b32 exec_lo, exec_lo, s0
	s_and_b32 s1, s2, s8
	s_and_saveexec_b32 s0, s1
	s_cbranch_execz .LBB50_166
.LBB50_180:
	v_cmp_ne_u32_e32 vcc_lo, 1, v70
	v_lshlrev_b64 v[0:1], 2, v[4:5]
	s_cbranch_vccnz .LBB50_182
; %bb.181:
	v_add_co_u32 v2, vcc_lo, v34, v0
	v_add_co_ci_u32_e64 v3, null, v35, v1, vcc_lo
	flat_load_dword v2, v[2:3]
	s_waitcnt vmcnt(0) lgkmcnt(0)
	v_mul_f32_e32 v2, s22, v2
	s_branch .LBB50_183
.LBB50_182:
	v_mov_b32_e32 v2, 0
.LBB50_183:
	v_add_f32_e32 v3, v28, v29
	v_add_co_u32 v0, vcc_lo, v16, v0
	v_add_co_ci_u32_e64 v1, null, v17, v1, vcc_lo
	v_add_f32_e32 v2, v3, v2
	flat_store_dword v[0:1], v2
	s_or_b32 exec_lo, exec_lo, s0
	s_and_b32 s1, s3, s8
	s_and_saveexec_b32 s0, s1
	s_cbranch_execz .LBB50_167
.LBB50_184:
	v_cmp_ne_u32_e32 vcc_lo, 1, v70
	v_lshlrev_b64 v[0:1], 2, v[6:7]
	s_cbranch_vccnz .LBB50_186
; %bb.185:
	v_add_co_u32 v2, vcc_lo, v34, v0
	v_add_co_ci_u32_e64 v3, null, v35, v1, vcc_lo
	flat_load_dword v2, v[2:3]
	s_waitcnt vmcnt(0) lgkmcnt(0)
	v_mul_f32_e32 v2, s22, v2
	s_branch .LBB50_187
.LBB50_186:
	v_mov_b32_e32 v2, 0
.LBB50_187:
	v_add_f32_e32 v3, v26, v27
	v_add_co_u32 v0, vcc_lo, v16, v0
	v_add_co_ci_u32_e64 v1, null, v17, v1, vcc_lo
	v_add_f32_e32 v2, v3, v2
	flat_store_dword v[0:1], v2
	s_or_b32 exec_lo, exec_lo, s0
	s_and_b32 s1, s4, s8
	s_and_saveexec_b32 s0, s1
	s_cbranch_execz .LBB50_168
.LBB50_188:
	v_cmp_ne_u32_e32 vcc_lo, 1, v70
	v_lshlrev_b64 v[0:1], 2, v[8:9]
	s_cbranch_vccnz .LBB50_190
; %bb.189:
	v_add_co_u32 v2, vcc_lo, v34, v0
	v_add_co_ci_u32_e64 v3, null, v35, v1, vcc_lo
	flat_load_dword v2, v[2:3]
	s_waitcnt vmcnt(0) lgkmcnt(0)
	v_mul_f32_e32 v2, s22, v2
	s_branch .LBB50_191
.LBB50_190:
	v_mov_b32_e32 v2, 0
.LBB50_191:
	v_add_f32_e32 v3, v24, v25
	v_add_co_u32 v0, vcc_lo, v16, v0
	v_add_co_ci_u32_e64 v1, null, v17, v1, vcc_lo
	v_add_f32_e32 v2, v3, v2
	flat_store_dword v[0:1], v2
	s_or_b32 exec_lo, exec_lo, s0
	s_and_b32 s1, s5, s8
	s_and_saveexec_b32 s0, s1
	s_cbranch_execz .LBB50_169
.LBB50_192:
	v_cmp_ne_u32_e32 vcc_lo, 1, v70
	v_lshlrev_b64 v[0:1], 2, v[10:11]
	s_cbranch_vccnz .LBB50_194
; %bb.193:
	v_add_co_u32 v2, vcc_lo, v34, v0
	v_add_co_ci_u32_e64 v3, null, v35, v1, vcc_lo
	flat_load_dword v2, v[2:3]
	s_waitcnt vmcnt(0) lgkmcnt(0)
	v_mul_f32_e32 v2, s22, v2
	s_branch .LBB50_195
.LBB50_194:
	v_mov_b32_e32 v2, 0
.LBB50_195:
	v_add_f32_e32 v3, v22, v23
	v_add_co_u32 v0, vcc_lo, v16, v0
	v_add_co_ci_u32_e64 v1, null, v17, v1, vcc_lo
	v_add_f32_e32 v2, v3, v2
	flat_store_dword v[0:1], v2
	s_or_b32 exec_lo, exec_lo, s0
	s_and_b32 s1, s6, s8
	s_and_saveexec_b32 s0, s1
	s_cbranch_execz .LBB50_170
.LBB50_196:
	v_cmp_ne_u32_e32 vcc_lo, 1, v70
	v_lshlrev_b64 v[0:1], 2, v[12:13]
	s_cbranch_vccnz .LBB50_198
; %bb.197:
	v_add_co_u32 v2, vcc_lo, v34, v0
	v_add_co_ci_u32_e64 v3, null, v35, v1, vcc_lo
	flat_load_dword v2, v[2:3]
	s_waitcnt vmcnt(0) lgkmcnt(0)
	v_mul_f32_e32 v2, s22, v2
	s_branch .LBB50_199
.LBB50_198:
	v_mov_b32_e32 v2, 0
.LBB50_199:
	v_add_f32_e32 v3, v20, v21
	v_add_co_u32 v0, vcc_lo, v16, v0
	v_add_co_ci_u32_e64 v1, null, v17, v1, vcc_lo
	v_add_f32_e32 v2, v3, v2
	flat_store_dword v[0:1], v2
	s_or_b32 exec_lo, exec_lo, s0
	s_and_b32 s0, s7, s8
	s_and_saveexec_b32 s1, s0
	s_cbranch_execz .LBB50_171
.LBB50_200:
	v_cmp_ne_u32_e32 vcc_lo, 1, v70
	v_lshlrev_b64 v[0:1], 2, v[14:15]
	s_cbranch_vccnz .LBB50_202
; %bb.201:
	v_add_co_u32 v2, vcc_lo, v34, v0
	v_add_co_ci_u32_e64 v3, null, v35, v1, vcc_lo
	flat_load_dword v2, v[2:3]
	s_waitcnt vmcnt(0) lgkmcnt(0)
	v_mul_f32_e32 v2, s22, v2
	s_branch .LBB50_203
.LBB50_202:
	v_mov_b32_e32 v2, 0
.LBB50_203:
	v_add_f32_e32 v3, v18, v19
	v_add_co_u32 v0, vcc_lo, v16, v0
	v_add_co_ci_u32_e64 v1, null, v17, v1, vcc_lo
	v_add_f32_e32 v2, v3, v2
	flat_store_dword v[0:1], v2
	s_endpgm
	.section	.rodata,"a",@progbits
	.p2align	6, 0x0
	.amdhsa_kernel _ZN12_GLOBAL__N_120geam_min_plus_kernelIf15HIP_vector_typeIfLj2EES2_Li8ELi32ELi64ELi128ELi4ELi4ELi64ELi64ELi4ELc84ELc84ELb0ELb1ELb0EfKPKfKPfEEviiiT16_PT17_ilSA_ilS8_SA_ilPT18_ili26rocblas_geam_ex_operation_
		.amdhsa_group_segment_fixed_size 6144
		.amdhsa_private_segment_fixed_size 0
		.amdhsa_kernarg_size 128
		.amdhsa_user_sgpr_count 6
		.amdhsa_user_sgpr_private_segment_buffer 1
		.amdhsa_user_sgpr_dispatch_ptr 0
		.amdhsa_user_sgpr_queue_ptr 0
		.amdhsa_user_sgpr_kernarg_segment_ptr 1
		.amdhsa_user_sgpr_dispatch_id 0
		.amdhsa_user_sgpr_flat_scratch_init 0
		.amdhsa_user_sgpr_private_segment_size 0
		.amdhsa_wavefront_size32 1
		.amdhsa_uses_dynamic_stack 0
		.amdhsa_system_sgpr_private_segment_wavefront_offset 0
		.amdhsa_system_sgpr_workgroup_id_x 1
		.amdhsa_system_sgpr_workgroup_id_y 0
		.amdhsa_system_sgpr_workgroup_id_z 1
		.amdhsa_system_sgpr_workgroup_info 0
		.amdhsa_system_vgpr_workitem_id 1
		.amdhsa_next_free_vgpr 151
		.amdhsa_next_free_sgpr 29
		.amdhsa_reserve_vcc 1
		.amdhsa_reserve_flat_scratch 0
		.amdhsa_float_round_mode_32 0
		.amdhsa_float_round_mode_16_64 0
		.amdhsa_float_denorm_mode_32 3
		.amdhsa_float_denorm_mode_16_64 3
		.amdhsa_dx10_clamp 1
		.amdhsa_ieee_mode 1
		.amdhsa_fp16_overflow 0
		.amdhsa_workgroup_processor_mode 1
		.amdhsa_memory_ordered 1
		.amdhsa_forward_progress 1
		.amdhsa_shared_vgpr_count 0
		.amdhsa_exception_fp_ieee_invalid_op 0
		.amdhsa_exception_fp_denorm_src 0
		.amdhsa_exception_fp_ieee_div_zero 0
		.amdhsa_exception_fp_ieee_overflow 0
		.amdhsa_exception_fp_ieee_underflow 0
		.amdhsa_exception_fp_ieee_inexact 0
		.amdhsa_exception_int_div_zero 0
	.end_amdhsa_kernel
	.section	.text._ZN12_GLOBAL__N_120geam_min_plus_kernelIf15HIP_vector_typeIfLj2EES2_Li8ELi32ELi64ELi128ELi4ELi4ELi64ELi64ELi4ELc84ELc84ELb0ELb1ELb0EfKPKfKPfEEviiiT16_PT17_ilSA_ilS8_SA_ilPT18_ili26rocblas_geam_ex_operation_,"axG",@progbits,_ZN12_GLOBAL__N_120geam_min_plus_kernelIf15HIP_vector_typeIfLj2EES2_Li8ELi32ELi64ELi128ELi4ELi4ELi64ELi64ELi4ELc84ELc84ELb0ELb1ELb0EfKPKfKPfEEviiiT16_PT17_ilSA_ilS8_SA_ilPT18_ili26rocblas_geam_ex_operation_,comdat
.Lfunc_end50:
	.size	_ZN12_GLOBAL__N_120geam_min_plus_kernelIf15HIP_vector_typeIfLj2EES2_Li8ELi32ELi64ELi128ELi4ELi4ELi64ELi64ELi4ELc84ELc84ELb0ELb1ELb0EfKPKfKPfEEviiiT16_PT17_ilSA_ilS8_SA_ilPT18_ili26rocblas_geam_ex_operation_, .Lfunc_end50-_ZN12_GLOBAL__N_120geam_min_plus_kernelIf15HIP_vector_typeIfLj2EES2_Li8ELi32ELi64ELi128ELi4ELi4ELi64ELi64ELi4ELc84ELc84ELb0ELb1ELb0EfKPKfKPfEEviiiT16_PT17_ilSA_ilS8_SA_ilPT18_ili26rocblas_geam_ex_operation_
                                        ; -- End function
	.set _ZN12_GLOBAL__N_120geam_min_plus_kernelIf15HIP_vector_typeIfLj2EES2_Li8ELi32ELi64ELi128ELi4ELi4ELi64ELi64ELi4ELc84ELc84ELb0ELb1ELb0EfKPKfKPfEEviiiT16_PT17_ilSA_ilS8_SA_ilPT18_ili26rocblas_geam_ex_operation_.num_vgpr, 151
	.set _ZN12_GLOBAL__N_120geam_min_plus_kernelIf15HIP_vector_typeIfLj2EES2_Li8ELi32ELi64ELi128ELi4ELi4ELi64ELi64ELi4ELc84ELc84ELb0ELb1ELb0EfKPKfKPfEEviiiT16_PT17_ilSA_ilS8_SA_ilPT18_ili26rocblas_geam_ex_operation_.num_agpr, 0
	.set _ZN12_GLOBAL__N_120geam_min_plus_kernelIf15HIP_vector_typeIfLj2EES2_Li8ELi32ELi64ELi128ELi4ELi4ELi64ELi64ELi4ELc84ELc84ELb0ELb1ELb0EfKPKfKPfEEviiiT16_PT17_ilSA_ilS8_SA_ilPT18_ili26rocblas_geam_ex_operation_.numbered_sgpr, 29
	.set _ZN12_GLOBAL__N_120geam_min_plus_kernelIf15HIP_vector_typeIfLj2EES2_Li8ELi32ELi64ELi128ELi4ELi4ELi64ELi64ELi4ELc84ELc84ELb0ELb1ELb0EfKPKfKPfEEviiiT16_PT17_ilSA_ilS8_SA_ilPT18_ili26rocblas_geam_ex_operation_.num_named_barrier, 0
	.set _ZN12_GLOBAL__N_120geam_min_plus_kernelIf15HIP_vector_typeIfLj2EES2_Li8ELi32ELi64ELi128ELi4ELi4ELi64ELi64ELi4ELc84ELc84ELb0ELb1ELb0EfKPKfKPfEEviiiT16_PT17_ilSA_ilS8_SA_ilPT18_ili26rocblas_geam_ex_operation_.private_seg_size, 0
	.set _ZN12_GLOBAL__N_120geam_min_plus_kernelIf15HIP_vector_typeIfLj2EES2_Li8ELi32ELi64ELi128ELi4ELi4ELi64ELi64ELi4ELc84ELc84ELb0ELb1ELb0EfKPKfKPfEEviiiT16_PT17_ilSA_ilS8_SA_ilPT18_ili26rocblas_geam_ex_operation_.uses_vcc, 1
	.set _ZN12_GLOBAL__N_120geam_min_plus_kernelIf15HIP_vector_typeIfLj2EES2_Li8ELi32ELi64ELi128ELi4ELi4ELi64ELi64ELi4ELc84ELc84ELb0ELb1ELb0EfKPKfKPfEEviiiT16_PT17_ilSA_ilS8_SA_ilPT18_ili26rocblas_geam_ex_operation_.uses_flat_scratch, 0
	.set _ZN12_GLOBAL__N_120geam_min_plus_kernelIf15HIP_vector_typeIfLj2EES2_Li8ELi32ELi64ELi128ELi4ELi4ELi64ELi64ELi4ELc84ELc84ELb0ELb1ELb0EfKPKfKPfEEviiiT16_PT17_ilSA_ilS8_SA_ilPT18_ili26rocblas_geam_ex_operation_.has_dyn_sized_stack, 0
	.set _ZN12_GLOBAL__N_120geam_min_plus_kernelIf15HIP_vector_typeIfLj2EES2_Li8ELi32ELi64ELi128ELi4ELi4ELi64ELi64ELi4ELc84ELc84ELb0ELb1ELb0EfKPKfKPfEEviiiT16_PT17_ilSA_ilS8_SA_ilPT18_ili26rocblas_geam_ex_operation_.has_recursion, 0
	.set _ZN12_GLOBAL__N_120geam_min_plus_kernelIf15HIP_vector_typeIfLj2EES2_Li8ELi32ELi64ELi128ELi4ELi4ELi64ELi64ELi4ELc84ELc84ELb0ELb1ELb0EfKPKfKPfEEviiiT16_PT17_ilSA_ilS8_SA_ilPT18_ili26rocblas_geam_ex_operation_.has_indirect_call, 0
	.section	.AMDGPU.csdata,"",@progbits
; Kernel info:
; codeLenInByte = 9164
; TotalNumSgprs: 31
; NumVgprs: 151
; ScratchSize: 0
; MemoryBound: 0
; FloatMode: 240
; IeeeMode: 1
; LDSByteSize: 6144 bytes/workgroup (compile time only)
; SGPRBlocks: 0
; VGPRBlocks: 18
; NumSGPRsForWavesPerEU: 31
; NumVGPRsForWavesPerEU: 151
; Occupancy: 6
; WaveLimiterHint : 1
; COMPUTE_PGM_RSRC2:SCRATCH_EN: 0
; COMPUTE_PGM_RSRC2:USER_SGPR: 6
; COMPUTE_PGM_RSRC2:TRAP_HANDLER: 0
; COMPUTE_PGM_RSRC2:TGID_X_EN: 1
; COMPUTE_PGM_RSRC2:TGID_Y_EN: 0
; COMPUTE_PGM_RSRC2:TGID_Z_EN: 1
; COMPUTE_PGM_RSRC2:TIDIG_COMP_CNT: 1
	.section	.text._ZN12_GLOBAL__N_120geam_ex_scale_kernelILi32ELi32EffPKfPfEEviiT2_T3_lilT4_lil,"axG",@progbits,_ZN12_GLOBAL__N_120geam_ex_scale_kernelILi32ELi32EffPKfPfEEviiT2_T3_lilT4_lil,comdat
	.globl	_ZN12_GLOBAL__N_120geam_ex_scale_kernelILi32ELi32EffPKfPfEEviiT2_T3_lilT4_lil ; -- Begin function _ZN12_GLOBAL__N_120geam_ex_scale_kernelILi32ELi32EffPKfPfEEviiT2_T3_lilT4_lil
	.p2align	8
	.type	_ZN12_GLOBAL__N_120geam_ex_scale_kernelILi32ELi32EffPKfPfEEviiT2_T3_lilT4_lil,@function
_ZN12_GLOBAL__N_120geam_ex_scale_kernelILi32ELi32EffPKfPfEEviiT2_T3_lilT4_lil: ; @_ZN12_GLOBAL__N_120geam_ex_scale_kernelILi32ELi32EffPKfPfEEviiT2_T3_lilT4_lil
; %bb.0:
	s_clause 0x2
	s_load_dwordx4 s[8:11], s[4:5], 0x0
	s_load_dwordx4 s[0:3], s[4:5], 0x28
	s_load_dwordx2 s[12:13], s[4:5], 0x38
	s_waitcnt lgkmcnt(0)
	v_cmp_eq_f32_e64 s11, s10, 0
	s_and_b32 vcc_lo, exec_lo, s11
	s_cbranch_vccnz .LBB51_2
; %bb.1:
	s_load_dwordx4 s[16:19], s[4:5], 0x10
	s_mul_i32 s1, s1, s7
	s_mul_hi_u32 s14, s0, s7
	s_mul_i32 s0, s0, s7
	s_add_i32 s1, s14, s1
	s_lshl_b64 s[0:1], s[0:1], 2
	s_waitcnt lgkmcnt(0)
	s_add_u32 s14, s16, s0
	s_addc_u32 s15, s17, s1
	s_lshl_b64 s[0:1], s[18:19], 2
	s_add_u32 s14, s14, s0
	s_addc_u32 s15, s15, s1
	s_branch .LBB51_3
.LBB51_2:
	s_mov_b64 s[14:15], 0
.LBB51_3:
	s_add_i32 s0, s8, -1
	s_ashr_i32 s1, s0, 31
	s_lshr_b32 s1, s1, 27
	s_add_i32 s0, s0, s1
	s_ashr_i32 s0, s0, 5
	s_add_i32 s1, s0, 1
	s_not_b32 s0, s0
	v_cvt_f32_u32_e32 v2, s1
	v_rcp_iflag_f32_e32 v2, v2
	v_mul_f32_e32 v2, 0x4f7ffffe, v2
	v_cvt_u32_f32_e32 v2, v2
	v_readfirstlane_b32 s16, v2
	s_mul_i32 s0, s0, s16
	s_mul_hi_u32 s0, s16, s0
	s_add_i32 s16, s16, s0
	s_mul_hi_u32 s0, s6, s16
	s_mul_i32 s16, s0, s1
	s_add_i32 s17, s0, 1
	s_sub_i32 s16, s6, s16
	s_sub_i32 s18, s16, s1
	s_cmp_ge_u32 s16, s1
	s_cselect_b32 s0, s17, s0
	s_cselect_b32 s16, s18, s16
	s_add_i32 s17, s0, 1
	s_cmp_ge_u32 s16, s1
	s_cselect_b32 s0, s17, s0
	s_mul_i32 s1, s0, s1
	v_lshl_add_u32 v4, s0, 5, v1
	s_sub_i32 s1, s6, s1
	v_lshl_add_u32 v0, s1, 5, v0
	s_mov_b32 s1, -1
	v_cmp_gt_u32_e64 s0, s9, v4
	v_cmp_gt_u32_e32 vcc_lo, s8, v0
	s_and_b32 s0, vcc_lo, s0
	s_and_saveexec_b32 s6, s0
	s_cbranch_execz .LBB51_9
; %bb.4:
	v_mov_b32_e32 v1, 0
	s_andn2_b32 vcc_lo, exec_lo, s11
	v_mov_b32_e32 v3, v1
	v_mov_b32_e32 v2, v0
	s_cbranch_vccnz .LBB51_6
; %bb.5:
	v_mov_b32_e32 v3, 0
	v_mov_b32_e32 v2, v0
	s_mov_b32 s1, 0
.LBB51_6:
	s_andn2_b32 vcc_lo, exec_lo, s1
	s_cbranch_vccnz .LBB51_8
; %bb.7:
	s_load_dword s0, s[4:5], 0x20
	v_lshlrev_b64 v[0:1], 2, v[0:1]
	s_waitcnt lgkmcnt(0)
	v_mad_u64_u32 v[5:6], null, v4, s0, 0
	s_ashr_i32 s0, s0, 31
	v_mad_u64_u32 v[6:7], null, v4, s0, v[6:7]
	v_lshlrev_b64 v[5:6], 2, v[5:6]
	v_add_co_u32 v5, vcc_lo, s14, v5
	v_add_co_ci_u32_e64 v6, null, s15, v6, vcc_lo
	v_add_co_u32 v0, vcc_lo, v5, v0
	v_add_co_ci_u32_e64 v1, null, v6, v1, vcc_lo
	global_load_dword v0, v[0:1], off
	s_waitcnt vmcnt(0)
	v_mul_f32_e32 v1, s10, v0
.LBB51_8:
	s_clause 0x1
	s_load_dwordx2 s[0:1], s[4:5], 0x48
	s_load_dword s4, s[4:5], 0x40
	v_lshlrev_b64 v[2:3], 2, v[2:3]
	s_waitcnt lgkmcnt(0)
	s_mul_i32 s1, s1, s7
	v_mad_u64_u32 v[5:6], null, v4, s4, 0
	s_mul_hi_u32 s5, s0, s7
	s_mul_i32 s0, s0, s7
	s_add_i32 s1, s5, s1
	s_lshl_b64 s[0:1], s[0:1], 2
	s_add_u32 s2, s2, s0
	s_addc_u32 s3, s3, s1
	s_lshl_b64 s[0:1], s[12:13], 2
	v_mov_b32_e32 v0, v6
	s_add_u32 s0, s2, s0
	s_addc_u32 s1, s3, s1
	s_ashr_i32 s2, s4, 31
	v_mad_u64_u32 v[6:7], null, v4, s2, v[0:1]
	v_lshlrev_b64 v[4:5], 2, v[5:6]
	v_add_co_u32 v0, vcc_lo, s0, v4
	v_add_co_ci_u32_e64 v4, null, s1, v5, vcc_lo
	v_add_co_u32 v2, vcc_lo, v0, v2
	v_add_co_ci_u32_e64 v3, null, v4, v3, vcc_lo
	global_store_dword v[2:3], v1, off
.LBB51_9:
	s_endpgm
	.section	.rodata,"a",@progbits
	.p2align	6, 0x0
	.amdhsa_kernel _ZN12_GLOBAL__N_120geam_ex_scale_kernelILi32ELi32EffPKfPfEEviiT2_T3_lilT4_lil
		.amdhsa_group_segment_fixed_size 0
		.amdhsa_private_segment_fixed_size 0
		.amdhsa_kernarg_size 80
		.amdhsa_user_sgpr_count 6
		.amdhsa_user_sgpr_private_segment_buffer 1
		.amdhsa_user_sgpr_dispatch_ptr 0
		.amdhsa_user_sgpr_queue_ptr 0
		.amdhsa_user_sgpr_kernarg_segment_ptr 1
		.amdhsa_user_sgpr_dispatch_id 0
		.amdhsa_user_sgpr_flat_scratch_init 0
		.amdhsa_user_sgpr_private_segment_size 0
		.amdhsa_wavefront_size32 1
		.amdhsa_uses_dynamic_stack 0
		.amdhsa_system_sgpr_private_segment_wavefront_offset 0
		.amdhsa_system_sgpr_workgroup_id_x 1
		.amdhsa_system_sgpr_workgroup_id_y 0
		.amdhsa_system_sgpr_workgroup_id_z 1
		.amdhsa_system_sgpr_workgroup_info 0
		.amdhsa_system_vgpr_workitem_id 1
		.amdhsa_next_free_vgpr 8
		.amdhsa_next_free_sgpr 20
		.amdhsa_reserve_vcc 1
		.amdhsa_reserve_flat_scratch 0
		.amdhsa_float_round_mode_32 0
		.amdhsa_float_round_mode_16_64 0
		.amdhsa_float_denorm_mode_32 3
		.amdhsa_float_denorm_mode_16_64 3
		.amdhsa_dx10_clamp 1
		.amdhsa_ieee_mode 1
		.amdhsa_fp16_overflow 0
		.amdhsa_workgroup_processor_mode 1
		.amdhsa_memory_ordered 1
		.amdhsa_forward_progress 1
		.amdhsa_shared_vgpr_count 0
		.amdhsa_exception_fp_ieee_invalid_op 0
		.amdhsa_exception_fp_denorm_src 0
		.amdhsa_exception_fp_ieee_div_zero 0
		.amdhsa_exception_fp_ieee_overflow 0
		.amdhsa_exception_fp_ieee_underflow 0
		.amdhsa_exception_fp_ieee_inexact 0
		.amdhsa_exception_int_div_zero 0
	.end_amdhsa_kernel
	.section	.text._ZN12_GLOBAL__N_120geam_ex_scale_kernelILi32ELi32EffPKfPfEEviiT2_T3_lilT4_lil,"axG",@progbits,_ZN12_GLOBAL__N_120geam_ex_scale_kernelILi32ELi32EffPKfPfEEviiT2_T3_lilT4_lil,comdat
.Lfunc_end51:
	.size	_ZN12_GLOBAL__N_120geam_ex_scale_kernelILi32ELi32EffPKfPfEEviiT2_T3_lilT4_lil, .Lfunc_end51-_ZN12_GLOBAL__N_120geam_ex_scale_kernelILi32ELi32EffPKfPfEEviiT2_T3_lilT4_lil
                                        ; -- End function
	.set _ZN12_GLOBAL__N_120geam_ex_scale_kernelILi32ELi32EffPKfPfEEviiT2_T3_lilT4_lil.num_vgpr, 8
	.set _ZN12_GLOBAL__N_120geam_ex_scale_kernelILi32ELi32EffPKfPfEEviiT2_T3_lilT4_lil.num_agpr, 0
	.set _ZN12_GLOBAL__N_120geam_ex_scale_kernelILi32ELi32EffPKfPfEEviiT2_T3_lilT4_lil.numbered_sgpr, 20
	.set _ZN12_GLOBAL__N_120geam_ex_scale_kernelILi32ELi32EffPKfPfEEviiT2_T3_lilT4_lil.num_named_barrier, 0
	.set _ZN12_GLOBAL__N_120geam_ex_scale_kernelILi32ELi32EffPKfPfEEviiT2_T3_lilT4_lil.private_seg_size, 0
	.set _ZN12_GLOBAL__N_120geam_ex_scale_kernelILi32ELi32EffPKfPfEEviiT2_T3_lilT4_lil.uses_vcc, 1
	.set _ZN12_GLOBAL__N_120geam_ex_scale_kernelILi32ELi32EffPKfPfEEviiT2_T3_lilT4_lil.uses_flat_scratch, 0
	.set _ZN12_GLOBAL__N_120geam_ex_scale_kernelILi32ELi32EffPKfPfEEviiT2_T3_lilT4_lil.has_dyn_sized_stack, 0
	.set _ZN12_GLOBAL__N_120geam_ex_scale_kernelILi32ELi32EffPKfPfEEviiT2_T3_lilT4_lil.has_recursion, 0
	.set _ZN12_GLOBAL__N_120geam_ex_scale_kernelILi32ELi32EffPKfPfEEviiT2_T3_lilT4_lil.has_indirect_call, 0
	.section	.AMDGPU.csdata,"",@progbits
; Kernel info:
; codeLenInByte = 552
; TotalNumSgprs: 22
; NumVgprs: 8
; ScratchSize: 0
; MemoryBound: 0
; FloatMode: 240
; IeeeMode: 1
; LDSByteSize: 0 bytes/workgroup (compile time only)
; SGPRBlocks: 0
; VGPRBlocks: 0
; NumSGPRsForWavesPerEU: 22
; NumVGPRsForWavesPerEU: 8
; Occupancy: 16
; WaveLimiterHint : 0
; COMPUTE_PGM_RSRC2:SCRATCH_EN: 0
; COMPUTE_PGM_RSRC2:USER_SGPR: 6
; COMPUTE_PGM_RSRC2:TRAP_HANDLER: 0
; COMPUTE_PGM_RSRC2:TGID_X_EN: 1
; COMPUTE_PGM_RSRC2:TGID_Y_EN: 0
; COMPUTE_PGM_RSRC2:TGID_Z_EN: 1
; COMPUTE_PGM_RSRC2:TIDIG_COMP_CNT: 1
	.section	.text._ZN12_GLOBAL__N_120geam_ex_scale_kernelILi32ELi32EfPKfS2_PfEEviiT2_T3_lilT4_lil,"axG",@progbits,_ZN12_GLOBAL__N_120geam_ex_scale_kernelILi32ELi32EfPKfS2_PfEEviiT2_T3_lilT4_lil,comdat
	.globl	_ZN12_GLOBAL__N_120geam_ex_scale_kernelILi32ELi32EfPKfS2_PfEEviiT2_T3_lilT4_lil ; -- Begin function _ZN12_GLOBAL__N_120geam_ex_scale_kernelILi32ELi32EfPKfS2_PfEEviiT2_T3_lilT4_lil
	.p2align	8
	.type	_ZN12_GLOBAL__N_120geam_ex_scale_kernelILi32ELi32EfPKfS2_PfEEviiT2_T3_lilT4_lil,@function
_ZN12_GLOBAL__N_120geam_ex_scale_kernelILi32ELi32EfPKfS2_PfEEviiT2_T3_lilT4_lil: ; @_ZN12_GLOBAL__N_120geam_ex_scale_kernelILi32ELi32EfPKfS2_PfEEviiT2_T3_lilT4_lil
; %bb.0:
	s_clause 0x1
	s_load_dwordx4 s[8:11], s[4:5], 0x8
	s_load_dwordx4 s[0:3], s[4:5], 0x28
	s_waitcnt lgkmcnt(0)
	s_load_dword s12, s[8:9], 0x0
	s_load_dwordx2 s[8:9], s[4:5], 0x38
	s_waitcnt lgkmcnt(0)
	v_cmp_eq_f32_e64 s13, s12, 0
	s_and_b32 vcc_lo, exec_lo, s13
	s_cbranch_vccnz .LBB52_2
; %bb.1:
	s_load_dwordx2 s[14:15], s[4:5], 0x18
	s_mul_i32 s1, s1, s7
	s_mul_hi_u32 s16, s0, s7
	s_mul_i32 s0, s0, s7
	s_add_i32 s1, s16, s1
	s_lshl_b64 s[0:1], s[0:1], 2
	s_add_u32 s10, s10, s0
	s_addc_u32 s11, s11, s1
	s_waitcnt lgkmcnt(0)
	s_lshl_b64 s[0:1], s[14:15], 2
	s_add_u32 s10, s10, s0
	s_addc_u32 s11, s11, s1
	s_branch .LBB52_3
.LBB52_2:
	s_mov_b64 s[10:11], 0
.LBB52_3:
	s_load_dwordx2 s[0:1], s[4:5], 0x0
	s_waitcnt lgkmcnt(0)
	s_add_i32 s14, s0, -1
	s_ashr_i32 s15, s14, 31
	s_lshr_b32 s15, s15, 27
	s_add_i32 s14, s14, s15
	s_ashr_i32 s14, s14, 5
	s_add_i32 s15, s14, 1
	s_not_b32 s14, s14
	v_cvt_f32_u32_e32 v2, s15
	v_rcp_iflag_f32_e32 v2, v2
	v_mul_f32_e32 v2, 0x4f7ffffe, v2
	v_cvt_u32_f32_e32 v2, v2
	v_readfirstlane_b32 s16, v2
	s_mul_i32 s14, s14, s16
	s_mul_hi_u32 s14, s16, s14
	s_add_i32 s16, s16, s14
	s_mul_hi_u32 s14, s6, s16
	s_mul_i32 s16, s14, s15
	s_add_i32 s17, s14, 1
	s_sub_i32 s16, s6, s16
	s_sub_i32 s18, s16, s15
	s_cmp_ge_u32 s16, s15
	s_cselect_b32 s14, s17, s14
	s_cselect_b32 s16, s18, s16
	s_add_i32 s17, s14, 1
	s_cmp_ge_u32 s16, s15
	s_cselect_b32 s14, s17, s14
	s_mul_i32 s15, s14, s15
	v_lshl_add_u32 v4, s14, 5, v1
	s_sub_i32 s6, s6, s15
	v_lshl_add_u32 v0, s6, 5, v0
	v_cmp_gt_u32_e32 vcc_lo, s0, v0
	v_cmp_gt_u32_e64 s0, s1, v4
	s_mov_b32 s1, -1
	s_and_b32 s0, vcc_lo, s0
	s_and_saveexec_b32 s6, s0
	s_cbranch_execz .LBB52_9
; %bb.4:
	v_mov_b32_e32 v1, 0
	s_andn2_b32 vcc_lo, exec_lo, s13
	v_mov_b32_e32 v3, v1
	v_mov_b32_e32 v2, v0
	s_cbranch_vccnz .LBB52_6
; %bb.5:
	v_mov_b32_e32 v3, 0
	v_mov_b32_e32 v2, v0
	s_mov_b32 s1, 0
.LBB52_6:
	s_andn2_b32 vcc_lo, exec_lo, s1
	s_cbranch_vccnz .LBB52_8
; %bb.7:
	s_load_dword s0, s[4:5], 0x20
	v_lshlrev_b64 v[0:1], 2, v[0:1]
	s_waitcnt lgkmcnt(0)
	v_mad_u64_u32 v[5:6], null, v4, s0, 0
	s_ashr_i32 s0, s0, 31
	v_mad_u64_u32 v[6:7], null, v4, s0, v[6:7]
	v_lshlrev_b64 v[5:6], 2, v[5:6]
	v_add_co_u32 v5, vcc_lo, s10, v5
	v_add_co_ci_u32_e64 v6, null, s11, v6, vcc_lo
	v_add_co_u32 v0, vcc_lo, v5, v0
	v_add_co_ci_u32_e64 v1, null, v6, v1, vcc_lo
	global_load_dword v0, v[0:1], off
	s_waitcnt vmcnt(0)
	v_mul_f32_e32 v1, s12, v0
.LBB52_8:
	s_clause 0x1
	s_load_dwordx2 s[0:1], s[4:5], 0x48
	s_load_dword s4, s[4:5], 0x40
	v_lshlrev_b64 v[2:3], 2, v[2:3]
	s_waitcnt lgkmcnt(0)
	s_mul_i32 s1, s1, s7
	v_mad_u64_u32 v[5:6], null, v4, s4, 0
	s_mul_hi_u32 s5, s0, s7
	s_mul_i32 s0, s0, s7
	s_add_i32 s1, s5, s1
	s_lshl_b64 s[0:1], s[0:1], 2
	s_add_u32 s2, s2, s0
	s_addc_u32 s3, s3, s1
	s_lshl_b64 s[0:1], s[8:9], 2
	v_mov_b32_e32 v0, v6
	s_add_u32 s0, s2, s0
	s_addc_u32 s1, s3, s1
	s_ashr_i32 s2, s4, 31
	v_mad_u64_u32 v[6:7], null, v4, s2, v[0:1]
	v_lshlrev_b64 v[4:5], 2, v[5:6]
	v_add_co_u32 v0, vcc_lo, s0, v4
	v_add_co_ci_u32_e64 v4, null, s1, v5, vcc_lo
	v_add_co_u32 v2, vcc_lo, v0, v2
	v_add_co_ci_u32_e64 v3, null, v4, v3, vcc_lo
	global_store_dword v[2:3], v1, off
.LBB52_9:
	s_endpgm
	.section	.rodata,"a",@progbits
	.p2align	6, 0x0
	.amdhsa_kernel _ZN12_GLOBAL__N_120geam_ex_scale_kernelILi32ELi32EfPKfS2_PfEEviiT2_T3_lilT4_lil
		.amdhsa_group_segment_fixed_size 0
		.amdhsa_private_segment_fixed_size 0
		.amdhsa_kernarg_size 80
		.amdhsa_user_sgpr_count 6
		.amdhsa_user_sgpr_private_segment_buffer 1
		.amdhsa_user_sgpr_dispatch_ptr 0
		.amdhsa_user_sgpr_queue_ptr 0
		.amdhsa_user_sgpr_kernarg_segment_ptr 1
		.amdhsa_user_sgpr_dispatch_id 0
		.amdhsa_user_sgpr_flat_scratch_init 0
		.amdhsa_user_sgpr_private_segment_size 0
		.amdhsa_wavefront_size32 1
		.amdhsa_uses_dynamic_stack 0
		.amdhsa_system_sgpr_private_segment_wavefront_offset 0
		.amdhsa_system_sgpr_workgroup_id_x 1
		.amdhsa_system_sgpr_workgroup_id_y 0
		.amdhsa_system_sgpr_workgroup_id_z 1
		.amdhsa_system_sgpr_workgroup_info 0
		.amdhsa_system_vgpr_workitem_id 1
		.amdhsa_next_free_vgpr 8
		.amdhsa_next_free_sgpr 19
		.amdhsa_reserve_vcc 1
		.amdhsa_reserve_flat_scratch 0
		.amdhsa_float_round_mode_32 0
		.amdhsa_float_round_mode_16_64 0
		.amdhsa_float_denorm_mode_32 3
		.amdhsa_float_denorm_mode_16_64 3
		.amdhsa_dx10_clamp 1
		.amdhsa_ieee_mode 1
		.amdhsa_fp16_overflow 0
		.amdhsa_workgroup_processor_mode 1
		.amdhsa_memory_ordered 1
		.amdhsa_forward_progress 1
		.amdhsa_shared_vgpr_count 0
		.amdhsa_exception_fp_ieee_invalid_op 0
		.amdhsa_exception_fp_denorm_src 0
		.amdhsa_exception_fp_ieee_div_zero 0
		.amdhsa_exception_fp_ieee_overflow 0
		.amdhsa_exception_fp_ieee_underflow 0
		.amdhsa_exception_fp_ieee_inexact 0
		.amdhsa_exception_int_div_zero 0
	.end_amdhsa_kernel
	.section	.text._ZN12_GLOBAL__N_120geam_ex_scale_kernelILi32ELi32EfPKfS2_PfEEviiT2_T3_lilT4_lil,"axG",@progbits,_ZN12_GLOBAL__N_120geam_ex_scale_kernelILi32ELi32EfPKfS2_PfEEviiT2_T3_lilT4_lil,comdat
.Lfunc_end52:
	.size	_ZN12_GLOBAL__N_120geam_ex_scale_kernelILi32ELi32EfPKfS2_PfEEviiT2_T3_lilT4_lil, .Lfunc_end52-_ZN12_GLOBAL__N_120geam_ex_scale_kernelILi32ELi32EfPKfS2_PfEEviiT2_T3_lilT4_lil
                                        ; -- End function
	.set _ZN12_GLOBAL__N_120geam_ex_scale_kernelILi32ELi32EfPKfS2_PfEEviiT2_T3_lilT4_lil.num_vgpr, 8
	.set _ZN12_GLOBAL__N_120geam_ex_scale_kernelILi32ELi32EfPKfS2_PfEEviiT2_T3_lilT4_lil.num_agpr, 0
	.set _ZN12_GLOBAL__N_120geam_ex_scale_kernelILi32ELi32EfPKfS2_PfEEviiT2_T3_lilT4_lil.numbered_sgpr, 19
	.set _ZN12_GLOBAL__N_120geam_ex_scale_kernelILi32ELi32EfPKfS2_PfEEviiT2_T3_lilT4_lil.num_named_barrier, 0
	.set _ZN12_GLOBAL__N_120geam_ex_scale_kernelILi32ELi32EfPKfS2_PfEEviiT2_T3_lilT4_lil.private_seg_size, 0
	.set _ZN12_GLOBAL__N_120geam_ex_scale_kernelILi32ELi32EfPKfS2_PfEEviiT2_T3_lilT4_lil.uses_vcc, 1
	.set _ZN12_GLOBAL__N_120geam_ex_scale_kernelILi32ELi32EfPKfS2_PfEEviiT2_T3_lilT4_lil.uses_flat_scratch, 0
	.set _ZN12_GLOBAL__N_120geam_ex_scale_kernelILi32ELi32EfPKfS2_PfEEviiT2_T3_lilT4_lil.has_dyn_sized_stack, 0
	.set _ZN12_GLOBAL__N_120geam_ex_scale_kernelILi32ELi32EfPKfS2_PfEEviiT2_T3_lilT4_lil.has_recursion, 0
	.set _ZN12_GLOBAL__N_120geam_ex_scale_kernelILi32ELi32EfPKfS2_PfEEviiT2_T3_lilT4_lil.has_indirect_call, 0
	.section	.AMDGPU.csdata,"",@progbits
; Kernel info:
; codeLenInByte = 576
; TotalNumSgprs: 21
; NumVgprs: 8
; ScratchSize: 0
; MemoryBound: 0
; FloatMode: 240
; IeeeMode: 1
; LDSByteSize: 0 bytes/workgroup (compile time only)
; SGPRBlocks: 0
; VGPRBlocks: 0
; NumSGPRsForWavesPerEU: 21
; NumVGPRsForWavesPerEU: 8
; Occupancy: 16
; WaveLimiterHint : 0
; COMPUTE_PGM_RSRC2:SCRATCH_EN: 0
; COMPUTE_PGM_RSRC2:USER_SGPR: 6
; COMPUTE_PGM_RSRC2:TRAP_HANDLER: 0
; COMPUTE_PGM_RSRC2:TGID_X_EN: 1
; COMPUTE_PGM_RSRC2:TGID_Y_EN: 0
; COMPUTE_PGM_RSRC2:TGID_Z_EN: 1
; COMPUTE_PGM_RSRC2:TIDIG_COMP_CNT: 1
	.section	.text._ZN12_GLOBAL__N_120geam_ex_round_kernelILi32ELi32EffPKfPfEEviiT2_T3_lilT4_lil,"axG",@progbits,_ZN12_GLOBAL__N_120geam_ex_round_kernelILi32ELi32EffPKfPfEEviiT2_T3_lilT4_lil,comdat
	.globl	_ZN12_GLOBAL__N_120geam_ex_round_kernelILi32ELi32EffPKfPfEEviiT2_T3_lilT4_lil ; -- Begin function _ZN12_GLOBAL__N_120geam_ex_round_kernelILi32ELi32EffPKfPfEEviiT2_T3_lilT4_lil
	.p2align	8
	.type	_ZN12_GLOBAL__N_120geam_ex_round_kernelILi32ELi32EffPKfPfEEviiT2_T3_lilT4_lil,@function
_ZN12_GLOBAL__N_120geam_ex_round_kernelILi32ELi32EffPKfPfEEviiT2_T3_lilT4_lil: ; @_ZN12_GLOBAL__N_120geam_ex_round_kernelILi32ELi32EffPKfPfEEviiT2_T3_lilT4_lil
; %bb.0:
	s_clause 0x2
	s_load_dwordx4 s[8:11], s[4:5], 0x0
	s_load_dwordx4 s[0:3], s[4:5], 0x28
	s_load_dwordx2 s[12:13], s[4:5], 0x38
	s_waitcnt lgkmcnt(0)
	v_cmp_eq_f32_e64 s11, s10, 0
	s_and_b32 vcc_lo, exec_lo, s11
	s_cbranch_vccnz .LBB53_2
; %bb.1:
	s_load_dwordx4 s[16:19], s[4:5], 0x10
	s_mul_i32 s1, s1, s7
	s_mul_hi_u32 s14, s0, s7
	s_mul_i32 s0, s0, s7
	s_add_i32 s1, s14, s1
	s_lshl_b64 s[0:1], s[0:1], 2
	s_waitcnt lgkmcnt(0)
	s_add_u32 s14, s16, s0
	s_addc_u32 s15, s17, s1
	s_lshl_b64 s[0:1], s[18:19], 2
	s_add_u32 s14, s14, s0
	s_addc_u32 s15, s15, s1
	s_branch .LBB53_3
.LBB53_2:
	s_mov_b64 s[14:15], 0
.LBB53_3:
	s_add_i32 s0, s8, -1
	s_ashr_i32 s1, s0, 31
	s_lshr_b32 s1, s1, 27
	s_add_i32 s0, s0, s1
	s_ashr_i32 s0, s0, 5
	s_add_i32 s1, s0, 1
	s_not_b32 s0, s0
	v_cvt_f32_u32_e32 v2, s1
	v_rcp_iflag_f32_e32 v2, v2
	v_mul_f32_e32 v2, 0x4f7ffffe, v2
	v_cvt_u32_f32_e32 v2, v2
	v_readfirstlane_b32 s16, v2
	s_mul_i32 s0, s0, s16
	s_mul_hi_u32 s0, s16, s0
	s_add_i32 s16, s16, s0
	s_mul_hi_u32 s0, s6, s16
	s_mul_i32 s16, s0, s1
	s_add_i32 s17, s0, 1
	s_sub_i32 s16, s6, s16
	s_sub_i32 s18, s16, s1
	s_cmp_ge_u32 s16, s1
	s_cselect_b32 s0, s17, s0
	s_cselect_b32 s16, s18, s16
	s_add_i32 s17, s0, 1
	s_cmp_ge_u32 s16, s1
	s_cselect_b32 s0, s17, s0
	s_mul_i32 s1, s0, s1
	v_lshl_add_u32 v4, s0, 5, v1
	s_sub_i32 s1, s6, s1
	v_lshl_add_u32 v0, s1, 5, v0
	s_mov_b32 s1, -1
	v_cmp_gt_u32_e64 s0, s9, v4
	v_cmp_gt_u32_e32 vcc_lo, s8, v0
	s_and_b32 s0, vcc_lo, s0
	s_and_saveexec_b32 s6, s0
	s_cbranch_execz .LBB53_9
; %bb.4:
	v_mov_b32_e32 v1, 0
	s_andn2_b32 vcc_lo, exec_lo, s11
	v_mov_b32_e32 v3, v1
	v_mov_b32_e32 v2, v0
	s_cbranch_vccnz .LBB53_6
; %bb.5:
	v_mov_b32_e32 v3, 0
	v_mov_b32_e32 v2, v0
	s_mov_b32 s1, 0
.LBB53_6:
	s_andn2_b32 vcc_lo, exec_lo, s1
	s_cbranch_vccnz .LBB53_8
; %bb.7:
	s_load_dword s0, s[4:5], 0x20
	v_lshlrev_b64 v[0:1], 2, v[0:1]
	s_waitcnt lgkmcnt(0)
	v_mad_u64_u32 v[5:6], null, v4, s0, 0
	s_ashr_i32 s0, s0, 31
	v_mad_u64_u32 v[6:7], null, v4, s0, v[6:7]
	v_lshlrev_b64 v[5:6], 2, v[5:6]
	v_add_co_u32 v5, vcc_lo, s14, v5
	v_add_co_ci_u32_e64 v6, null, s15, v6, vcc_lo
	v_add_co_u32 v0, vcc_lo, v5, v0
	v_add_co_ci_u32_e64 v1, null, v6, v1, vcc_lo
	global_load_dword v0, v[0:1], off
	s_waitcnt vmcnt(0)
	v_mul_f32_e32 v1, s10, v0
.LBB53_8:
	s_clause 0x1
	s_load_dwordx2 s[0:1], s[4:5], 0x48
	s_load_dword s4, s[4:5], 0x40
	v_lshlrev_b64 v[2:3], 2, v[2:3]
	s_waitcnt lgkmcnt(0)
	s_mul_i32 s1, s1, s7
	v_mad_u64_u32 v[5:6], null, v4, s4, 0
	s_mul_hi_u32 s5, s0, s7
	s_mul_i32 s0, s0, s7
	s_add_i32 s1, s5, s1
	s_lshl_b64 s[0:1], s[0:1], 2
	s_add_u32 s2, s2, s0
	s_addc_u32 s3, s3, s1
	s_lshl_b64 s[0:1], s[12:13], 2
	v_mov_b32_e32 v0, v6
	s_add_u32 s0, s2, s0
	s_addc_u32 s1, s3, s1
	s_ashr_i32 s2, s4, 31
	v_mad_u64_u32 v[6:7], null, v4, s2, v[0:1]
	v_lshlrev_b64 v[4:5], 2, v[5:6]
	v_add_co_u32 v0, vcc_lo, s0, v4
	v_add_co_ci_u32_e64 v4, null, s1, v5, vcc_lo
	v_add_co_u32 v2, vcc_lo, v0, v2
	v_add_co_ci_u32_e64 v3, null, v4, v3, vcc_lo
	v_cmp_nlt_f32_e32 vcc_lo, 0, v1
	v_cndmask_b32_e32 v0, 0, v1, vcc_lo
	global_store_dword v[2:3], v0, off
.LBB53_9:
	s_endpgm
	.section	.rodata,"a",@progbits
	.p2align	6, 0x0
	.amdhsa_kernel _ZN12_GLOBAL__N_120geam_ex_round_kernelILi32ELi32EffPKfPfEEviiT2_T3_lilT4_lil
		.amdhsa_group_segment_fixed_size 0
		.amdhsa_private_segment_fixed_size 0
		.amdhsa_kernarg_size 80
		.amdhsa_user_sgpr_count 6
		.amdhsa_user_sgpr_private_segment_buffer 1
		.amdhsa_user_sgpr_dispatch_ptr 0
		.amdhsa_user_sgpr_queue_ptr 0
		.amdhsa_user_sgpr_kernarg_segment_ptr 1
		.amdhsa_user_sgpr_dispatch_id 0
		.amdhsa_user_sgpr_flat_scratch_init 0
		.amdhsa_user_sgpr_private_segment_size 0
		.amdhsa_wavefront_size32 1
		.amdhsa_uses_dynamic_stack 0
		.amdhsa_system_sgpr_private_segment_wavefront_offset 0
		.amdhsa_system_sgpr_workgroup_id_x 1
		.amdhsa_system_sgpr_workgroup_id_y 0
		.amdhsa_system_sgpr_workgroup_id_z 1
		.amdhsa_system_sgpr_workgroup_info 0
		.amdhsa_system_vgpr_workitem_id 1
		.amdhsa_next_free_vgpr 8
		.amdhsa_next_free_sgpr 20
		.amdhsa_reserve_vcc 1
		.amdhsa_reserve_flat_scratch 0
		.amdhsa_float_round_mode_32 0
		.amdhsa_float_round_mode_16_64 0
		.amdhsa_float_denorm_mode_32 3
		.amdhsa_float_denorm_mode_16_64 3
		.amdhsa_dx10_clamp 1
		.amdhsa_ieee_mode 1
		.amdhsa_fp16_overflow 0
		.amdhsa_workgroup_processor_mode 1
		.amdhsa_memory_ordered 1
		.amdhsa_forward_progress 1
		.amdhsa_shared_vgpr_count 0
		.amdhsa_exception_fp_ieee_invalid_op 0
		.amdhsa_exception_fp_denorm_src 0
		.amdhsa_exception_fp_ieee_div_zero 0
		.amdhsa_exception_fp_ieee_overflow 0
		.amdhsa_exception_fp_ieee_underflow 0
		.amdhsa_exception_fp_ieee_inexact 0
		.amdhsa_exception_int_div_zero 0
	.end_amdhsa_kernel
	.section	.text._ZN12_GLOBAL__N_120geam_ex_round_kernelILi32ELi32EffPKfPfEEviiT2_T3_lilT4_lil,"axG",@progbits,_ZN12_GLOBAL__N_120geam_ex_round_kernelILi32ELi32EffPKfPfEEviiT2_T3_lilT4_lil,comdat
.Lfunc_end53:
	.size	_ZN12_GLOBAL__N_120geam_ex_round_kernelILi32ELi32EffPKfPfEEviiT2_T3_lilT4_lil, .Lfunc_end53-_ZN12_GLOBAL__N_120geam_ex_round_kernelILi32ELi32EffPKfPfEEviiT2_T3_lilT4_lil
                                        ; -- End function
	.set _ZN12_GLOBAL__N_120geam_ex_round_kernelILi32ELi32EffPKfPfEEviiT2_T3_lilT4_lil.num_vgpr, 8
	.set _ZN12_GLOBAL__N_120geam_ex_round_kernelILi32ELi32EffPKfPfEEviiT2_T3_lilT4_lil.num_agpr, 0
	.set _ZN12_GLOBAL__N_120geam_ex_round_kernelILi32ELi32EffPKfPfEEviiT2_T3_lilT4_lil.numbered_sgpr, 20
	.set _ZN12_GLOBAL__N_120geam_ex_round_kernelILi32ELi32EffPKfPfEEviiT2_T3_lilT4_lil.num_named_barrier, 0
	.set _ZN12_GLOBAL__N_120geam_ex_round_kernelILi32ELi32EffPKfPfEEviiT2_T3_lilT4_lil.private_seg_size, 0
	.set _ZN12_GLOBAL__N_120geam_ex_round_kernelILi32ELi32EffPKfPfEEviiT2_T3_lilT4_lil.uses_vcc, 1
	.set _ZN12_GLOBAL__N_120geam_ex_round_kernelILi32ELi32EffPKfPfEEviiT2_T3_lilT4_lil.uses_flat_scratch, 0
	.set _ZN12_GLOBAL__N_120geam_ex_round_kernelILi32ELi32EffPKfPfEEviiT2_T3_lilT4_lil.has_dyn_sized_stack, 0
	.set _ZN12_GLOBAL__N_120geam_ex_round_kernelILi32ELi32EffPKfPfEEviiT2_T3_lilT4_lil.has_recursion, 0
	.set _ZN12_GLOBAL__N_120geam_ex_round_kernelILi32ELi32EffPKfPfEEviiT2_T3_lilT4_lil.has_indirect_call, 0
	.section	.AMDGPU.csdata,"",@progbits
; Kernel info:
; codeLenInByte = 560
; TotalNumSgprs: 22
; NumVgprs: 8
; ScratchSize: 0
; MemoryBound: 0
; FloatMode: 240
; IeeeMode: 1
; LDSByteSize: 0 bytes/workgroup (compile time only)
; SGPRBlocks: 0
; VGPRBlocks: 0
; NumSGPRsForWavesPerEU: 22
; NumVGPRsForWavesPerEU: 8
; Occupancy: 16
; WaveLimiterHint : 0
; COMPUTE_PGM_RSRC2:SCRATCH_EN: 0
; COMPUTE_PGM_RSRC2:USER_SGPR: 6
; COMPUTE_PGM_RSRC2:TRAP_HANDLER: 0
; COMPUTE_PGM_RSRC2:TGID_X_EN: 1
; COMPUTE_PGM_RSRC2:TGID_Y_EN: 0
; COMPUTE_PGM_RSRC2:TGID_Z_EN: 1
; COMPUTE_PGM_RSRC2:TIDIG_COMP_CNT: 1
	.section	.text._ZN12_GLOBAL__N_120geam_min_plus_kernelIf15HIP_vector_typeIfLj2EEfLi32ELi8ELi256ELi64ELi4ELi64ELi4ELi4ELi64ELc78ELc78ELb0ELb0ELb1EPKfS3_fEEviiiT16_PT17_ilS7_ilS5_S7_ilPT18_ili26rocblas_geam_ex_operation_,"axG",@progbits,_ZN12_GLOBAL__N_120geam_min_plus_kernelIf15HIP_vector_typeIfLj2EEfLi32ELi8ELi256ELi64ELi4ELi64ELi4ELi4ELi64ELc78ELc78ELb0ELb0ELb1EPKfS3_fEEviiiT16_PT17_ilS7_ilS5_S7_ilPT18_ili26rocblas_geam_ex_operation_,comdat
	.globl	_ZN12_GLOBAL__N_120geam_min_plus_kernelIf15HIP_vector_typeIfLj2EEfLi32ELi8ELi256ELi64ELi4ELi64ELi4ELi4ELi64ELc78ELc78ELb0ELb0ELb1EPKfS3_fEEviiiT16_PT17_ilS7_ilS5_S7_ilPT18_ili26rocblas_geam_ex_operation_ ; -- Begin function _ZN12_GLOBAL__N_120geam_min_plus_kernelIf15HIP_vector_typeIfLj2EEfLi32ELi8ELi256ELi64ELi4ELi64ELi4ELi4ELi64ELc78ELc78ELb0ELb0ELb1EPKfS3_fEEviiiT16_PT17_ilS7_ilS5_S7_ilPT18_ili26rocblas_geam_ex_operation_
	.p2align	8
	.type	_ZN12_GLOBAL__N_120geam_min_plus_kernelIf15HIP_vector_typeIfLj2EEfLi32ELi8ELi256ELi64ELi4ELi64ELi4ELi4ELi64ELc78ELc78ELb0ELb0ELb1EPKfS3_fEEviiiT16_PT17_ilS7_ilS5_S7_ilPT18_ili26rocblas_geam_ex_operation_,@function
_ZN12_GLOBAL__N_120geam_min_plus_kernelIf15HIP_vector_typeIfLj2EEfLi32ELi8ELi256ELi64ELi4ELi64ELi4ELi4ELi64ELc78ELc78ELb0ELb0ELb1EPKfS3_fEEviiiT16_PT17_ilS7_ilS5_S7_ilPT18_ili26rocblas_geam_ex_operation_: ; @_ZN12_GLOBAL__N_120geam_min_plus_kernelIf15HIP_vector_typeIfLj2EEfLi32ELi8ELi256ELi64ELi4ELi64ELi4ELi4ELi64ELc78ELc78ELb0ELb0ELb1EPKfS3_fEEviiiT16_PT17_ilS7_ilS5_S7_ilPT18_ili26rocblas_geam_ex_operation_
; %bb.0:
	s_clause 0x1
	s_load_dwordx4 s[0:3], s[4:5], 0x10
	s_load_dwordx4 s[8:11], s[4:5], 0x28
	s_mov_b32 s16, s7
	s_mov_b32 s17, 0
	s_lshl_b64 s[18:19], s[16:17], 2
	s_waitcnt lgkmcnt(0)
	s_add_u32 s0, s0, s18
	s_addc_u32 s1, s1, s19
	s_load_dword s24, s[0:1], 0x0
	s_clause 0x1
	s_load_dwordx4 s[12:15], s[4:5], 0x40
	s_load_dwordx2 s[20:21], s[4:5], 0x50
	s_waitcnt lgkmcnt(0)
	v_cmp_eq_f32_e64 s1, s24, 0
	s_add_u32 s22, s14, s18
	v_cmp_neq_f32_e64 s0, s24, 0
	s_addc_u32 s23, s15, s19
	s_mov_b64 s[18:19], 0
	s_and_b32 s1, exec_lo, s1
	s_mov_b64 s[14:15], 0
	s_mov_b32 vcc_lo, s1
	s_cbranch_vccnz .LBB54_2
; %bb.1:
	s_mul_i32 s7, s9, s16
	s_mul_hi_u32 s9, s8, s16
	s_mul_i32 s8, s8, s16
	s_add_i32 s9, s9, s7
	s_lshl_b64 s[8:9], s[8:9], 2
	s_add_u32 s14, s2, s8
	s_addc_u32 s15, s3, s9
.LBB54_2:
	s_load_dword s3, s[22:23], 0x0
	v_cndmask_b32_e64 v2, 0, 1, s0
	s_andn2_b32 vcc_lo, exec_lo, s0
	v_cmp_ne_u32_e64 s2, 1, v2
	s_cbranch_vccnz .LBB54_4
; %bb.3:
	s_mul_i32 s0, s13, s16
	s_mul_hi_u32 s7, s12, s16
	s_mul_i32 s8, s12, s16
	s_add_i32 s9, s7, s0
	s_lshl_b64 s[8:9], s[8:9], 2
	s_add_u32 s18, s10, s8
	s_addc_u32 s19, s11, s9
.LBB54_4:
	s_load_dwordx4 s[8:11], s[4:5], 0x60
	s_waitcnt lgkmcnt(0)
	v_cmp_eq_f32_e64 s0, s3, 0
	s_and_b32 s0, exec_lo, s0
	s_mov_b32 vcc_lo, s0
	s_cbranch_vccnz .LBB54_6
; %bb.5:
	s_mul_i32 s7, s9, s16
	s_mul_hi_u32 s9, s8, s16
	s_mul_i32 s8, s8, s16
	s_add_i32 s9, s9, s7
	s_lshl_b64 s[8:9], s[8:9], 2
	s_add_u32 s8, s20, s8
	s_addc_u32 s9, s21, s9
	s_branch .LBB54_7
.LBB54_6:
	s_mov_b64 s[8:9], 0
.LBB54_7:
	s_clause 0x1
	s_load_dword s7, s[4:5], 0x0
	s_load_dword s12, s[4:5], 0x20
	v_lshl_add_u32 v9, v1, 5, v0
	v_mov_b32_e32 v4, 0
	v_lshrrev_b32_e32 v66, 6, v9
	v_and_b32_e32 v67, 63, v9
	s_waitcnt lgkmcnt(0)
	s_add_i32 s7, s7, -1
	s_ashr_i32 s13, s7, 31
	s_lshr_b32 s13, s13, 24
	s_add_i32 s7, s7, s13
	s_ashr_i32 s7, s7, 8
	s_add_i32 s13, s7, 1
	s_not_b32 s7, s7
	v_cvt_f32_u32_e32 v2, s13
	v_rcp_iflag_f32_e32 v2, v2
	v_mul_f32_e32 v2, 0x4f7ffffe, v2
	v_cvt_u32_f32_e32 v2, v2
	v_readfirstlane_b32 s17, v2
	v_mad_i64_i32 v[2:3], null, s12, v66, 0
	s_mul_i32 s7, s7, s17
	s_mul_hi_u32 s7, s17, s7
	v_lshlrev_b64 v[5:6], 2, v[2:3]
	s_add_i32 s17, s17, s7
	s_mul_hi_u32 s7, s6, s17
	s_mul_i32 s17, s7, s13
	s_add_i32 s20, s7, 1
	s_sub_i32 s17, s6, s17
	v_add_co_u32 v10, vcc_lo, s14, v5
	s_sub_i32 s21, s17, s13
	s_cmp_ge_u32 s17, s13
	v_add_co_ci_u32_e64 v11, null, s15, v6, vcc_lo
	s_cselect_b32 s7, s20, s7
	s_cselect_b32 s17, s21, s17
	s_add_i32 s20, s7, 1
	s_cmp_ge_u32 s17, s13
	v_mov_b32_e32 v5, 0
	s_cselect_b32 s20, s20, s7
	s_and_b32 vcc_lo, exec_lo, s2
	s_mul_i32 s7, s20, s13
	s_mov_b32 s21, -1
	s_sub_i32 s13, s6, s7
	s_lshl_b32 s17, s13, 8
	v_or_b32_e32 v2, s17, v67
	v_ashrrev_i32_e32 v3, 31, v2
	s_cbranch_vccnz .LBB54_9
; %bb.8:
	v_lshlrev_b64 v[4:5], 2, v[2:3]
	v_add_co_u32 v4, vcc_lo, v10, v4
	v_add_co_ci_u32_e64 v5, null, v11, v5, vcc_lo
	s_clause 0x1
	global_load_dword v6, v[4:5], off
	global_load_dword v4, v[4:5], off offset:256
	s_waitcnt vmcnt(1)
	v_mul_f32_e32 v5, s24, v6
	s_waitcnt vmcnt(0)
	v_mul_f32_e32 v4, s24, v4
.LBB54_9:
	s_ashr_i32 s13, s12, 31
	s_mov_b32 vcc_lo, s1
                                        ; implicit-def: $vgpr6
	s_cbranch_vccz .LBB54_11
; %bb.10:
	s_mov_b32 s21, 0
	v_mov_b32_e32 v6, s21
.LBB54_11:
	v_mov_b32_e32 v7, 0
	v_mov_b32_e32 v8, 0
	s_andn2_b32 vcc_lo, exec_lo, s21
	s_cbranch_vccnz .LBB54_13
; %bb.12:
	v_lshlrev_b64 v[12:13], 2, v[2:3]
	v_add_co_u32 v10, vcc_lo, v10, v12
	v_add_co_ci_u32_e64 v11, null, v11, v13, vcc_lo
	s_clause 0x1
	global_load_dword v6, v[10:11], off offset:512
	global_load_dword v8, v[10:11], off offset:768
	s_waitcnt vmcnt(1)
	v_mul_f32_e32 v6, s24, v6
	s_waitcnt vmcnt(0)
	v_mul_f32_e32 v8, s24, v8
.LBB54_13:
	s_load_dword s21, s[4:5], 0x38
	v_lshrrev_b32_e32 v9, 2, v9
	v_and_b32_e32 v10, 3, v0
	s_lshl_b32 s20, s20, 6
	s_and_b32 vcc_lo, exec_lo, s2
	v_add_nc_u32_e32 v69, s20, v9
	v_lshlrev_b32_e32 v68, 2, v10
	s_cbranch_vccnz .LBB54_15
; %bb.14:
	s_waitcnt lgkmcnt(0)
	v_mad_i64_i32 v[10:11], null, v69, s21, 0
	v_lshlrev_b64 v[10:11], 2, v[10:11]
	v_add_co_u32 v7, vcc_lo, s18, v10
	v_add_co_ci_u32_e64 v11, null, s19, v11, vcc_lo
	v_add_co_u32 v10, vcc_lo, v7, v68
	v_add_co_ci_u32_e64 v11, null, 0, v11, vcc_lo
	global_load_dword v7, v[10:11], off
	s_waitcnt vmcnt(0)
	v_mul_f32_e32 v7, s24, v7
.LBB54_15:
	v_add_nc_u32_e32 v10, 4, v66
	v_mov_b32_e32 v70, 0
	v_mov_b32_e32 v71, 0
	v_mad_i64_i32 v[10:11], null, s12, v10, 0
	v_lshlrev_b64 v[10:11], 2, v[10:11]
	v_add_co_u32 v10, vcc_lo, s14, v10
	v_add_co_ci_u32_e64 v11, null, s15, v11, vcc_lo
	s_and_b32 vcc_lo, exec_lo, s2
	s_cbranch_vccnz .LBB54_17
; %bb.16:
	v_lshlrev_b64 v[12:13], 2, v[2:3]
	v_add_co_u32 v12, vcc_lo, v10, v12
	v_add_co_ci_u32_e64 v13, null, v11, v13, vcc_lo
	s_clause 0x1
	global_load_dword v14, v[12:13], off
	global_load_dword v12, v[12:13], off offset:256
	s_waitcnt vmcnt(1)
	v_mul_f32_e32 v71, s24, v14
	s_waitcnt vmcnt(0)
	v_mul_f32_e32 v70, s24, v12
.LBB54_17:
	s_mov_b32 vcc_lo, s1
	s_cbranch_vccz .LBB54_19
; %bb.18:
	s_mov_b32 s22, 0
	v_mov_b32_e32 v72, s22
	v_mov_b32_e32 v73, 0
	;; [unrolled: 1-line block ×3, first 2 shown]
	s_cbranch_execz .LBB54_20
	s_branch .LBB54_21
.LBB54_19:
                                        ; implicit-def: $vgpr72
	v_mov_b32_e32 v73, 0
	v_mov_b32_e32 v77, 0
.LBB54_20:
	v_lshlrev_b64 v[2:3], 2, v[2:3]
	v_add_co_u32 v2, vcc_lo, v10, v2
	v_add_co_ci_u32_e64 v3, null, v11, v3, vcc_lo
	s_clause 0x1
	global_load_dword v10, v[2:3], off offset:512
	global_load_dword v2, v[2:3], off offset:768
	s_waitcnt vmcnt(1)
	v_mul_f32_e32 v72, s24, v10
	s_waitcnt vmcnt(0)
	v_mul_f32_e32 v77, s24, v2
.LBB54_21:
	s_and_b32 vcc_lo, exec_lo, s2
	s_cbranch_vccnz .LBB54_23
; %bb.22:
	s_waitcnt lgkmcnt(0)
	v_mad_i64_i32 v[2:3], null, v69, s21, 0
	v_lshlrev_b64 v[2:3], 2, v[2:3]
	v_add_co_u32 v2, vcc_lo, s18, v2
	v_add_co_ci_u32_e64 v3, null, s19, v3, vcc_lo
	v_add_co_u32 v2, vcc_lo, v2, v68
	v_add_co_ci_u32_e64 v3, null, 0, v3, vcc_lo
	global_load_dword v2, v[2:3], off offset:16
	s_waitcnt vmcnt(0)
	v_mul_f32_e32 v73, s24, v2
.LBB54_23:
	v_lshlrev_b32_e32 v2, 4, v67
	v_lshl_or_b32 v144, v9, 4, v68
	v_lshlrev_b32_e32 v75, 4, v0
	v_lshlrev_b32_e32 v74, 4, v1
	s_load_dword s22, s[4:5], 0x8
	v_lshl_add_u32 v76, v66, 2, v2
	ds_write2st64_b32 v76, v5, v4 offset1:4
	ds_write2st64_b32 v76, v6, v8 offset0:8 offset1:12
	ds_write_b32 v144, v7 offset:8192
	s_waitcnt lgkmcnt(0)
	s_barrier
	buffer_gl0_inv
	ds_read_b128 v[34:37], v75
	ds_read_b128 v[30:33], v75 offset:512
	ds_read_b128 v[26:29], v75 offset:1024
	;; [unrolled: 1-line block ×15, first 2 shown]
	ds_write2st64_b32 v76, v71, v70 offset0:16 offset1:20
	ds_write2st64_b32 v76, v72, v77 offset0:24 offset1:28
	ds_write_b32 v144, v73 offset:9216
	s_waitcnt lgkmcnt(0)
	s_barrier
	buffer_gl0_inv
	s_cmp_lt_i32 s22, 9
	v_add_f32_e32 v78, v35, v63
	v_add_f32_e32 v79, v34, v62
	;; [unrolled: 1-line block ×4, first 2 shown]
	v_min3_f32 v78, v79, v78, 0x7f7fffff
	v_add_f32_e32 v79, v31, v63
	v_add_f32_e32 v121, v6, v38
	v_min3_f32 v79, v80, v79, 0x7f7fffff
	v_add_f32_e32 v80, v27, v63
	v_min3_f32 v115, v81, v80, 0x7f7fffff
	v_add_f32_e32 v80, v19, v63
	v_add_f32_e32 v81, v18, v62
	v_min3_f32 v116, v81, v80, 0x7f7fffff
	v_add_f32_e32 v80, v15, v63
	v_add_f32_e32 v81, v14, v62
	v_min3_f32 v117, v81, v80, 0x7f7fffff
	v_add_f32_e32 v80, v11, v63
	v_add_f32_e32 v81, v10, v62
	v_min3_f32 v118, v81, v80, 0x7f7fffff
	v_add_f32_e32 v80, v7, v63
	v_add_f32_e32 v81, v6, v62
	v_add_f32_e32 v63, v3, v63
	v_add_f32_e32 v62, v2, v62
	v_min3_f32 v119, v81, v80, 0x7f7fffff
	v_min3_f32 v120, v62, v63, 0x7f7fffff
	v_add_f32_e32 v62, v35, v59
	v_add_f32_e32 v63, v34, v58
	v_min3_f32 v114, v63, v62, 0x7f7fffff
	v_add_f32_e32 v62, v31, v59
	v_add_f32_e32 v63, v30, v58
	v_min3_f32 v113, v63, v62, 0x7f7fffff
	v_add_f32_e32 v62, v27, v59
	v_add_f32_e32 v63, v26, v58
	v_min3_f32 v112, v63, v62, 0x7f7fffff
	v_add_f32_e32 v62, v19, v59
	v_add_f32_e32 v63, v18, v58
	v_min3_f32 v111, v63, v62, 0x7f7fffff
	v_add_f32_e32 v62, v15, v59
	v_add_f32_e32 v63, v14, v58
	v_min3_f32 v110, v63, v62, 0x7f7fffff
	v_add_f32_e32 v62, v11, v59
	v_add_f32_e32 v63, v10, v58
	v_min3_f32 v109, v63, v62, 0x7f7fffff
	v_add_f32_e32 v62, v7, v59
	v_add_f32_e32 v63, v6, v58
	v_add_f32_e32 v59, v3, v59
	v_add_f32_e32 v58, v2, v58
	v_min3_f32 v108, v63, v62, 0x7f7fffff
	v_min3_f32 v107, v58, v59, 0x7f7fffff
	v_add_f32_e32 v58, v35, v55
	v_add_f32_e32 v59, v34, v54
	v_min3_f32 v106, v59, v58, 0x7f7fffff
	v_add_f32_e32 v58, v31, v55
	v_add_f32_e32 v59, v30, v54
	v_min3_f32 v105, v59, v58, 0x7f7fffff
	v_add_f32_e32 v58, v27, v55
	;; [unrolled: 24-line block ×5, first 2 shown]
	v_add_f32_e32 v47, v26, v42
	v_min3_f32 v80, v47, v46, 0x7f7fffff
	v_add_f32_e32 v46, v19, v43
	v_add_f32_e32 v47, v18, v42
	v_min3_f32 v63, v47, v46, 0x7f7fffff
	v_add_f32_e32 v46, v15, v43
	;; [unrolled: 3-line block ×4, first 2 shown]
	v_add_f32_e32 v47, v6, v42
	v_add_f32_e32 v43, v3, v43
	;; [unrolled: 1-line block ×4, first 2 shown]
	v_min3_f32 v58, v47, v46, 0x7f7fffff
	v_min3_f32 v55, v42, v43, 0x7f7fffff
	v_add_f32_e32 v42, v35, v39
	v_add_f32_e32 v43, v34, v38
	;; [unrolled: 1-line block ×4, first 2 shown]
	v_min3_f32 v54, v43, v42, 0x7f7fffff
	v_add_f32_e32 v42, v31, v39
	v_add_f32_e32 v43, v30, v38
	v_min3_f32 v34, v34, v35, 0x7f7fffff
	v_add_f32_e32 v31, v31, v23
	v_add_f32_e32 v30, v30, v22
	;; [unrolled: 3-line block ×9, first 2 shown]
	v_add_f32_e32 v38, v2, v38
	v_add_f32_e32 v2, v2, v22
	v_min3_f32 v14, v14, v15, 0x7f7fffff
	v_add_f32_e32 v11, v11, v23
	v_min3_f32 v43, v43, v42, 0x7f7fffff
	v_add_f32_e32 v42, v7, v39
	v_add_f32_e32 v39, v3, v39
	;; [unrolled: 1-line block ×5, first 2 shown]
	v_min3_f32 v42, v121, v42, 0x7f7fffff
	v_min3_f32 v38, v38, v39, 0x7f7fffff
	;; [unrolled: 1-line block ×4, first 2 shown]
	v_add_f32_e32 v3, v37, v65
	v_add_f32_e32 v7, v36, v64
	v_min3_f32 v10, v10, v11, 0x7f7fffff
	v_min3_f32 v142, v7, v3, v78
	v_add_f32_e32 v3, v33, v65
	v_add_f32_e32 v7, v32, v64
	v_min3_f32 v139, v7, v3, v79
	v_add_f32_e32 v3, v29, v65
	v_add_f32_e32 v7, v28, v64
	;; [unrolled: 3-line block ×55, first 2 shown]
	v_add_f32_e32 v4, v4, v24
	v_min3_f32 v87, v7, v3, v38
	v_add_f32_e32 v3, v37, v25
	v_add_f32_e32 v7, v36, v24
	v_min3_f32 v88, v7, v3, v34
	v_add_f32_e32 v3, v33, v25
	;; [unrolled: 3-line block ×8, first 2 shown]
	v_min3_f32 v84, v4, v3, v2
	s_cbranch_scc1 .LBB54_46
; %bb.24:
	v_mad_i64_i32 v[2:3], null, s21, v69, 0
	v_lshl_or_b32 v4, s6, 8, v67
	v_add_nc_u32_e32 v5, 12, v66
	v_add_nc_u32_e32 v7, 8, v66
	s_lshl_b32 s6, s7, 8
	v_add_nc_u32_e32 v77, 0x2000, v144
	v_or_b32_e32 v138, 0x2000, v74
	v_lshlrev_b64 v[2:3], 2, v[2:3]
	v_or_b32_e32 v143, 0x1000, v76
	v_add_nc_u32_e32 v144, 0x2400, v144
	v_lshl_or_b32 v145, v0, 4, 0x1000
	v_lshl_add_u32 v146, v1, 4, 0x2400
	s_add_i32 s21, s22, -8
	v_add_co_u32 v6, vcc_lo, v2, v68
	v_add_co_ci_u32_e64 v3, null, 0, v3, vcc_lo
	v_subrev_nc_u32_e32 v2, s6, v4
	v_mad_i64_i32 v[4:5], null, v5, s12, 0
	v_add_co_u32 v8, vcc_lo, s18, v6
	v_mad_i64_i32 v[6:7], null, v7, s12, 0
	v_add_co_ci_u32_e64 v9, null, s19, v3, vcc_lo
	v_ashrrev_i32_e32 v3, 31, v2
	v_lshlrev_b64 v[4:5], 2, v[4:5]
	v_add_co_u32 v70, vcc_lo, v8, 32
	v_add_co_ci_u32_e64 v71, null, 0, v9, vcc_lo
	v_lshlrev_b64 v[72:73], 2, v[2:3]
	v_lshlrev_b64 v[2:3], 2, v[6:7]
	v_add_co_u32 v147, vcc_lo, s14, v4
	v_add_co_ci_u32_e64 v148, null, s15, v5, vcc_lo
	s_lshl_b64 s[6:7], s[12:13], 5
	v_add_co_u32 v149, vcc_lo, s14, v2
	v_add_co_ci_u32_e64 v150, null, s15, v3, vcc_lo
	s_mov_b32 s12, 0
	s_mov_b32 s13, 0
	s_branch .LBB54_26
.LBB54_25:                              ;   in Loop: Header=BB54_26 Depth=1
	v_add_f32_e32 v3, v39, v67
	v_add_f32_e32 v4, v38, v66
	;; [unrolled: 1-line block ×6, first 2 shown]
	v_min3_f32 v142, v4, v3, v142
	v_add_f32_e32 v3, v27, v67
	v_min3_f32 v155, v155, v5, v139
	v_add_f32_e32 v4, v26, v66
	;; [unrolled: 2-line block ×3, first 2 shown]
	v_add_f32_e32 v139, v22, v66
	v_add_f32_e32 v140, v19, v67
	;; [unrolled: 1-line block ×7, first 2 shown]
	v_min3_f32 v160, v4, v3, v78
	v_min3_f32 v141, v139, v5, v141
	v_add_f32_e32 v3, v39, v63
	v_add_f32_e32 v4, v38, v62
	v_min3_f32 v139, v66, v67, v135
	v_add_f32_e32 v5, v35, v63
	v_add_f32_e32 v66, v34, v62
	v_min3_f32 v140, v157, v140, v79
	v_min3_f32 v137, v159, v158, v137
	v_add_f32_e32 v67, v31, v63
	v_add_f32_e32 v78, v30, v62
	v_add_f32_e32 v79, v27, v63
	v_add_f32_e32 v157, v26, v62
	v_add_f32_e32 v158, v23, v63
	v_add_f32_e32 v159, v22, v62
	v_min3_f32 v136, v4, v3, v136
	v_min3_f32 v135, v66, v5, v133
	v_add_f32_e32 v3, v19, v63
	v_add_f32_e32 v4, v18, v62
	v_add_f32_e32 v5, v15, v63
	v_add_f32_e32 v66, v14, v62
	;; [unrolled: 8-line block ×3, first 2 shown]
	v_min3_f32 v134, v4, v3, v128
	v_min3_f32 v128, v66, v5, v130
	;; [unrolled: 1-line block ×3, first 2 shown]
	v_add_f32_e32 v3, v31, v59
	v_add_f32_e32 v4, v30, v58
	v_add_f32_e32 v5, v27, v59
	v_add_f32_e32 v62, v26, v58
	v_min3_f32 v129, v78, v67, v129
	v_min3_f32 v126, v157, v79, v126
	v_add_f32_e32 v63, v23, v59
	v_add_f32_e32 v66, v22, v58
	v_add_f32_e32 v67, v19, v59
	v_add_f32_e32 v78, v18, v58
	v_add_f32_e32 v79, v15, v59
	v_add_f32_e32 v157, v14, v58
	v_min3_f32 v130, v4, v3, v125
	v_min3_f32 v123, v62, v5, v123
	v_add_f32_e32 v3, v7, v59
	v_add_f32_e32 v4, v6, v58
	;; [unrolled: 8-line block ×3, first 2 shown]
	v_add_f32_e32 v67, v27, v55
	v_add_f32_e32 v78, v26, v54
	v_min3_f32 v125, v4, v3, v119
	v_min3_f32 v119, v58, v5, v120
	;; [unrolled: 1-line block ×3, first 2 shown]
	v_add_f32_e32 v3, v23, v55
	v_add_f32_e32 v4, v22, v54
	;; [unrolled: 1-line block ×8, first 2 shown]
	v_min3_f32 v118, v66, v63, v118
	v_add_f32_e32 v63, v39, v51
	v_add_f32_e32 v66, v38, v50
	v_min3_f32 v115, v4, v3, v115
	v_min3_f32 v113, v58, v5, v113
	;; [unrolled: 1-line block ×4, first 2 shown]
	v_add_f32_e32 v3, v35, v51
	v_add_f32_e32 v4, v34, v50
	v_add_f32_e32 v5, v31, v51
	v_add_f32_e32 v54, v30, v50
	v_add_f32_e32 v55, v27, v51
	v_add_f32_e32 v58, v26, v50
	v_add_f32_e32 v59, v23, v51
	v_add_f32_e32 v62, v22, v50
	v_min3_f32 v122, v157, v79, v122
	v_min3_f32 v116, v78, v67, v116
	;; [unrolled: 1-line block ×3, first 2 shown]
	v_add_f32_e32 v63, v19, v51
	v_add_f32_e32 v66, v18, v50
	v_min3_f32 v109, v4, v3, v109
	v_min3_f32 v78, v54, v5, v110
	;; [unrolled: 1-line block ×4, first 2 shown]
	v_add_f32_e32 v3, v15, v51
	v_add_f32_e32 v4, v14, v50
	;; [unrolled: 1-line block ×10, first 2 shown]
	v_min3_f32 v106, v66, v63, v106
	v_min3_f32 v105, v4, v3, v105
	v_min3_f32 v62, v50, v5, v103
	v_min3_f32 v63, v54, v51, v104
	v_min3_f32 v66, v58, v55, v101
	v_min3_f32 v67, v67, v59, v102
	v_add_f32_e32 v3, v27, v47
	v_add_f32_e32 v4, v26, v46
	;; [unrolled: 1-line block ×10, first 2 shown]
	v_min3_f32 v99, v4, v3, v99
	v_min3_f32 v54, v50, v5, v100
	;; [unrolled: 1-line block ×5, first 2 shown]
	v_add_f32_e32 v3, v39, v43
	v_add_f32_e32 v4, v38, v42
	;; [unrolled: 1-line block ×10, first 2 shown]
	v_min3_f32 v95, v4, v3, v96
	v_min3_f32 v46, v46, v5, v93
	;; [unrolled: 1-line block ×4, first 2 shown]
	v_add_f32_e32 v3, v19, v43
	v_add_f32_e32 v4, v18, v42
	;; [unrolled: 1-line block ×6, first 2 shown]
	v_min3_f32 v51, v100, v98, v92
	v_add_f32_e32 v92, v35, v11
	v_min3_f32 v35, v4, v3, v89
	v_min3_f32 v3, v91, v5, v90
	;; [unrolled: 1-line block ×3, first 2 shown]
	v_add_f32_e32 v31, v31, v11
	v_add_f32_e32 v30, v30, v10
	;; [unrolled: 1-line block ×13, first 2 shown]
	v_min3_f32 v14, v30, v31, v85
	v_min3_f32 v22, v26, v27, v82
	;; [unrolled: 1-line block ×5, first 2 shown]
	v_add_f32_e32 v7, v7, v11
	v_add_f32_e32 v6, v6, v10
	;; [unrolled: 1-line block ×10, first 2 shown]
	v_min3_f32 v4, v42, v43, v87
	v_min3_f32 v7, v6, v7, v84
	;; [unrolled: 1-line block ×6, first 2 shown]
	v_add_f32_e32 v6, v25, v69
	v_add_f32_e32 v10, v24, v68
	;; [unrolled: 1-line block ×10, first 2 shown]
	v_min3_f32 v132, v159, v158, v132
	v_min3_f32 v34, v34, v92, v86
	;; [unrolled: 1-line block ×7, first 2 shown]
	v_add_f32_e32 v6, v37, v65
	v_add_f32_e32 v10, v36, v64
	v_add_f32_e32 v15, v33, v65
	v_add_f32_e32 v18, v32, v64
	v_add_f32_e32 v19, v29, v65
	v_add_f32_e32 v30, v28, v64
	v_add_f32_e32 v31, v25, v65
	v_add_f32_e32 v38, v24, v64
	v_add_f32_e32 v39, v21, v65
	v_add_f32_e32 v42, v20, v64
	v_min3_f32 v87, v10, v6, v135
	v_min3_f32 v88, v18, v15, v133
	v_min3_f32 v89, v30, v19, v131
	v_min3_f32 v90, v38, v31, v132
	v_min3_f32 v91, v42, v39, v134
	v_add_f32_e32 v6, v17, v65
	v_add_f32_e32 v10, v16, v64
	v_add_f32_e32 v15, v9, v65
	v_add_f32_e32 v18, v8, v64
	v_add_f32_e32 v19, v41, v61
	v_add_f32_e32 v30, v40, v60
	v_add_f32_e32 v31, v37, v61
	v_add_f32_e32 v38, v36, v60
	v_add_f32_e32 v39, v33, v61
	v_add_f32_e32 v42, v32, v60
	v_min3_f32 v92, v10, v6, v128
	v_min3_f32 v93, v18, v15, v127
	v_min3_f32 v94, v30, v19, v129
	v_min3_f32 v96, v38, v31, v126
	v_min3_f32 v97, v42, v39, v130
	;; [unrolled: 15-line block ×10, first 2 shown]
	v_add_f32_e32 v10, v29, v13
	v_add_f32_e32 v25, v25, v13
	;; [unrolled: 1-line block ×6, first 2 shown]
	ds_read_b128 v[3:6], v75
	ds_read_b128 v[61:64], v138
	v_add_f32_e32 v9, v9, v13
	ds_read_b128 v[13:16], v75 offset:512
	ds_read_b128 v[17:20], v75 offset:1024
	v_add_f32_e32 v28, v28, v12
	v_add_f32_e32 v24, v24, v12
	;; [unrolled: 1-line block ×3, first 2 shown]
	v_min3_f32 v136, v29, v21, v26
	v_min3_f32 v137, v31, v30, v27
	;; [unrolled: 1-line block ×5, first 2 shown]
	ds_read_b128 v[33:36], v75 offset:1536
	ds_read_b128 v[29:32], v75 offset:2048
	;; [unrolled: 1-line block ×12, first 2 shown]
	v_add_co_u32 v70, vcc_lo, v70, 32
	v_add_co_ci_u32_e64 v71, null, 0, v71, vcc_lo
	v_add_co_u32 v147, vcc_lo, v147, s6
	s_waitcnt lgkmcnt(14)
	v_add_f32_e32 v140, v4, v62
	v_add_f32_e32 v141, v3, v61
	s_waitcnt lgkmcnt(13)
	v_add_f32_e32 v142, v14, v62
	v_add_f32_e32 v155, v13, v61
	;; [unrolled: 3-line block ×3, first 2 shown]
	v_min3_f32 v11, v141, v140, v11
	s_waitcnt lgkmcnt(11)
	v_add_f32_e32 v140, v34, v62
	v_min3_f32 v80, v155, v142, v80
	v_add_f32_e32 v141, v33, v61
	v_min3_f32 v81, v157, v156, v81
	s_waitcnt lgkmcnt(10)
	v_add_f32_e32 v142, v30, v62
	v_add_f32_e32 v155, v29, v61
	s_waitcnt lgkmcnt(9)
	v_add_f32_e32 v156, v26, v62
	v_add_f32_e32 v157, v25, v61
	;; [unrolled: 3-line block ×4, first 2 shown]
	v_min3_f32 v82, v141, v140, v82
	v_min3_f32 v69, v155, v142, v69
	;; [unrolled: 1-line block ×5, first 2 shown]
	s_waitcnt lgkmcnt(6)
	v_add_f32_e32 v62, v4, v66
	v_add_f32_e32 v85, v3, v65
	;; [unrolled: 1-line block ×10, first 2 shown]
	v_min3_f32 v62, v85, v62, v86
	v_min3_f32 v85, v141, v140, v87
	;; [unrolled: 1-line block ×5, first 2 shown]
	v_add_f32_e32 v89, v26, v66
	v_add_f32_e32 v90, v25, v65
	;; [unrolled: 1-line block ×6, first 2 shown]
	s_waitcnt lgkmcnt(5)
	v_add_f32_e32 v142, v4, v58
	v_add_f32_e32 v155, v3, v57
	;; [unrolled: 1-line block ×4, first 2 shown]
	v_min3_f32 v89, v90, v89, v91
	v_min3_f32 v90, v141, v140, v92
	;; [unrolled: 1-line block ×5, first 2 shown]
	v_add_f32_e32 v92, v18, v58
	v_add_f32_e32 v93, v17, v57
	;; [unrolled: 1-line block ×10, first 2 shown]
	v_min3_f32 v92, v93, v92, v97
	v_min3_f32 v93, v96, v94, v98
	;; [unrolled: 1-line block ×5, first 2 shown]
	v_add_f32_e32 v58, v8, v58
	v_add_f32_e32 v57, v7, v57
	s_waitcnt lgkmcnt(4)
	v_add_f32_e32 v98, v4, v54
	v_add_f32_e32 v100, v3, v53
	;; [unrolled: 1-line block ×8, first 2 shown]
	v_min3_f32 v57, v57, v58, v103
	v_min3_f32 v58, v100, v98, v104
	;; [unrolled: 1-line block ×5, first 2 shown]
	v_add_f32_e32 v102, v30, v54
	v_add_f32_e32 v103, v29, v53
	;; [unrolled: 1-line block ×8, first 2 shown]
	s_waitcnt lgkmcnt(3)
	v_add_f32_e32 v140, v4, v50
	v_add_f32_e32 v141, v3, v49
	v_min3_f32 v102, v103, v102, v115
	v_min3_f32 v103, v108, v104, v113
	;; [unrolled: 1-line block ×5, first 2 shown]
	v_add_f32_e32 v108, v14, v50
	v_add_f32_e32 v110, v13, v49
	;; [unrolled: 1-line block ×10, first 2 shown]
	v_min3_f32 v108, v110, v108, v109
	v_min3_f32 v110, v112, v111, v78
	;; [unrolled: 1-line block ×4, first 2 shown]
	v_add_f32_e32 v78, v22, v50
	v_add_f32_e32 v79, v21, v49
	;; [unrolled: 1-line block ×4, first 2 shown]
	s_waitcnt lgkmcnt(2)
	v_add_f32_e32 v107, v4, v46
	v_add_f32_e32 v109, v3, v45
	;; [unrolled: 1-line block ×6, first 2 shown]
	v_min3_f32 v105, v79, v78, v105
	v_min3_f32 v49, v49, v50, v117
	v_min3_f32 v50, v109, v107, v118
	v_min3_f32 v157, v112, v111, v119
	v_min3_f32 v158, v114, v113, v120
	v_add_f32_e32 v78, v34, v46
	v_add_f32_e32 v79, v33, v45
	;; [unrolled: 1-line block ×10, first 2 shown]
	v_min3_f32 v99, v79, v78, v99
	v_min3_f32 v159, v109, v107, v121
	s_waitcnt lgkmcnt(1)
	v_add_f32_e32 v78, v3, v41
	v_add_f32_e32 v79, v14, v42
	v_min3_f32 v45, v45, v46, v124
	v_add_f32_e32 v46, v4, v42
	v_add_f32_e32 v107, v13, v41
	s_waitcnt lgkmcnt(0)
	v_add_f32_e32 v4, v4, v38
	v_add_f32_e32 v3, v3, v37
	;; [unrolled: 1-line block ×4, first 2 shown]
	v_min3_f32 v160, v112, v111, v122
	v_add_f32_e32 v109, v18, v42
	v_add_f32_e32 v111, v17, v41
	v_min3_f32 v46, v78, v46, v95
	v_min3_f32 v162, v107, v79, v125
	v_add_f32_e32 v95, v22, v42
	v_add_f32_e32 v107, v21, v41
	v_min3_f32 v3, v3, v4, v132
	v_min3_f32 v4, v13, v14, v133
	v_add_f32_e32 v13, v18, v38
	v_add_f32_e32 v14, v17, v37
	v_add_f32_e32 v17, v34, v38
	v_add_f32_e32 v18, v33, v37
	v_add_f32_e32 v22, v22, v38
	v_add_f32_e32 v21, v21, v37
	v_min3_f32 v161, v114, v113, v123
	v_add_f32_e32 v112, v34, v42
	v_add_f32_e32 v113, v33, v41
	;; [unrolled: 1-line block ×8, first 2 shown]
	v_min3_f32 v12, v18, v17, v12
	v_min3_f32 v18, v21, v22, v137
	v_add_f32_e32 v8, v8, v38
	v_add_f32_e32 v7, v7, v37
	;; [unrolled: 1-line block ×8, first 2 shown]
	v_min3_f32 v7, v7, v8, v139
	v_min3_f32 v142, v22, v21, v11
	v_add_f32_e32 v8, v32, v64
	v_add_f32_e32 v11, v31, v63
	v_min3_f32 v106, v141, v140, v106
	v_min3_f32 v13, v14, v13, v134
	;; [unrolled: 1-line block ×4, first 2 shown]
	v_add_f32_e32 v25, v16, v64
	v_add_f32_e32 v26, v15, v63
	;; [unrolled: 1-line block ×8, first 2 shown]
	v_min3_f32 v141, v11, v8, v69
	v_add_f32_e32 v8, v16, v68
	v_add_f32_e32 v11, v15, v67
	v_min3_f32 v166, v79, v78, v129
	v_min3_f32 v139, v26, v25, v80
	;; [unrolled: 1-line block ×4, first 2 shown]
	v_add_f32_e32 v25, v24, v64
	v_add_f32_e32 v26, v23, v63
	v_add_f32_e32 v29, v10, v64
	v_add_f32_e32 v30, v9, v63
	v_add_f32_e32 v33, v6, v68
	v_add_f32_e32 v34, v5, v67
	v_min3_f32 v79, v22, v21, v83
	v_add_f32_e32 v21, v20, v68
	v_add_f32_e32 v22, v19, v67
	v_min3_f32 v133, v11, v8, v85
	v_add_f32_e32 v8, v24, v68
	v_add_f32_e32 v11, v23, v67
	v_min3_f32 v167, v107, v95, v130
	v_min3_f32 v137, v26, v25, v84
	;; [unrolled: 1-line block ×4, first 2 shown]
	v_add_f32_e32 v25, v36, v68
	v_add_f32_e32 v26, v35, v67
	;; [unrolled: 1-line block ×6, first 2 shown]
	v_min3_f32 v134, v22, v21, v86
	v_add_f32_e32 v21, v10, v68
	v_add_f32_e32 v22, v9, v67
	v_min3_f32 v130, v11, v8, v90
	v_add_f32_e32 v8, v36, v60
	v_add_f32_e32 v11, v35, v59
	v_min3_f32 v164, v113, v112, v127
	v_min3_f32 v165, v115, v114, v128
	;; [unrolled: 1-line block ×6, first 2 shown]
	v_add_f32_e32 v25, v6, v60
	v_add_f32_e32 v26, v5, v59
	v_add_f32_e32 v29, v16, v60
	v_add_f32_e32 v30, v15, v59
	v_add_f32_e32 v33, v20, v60
	v_add_f32_e32 v34, v19, v59
	v_min3_f32 v127, v22, v21, v65
	v_add_f32_e32 v21, v32, v60
	v_add_f32_e32 v22, v31, v59
	v_min3_f32 v123, v11, v8, v93
	v_add_f32_e32 v8, v6, v56
	v_add_f32_e32 v11, v5, v55
	v_min3_f32 v163, v111, v109, v126
	v_min3_f32 v129, v26, v25, v66
	;; [unrolled: 1-line block ×4, first 2 shown]
	v_add_f32_e32 v25, v28, v60
	v_add_f32_e32 v26, v27, v59
	v_add_f32_e32 v29, v24, v60
	v_add_f32_e32 v30, v23, v59
	v_add_f32_e32 v33, v10, v60
	v_add_f32_e32 v34, v9, v59
	v_min3_f32 v124, v22, v21, v94
	v_add_f32_e32 v21, v16, v56
	v_add_f32_e32 v22, v15, v55
	v_min3_f32 v120, v11, v8, v58
	v_add_f32_e32 v8, v28, v56
	v_add_f32_e32 v11, v27, v55
	v_min3_f32 v121, v26, v25, v96
	v_min3_f32 v122, v30, v29, v97
	v_min3_f32 v119, v34, v33, v57
	v_add_f32_e32 v25, v20, v56
	v_add_f32_e32 v26, v19, v55
	v_add_f32_e32 v29, v36, v56
	v_add_f32_e32 v30, v35, v55
	v_add_f32_e32 v33, v32, v56
	v_add_f32_e32 v34, v31, v55
	v_min3_f32 v117, v22, v21, v98
	v_add_f32_e32 v21, v24, v56
	v_add_f32_e32 v22, v23, v55
	v_min3_f32 v113, v11, v8, v103
	v_add_f32_e32 v8, v20, v52
	v_add_f32_e32 v11, v19, v51
	v_min3_f32 v118, v26, v25, v100
	v_min3_f32 v116, v30, v29, v101
	v_min3_f32 v115, v34, v33, v102
	;; [unrolled: 15-line block ×5, first 2 shown]
	v_add_f32_e32 v25, v24, v48
	v_add_f32_e32 v26, v23, v47
	;; [unrolled: 1-line block ×6, first 2 shown]
	v_min3_f32 v97, v22, v21, v160
	v_add_f32_e32 v21, v20, v44
	v_add_f32_e32 v22, v19, v43
	v_min3_f32 v93, v11, v8, v162
	v_add_f32_e32 v8, v24, v44
	v_add_f32_e32 v11, v23, v43
	;; [unrolled: 1-line block ×8, first 2 shown]
	v_min3_f32 v98, v26, v25, v161
	v_min3_f32 v95, v30, v29, v45
	;; [unrolled: 1-line block ×3, first 2 shown]
	v_add_f32_e32 v25, v36, v44
	v_add_f32_e32 v26, v35, v43
	;; [unrolled: 1-line block ×6, first 2 shown]
	v_min3_f32 v94, v22, v21, v163
	v_add_f32_e32 v21, v10, v44
	v_add_f32_e32 v22, v9, v43
	v_min3_f32 v90, v11, v8, v167
	v_min3_f32 v88, v5, v6, v3
	;; [unrolled: 1-line block ×4, first 2 shown]
	v_add_f32_e32 v3, v36, v40
	v_add_f32_e32 v4, v35, v39
	;; [unrolled: 1-line block ×10, first 2 shown]
	v_add_co_ci_u32_e64 v148, null, s7, v148, vcc_lo
	v_add_co_u32 v149, vcc_lo, v149, s6
	v_min3_f32 v91, v26, v25, v164
	v_min3_f32 v92, v30, v29, v165
	;; [unrolled: 1-line block ×9, first 2 shown]
	v_add_co_ci_u32_e64 v150, null, s7, v150, vcc_lo
	s_add_i32 s13, s13, 8
	ds_write2st64_b32 v143, v2, v151 offset1:4
	ds_write2st64_b32 v143, v152, v154 offset0:8 offset1:12
	ds_write_b32 v144, v153
	s_cmp_ge_i32 s13, s21
	s_waitcnt lgkmcnt(0)
	s_barrier
	buffer_gl0_inv
	s_cbranch_scc1 .LBB54_46
.LBB54_26:                              ; =>This Inner Loop Header: Depth=1
	s_mov_b32 s14, -1
	s_mov_b32 vcc_lo, s1
                                        ; implicit-def: $vgpr2_vgpr3_vgpr4_vgpr5
	s_cbranch_vccnz .LBB54_37
; %bb.27:                               ;   in Loop: Header=BB54_26 Depth=1
	v_mov_b32_e32 v3, 0
	s_andn2_b32 vcc_lo, exec_lo, s14
	s_cbranch_vccz .LBB54_38
.LBB54_28:                              ;   in Loop: Header=BB54_26 Depth=1
	s_mov_b32 s14, -1
	s_mov_b32 vcc_lo, s1
                                        ; implicit-def: $vgpr4
	s_cbranch_vccnz .LBB54_39
.LBB54_29:                              ;   in Loop: Header=BB54_26 Depth=1
	v_mov_b32_e32 v5, 0
	v_mov_b32_e32 v151, 0
	s_andn2_b32 vcc_lo, exec_lo, s14
	s_cbranch_vccz .LBB54_40
.LBB54_30:                              ;   in Loop: Header=BB54_26 Depth=1
	s_and_b32 vcc_lo, exec_lo, s2
	s_cbranch_vccnz .LBB54_32
.LBB54_31:                              ;   in Loop: Header=BB54_26 Depth=1
	global_load_dword v5, v[70:71], off
	s_waitcnt vmcnt(0)
	v_mul_f32_e32 v5, s24, v5
.LBB54_32:                              ;   in Loop: Header=BB54_26 Depth=1
	ds_read_b128 v[38:41], v145
	ds_read_b128 v[34:37], v145 offset:512
	ds_read_b128 v[30:33], v145 offset:1024
	ds_read_b128 v[26:29], v145 offset:1536
	ds_read_b128 v[22:25], v145 offset:2048
	ds_read_b128 v[18:21], v145 offset:2560
	ds_read_b128 v[14:17], v145 offset:3072
	ds_read_b128 v[6:9], v145 offset:3584
	ds_read_b128 v[66:69], v146
	ds_read_b128 v[62:65], v146 offset:128
	ds_read_b128 v[58:61], v146 offset:256
	;; [unrolled: 1-line block ×7, first 2 shown]
	s_mov_b32 s14, -1
	s_mov_b32 vcc_lo, s1
	ds_write2st64_b32 v76, v2, v3 offset1:4
	ds_write2st64_b32 v76, v4, v151 offset0:8 offset1:12
	ds_write_b32 v77, v5
	s_waitcnt lgkmcnt(0)
	s_barrier
	buffer_gl0_inv
                                        ; implicit-def: $vgpr2_vgpr3_vgpr4_vgpr5
	s_cbranch_vccnz .LBB54_41
; %bb.33:                               ;   in Loop: Header=BB54_26 Depth=1
	v_mov_b32_e32 v151, 0
	s_andn2_b32 vcc_lo, exec_lo, s14
	s_cbranch_vccz .LBB54_42
.LBB54_34:                              ;   in Loop: Header=BB54_26 Depth=1
	s_mov_b32 s14, -1
	s_mov_b32 vcc_lo, s1
                                        ; implicit-def: $vgpr152
	s_cbranch_vccnz .LBB54_43
.LBB54_35:                              ;   in Loop: Header=BB54_26 Depth=1
	v_mov_b32_e32 v153, 0
	v_mov_b32_e32 v154, 0
	s_andn2_b32 vcc_lo, exec_lo, s14
	s_cbranch_vccz .LBB54_44
.LBB54_36:                              ;   in Loop: Header=BB54_26 Depth=1
	s_and_b32 vcc_lo, exec_lo, s2
	s_cbranch_vccz .LBB54_45
	s_branch .LBB54_25
.LBB54_37:                              ;   in Loop: Header=BB54_26 Depth=1
	v_mov_b32_e32 v2, s12
	v_mov_b32_e32 v3, 0
	s_cbranch_execnz .LBB54_28
.LBB54_38:                              ;   in Loop: Header=BB54_26 Depth=1
	v_add_co_u32 v2, vcc_lo, v149, v72
	v_add_co_ci_u32_e64 v3, null, v150, v73, vcc_lo
	s_clause 0x1
	global_load_dword v4, v[2:3], off
	global_load_dword v3, v[2:3], off offset:256
	s_waitcnt vmcnt(1)
	v_mul_f32_e32 v2, s24, v4
	s_waitcnt vmcnt(0)
	v_mul_f32_e32 v3, s24, v3
	s_mov_b32 s14, -1
	s_mov_b32 vcc_lo, s1
                                        ; implicit-def: $vgpr4
	s_cbranch_vccz .LBB54_29
.LBB54_39:                              ;   in Loop: Header=BB54_26 Depth=1
	v_mov_b32_e32 v4, s12
	v_mov_b32_e32 v5, 0
	;; [unrolled: 1-line block ×3, first 2 shown]
	s_cbranch_execnz .LBB54_30
.LBB54_40:                              ;   in Loop: Header=BB54_26 Depth=1
	v_add_co_u32 v6, vcc_lo, v149, v72
	v_add_co_ci_u32_e64 v7, null, v150, v73, vcc_lo
	s_clause 0x1
	global_load_dword v4, v[6:7], off offset:512
	global_load_dword v6, v[6:7], off offset:768
	s_waitcnt vmcnt(1)
	v_mul_f32_e32 v4, s24, v4
	s_waitcnt vmcnt(0)
	v_mul_f32_e32 v151, s24, v6
	s_and_b32 vcc_lo, exec_lo, s2
	s_cbranch_vccz .LBB54_31
	s_branch .LBB54_32
.LBB54_41:                              ;   in Loop: Header=BB54_26 Depth=1
	v_mov_b32_e32 v2, s12
	v_mov_b32_e32 v151, 0
	s_cbranch_execnz .LBB54_34
.LBB54_42:                              ;   in Loop: Header=BB54_26 Depth=1
	v_add_co_u32 v2, vcc_lo, v147, v72
	v_add_co_ci_u32_e64 v3, null, v148, v73, vcc_lo
	s_clause 0x1
	global_load_dword v4, v[2:3], off
	global_load_dword v3, v[2:3], off offset:256
	s_waitcnt vmcnt(1)
	v_mul_f32_e32 v2, s24, v4
	s_waitcnt vmcnt(0)
	v_mul_f32_e32 v151, s24, v3
	s_mov_b32 s14, -1
	s_mov_b32 vcc_lo, s1
                                        ; implicit-def: $vgpr152
	s_cbranch_vccz .LBB54_35
.LBB54_43:                              ;   in Loop: Header=BB54_26 Depth=1
	v_mov_b32_e32 v152, s12
	v_mov_b32_e32 v153, 0
	;; [unrolled: 1-line block ×3, first 2 shown]
	s_cbranch_execnz .LBB54_36
.LBB54_44:                              ;   in Loop: Header=BB54_26 Depth=1
	v_add_co_u32 v3, vcc_lo, v147, v72
	v_add_co_ci_u32_e64 v4, null, v148, v73, vcc_lo
	s_clause 0x1
	global_load_dword v5, v[3:4], off offset:512
	global_load_dword v3, v[3:4], off offset:768
	s_waitcnt vmcnt(1)
	v_mul_f32_e32 v152, s24, v5
	s_waitcnt vmcnt(0)
	v_mul_f32_e32 v154, s24, v3
	s_and_b32 vcc_lo, exec_lo, s2
	s_cbranch_vccnz .LBB54_25
.LBB54_45:                              ;   in Loop: Header=BB54_26 Depth=1
	global_load_dword v3, v[70:71], off offset:16
	s_waitcnt vmcnt(0)
	v_mul_f32_e32 v153, s24, v3
	s_branch .LBB54_25
.LBB54_46:
	ds_read_b128 v[32:35], v75 offset:4096
	ds_read_b128 v[60:63], v74 offset:9216
	s_clause 0x2
	s_load_dword s2, s[4:5], 0x70
	s_load_dword s1, s[4:5], 0x58
	s_load_dwordx2 s[6:7], s[4:5], 0x78
	v_add_nc_u32_e32 v138, s20, v1
	v_add_nc_u32_e32 v76, s17, v0
	v_ashrrev_i32_e32 v77, 31, v76
	v_add_nc_u32_e32 v0, 32, v76
	v_lshlrev_b64 v[66:67], 2, v[76:77]
	v_ashrrev_i32_e32 v1, 31, v0
	s_waitcnt lgkmcnt(0)
	v_mad_i64_i32 v[2:3], null, v138, s2, 0
	v_mad_i64_i32 v[4:5], null, v138, s1, 0
	v_add_f32_e32 v6, v33, v61
	v_add_f32_e32 v7, v32, v60
	s_mul_i32 s5, s7, s16
	s_mul_hi_u32 s7, s6, s16
	s_mul_i32 s4, s6, s16
	v_add_f32_e32 v8, v35, v63
	s_add_i32 s5, s7, s5
	v_add_f32_e32 v9, v34, v62
	v_min3_f32 v6, v7, v6, v142
	v_lshlrev_b64 v[2:3], 2, v[2:3]
	s_lshl_b64 s[4:5], s[4:5], 2
	v_lshlrev_b64 v[4:5], 2, v[4:5]
	s_add_u32 s4, s10, s4
	v_min3_f32 v6, v9, v8, v6
	s_addc_u32 s5, s11, s5
	v_add_co_u32 v142, vcc_lo, s4, v2
	v_add_co_ci_u32_e64 v143, null, s5, v3, vcc_lo
	v_add_co_u32 v144, vcc_lo, s8, v4
	v_add_co_ci_u32_e64 v145, null, s9, v5, vcc_lo
	v_max_f32_e32 v2, v6, v6
	s_mov_b32 s6, -1
	s_mov_b32 vcc_lo, s0
	s_cbranch_vccz .LBB54_48
; %bb.47:
	v_add_co_u32 v3, vcc_lo, v142, v66
	v_min_f32_e32 v5, 0, v2
	v_add_co_ci_u32_e64 v4, null, v143, v67, vcc_lo
	s_mov_b32 s6, 0
	global_store_dword v[3:4], v5, off
.LBB54_48:
	ds_read_b128 v[28:31], v75 offset:4608
	ds_read_b128 v[24:27], v75 offset:5120
	v_lshlrev_b64 v[64:65], 2, v[0:1]
	v_mov_b32_e32 v69, 0
	s_andn2_b32 vcc_lo, exec_lo, s6
	s_cbranch_vccnz .LBB54_50
; %bb.49:
	v_add_co_u32 v0, vcc_lo, v144, v66
	v_add_co_ci_u32_e64 v1, null, v145, v67, vcc_lo
	global_load_dword v0, v[0:1], off
	s_waitcnt vmcnt(0)
	v_mul_f32_e32 v3, s3, v0
	v_add_co_u32 v0, vcc_lo, v142, v66
	v_add_co_ci_u32_e64 v1, null, v143, v67, vcc_lo
	v_min_f32_e32 v4, v3, v2
	v_add_co_u32 v2, vcc_lo, v144, v64
	v_add_co_ci_u32_e64 v3, null, v145, v65, vcc_lo
	global_store_dword v[0:1], v4, off
	global_load_dword v0, v[2:3], off
	s_waitcnt vmcnt(0)
	v_mul_f32_e32 v69, s3, v0
.LBB54_50:
	ds_read_b128 v[20:23], v75 offset:5632
	ds_read_b128 v[16:19], v75 offset:6144
	;; [unrolled: 1-line block ×10, first 2 shown]
	s_waitcnt lgkmcnt(11)
	v_add_f32_e32 v68, v29, v61
	v_add_f32_e32 v70, v28, v60
	s_waitcnt lgkmcnt(10)
	v_add_f32_e32 v71, v25, v61
	v_add_f32_e32 v72, v24, v60
	;; [unrolled: 1-line block ×4, first 2 shown]
	ds_read_b128 v[36:39], v74 offset:9984
	ds_read_b128 v[4:7], v74 offset:10112
	v_min3_f32 v74, v70, v68, v139
	v_min3_f32 v77, v72, v71, v140
	v_add_nc_u32_e32 v70, 64, v76
	v_min_f32_e32 v71, v75, v73
	v_add_f32_e32 v75, v27, v63
	v_add_f32_e32 v139, v26, v62
	v_add_co_u32 v72, vcc_lo, v142, v64
	v_min3_f32 v74, v69, v71, v74
	v_ashrrev_i32_e32 v71, 31, v70
	v_add_nc_u32_e32 v68, 0x60, v76
	v_add_co_ci_u32_e64 v73, null, v143, v65, vcc_lo
	v_min3_f32 v75, v139, v75, v77
	v_lshlrev_b64 v[70:71], 2, v[70:71]
	v_ashrrev_i32_e32 v69, 31, v68
	global_store_dword v[72:73], v74, off
	s_mov_b32 s6, -1
	v_max_f32_e32 v72, v75, v75
	s_mov_b32 vcc_lo, s0
	s_cbranch_vccz .LBB54_52
; %bb.51:
	v_add_co_u32 v73, vcc_lo, v142, v70
	v_min_f32_e32 v75, 0, v72
	v_add_co_ci_u32_e64 v74, null, v143, v71, vcc_lo
	s_mov_b32 s6, 0
	global_store_dword v[73:74], v75, off
.LBB54_52:
	v_lshlrev_b64 v[68:69], 2, v[68:69]
	v_mov_b32_e32 v73, 0
	s_andn2_b32 vcc_lo, exec_lo, s6
	s_cbranch_vccnz .LBB54_54
; %bb.53:
	v_add_co_u32 v73, vcc_lo, v144, v70
	v_add_co_ci_u32_e64 v74, null, v145, v71, vcc_lo
	global_load_dword v73, v[73:74], off
	s_waitcnt vmcnt(0)
	v_mul_f32_e32 v75, s3, v73
	v_add_co_u32 v73, vcc_lo, v142, v70
	v_add_co_ci_u32_e64 v74, null, v143, v71, vcc_lo
	v_add_co_u32 v139, vcc_lo, v144, v68
	v_min_f32_e32 v72, v75, v72
	v_add_co_ci_u32_e64 v140, null, v145, v69, vcc_lo
	global_store_dword v[73:74], v72, off
	global_load_dword v72, v[139:140], off
	s_waitcnt vmcnt(0)
	v_mul_f32_e32 v73, s3, v72
.LBB54_54:
	s_waitcnt lgkmcnt(11)
	v_add_f32_e32 v72, v21, v61
	v_add_f32_e32 v74, v20, v60
	s_waitcnt lgkmcnt(10)
	v_add_f32_e32 v75, v17, v61
	v_add_f32_e32 v77, v16, v60
	;; [unrolled: 1-line block ×4, first 2 shown]
	v_min3_f32 v78, v74, v72, v78
	v_add_nc_u32_e32 v74, 0x80, v76
	v_min3_f32 v141, v77, v75, v141
	v_add_co_u32 v77, vcc_lo, v142, v68
	v_min_f32_e32 v75, v140, v139
	v_add_f32_e32 v139, v19, v63
	v_add_f32_e32 v140, v18, v62
	v_add_nc_u32_e32 v72, 0xa0, v76
	s_mov_b32 s6, -1
	v_min3_f32 v146, v73, v75, v78
	v_ashrrev_i32_e32 v75, 31, v74
	v_add_co_ci_u32_e64 v78, null, v143, v69, vcc_lo
	v_min3_f32 v139, v140, v139, v141
	v_ashrrev_i32_e32 v73, 31, v72
	v_lshlrev_b64 v[74:75], 2, v[74:75]
	global_store_dword v[77:78], v146, off
	s_mov_b32 vcc_lo, s0
	v_max_f32_e32 v77, v139, v139
	s_cbranch_vccz .LBB54_56
; %bb.55:
	v_add_co_u32 v139, vcc_lo, v142, v74
	v_min_f32_e32 v78, 0, v77
	v_add_co_ci_u32_e64 v140, null, v143, v75, vcc_lo
	s_mov_b32 s6, 0
	global_store_dword v[139:140], v78, off
.LBB54_56:
	v_lshlrev_b64 v[72:73], 2, v[72:73]
	v_mov_b32_e32 v139, 0
	s_andn2_b32 vcc_lo, exec_lo, s6
	s_cbranch_vccnz .LBB54_58
; %bb.57:
	v_add_co_u32 v139, vcc_lo, v144, v74
	v_add_co_ci_u32_e64 v140, null, v145, v75, vcc_lo
	global_load_dword v78, v[139:140], off
	v_add_co_u32 v139, vcc_lo, v142, v74
	v_add_co_ci_u32_e64 v140, null, v143, v75, vcc_lo
	s_waitcnt vmcnt(0)
	v_mul_f32_e32 v78, s3, v78
	v_min_f32_e32 v141, v78, v77
	v_add_co_u32 v77, vcc_lo, v144, v72
	v_add_co_ci_u32_e64 v78, null, v145, v73, vcc_lo
	global_store_dword v[139:140], v141, off
	global_load_dword v77, v[77:78], off
	s_waitcnt vmcnt(0)
	v_mul_f32_e32 v139, s3, v77
.LBB54_58:
	s_waitcnt lgkmcnt(9)
	v_add_f32_e32 v77, v13, v61
	v_add_f32_e32 v78, v12, v60
	s_waitcnt lgkmcnt(8)
	v_add_f32_e32 v140, v9, v61
	v_add_f32_e32 v141, v8, v60
	;; [unrolled: 1-line block ×4, first 2 shown]
	v_min3_f32 v77, v78, v77, v79
	v_add_nc_u32_e32 v78, 0xe0, v76
	v_min3_f32 v79, v141, v140, v137
	v_add_nc_u32_e32 v140, 0xc0, v76
	v_min_f32_e32 v137, v147, v146
	v_add_f32_e32 v146, v11, v63
	v_add_f32_e32 v147, v10, v62
	v_add_co_u32 v76, vcc_lo, v142, v72
	v_min3_f32 v137, v139, v137, v77
	v_add_co_ci_u32_e64 v77, null, v143, v73, vcc_lo
	v_ashrrev_i32_e32 v141, 31, v140
	v_min3_f32 v139, v147, v146, v79
	v_ashrrev_i32_e32 v79, 31, v78
	global_store_dword v[76:77], v137, off
	s_mov_b32 s6, -1
	v_lshlrev_b64 v[76:77], 2, v[140:141]
	v_max_f32_e32 v137, v139, v139
	s_mov_b32 vcc_lo, s0
	s_cbranch_vccz .LBB54_60
; %bb.59:
	v_add_co_u32 v139, vcc_lo, v142, v76
	v_min_f32_e32 v141, 0, v137
	v_add_co_ci_u32_e64 v140, null, v143, v77, vcc_lo
	s_mov_b32 s6, 0
	global_store_dword v[139:140], v141, off
.LBB54_60:
	v_lshlrev_b64 v[78:79], 2, v[78:79]
	v_mov_b32_e32 v139, 0
	s_andn2_b32 vcc_lo, exec_lo, s6
	s_cbranch_vccnz .LBB54_62
; %bb.61:
	v_add_co_u32 v139, vcc_lo, v144, v76
	v_add_co_ci_u32_e64 v140, null, v145, v77, vcc_lo
	global_load_dword v139, v[139:140], off
	s_waitcnt vmcnt(0)
	v_mul_f32_e32 v141, s3, v139
	v_add_co_u32 v139, vcc_lo, v142, v76
	v_add_co_ci_u32_e64 v140, null, v143, v77, vcc_lo
	v_add_co_u32 v144, vcc_lo, v144, v78
	v_min_f32_e32 v137, v141, v137
	v_add_co_ci_u32_e64 v145, null, v145, v79, vcc_lo
	global_store_dword v[139:140], v137, off
	global_load_dword v137, v[144:145], off
	s_waitcnt vmcnt(0)
	v_mul_f32_e32 v139, s3, v137
.LBB54_62:
	s_waitcnt lgkmcnt(7)
	v_add_f32_e32 v61, v1, v61
	v_add_f32_e32 v60, v0, v60
	;; [unrolled: 1-line block ×4, first 2 shown]
	s_waitcnt lgkmcnt(6)
	v_add_f32_e32 v137, v33, v57
	v_add_f32_e32 v140, v32, v56
	v_min3_f32 v60, v60, v61, v135
	v_add_f32_e32 v141, v34, v58
	v_min_f32_e32 v61, v62, v63
	v_add_nc_u32_e32 v62, 8, v138
	v_min3_f32 v137, v140, v137, v136
	v_add_f32_e32 v140, v35, v59
	v_add_co_u32 v135, vcc_lo, v142, v78
	v_min3_f32 v139, v139, v61, v60
	v_mad_i64_i32 v[60:61], null, v62, s2, 0
	v_mad_i64_i32 v[62:63], null, v62, s1, 0
	v_add_co_ci_u32_e64 v136, null, v143, v79, vcc_lo
	v_min3_f32 v137, v141, v140, v137
	s_mov_b32 s6, -1
	v_lshlrev_b64 v[60:61], 2, v[60:61]
	global_store_dword v[135:136], v139, off
	v_lshlrev_b64 v[62:63], 2, v[62:63]
	v_max_f32_e32 v135, v137, v137
	v_add_co_u32 v60, vcc_lo, s4, v60
	v_add_co_ci_u32_e64 v61, null, s5, v61, vcc_lo
	v_add_co_u32 v62, vcc_lo, s8, v62
	v_add_co_ci_u32_e64 v63, null, s9, v63, vcc_lo
	s_mov_b32 vcc_lo, s0
	s_cbranch_vccz .LBB54_64
; %bb.63:
	v_add_co_u32 v136, vcc_lo, v60, v66
	v_min_f32_e32 v139, 0, v135
	v_add_co_ci_u32_e64 v137, null, v61, v67, vcc_lo
	s_mov_b32 s6, 0
	global_store_dword v[136:137], v139, off
.LBB54_64:
	v_mov_b32_e32 v136, 0
	s_andn2_b32 vcc_lo, exec_lo, s6
	s_cbranch_vccnz .LBB54_66
; %bb.65:
	v_add_co_u32 v136, vcc_lo, v62, v66
	v_add_co_ci_u32_e64 v137, null, v63, v67, vcc_lo
	global_load_dword v136, v[136:137], off
	s_waitcnt vmcnt(0)
	v_mul_f32_e32 v139, s3, v136
	v_add_co_u32 v136, vcc_lo, v60, v66
	v_add_co_ci_u32_e64 v137, null, v61, v67, vcc_lo
	v_min_f32_e32 v135, v139, v135
	v_add_co_u32 v139, vcc_lo, v62, v64
	v_add_co_ci_u32_e64 v140, null, v63, v65, vcc_lo
	global_store_dword v[136:137], v135, off
	global_load_dword v135, v[139:140], off
	s_waitcnt vmcnt(0)
	v_mul_f32_e32 v136, s3, v135
.LBB54_66:
	v_add_f32_e32 v135, v29, v57
	v_add_f32_e32 v137, v28, v56
	;; [unrolled: 1-line block ×6, first 2 shown]
	v_min3_f32 v133, v137, v135, v133
	s_mov_b32 s6, -1
	v_min_f32_e32 v135, v140, v139
	v_add_f32_e32 v139, v27, v59
	v_min3_f32 v137, v142, v141, v134
	v_add_f32_e32 v140, v26, v58
	v_min3_f32 v135, v136, v135, v133
	v_add_co_u32 v133, vcc_lo, v60, v64
	v_add_co_ci_u32_e64 v134, null, v61, v65, vcc_lo
	v_min3_f32 v136, v140, v139, v137
	s_mov_b32 vcc_lo, s0
	global_store_dword v[133:134], v135, off
	v_max_f32_e32 v133, v136, v136
	s_cbranch_vccz .LBB54_68
; %bb.67:
	v_add_co_u32 v134, vcc_lo, v60, v70
	v_min_f32_e32 v136, 0, v133
	v_add_co_ci_u32_e64 v135, null, v61, v71, vcc_lo
	s_mov_b32 s6, 0
	global_store_dword v[134:135], v136, off
.LBB54_68:
	v_mov_b32_e32 v134, 0
	s_andn2_b32 vcc_lo, exec_lo, s6
	s_cbranch_vccnz .LBB54_70
; %bb.69:
	v_add_co_u32 v134, vcc_lo, v62, v70
	v_add_co_ci_u32_e64 v135, null, v63, v71, vcc_lo
	global_load_dword v134, v[134:135], off
	s_waitcnt vmcnt(0)
	v_mul_f32_e32 v136, s3, v134
	v_add_co_u32 v134, vcc_lo, v60, v70
	v_add_co_ci_u32_e64 v135, null, v61, v71, vcc_lo
	v_min_f32_e32 v133, v136, v133
	v_add_co_u32 v136, vcc_lo, v62, v68
	v_add_co_ci_u32_e64 v137, null, v63, v69, vcc_lo
	global_store_dword v[134:135], v133, off
	global_load_dword v133, v[136:137], off
	s_waitcnt vmcnt(0)
	v_mul_f32_e32 v134, s3, v133
.LBB54_70:
	v_add_f32_e32 v133, v21, v57
	v_add_f32_e32 v135, v20, v56
	;; [unrolled: 1-line block ×6, first 2 shown]
	v_min3_f32 v131, v135, v133, v131
	s_mov_b32 s6, -1
	v_min_f32_e32 v133, v137, v136
	v_add_f32_e32 v136, v19, v59
	v_min3_f32 v135, v140, v139, v132
	v_add_f32_e32 v137, v18, v58
	v_min3_f32 v133, v134, v133, v131
	v_add_co_u32 v131, vcc_lo, v60, v68
	v_add_co_ci_u32_e64 v132, null, v61, v69, vcc_lo
	v_min3_f32 v134, v137, v136, v135
	s_mov_b32 vcc_lo, s0
	global_store_dword v[131:132], v133, off
	v_max_f32_e32 v131, v134, v134
	s_cbranch_vccz .LBB54_72
; %bb.71:
	v_add_co_u32 v132, vcc_lo, v60, v74
	v_min_f32_e32 v134, 0, v131
	v_add_co_ci_u32_e64 v133, null, v61, v75, vcc_lo
	s_mov_b32 s6, 0
	global_store_dword v[132:133], v134, off
.LBB54_72:
	v_mov_b32_e32 v132, 0
	s_andn2_b32 vcc_lo, exec_lo, s6
	s_cbranch_vccnz .LBB54_74
; %bb.73:
	v_add_co_u32 v132, vcc_lo, v62, v74
	v_add_co_ci_u32_e64 v133, null, v63, v75, vcc_lo
	global_load_dword v132, v[132:133], off
	s_waitcnt vmcnt(0)
	v_mul_f32_e32 v134, s3, v132
	v_add_co_u32 v132, vcc_lo, v60, v74
	v_add_co_ci_u32_e64 v133, null, v61, v75, vcc_lo
	v_min_f32_e32 v131, v134, v131
	v_add_co_u32 v134, vcc_lo, v62, v72
	v_add_co_ci_u32_e64 v135, null, v63, v73, vcc_lo
	global_store_dword v[132:133], v131, off
	global_load_dword v131, v[134:135], off
	s_waitcnt vmcnt(0)
	v_mul_f32_e32 v132, s3, v131
.LBB54_74:
	v_add_f32_e32 v131, v13, v57
	v_add_f32_e32 v133, v12, v56
	v_add_f32_e32 v134, v15, v59
	v_add_f32_e32 v135, v14, v58
	v_add_f32_e32 v136, v9, v57
	v_add_f32_e32 v137, v8, v56
	v_min3_f32 v128, v133, v131, v128
	s_mov_b32 s6, -1
	v_min_f32_e32 v131, v135, v134
	v_add_f32_e32 v134, v11, v59
	v_min3_f32 v133, v137, v136, v130
	v_add_f32_e32 v135, v10, v58
	v_add_co_u32 v130, vcc_lo, v60, v72
	v_min3_f32 v128, v132, v131, v128
	v_add_co_ci_u32_e64 v131, null, v61, v73, vcc_lo
	v_min3_f32 v132, v135, v134, v133
	s_mov_b32 vcc_lo, s0
	global_store_dword v[130:131], v128, off
	v_max_f32_e32 v128, v132, v132
	s_cbranch_vccz .LBB54_76
; %bb.75:
	v_add_co_u32 v130, vcc_lo, v60, v76
	v_min_f32_e32 v132, 0, v128
	v_add_co_ci_u32_e64 v131, null, v61, v77, vcc_lo
	s_mov_b32 s6, 0
	global_store_dword v[130:131], v132, off
.LBB54_76:
	v_mov_b32_e32 v130, 0
	s_andn2_b32 vcc_lo, exec_lo, s6
	s_cbranch_vccnz .LBB54_78
; %bb.77:
	v_add_co_u32 v130, vcc_lo, v62, v76
	v_add_co_ci_u32_e64 v131, null, v63, v77, vcc_lo
	global_load_dword v130, v[130:131], off
	s_waitcnt vmcnt(0)
	v_mul_f32_e32 v132, s3, v130
	v_add_co_u32 v130, vcc_lo, v60, v76
	v_add_co_ci_u32_e64 v131, null, v61, v77, vcc_lo
	v_add_co_u32 v62, vcc_lo, v62, v78
	v_min_f32_e32 v128, v132, v128
	v_add_co_ci_u32_e64 v63, null, v63, v79, vcc_lo
	global_store_dword v[130:131], v128, off
	global_load_dword v62, v[62:63], off
	s_waitcnt vmcnt(0)
	v_mul_f32_e32 v130, s3, v62
.LBB54_78:
	v_add_f32_e32 v57, v1, v57
	v_add_f32_e32 v56, v0, v56
	;; [unrolled: 1-line block ×4, first 2 shown]
	s_waitcnt lgkmcnt(5)
	v_add_f32_e32 v62, v33, v53
	v_add_f32_e32 v63, v32, v52
	v_min3_f32 v56, v56, v57, v127
	v_add_f32_e32 v127, v34, v54
	v_min_f32_e32 v57, v58, v59
	v_add_nc_u32_e32 v58, 16, v138
	v_min3_f32 v62, v63, v62, v129
	v_add_f32_e32 v63, v35, v55
	v_add_co_u32 v60, vcc_lo, v60, v78
	v_min3_f32 v128, v130, v57, v56
	v_mad_i64_i32 v[56:57], null, v58, s2, 0
	v_mad_i64_i32 v[58:59], null, v58, s1, 0
	v_add_co_ci_u32_e64 v61, null, v61, v79, vcc_lo
	v_min3_f32 v62, v127, v63, v62
	s_mov_b32 s6, -1
	v_lshlrev_b64 v[56:57], 2, v[56:57]
	global_store_dword v[60:61], v128, off
	v_lshlrev_b64 v[58:59], 2, v[58:59]
	v_max_f32_e32 v60, v62, v62
	v_add_co_u32 v56, vcc_lo, s4, v56
	v_add_co_ci_u32_e64 v57, null, s5, v57, vcc_lo
	v_add_co_u32 v58, vcc_lo, s8, v58
	v_add_co_ci_u32_e64 v59, null, s9, v59, vcc_lo
	s_mov_b32 vcc_lo, s0
	s_cbranch_vccz .LBB54_80
; %bb.79:
	v_add_co_u32 v61, vcc_lo, v56, v66
	v_min_f32_e32 v63, 0, v60
	v_add_co_ci_u32_e64 v62, null, v57, v67, vcc_lo
	s_mov_b32 s6, 0
	global_store_dword v[61:62], v63, off
.LBB54_80:
	v_mov_b32_e32 v61, 0
	s_andn2_b32 vcc_lo, exec_lo, s6
	s_cbranch_vccnz .LBB54_82
; %bb.81:
	v_add_co_u32 v61, vcc_lo, v58, v66
	v_add_co_ci_u32_e64 v62, null, v59, v67, vcc_lo
	global_load_dword v61, v[61:62], off
	s_waitcnt vmcnt(0)
	v_mul_f32_e32 v63, s3, v61
	v_add_co_u32 v61, vcc_lo, v56, v66
	v_add_co_ci_u32_e64 v62, null, v57, v67, vcc_lo
	v_add_co_u32 v127, vcc_lo, v58, v64
	v_min_f32_e32 v60, v63, v60
	v_add_co_ci_u32_e64 v128, null, v59, v65, vcc_lo
	global_store_dword v[61:62], v60, off
	global_load_dword v60, v[127:128], off
	s_waitcnt vmcnt(0)
	v_mul_f32_e32 v61, s3, v60
.LBB54_82:
	v_add_f32_e32 v60, v29, v53
	v_add_f32_e32 v62, v28, v52
	v_add_f32_e32 v63, v31, v55
	v_add_f32_e32 v127, v30, v54
	v_add_f32_e32 v128, v25, v53
	v_add_f32_e32 v129, v24, v52
	v_min3_f32 v60, v62, v60, v126
	v_add_f32_e32 v126, v26, v54
	v_min_f32_e32 v62, v127, v63
	s_mov_b32 s6, -1
	v_min3_f32 v63, v129, v128, v125
	v_add_f32_e32 v125, v27, v55
	v_min3_f32 v62, v61, v62, v60
	v_add_co_u32 v60, vcc_lo, v56, v64
	v_add_co_ci_u32_e64 v61, null, v57, v65, vcc_lo
	v_min3_f32 v63, v126, v125, v63
	s_mov_b32 vcc_lo, s0
	global_store_dword v[60:61], v62, off
	v_max_f32_e32 v60, v63, v63
	s_cbranch_vccz .LBB54_84
; %bb.83:
	v_add_co_u32 v61, vcc_lo, v56, v70
	v_min_f32_e32 v63, 0, v60
	v_add_co_ci_u32_e64 v62, null, v57, v71, vcc_lo
	s_mov_b32 s6, 0
	global_store_dword v[61:62], v63, off
.LBB54_84:
	v_mov_b32_e32 v61, 0
	s_andn2_b32 vcc_lo, exec_lo, s6
	s_cbranch_vccnz .LBB54_86
; %bb.85:
	v_add_co_u32 v61, vcc_lo, v58, v70
	v_add_co_ci_u32_e64 v62, null, v59, v71, vcc_lo
	global_load_dword v61, v[61:62], off
	s_waitcnt vmcnt(0)
	v_mul_f32_e32 v63, s3, v61
	v_add_co_u32 v61, vcc_lo, v56, v70
	v_add_co_ci_u32_e64 v62, null, v57, v71, vcc_lo
	v_add_co_u32 v125, vcc_lo, v58, v68
	v_min_f32_e32 v60, v63, v60
	v_add_co_ci_u32_e64 v126, null, v59, v69, vcc_lo
	global_store_dword v[61:62], v60, off
	global_load_dword v60, v[125:126], off
	s_waitcnt vmcnt(0)
	v_mul_f32_e32 v61, s3, v60
.LBB54_86:
	v_add_f32_e32 v60, v21, v53
	v_add_f32_e32 v62, v20, v52
	v_add_f32_e32 v63, v23, v55
	v_add_f32_e32 v125, v22, v54
	v_add_f32_e32 v126, v17, v53
	v_add_f32_e32 v127, v16, v52
	v_min3_f32 v60, v62, v60, v123
	v_add_f32_e32 v123, v19, v55
	v_min_f32_e32 v62, v125, v63
	s_mov_b32 s6, -1
	v_min3_f32 v63, v127, v126, v124
	v_add_f32_e32 v124, v18, v54
	v_min3_f32 v62, v61, v62, v60
	v_add_co_u32 v60, vcc_lo, v56, v68
	v_add_co_ci_u32_e64 v61, null, v57, v69, vcc_lo
	v_min3_f32 v63, v124, v123, v63
	s_mov_b32 vcc_lo, s0
	global_store_dword v[60:61], v62, off
	v_max_f32_e32 v60, v63, v63
	;; [unrolled: 46-line block ×3, first 2 shown]
	s_cbranch_vccz .LBB54_92
; %bb.91:
	v_add_co_u32 v61, vcc_lo, v56, v76
	v_min_f32_e32 v63, 0, v60
	v_add_co_ci_u32_e64 v62, null, v57, v77, vcc_lo
	s_mov_b32 s6, 0
	global_store_dword v[61:62], v63, off
.LBB54_92:
	v_mov_b32_e32 v61, 0
	s_andn2_b32 vcc_lo, exec_lo, s6
	s_cbranch_vccnz .LBB54_94
; %bb.93:
	v_add_co_u32 v61, vcc_lo, v58, v76
	v_add_co_ci_u32_e64 v62, null, v59, v77, vcc_lo
	global_load_dword v61, v[61:62], off
	s_waitcnt vmcnt(0)
	v_mul_f32_e32 v63, s3, v61
	v_add_co_u32 v61, vcc_lo, v56, v76
	v_add_co_ci_u32_e64 v62, null, v57, v77, vcc_lo
	v_add_co_u32 v58, vcc_lo, v58, v78
	v_min_f32_e32 v60, v63, v60
	v_add_co_ci_u32_e64 v59, null, v59, v79, vcc_lo
	global_store_dword v[61:62], v60, off
	global_load_dword v58, v[58:59], off
	s_waitcnt vmcnt(0)
	v_mul_f32_e32 v61, s3, v58
.LBB54_94:
	v_add_f32_e32 v53, v1, v53
	v_add_f32_e32 v52, v0, v52
	;; [unrolled: 1-line block ×4, first 2 shown]
	s_waitcnt lgkmcnt(4)
	v_add_f32_e32 v58, v33, v49
	v_add_f32_e32 v59, v32, v48
	v_min3_f32 v52, v52, v53, v119
	v_add_f32_e32 v60, v34, v50
	v_min_f32_e32 v53, v54, v55
	v_add_nc_u32_e32 v54, 24, v138
	v_min3_f32 v58, v59, v58, v120
	v_add_f32_e32 v59, v35, v51
	v_add_co_u32 v56, vcc_lo, v56, v78
	v_min3_f32 v61, v61, v53, v52
	v_mad_i64_i32 v[52:53], null, v54, s2, 0
	v_mad_i64_i32 v[54:55], null, v54, s1, 0
	v_add_co_ci_u32_e64 v57, null, v57, v79, vcc_lo
	v_min3_f32 v58, v60, v59, v58
	s_mov_b32 s6, -1
	v_lshlrev_b64 v[52:53], 2, v[52:53]
	global_store_dword v[56:57], v61, off
	v_lshlrev_b64 v[54:55], 2, v[54:55]
	v_max_f32_e32 v56, v58, v58
	v_add_co_u32 v52, vcc_lo, s4, v52
	v_add_co_ci_u32_e64 v53, null, s5, v53, vcc_lo
	v_add_co_u32 v54, vcc_lo, s8, v54
	v_add_co_ci_u32_e64 v55, null, s9, v55, vcc_lo
	s_mov_b32 vcc_lo, s0
	s_cbranch_vccz .LBB54_96
; %bb.95:
	v_add_co_u32 v57, vcc_lo, v52, v66
	v_min_f32_e32 v59, 0, v56
	v_add_co_ci_u32_e64 v58, null, v53, v67, vcc_lo
	s_mov_b32 s6, 0
	global_store_dword v[57:58], v59, off
.LBB54_96:
	v_mov_b32_e32 v57, 0
	s_andn2_b32 vcc_lo, exec_lo, s6
	s_cbranch_vccnz .LBB54_98
; %bb.97:
	v_add_co_u32 v57, vcc_lo, v54, v66
	v_add_co_ci_u32_e64 v58, null, v55, v67, vcc_lo
	global_load_dword v57, v[57:58], off
	s_waitcnt vmcnt(0)
	v_mul_f32_e32 v59, s3, v57
	v_add_co_u32 v57, vcc_lo, v52, v66
	v_add_co_ci_u32_e64 v58, null, v53, v67, vcc_lo
	v_min_f32_e32 v56, v59, v56
	v_add_co_u32 v59, vcc_lo, v54, v64
	v_add_co_ci_u32_e64 v60, null, v55, v65, vcc_lo
	global_store_dword v[57:58], v56, off
	global_load_dword v56, v[59:60], off
	s_waitcnt vmcnt(0)
	v_mul_f32_e32 v57, s3, v56
.LBB54_98:
	v_add_f32_e32 v56, v29, v49
	v_add_f32_e32 v58, v28, v48
	v_add_f32_e32 v59, v31, v51
	v_add_f32_e32 v60, v30, v50
	v_add_f32_e32 v61, v25, v49
	v_add_f32_e32 v62, v24, v48
	v_min3_f32 v56, v58, v56, v117
	s_mov_b32 s6, -1
	v_min_f32_e32 v58, v60, v59
	v_add_f32_e32 v60, v27, v51
	v_min3_f32 v59, v62, v61, v118
	v_add_f32_e32 v61, v26, v50
	v_min3_f32 v58, v57, v58, v56
	v_add_co_u32 v56, vcc_lo, v52, v64
	v_add_co_ci_u32_e64 v57, null, v53, v65, vcc_lo
	v_min3_f32 v59, v61, v60, v59
	s_mov_b32 vcc_lo, s0
	global_store_dword v[56:57], v58, off
	v_max_f32_e32 v56, v59, v59
	s_cbranch_vccz .LBB54_100
; %bb.99:
	v_add_co_u32 v57, vcc_lo, v52, v70
	v_min_f32_e32 v59, 0, v56
	v_add_co_ci_u32_e64 v58, null, v53, v71, vcc_lo
	s_mov_b32 s6, 0
	global_store_dword v[57:58], v59, off
.LBB54_100:
	v_mov_b32_e32 v57, 0
	s_andn2_b32 vcc_lo, exec_lo, s6
	s_cbranch_vccnz .LBB54_102
; %bb.101:
	v_add_co_u32 v57, vcc_lo, v54, v70
	v_add_co_ci_u32_e64 v58, null, v55, v71, vcc_lo
	global_load_dword v57, v[57:58], off
	s_waitcnt vmcnt(0)
	v_mul_f32_e32 v59, s3, v57
	v_add_co_u32 v57, vcc_lo, v52, v70
	v_add_co_ci_u32_e64 v58, null, v53, v71, vcc_lo
	v_min_f32_e32 v56, v59, v56
	v_add_co_u32 v59, vcc_lo, v54, v68
	v_add_co_ci_u32_e64 v60, null, v55, v69, vcc_lo
	global_store_dword v[57:58], v56, off
	global_load_dword v56, v[59:60], off
	s_waitcnt vmcnt(0)
	v_mul_f32_e32 v57, s3, v56
.LBB54_102:
	v_add_f32_e32 v56, v21, v49
	v_add_f32_e32 v58, v20, v48
	v_add_f32_e32 v59, v23, v51
	v_add_f32_e32 v60, v22, v50
	v_add_f32_e32 v61, v17, v49
	v_add_f32_e32 v62, v16, v48
	v_min3_f32 v56, v58, v56, v116
	s_mov_b32 s6, -1
	v_min_f32_e32 v58, v60, v59
	v_add_f32_e32 v60, v19, v51
	v_min3_f32 v59, v62, v61, v115
	v_add_f32_e32 v61, v18, v50
	v_min3_f32 v58, v57, v58, v56
	v_add_co_u32 v56, vcc_lo, v52, v68
	v_add_co_ci_u32_e64 v57, null, v53, v69, vcc_lo
	v_min3_f32 v59, v61, v60, v59
	s_mov_b32 vcc_lo, s0
	global_store_dword v[56:57], v58, off
	v_max_f32_e32 v56, v59, v59
	;; [unrolled: 46-line block ×3, first 2 shown]
	s_cbranch_vccz .LBB54_108
; %bb.107:
	v_add_co_u32 v57, vcc_lo, v52, v76
	v_min_f32_e32 v59, 0, v56
	v_add_co_ci_u32_e64 v58, null, v53, v77, vcc_lo
	s_mov_b32 s6, 0
	global_store_dword v[57:58], v59, off
.LBB54_108:
	v_mov_b32_e32 v57, 0
	s_andn2_b32 vcc_lo, exec_lo, s6
	s_cbranch_vccnz .LBB54_110
; %bb.109:
	v_add_co_u32 v57, vcc_lo, v54, v76
	v_add_co_ci_u32_e64 v58, null, v55, v77, vcc_lo
	global_load_dword v57, v[57:58], off
	s_waitcnt vmcnt(0)
	v_mul_f32_e32 v59, s3, v57
	v_add_co_u32 v57, vcc_lo, v52, v76
	v_add_co_ci_u32_e64 v58, null, v53, v77, vcc_lo
	v_add_co_u32 v54, vcc_lo, v54, v78
	v_min_f32_e32 v56, v59, v56
	v_add_co_ci_u32_e64 v55, null, v55, v79, vcc_lo
	global_store_dword v[57:58], v56, off
	global_load_dword v54, v[54:55], off
	s_waitcnt vmcnt(0)
	v_mul_f32_e32 v57, s3, v54
.LBB54_110:
	v_add_f32_e32 v49, v1, v49
	v_add_f32_e32 v48, v0, v48
	v_add_f32_e32 v51, v3, v51
	v_add_f32_e32 v50, v2, v50
	s_waitcnt lgkmcnt(3)
	v_add_f32_e32 v54, v33, v45
	v_add_f32_e32 v55, v32, v44
	v_min3_f32 v48, v48, v49, v111
	v_add_f32_e32 v56, v34, v46
	v_min_f32_e32 v49, v50, v51
	v_add_nc_u32_e32 v50, 32, v138
	v_min3_f32 v54, v55, v54, v112
	v_add_f32_e32 v55, v35, v47
	v_add_co_u32 v52, vcc_lo, v52, v78
	v_min3_f32 v57, v57, v49, v48
	v_mad_i64_i32 v[48:49], null, v50, s2, 0
	v_mad_i64_i32 v[50:51], null, v50, s1, 0
	v_add_co_ci_u32_e64 v53, null, v53, v79, vcc_lo
	v_min3_f32 v54, v56, v55, v54
	s_mov_b32 s6, -1
	v_lshlrev_b64 v[48:49], 2, v[48:49]
	global_store_dword v[52:53], v57, off
	v_lshlrev_b64 v[50:51], 2, v[50:51]
	v_max_f32_e32 v52, v54, v54
	v_add_co_u32 v48, vcc_lo, s4, v48
	v_add_co_ci_u32_e64 v49, null, s5, v49, vcc_lo
	v_add_co_u32 v50, vcc_lo, s8, v50
	v_add_co_ci_u32_e64 v51, null, s9, v51, vcc_lo
	s_mov_b32 vcc_lo, s0
	s_cbranch_vccz .LBB54_112
; %bb.111:
	v_add_co_u32 v53, vcc_lo, v48, v66
	v_min_f32_e32 v55, 0, v52
	v_add_co_ci_u32_e64 v54, null, v49, v67, vcc_lo
	s_mov_b32 s6, 0
	global_store_dword v[53:54], v55, off
.LBB54_112:
	v_mov_b32_e32 v53, 0
	s_andn2_b32 vcc_lo, exec_lo, s6
	s_cbranch_vccnz .LBB54_114
; %bb.113:
	v_add_co_u32 v53, vcc_lo, v50, v66
	v_add_co_ci_u32_e64 v54, null, v51, v67, vcc_lo
	global_load_dword v53, v[53:54], off
	s_waitcnt vmcnt(0)
	v_mul_f32_e32 v55, s3, v53
	v_add_co_u32 v53, vcc_lo, v48, v66
	v_add_co_ci_u32_e64 v54, null, v49, v67, vcc_lo
	v_min_f32_e32 v52, v55, v52
	v_add_co_u32 v55, vcc_lo, v50, v64
	v_add_co_ci_u32_e64 v56, null, v51, v65, vcc_lo
	global_store_dword v[53:54], v52, off
	global_load_dword v52, v[55:56], off
	s_waitcnt vmcnt(0)
	v_mul_f32_e32 v53, s3, v52
.LBB54_114:
	v_add_f32_e32 v52, v29, v45
	v_add_f32_e32 v54, v28, v44
	v_add_f32_e32 v55, v31, v47
	v_add_f32_e32 v56, v30, v46
	v_add_f32_e32 v57, v25, v45
	v_add_f32_e32 v58, v24, v44
	v_min3_f32 v52, v54, v52, v109
	s_mov_b32 s6, -1
	v_min_f32_e32 v54, v56, v55
	v_add_f32_e32 v56, v27, v47
	v_min3_f32 v55, v58, v57, v110
	v_add_f32_e32 v57, v26, v46
	v_min3_f32 v54, v53, v54, v52
	v_add_co_u32 v52, vcc_lo, v48, v64
	v_add_co_ci_u32_e64 v53, null, v49, v65, vcc_lo
	v_min3_f32 v55, v57, v56, v55
	s_mov_b32 vcc_lo, s0
	global_store_dword v[52:53], v54, off
	v_max_f32_e32 v52, v55, v55
	s_cbranch_vccz .LBB54_116
; %bb.115:
	v_add_co_u32 v53, vcc_lo, v48, v70
	v_min_f32_e32 v55, 0, v52
	v_add_co_ci_u32_e64 v54, null, v49, v71, vcc_lo
	s_mov_b32 s6, 0
	global_store_dword v[53:54], v55, off
.LBB54_116:
	v_mov_b32_e32 v53, 0
	s_andn2_b32 vcc_lo, exec_lo, s6
	s_cbranch_vccnz .LBB54_118
; %bb.117:
	v_add_co_u32 v53, vcc_lo, v50, v70
	v_add_co_ci_u32_e64 v54, null, v51, v71, vcc_lo
	global_load_dword v53, v[53:54], off
	s_waitcnt vmcnt(0)
	v_mul_f32_e32 v55, s3, v53
	v_add_co_u32 v53, vcc_lo, v48, v70
	v_add_co_ci_u32_e64 v54, null, v49, v71, vcc_lo
	v_min_f32_e32 v52, v55, v52
	v_add_co_u32 v55, vcc_lo, v50, v68
	v_add_co_ci_u32_e64 v56, null, v51, v69, vcc_lo
	global_store_dword v[53:54], v52, off
	global_load_dword v52, v[55:56], off
	s_waitcnt vmcnt(0)
	v_mul_f32_e32 v53, s3, v52
.LBB54_118:
	v_add_f32_e32 v52, v21, v45
	v_add_f32_e32 v54, v20, v44
	v_add_f32_e32 v55, v23, v47
	v_add_f32_e32 v56, v22, v46
	v_add_f32_e32 v57, v17, v45
	v_add_f32_e32 v58, v16, v44
	v_min3_f32 v52, v54, v52, v107
	s_mov_b32 s6, -1
	v_min_f32_e32 v54, v56, v55
	v_add_f32_e32 v56, v19, v47
	v_min3_f32 v55, v58, v57, v108
	v_add_f32_e32 v57, v18, v46
	v_min3_f32 v54, v53, v54, v52
	v_add_co_u32 v52, vcc_lo, v48, v68
	v_add_co_ci_u32_e64 v53, null, v49, v69, vcc_lo
	v_min3_f32 v55, v57, v56, v55
	s_mov_b32 vcc_lo, s0
	global_store_dword v[52:53], v54, off
	v_max_f32_e32 v52, v55, v55
	;; [unrolled: 46-line block ×3, first 2 shown]
	s_cbranch_vccz .LBB54_124
; %bb.123:
	v_add_co_u32 v53, vcc_lo, v48, v76
	v_min_f32_e32 v55, 0, v52
	v_add_co_ci_u32_e64 v54, null, v49, v77, vcc_lo
	s_mov_b32 s6, 0
	global_store_dword v[53:54], v55, off
.LBB54_124:
	v_mov_b32_e32 v53, 0
	s_andn2_b32 vcc_lo, exec_lo, s6
	s_cbranch_vccnz .LBB54_126
; %bb.125:
	v_add_co_u32 v53, vcc_lo, v50, v76
	v_add_co_ci_u32_e64 v54, null, v51, v77, vcc_lo
	global_load_dword v53, v[53:54], off
	s_waitcnt vmcnt(0)
	v_mul_f32_e32 v55, s3, v53
	v_add_co_u32 v53, vcc_lo, v48, v76
	v_add_co_ci_u32_e64 v54, null, v49, v77, vcc_lo
	v_add_co_u32 v50, vcc_lo, v50, v78
	v_min_f32_e32 v52, v55, v52
	v_add_co_ci_u32_e64 v51, null, v51, v79, vcc_lo
	global_store_dword v[53:54], v52, off
	global_load_dword v50, v[50:51], off
	s_waitcnt vmcnt(0)
	v_mul_f32_e32 v53, s3, v50
.LBB54_126:
	v_add_f32_e32 v45, v1, v45
	v_add_f32_e32 v44, v0, v44
	v_add_f32_e32 v47, v3, v47
	v_add_f32_e32 v46, v2, v46
	s_waitcnt lgkmcnt(2)
	v_add_f32_e32 v50, v33, v41
	v_add_f32_e32 v51, v32, v40
	v_min3_f32 v44, v44, v45, v103
	v_add_f32_e32 v52, v34, v42
	v_min_f32_e32 v45, v46, v47
	v_add_nc_u32_e32 v46, 40, v138
	v_min3_f32 v50, v51, v50, v104
	v_add_f32_e32 v51, v35, v43
	v_add_co_u32 v48, vcc_lo, v48, v78
	v_min3_f32 v53, v53, v45, v44
	v_mad_i64_i32 v[44:45], null, v46, s2, 0
	v_mad_i64_i32 v[46:47], null, v46, s1, 0
	v_add_co_ci_u32_e64 v49, null, v49, v79, vcc_lo
	v_min3_f32 v50, v52, v51, v50
	s_mov_b32 s6, -1
	v_lshlrev_b64 v[44:45], 2, v[44:45]
	global_store_dword v[48:49], v53, off
	v_lshlrev_b64 v[46:47], 2, v[46:47]
	v_max_f32_e32 v48, v50, v50
	v_add_co_u32 v44, vcc_lo, s4, v44
	v_add_co_ci_u32_e64 v45, null, s5, v45, vcc_lo
	v_add_co_u32 v46, vcc_lo, s8, v46
	v_add_co_ci_u32_e64 v47, null, s9, v47, vcc_lo
	s_mov_b32 vcc_lo, s0
	s_cbranch_vccz .LBB54_128
; %bb.127:
	v_add_co_u32 v49, vcc_lo, v44, v66
	v_min_f32_e32 v51, 0, v48
	v_add_co_ci_u32_e64 v50, null, v45, v67, vcc_lo
	s_mov_b32 s6, 0
	global_store_dword v[49:50], v51, off
.LBB54_128:
	v_mov_b32_e32 v49, 0
	s_andn2_b32 vcc_lo, exec_lo, s6
	s_cbranch_vccnz .LBB54_130
; %bb.129:
	v_add_co_u32 v49, vcc_lo, v46, v66
	v_add_co_ci_u32_e64 v50, null, v47, v67, vcc_lo
	global_load_dword v49, v[49:50], off
	s_waitcnt vmcnt(0)
	v_mul_f32_e32 v51, s3, v49
	v_add_co_u32 v49, vcc_lo, v44, v66
	v_add_co_ci_u32_e64 v50, null, v45, v67, vcc_lo
	v_min_f32_e32 v48, v51, v48
	v_add_co_u32 v51, vcc_lo, v46, v64
	v_add_co_ci_u32_e64 v52, null, v47, v65, vcc_lo
	global_store_dword v[49:50], v48, off
	global_load_dword v48, v[51:52], off
	s_waitcnt vmcnt(0)
	v_mul_f32_e32 v49, s3, v48
.LBB54_130:
	v_add_f32_e32 v48, v29, v41
	v_add_f32_e32 v50, v28, v40
	v_add_f32_e32 v51, v31, v43
	v_add_f32_e32 v52, v30, v42
	v_add_f32_e32 v53, v25, v41
	v_add_f32_e32 v54, v24, v40
	v_min3_f32 v48, v50, v48, v101
	s_mov_b32 s6, -1
	v_min_f32_e32 v50, v52, v51
	v_add_f32_e32 v52, v27, v43
	v_min3_f32 v51, v54, v53, v102
	v_add_f32_e32 v53, v26, v42
	v_min3_f32 v50, v49, v50, v48
	v_add_co_u32 v48, vcc_lo, v44, v64
	v_add_co_ci_u32_e64 v49, null, v45, v65, vcc_lo
	v_min3_f32 v51, v53, v52, v51
	s_mov_b32 vcc_lo, s0
	global_store_dword v[48:49], v50, off
	v_max_f32_e32 v48, v51, v51
	s_cbranch_vccz .LBB54_132
; %bb.131:
	v_add_co_u32 v49, vcc_lo, v44, v70
	v_min_f32_e32 v51, 0, v48
	v_add_co_ci_u32_e64 v50, null, v45, v71, vcc_lo
	s_mov_b32 s6, 0
	global_store_dword v[49:50], v51, off
.LBB54_132:
	v_mov_b32_e32 v49, 0
	s_andn2_b32 vcc_lo, exec_lo, s6
	s_cbranch_vccnz .LBB54_134
; %bb.133:
	v_add_co_u32 v49, vcc_lo, v46, v70
	v_add_co_ci_u32_e64 v50, null, v47, v71, vcc_lo
	global_load_dword v49, v[49:50], off
	s_waitcnt vmcnt(0)
	v_mul_f32_e32 v51, s3, v49
	v_add_co_u32 v49, vcc_lo, v44, v70
	v_add_co_ci_u32_e64 v50, null, v45, v71, vcc_lo
	v_min_f32_e32 v48, v51, v48
	v_add_co_u32 v51, vcc_lo, v46, v68
	v_add_co_ci_u32_e64 v52, null, v47, v69, vcc_lo
	global_store_dword v[49:50], v48, off
	global_load_dword v48, v[51:52], off
	s_waitcnt vmcnt(0)
	v_mul_f32_e32 v49, s3, v48
.LBB54_134:
	v_add_f32_e32 v48, v21, v41
	v_add_f32_e32 v50, v20, v40
	v_add_f32_e32 v51, v23, v43
	v_add_f32_e32 v52, v22, v42
	v_add_f32_e32 v53, v17, v41
	v_add_f32_e32 v54, v16, v40
	v_min3_f32 v48, v50, v48, v99
	s_mov_b32 s6, -1
	v_min_f32_e32 v50, v52, v51
	v_add_f32_e32 v52, v19, v43
	v_min3_f32 v51, v54, v53, v100
	v_add_f32_e32 v53, v18, v42
	v_min3_f32 v50, v49, v50, v48
	v_add_co_u32 v48, vcc_lo, v44, v68
	v_add_co_ci_u32_e64 v49, null, v45, v69, vcc_lo
	v_min3_f32 v51, v53, v52, v51
	s_mov_b32 vcc_lo, s0
	global_store_dword v[48:49], v50, off
	v_max_f32_e32 v48, v51, v51
	;; [unrolled: 46-line block ×3, first 2 shown]
	s_cbranch_vccz .LBB54_140
; %bb.139:
	v_add_co_u32 v49, vcc_lo, v44, v76
	v_min_f32_e32 v51, 0, v48
	v_add_co_ci_u32_e64 v50, null, v45, v77, vcc_lo
	s_mov_b32 s6, 0
	global_store_dword v[49:50], v51, off
.LBB54_140:
	v_mov_b32_e32 v49, 0
	s_andn2_b32 vcc_lo, exec_lo, s6
	s_cbranch_vccnz .LBB54_142
; %bb.141:
	v_add_co_u32 v49, vcc_lo, v46, v76
	v_add_co_ci_u32_e64 v50, null, v47, v77, vcc_lo
	global_load_dword v49, v[49:50], off
	s_waitcnt vmcnt(0)
	v_mul_f32_e32 v51, s3, v49
	v_add_co_u32 v49, vcc_lo, v44, v76
	v_add_co_ci_u32_e64 v50, null, v45, v77, vcc_lo
	v_add_co_u32 v46, vcc_lo, v46, v78
	v_min_f32_e32 v48, v51, v48
	v_add_co_ci_u32_e64 v47, null, v47, v79, vcc_lo
	global_store_dword v[49:50], v48, off
	global_load_dword v46, v[46:47], off
	s_waitcnt vmcnt(0)
	v_mul_f32_e32 v49, s3, v46
.LBB54_142:
	v_add_f32_e32 v41, v1, v41
	v_add_f32_e32 v40, v0, v40
	;; [unrolled: 1-line block ×4, first 2 shown]
	s_waitcnt lgkmcnt(1)
	v_add_f32_e32 v46, v33, v37
	v_add_f32_e32 v47, v32, v36
	v_min3_f32 v40, v40, v41, v95
	v_add_f32_e32 v48, v34, v38
	v_min_f32_e32 v41, v42, v43
	v_add_nc_u32_e32 v42, 48, v138
	v_min3_f32 v46, v47, v46, v96
	v_add_f32_e32 v47, v35, v39
	v_add_co_u32 v44, vcc_lo, v44, v78
	v_min3_f32 v49, v49, v41, v40
	v_mad_i64_i32 v[40:41], null, v42, s2, 0
	v_mad_i64_i32 v[42:43], null, v42, s1, 0
	v_add_co_ci_u32_e64 v45, null, v45, v79, vcc_lo
	v_min3_f32 v46, v48, v47, v46
	s_mov_b32 s6, -1
	v_lshlrev_b64 v[40:41], 2, v[40:41]
	global_store_dword v[44:45], v49, off
	v_lshlrev_b64 v[42:43], 2, v[42:43]
	v_max_f32_e32 v44, v46, v46
	v_add_co_u32 v40, vcc_lo, s4, v40
	v_add_co_ci_u32_e64 v41, null, s5, v41, vcc_lo
	v_add_co_u32 v42, vcc_lo, s8, v42
	v_add_co_ci_u32_e64 v43, null, s9, v43, vcc_lo
	s_mov_b32 vcc_lo, s0
	s_cbranch_vccz .LBB54_144
; %bb.143:
	v_add_co_u32 v45, vcc_lo, v40, v66
	v_min_f32_e32 v47, 0, v44
	v_add_co_ci_u32_e64 v46, null, v41, v67, vcc_lo
	s_mov_b32 s6, 0
	global_store_dword v[45:46], v47, off
.LBB54_144:
	v_mov_b32_e32 v45, 0
	s_andn2_b32 vcc_lo, exec_lo, s6
	s_cbranch_vccnz .LBB54_146
; %bb.145:
	v_add_co_u32 v45, vcc_lo, v42, v66
	v_add_co_ci_u32_e64 v46, null, v43, v67, vcc_lo
	global_load_dword v45, v[45:46], off
	s_waitcnt vmcnt(0)
	v_mul_f32_e32 v47, s3, v45
	v_add_co_u32 v45, vcc_lo, v40, v66
	v_add_co_ci_u32_e64 v46, null, v41, v67, vcc_lo
	v_min_f32_e32 v44, v47, v44
	v_add_co_u32 v47, vcc_lo, v42, v64
	v_add_co_ci_u32_e64 v48, null, v43, v65, vcc_lo
	global_store_dword v[45:46], v44, off
	global_load_dword v44, v[47:48], off
	s_waitcnt vmcnt(0)
	v_mul_f32_e32 v45, s3, v44
.LBB54_146:
	v_add_f32_e32 v44, v29, v37
	v_add_f32_e32 v46, v28, v36
	v_add_f32_e32 v47, v31, v39
	v_add_f32_e32 v48, v30, v38
	v_add_f32_e32 v49, v25, v37
	v_add_f32_e32 v50, v24, v36
	v_min3_f32 v44, v46, v44, v93
	s_mov_b32 s6, -1
	v_min_f32_e32 v46, v48, v47
	v_add_f32_e32 v48, v27, v39
	v_min3_f32 v47, v50, v49, v94
	v_add_f32_e32 v49, v26, v38
	v_min3_f32 v46, v45, v46, v44
	v_add_co_u32 v44, vcc_lo, v40, v64
	v_add_co_ci_u32_e64 v45, null, v41, v65, vcc_lo
	v_min3_f32 v47, v49, v48, v47
	s_mov_b32 vcc_lo, s0
	global_store_dword v[44:45], v46, off
	v_max_f32_e32 v44, v47, v47
	s_cbranch_vccz .LBB54_148
; %bb.147:
	v_add_co_u32 v45, vcc_lo, v40, v70
	v_min_f32_e32 v47, 0, v44
	v_add_co_ci_u32_e64 v46, null, v41, v71, vcc_lo
	s_mov_b32 s6, 0
	global_store_dword v[45:46], v47, off
.LBB54_148:
	v_mov_b32_e32 v45, 0
	s_andn2_b32 vcc_lo, exec_lo, s6
	s_cbranch_vccnz .LBB54_150
; %bb.149:
	v_add_co_u32 v45, vcc_lo, v42, v70
	v_add_co_ci_u32_e64 v46, null, v43, v71, vcc_lo
	global_load_dword v45, v[45:46], off
	s_waitcnt vmcnt(0)
	v_mul_f32_e32 v47, s3, v45
	v_add_co_u32 v45, vcc_lo, v40, v70
	v_add_co_ci_u32_e64 v46, null, v41, v71, vcc_lo
	v_min_f32_e32 v44, v47, v44
	v_add_co_u32 v47, vcc_lo, v42, v68
	v_add_co_ci_u32_e64 v48, null, v43, v69, vcc_lo
	global_store_dword v[45:46], v44, off
	global_load_dword v44, v[47:48], off
	s_waitcnt vmcnt(0)
	v_mul_f32_e32 v45, s3, v44
.LBB54_150:
	v_add_f32_e32 v44, v21, v37
	v_add_f32_e32 v46, v20, v36
	v_add_f32_e32 v47, v23, v39
	v_add_f32_e32 v48, v22, v38
	v_add_f32_e32 v49, v17, v37
	v_add_f32_e32 v50, v16, v36
	v_min3_f32 v44, v46, v44, v91
	s_mov_b32 s6, -1
	v_min_f32_e32 v46, v48, v47
	v_add_f32_e32 v48, v19, v39
	v_min3_f32 v47, v50, v49, v92
	v_add_f32_e32 v49, v18, v38
	v_min3_f32 v46, v45, v46, v44
	v_add_co_u32 v44, vcc_lo, v40, v68
	v_add_co_ci_u32_e64 v45, null, v41, v69, vcc_lo
	v_min3_f32 v47, v49, v48, v47
	s_mov_b32 vcc_lo, s0
	global_store_dword v[44:45], v46, off
	v_max_f32_e32 v44, v47, v47
	;; [unrolled: 46-line block ×3, first 2 shown]
	s_cbranch_vccz .LBB54_156
; %bb.155:
	v_add_co_u32 v45, vcc_lo, v40, v76
	v_min_f32_e32 v47, 0, v44
	v_add_co_ci_u32_e64 v46, null, v41, v77, vcc_lo
	s_mov_b32 s6, 0
	global_store_dword v[45:46], v47, off
.LBB54_156:
	v_mov_b32_e32 v45, 0
	s_andn2_b32 vcc_lo, exec_lo, s6
	s_cbranch_vccnz .LBB54_158
; %bb.157:
	v_add_co_u32 v45, vcc_lo, v42, v76
	v_add_co_ci_u32_e64 v46, null, v43, v77, vcc_lo
	global_load_dword v45, v[45:46], off
	s_waitcnt vmcnt(0)
	v_mul_f32_e32 v47, s3, v45
	v_add_co_u32 v45, vcc_lo, v40, v76
	v_add_co_ci_u32_e64 v46, null, v41, v77, vcc_lo
	v_add_co_u32 v42, vcc_lo, v42, v78
	v_min_f32_e32 v44, v47, v44
	v_add_co_ci_u32_e64 v43, null, v43, v79, vcc_lo
	global_store_dword v[45:46], v44, off
	global_load_dword v42, v[42:43], off
	s_waitcnt vmcnt(0)
	v_mul_f32_e32 v45, s3, v42
.LBB54_158:
	v_add_f32_e32 v37, v1, v37
	v_add_f32_e32 v36, v0, v36
	;; [unrolled: 1-line block ×4, first 2 shown]
	s_waitcnt lgkmcnt(0)
	v_add_f32_e32 v33, v33, v5
	v_add_f32_e32 v32, v32, v4
	v_min3_f32 v36, v36, v37, v87
	v_add_f32_e32 v42, v35, v7
	v_min_f32_e32 v37, v38, v39
	v_add_nc_u32_e32 v39, 56, v138
	v_min3_f32 v38, v32, v33, v88
	v_add_f32_e32 v43, v34, v6
	v_min3_f32 v44, v45, v37, v36
	v_mad_i64_i32 v[32:33], null, v39, s2, 0
	v_mad_i64_i32 v[34:35], null, v39, s1, 0
	v_add_co_u32 v36, vcc_lo, v40, v78
	v_add_co_ci_u32_e64 v37, null, v41, v79, vcc_lo
	v_lshlrev_b64 v[32:33], 2, v[32:33]
	v_min3_f32 v38, v43, v42, v38
	v_lshlrev_b64 v[34:35], 2, v[34:35]
	global_store_dword v[36:37], v44, off
	s_mov_b32 s1, -1
	v_add_co_u32 v32, vcc_lo, s4, v32
	v_add_co_ci_u32_e64 v33, null, s5, v33, vcc_lo
	v_add_co_u32 v34, vcc_lo, s8, v34
	v_add_co_ci_u32_e64 v35, null, s9, v35, vcc_lo
	v_max_f32_e32 v36, v38, v38
	s_mov_b32 vcc_lo, s0
	s_cbranch_vccz .LBB54_160
; %bb.159:
	v_add_co_u32 v37, vcc_lo, v32, v66
	v_min_f32_e32 v39, 0, v36
	v_add_co_ci_u32_e64 v38, null, v33, v67, vcc_lo
	s_mov_b32 s1, 0
	global_store_dword v[37:38], v39, off
.LBB54_160:
	v_mov_b32_e32 v37, 0
	s_andn2_b32 vcc_lo, exec_lo, s1
	s_cbranch_vccnz .LBB54_162
; %bb.161:
	v_add_co_u32 v37, vcc_lo, v34, v66
	v_add_co_ci_u32_e64 v38, null, v35, v67, vcc_lo
	global_load_dword v37, v[37:38], off
	s_waitcnt vmcnt(0)
	v_mul_f32_e32 v39, s3, v37
	v_add_co_u32 v37, vcc_lo, v32, v66
	v_add_co_ci_u32_e64 v38, null, v33, v67, vcc_lo
	v_min_f32_e32 v36, v39, v36
	v_add_co_u32 v39, vcc_lo, v34, v64
	v_add_co_ci_u32_e64 v40, null, v35, v65, vcc_lo
	global_store_dword v[37:38], v36, off
	global_load_dword v36, v[39:40], off
	s_waitcnt vmcnt(0)
	v_mul_f32_e32 v37, s3, v36
.LBB54_162:
	v_add_f32_e32 v29, v29, v5
	v_add_f32_e32 v28, v28, v4
	v_add_f32_e32 v31, v31, v7
	v_add_f32_e32 v30, v30, v6
	v_add_f32_e32 v25, v25, v5
	v_add_f32_e32 v24, v24, v4
	v_min3_f32 v28, v28, v29, v86
	v_add_f32_e32 v27, v27, v7
	v_min_f32_e32 v29, v30, v31
	v_add_f32_e32 v26, v26, v6
	v_min3_f32 v30, v24, v25, v85
	v_add_co_u32 v24, vcc_lo, v32, v64
	v_min3_f32 v28, v37, v29, v28
	v_add_co_ci_u32_e64 v25, null, v33, v65, vcc_lo
	v_min3_f32 v26, v26, v27, v30
	s_mov_b32 s1, -1
	s_mov_b32 vcc_lo, s0
	global_store_dword v[24:25], v28, off
	v_max_f32_e32 v24, v26, v26
	s_cbranch_vccz .LBB54_164
; %bb.163:
	v_add_co_u32 v25, vcc_lo, v32, v70
	v_min_f32_e32 v27, 0, v24
	v_add_co_ci_u32_e64 v26, null, v33, v71, vcc_lo
	s_mov_b32 s1, 0
	global_store_dword v[25:26], v27, off
.LBB54_164:
	v_mov_b32_e32 v25, 0
	s_andn2_b32 vcc_lo, exec_lo, s1
	s_cbranch_vccnz .LBB54_166
; %bb.165:
	v_add_co_u32 v25, vcc_lo, v34, v70
	v_add_co_ci_u32_e64 v26, null, v35, v71, vcc_lo
	global_load_dword v25, v[25:26], off
	s_waitcnt vmcnt(0)
	v_mul_f32_e32 v27, s3, v25
	v_add_co_u32 v25, vcc_lo, v32, v70
	v_add_co_ci_u32_e64 v26, null, v33, v71, vcc_lo
	v_min_f32_e32 v24, v27, v24
	v_add_co_u32 v27, vcc_lo, v34, v68
	v_add_co_ci_u32_e64 v28, null, v35, v69, vcc_lo
	global_store_dword v[25:26], v24, off
	global_load_dword v24, v[27:28], off
	s_waitcnt vmcnt(0)
	v_mul_f32_e32 v25, s3, v24
.LBB54_166:
	v_add_f32_e32 v21, v21, v5
	v_add_f32_e32 v20, v20, v4
	v_add_f32_e32 v23, v23, v7
	v_add_f32_e32 v22, v22, v6
	v_add_f32_e32 v17, v17, v5
	v_add_f32_e32 v16, v16, v4
	v_min3_f32 v20, v20, v21, v82
	v_add_f32_e32 v19, v19, v7
	v_min_f32_e32 v21, v22, v23
	v_add_f32_e32 v18, v18, v6
	v_min3_f32 v22, v16, v17, v83
	v_add_co_u32 v16, vcc_lo, v32, v68
	v_min3_f32 v20, v25, v21, v20
	v_add_co_ci_u32_e64 v17, null, v33, v69, vcc_lo
	v_min3_f32 v18, v18, v19, v22
	s_mov_b32 s1, -1
	s_mov_b32 vcc_lo, s0
	global_store_dword v[16:17], v20, off
	v_max_f32_e32 v16, v18, v18
	;; [unrolled: 46-line block ×3, first 2 shown]
	s_cbranch_vccz .LBB54_172
; %bb.171:
	v_add_co_u32 v9, vcc_lo, v32, v76
	v_min_f32_e32 v11, 0, v8
	v_add_co_ci_u32_e64 v10, null, v33, v77, vcc_lo
	s_mov_b32 s1, 0
	global_store_dword v[9:10], v11, off
.LBB54_172:
	v_mov_b32_e32 v9, 0
	s_andn2_b32 vcc_lo, exec_lo, s1
	s_cbranch_vccnz .LBB54_174
; %bb.173:
	v_add_co_u32 v9, vcc_lo, v34, v76
	v_add_co_ci_u32_e64 v10, null, v35, v77, vcc_lo
	global_load_dword v9, v[9:10], off
	s_waitcnt vmcnt(0)
	v_mul_f32_e32 v11, s3, v9
	v_add_co_u32 v9, vcc_lo, v32, v76
	v_add_co_ci_u32_e64 v10, null, v33, v77, vcc_lo
	v_min_f32_e32 v8, v11, v8
	v_add_co_u32 v11, vcc_lo, v34, v78
	v_add_co_ci_u32_e64 v12, null, v35, v79, vcc_lo
	global_store_dword v[9:10], v8, off
	global_load_dword v8, v[11:12], off
	s_waitcnt vmcnt(0)
	v_mul_f32_e32 v9, s3, v8
.LBB54_174:
	v_add_f32_e32 v3, v3, v7
	v_add_f32_e32 v2, v2, v6
	;; [unrolled: 1-line block ×4, first 2 shown]
	v_min_f32_e32 v2, v2, v3
	v_min3_f32 v0, v0, v1, v84
	v_min3_f32 v2, v9, v2, v0
	v_add_co_u32 v0, vcc_lo, v32, v78
	v_add_co_ci_u32_e64 v1, null, v33, v79, vcc_lo
	global_store_dword v[0:1], v2, off
	s_endpgm
	.section	.rodata,"a",@progbits
	.p2align	6, 0x0
	.amdhsa_kernel _ZN12_GLOBAL__N_120geam_min_plus_kernelIf15HIP_vector_typeIfLj2EEfLi32ELi8ELi256ELi64ELi4ELi64ELi4ELi4ELi64ELc78ELc78ELb0ELb0ELb1EPKfS3_fEEviiiT16_PT17_ilS7_ilS5_S7_ilPT18_ili26rocblas_geam_ex_operation_
		.amdhsa_group_segment_fixed_size 10240
		.amdhsa_private_segment_fixed_size 0
		.amdhsa_kernarg_size 136
		.amdhsa_user_sgpr_count 6
		.amdhsa_user_sgpr_private_segment_buffer 1
		.amdhsa_user_sgpr_dispatch_ptr 0
		.amdhsa_user_sgpr_queue_ptr 0
		.amdhsa_user_sgpr_kernarg_segment_ptr 1
		.amdhsa_user_sgpr_dispatch_id 0
		.amdhsa_user_sgpr_flat_scratch_init 0
		.amdhsa_user_sgpr_private_segment_size 0
		.amdhsa_wavefront_size32 1
		.amdhsa_uses_dynamic_stack 0
		.amdhsa_system_sgpr_private_segment_wavefront_offset 0
		.amdhsa_system_sgpr_workgroup_id_x 1
		.amdhsa_system_sgpr_workgroup_id_y 0
		.amdhsa_system_sgpr_workgroup_id_z 1
		.amdhsa_system_sgpr_workgroup_info 0
		.amdhsa_system_vgpr_workitem_id 1
		.amdhsa_next_free_vgpr 168
		.amdhsa_next_free_sgpr 25
		.amdhsa_reserve_vcc 1
		.amdhsa_reserve_flat_scratch 0
		.amdhsa_float_round_mode_32 0
		.amdhsa_float_round_mode_16_64 0
		.amdhsa_float_denorm_mode_32 3
		.amdhsa_float_denorm_mode_16_64 3
		.amdhsa_dx10_clamp 1
		.amdhsa_ieee_mode 1
		.amdhsa_fp16_overflow 0
		.amdhsa_workgroup_processor_mode 1
		.amdhsa_memory_ordered 1
		.amdhsa_forward_progress 1
		.amdhsa_shared_vgpr_count 0
		.amdhsa_exception_fp_ieee_invalid_op 0
		.amdhsa_exception_fp_denorm_src 0
		.amdhsa_exception_fp_ieee_div_zero 0
		.amdhsa_exception_fp_ieee_overflow 0
		.amdhsa_exception_fp_ieee_underflow 0
		.amdhsa_exception_fp_ieee_inexact 0
		.amdhsa_exception_int_div_zero 0
	.end_amdhsa_kernel
	.section	.text._ZN12_GLOBAL__N_120geam_min_plus_kernelIf15HIP_vector_typeIfLj2EEfLi32ELi8ELi256ELi64ELi4ELi64ELi4ELi4ELi64ELc78ELc78ELb0ELb0ELb1EPKfS3_fEEviiiT16_PT17_ilS7_ilS5_S7_ilPT18_ili26rocblas_geam_ex_operation_,"axG",@progbits,_ZN12_GLOBAL__N_120geam_min_plus_kernelIf15HIP_vector_typeIfLj2EEfLi32ELi8ELi256ELi64ELi4ELi64ELi4ELi4ELi64ELc78ELc78ELb0ELb0ELb1EPKfS3_fEEviiiT16_PT17_ilS7_ilS5_S7_ilPT18_ili26rocblas_geam_ex_operation_,comdat
.Lfunc_end54:
	.size	_ZN12_GLOBAL__N_120geam_min_plus_kernelIf15HIP_vector_typeIfLj2EEfLi32ELi8ELi256ELi64ELi4ELi64ELi4ELi4ELi64ELc78ELc78ELb0ELb0ELb1EPKfS3_fEEviiiT16_PT17_ilS7_ilS5_S7_ilPT18_ili26rocblas_geam_ex_operation_, .Lfunc_end54-_ZN12_GLOBAL__N_120geam_min_plus_kernelIf15HIP_vector_typeIfLj2EEfLi32ELi8ELi256ELi64ELi4ELi64ELi4ELi4ELi64ELc78ELc78ELb0ELb0ELb1EPKfS3_fEEviiiT16_PT17_ilS7_ilS5_S7_ilPT18_ili26rocblas_geam_ex_operation_
                                        ; -- End function
	.set _ZN12_GLOBAL__N_120geam_min_plus_kernelIf15HIP_vector_typeIfLj2EEfLi32ELi8ELi256ELi64ELi4ELi64ELi4ELi4ELi64ELc78ELc78ELb0ELb0ELb1EPKfS3_fEEviiiT16_PT17_ilS7_ilS5_S7_ilPT18_ili26rocblas_geam_ex_operation_.num_vgpr, 168
	.set _ZN12_GLOBAL__N_120geam_min_plus_kernelIf15HIP_vector_typeIfLj2EEfLi32ELi8ELi256ELi64ELi4ELi64ELi4ELi4ELi64ELc78ELc78ELb0ELb0ELb1EPKfS3_fEEviiiT16_PT17_ilS7_ilS5_S7_ilPT18_ili26rocblas_geam_ex_operation_.num_agpr, 0
	.set _ZN12_GLOBAL__N_120geam_min_plus_kernelIf15HIP_vector_typeIfLj2EEfLi32ELi8ELi256ELi64ELi4ELi64ELi4ELi4ELi64ELc78ELc78ELb0ELb0ELb1EPKfS3_fEEviiiT16_PT17_ilS7_ilS5_S7_ilPT18_ili26rocblas_geam_ex_operation_.numbered_sgpr, 25
	.set _ZN12_GLOBAL__N_120geam_min_plus_kernelIf15HIP_vector_typeIfLj2EEfLi32ELi8ELi256ELi64ELi4ELi64ELi4ELi4ELi64ELc78ELc78ELb0ELb0ELb1EPKfS3_fEEviiiT16_PT17_ilS7_ilS5_S7_ilPT18_ili26rocblas_geam_ex_operation_.num_named_barrier, 0
	.set _ZN12_GLOBAL__N_120geam_min_plus_kernelIf15HIP_vector_typeIfLj2EEfLi32ELi8ELi256ELi64ELi4ELi64ELi4ELi4ELi64ELc78ELc78ELb0ELb0ELb1EPKfS3_fEEviiiT16_PT17_ilS7_ilS5_S7_ilPT18_ili26rocblas_geam_ex_operation_.private_seg_size, 0
	.set _ZN12_GLOBAL__N_120geam_min_plus_kernelIf15HIP_vector_typeIfLj2EEfLi32ELi8ELi256ELi64ELi4ELi64ELi4ELi4ELi64ELc78ELc78ELb0ELb0ELb1EPKfS3_fEEviiiT16_PT17_ilS7_ilS5_S7_ilPT18_ili26rocblas_geam_ex_operation_.uses_vcc, 1
	.set _ZN12_GLOBAL__N_120geam_min_plus_kernelIf15HIP_vector_typeIfLj2EEfLi32ELi8ELi256ELi64ELi4ELi64ELi4ELi4ELi64ELc78ELc78ELb0ELb0ELb1EPKfS3_fEEviiiT16_PT17_ilS7_ilS5_S7_ilPT18_ili26rocblas_geam_ex_operation_.uses_flat_scratch, 0
	.set _ZN12_GLOBAL__N_120geam_min_plus_kernelIf15HIP_vector_typeIfLj2EEfLi32ELi8ELi256ELi64ELi4ELi64ELi4ELi4ELi64ELc78ELc78ELb0ELb0ELb1EPKfS3_fEEviiiT16_PT17_ilS7_ilS5_S7_ilPT18_ili26rocblas_geam_ex_operation_.has_dyn_sized_stack, 0
	.set _ZN12_GLOBAL__N_120geam_min_plus_kernelIf15HIP_vector_typeIfLj2EEfLi32ELi8ELi256ELi64ELi4ELi64ELi4ELi4ELi64ELc78ELc78ELb0ELb0ELb1EPKfS3_fEEviiiT16_PT17_ilS7_ilS5_S7_ilPT18_ili26rocblas_geam_ex_operation_.has_recursion, 0
	.set _ZN12_GLOBAL__N_120geam_min_plus_kernelIf15HIP_vector_typeIfLj2EEfLi32ELi8ELi256ELi64ELi4ELi64ELi4ELi4ELi64ELc78ELc78ELb0ELb0ELb1EPKfS3_fEEviiiT16_PT17_ilS7_ilS5_S7_ilPT18_ili26rocblas_geam_ex_operation_.has_indirect_call, 0
	.section	.AMDGPU.csdata,"",@progbits
; Kernel info:
; codeLenInByte = 17608
; TotalNumSgprs: 27
; NumVgprs: 168
; ScratchSize: 0
; MemoryBound: 0
; FloatMode: 240
; IeeeMode: 1
; LDSByteSize: 10240 bytes/workgroup (compile time only)
; SGPRBlocks: 0
; VGPRBlocks: 20
; NumSGPRsForWavesPerEU: 27
; NumVGPRsForWavesPerEU: 168
; Occupancy: 5
; WaveLimiterHint : 1
; COMPUTE_PGM_RSRC2:SCRATCH_EN: 0
; COMPUTE_PGM_RSRC2:USER_SGPR: 6
; COMPUTE_PGM_RSRC2:TRAP_HANDLER: 0
; COMPUTE_PGM_RSRC2:TGID_X_EN: 1
; COMPUTE_PGM_RSRC2:TGID_Y_EN: 0
; COMPUTE_PGM_RSRC2:TGID_Z_EN: 1
; COMPUTE_PGM_RSRC2:TIDIG_COMP_CNT: 1
	.section	.text._ZN12_GLOBAL__N_120geam_min_plus_kernelIf15HIP_vector_typeIfLj2EEfLi32ELi8ELi256ELi64ELi4ELi64ELi4ELi4ELi64ELc78ELc78ELb1ELb0ELb1EfKffEEviiiT16_PT17_ilS6_ilS4_S6_ilPT18_ili26rocblas_geam_ex_operation_,"axG",@progbits,_ZN12_GLOBAL__N_120geam_min_plus_kernelIf15HIP_vector_typeIfLj2EEfLi32ELi8ELi256ELi64ELi4ELi64ELi4ELi4ELi64ELc78ELc78ELb1ELb0ELb1EfKffEEviiiT16_PT17_ilS6_ilS4_S6_ilPT18_ili26rocblas_geam_ex_operation_,comdat
	.globl	_ZN12_GLOBAL__N_120geam_min_plus_kernelIf15HIP_vector_typeIfLj2EEfLi32ELi8ELi256ELi64ELi4ELi64ELi4ELi4ELi64ELc78ELc78ELb1ELb0ELb1EfKffEEviiiT16_PT17_ilS6_ilS4_S6_ilPT18_ili26rocblas_geam_ex_operation_ ; -- Begin function _ZN12_GLOBAL__N_120geam_min_plus_kernelIf15HIP_vector_typeIfLj2EEfLi32ELi8ELi256ELi64ELi4ELi64ELi4ELi4ELi64ELc78ELc78ELb1ELb0ELb1EfKffEEviiiT16_PT17_ilS6_ilS4_S6_ilPT18_ili26rocblas_geam_ex_operation_
	.p2align	8
	.type	_ZN12_GLOBAL__N_120geam_min_plus_kernelIf15HIP_vector_typeIfLj2EEfLi32ELi8ELi256ELi64ELi4ELi64ELi4ELi4ELi64ELc78ELc78ELb1ELb0ELb1EfKffEEviiiT16_PT17_ilS6_ilS4_S6_ilPT18_ili26rocblas_geam_ex_operation_,@function
_ZN12_GLOBAL__N_120geam_min_plus_kernelIf15HIP_vector_typeIfLj2EEfLi32ELi8ELi256ELi64ELi4ELi64ELi4ELi4ELi64ELc78ELc78ELb1ELb0ELb1EfKffEEviiiT16_PT17_ilS6_ilS4_S6_ilPT18_ili26rocblas_geam_ex_operation_: ; @_ZN12_GLOBAL__N_120geam_min_plus_kernelIf15HIP_vector_typeIfLj2EEfLi32ELi8ELi256ELi64ELi4ELi64ELi4ELi4ELi64ELc78ELc78ELb1ELb0ELb1EfKffEEviiiT16_PT17_ilS6_ilS4_S6_ilPT18_ili26rocblas_geam_ex_operation_
; %bb.0:
	s_clause 0x1
	s_load_dwordx2 s[14:15], s[4:5], 0x8
	s_load_dwordx4 s[0:3], s[4:5], 0x20
	s_waitcnt lgkmcnt(0)
	v_cmp_eq_f32_e64 s8, s15, 0
	s_and_b32 vcc_lo, exec_lo, s8
	s_cbranch_vccnz .LBB55_139
; %bb.1:
	s_load_dwordx2 s[10:11], s[4:5], 0x10
	s_mul_i32 s1, s1, s7
	s_mul_hi_u32 s9, s0, s7
	s_mul_i32 s0, s0, s7
	s_add_i32 s1, s9, s1
	s_lshl_b64 s[0:1], s[0:1], 2
	s_waitcnt lgkmcnt(0)
	s_add_u32 s16, s10, s0
	s_addc_u32 s17, s11, s1
	s_andn2_b32 vcc_lo, exec_lo, s8
	s_mov_b32 s0, -1
	s_cbranch_vccnz .LBB55_3
.LBB55_2:
	s_mov_b32 s0, 0
.LBB55_3:
	s_mov_b64 s[12:13], 0
	s_andn2_b32 vcc_lo, exec_lo, s0
	s_mov_b64 s[18:19], 0
	s_cbranch_vccnz .LBB55_5
; %bb.4:
	s_load_dwordx2 s[0:1], s[4:5], 0x38
	s_waitcnt lgkmcnt(0)
	s_mul_i32 s1, s1, s7
	s_mul_hi_u32 s8, s0, s7
	s_mul_i32 s0, s0, s7
	s_add_i32 s1, s8, s1
	s_lshl_b64 s[0:1], s[0:1], 2
	s_add_u32 s18, s2, s0
	s_addc_u32 s19, s3, s1
.LBB55_5:
	s_clause 0x1
	s_load_dword s1, s[4:5], 0x40
	s_load_dwordx4 s[8:11], s[4:5], 0x58
	s_waitcnt lgkmcnt(0)
	v_cmp_eq_f32_e64 s0, s1, 0
	s_and_b32 s0, exec_lo, s0
	s_mov_b32 vcc_lo, s0
	s_cbranch_vccnz .LBB55_7
; %bb.6:
	s_load_dwordx2 s[2:3], s[4:5], 0x48
	s_mul_i32 s9, s9, s7
	s_mul_hi_u32 s12, s8, s7
	s_mul_i32 s8, s8, s7
	s_add_i32 s9, s12, s9
	s_lshl_b64 s[8:9], s[8:9], 2
	s_waitcnt lgkmcnt(0)
	s_add_u32 s12, s2, s8
	s_addc_u32 s13, s3, s9
.LBB55_7:
	s_clause 0x2
	s_load_dword s3, s[4:5], 0x0
	s_load_dword s2, s[4:5], 0x18
	;; [unrolled: 1-line block ×3, first 2 shown]
	v_and_b32_e32 v5, 3, v0
	v_lshlrev_b32_e32 v71, 4, v0
	v_lshlrev_b32_e32 v70, 4, v1
	v_lshlrev_b32_e32 v93, 2, v5
	s_waitcnt lgkmcnt(0)
	s_add_i32 s3, s3, -1
	s_ashr_i32 s8, s3, 31
	s_lshr_b32 s8, s8, 24
	s_add_i32 s3, s3, s8
	s_ashr_i32 s3, s3, 8
	s_add_i32 s8, s3, 1
	s_not_b32 s3, s3
	v_cvt_f32_u32_e32 v2, s8
	v_rcp_iflag_f32_e32 v2, v2
	v_mul_f32_e32 v2, 0x4f7ffffe, v2
	v_cvt_u32_f32_e32 v2, v2
	v_readfirstlane_b32 s15, v2
	v_lshl_add_u32 v2, v1, 5, v0
	s_mul_i32 s3, s3, s15
	v_lshrrev_b32_e32 v79, 6, v2
	s_mul_hi_u32 s3, s15, s3
	v_and_b32_e32 v6, 63, v2
	s_add_i32 s15, s15, s3
	v_lshrrev_b32_e32 v7, 2, v2
	s_mul_hi_u32 s3, s6, s15
	v_mad_i64_i32 v[3:4], null, s2, v79, 0
	s_mul_i32 s15, s3, s8
	s_add_i32 s20, s3, 1
	s_sub_i32 s15, s6, s15
	v_lshl_or_b32 v76, v7, 4, v93
	s_sub_i32 s21, s15, s8
	s_cmp_ge_u32 s15, s8
	v_lshlrev_b64 v[3:4], 2, v[3:4]
	s_cselect_b32 s3, s20, s3
	s_cselect_b32 s15, s21, s15
	s_add_i32 s20, s3, 1
	s_cmp_ge_u32 s15, s8
	s_cselect_b32 s3, s20, s3
	v_add_co_u32 v8, vcc_lo, s16, v3
	s_mul_i32 s8, s3, s8
	v_add_co_ci_u32_e64 v4, null, s17, v4, vcc_lo
	s_sub_i32 s6, s6, s8
	s_lshl_b32 s8, s6, 8
	s_lshl_b32 s6, s3, 6
	v_or_b32_e32 v2, s8, v6
	s_cmp_lt_i32 s14, 9
	v_ashrrev_i32_e32 v3, 31, v2
	v_lshlrev_b64 v[66:67], 2, v[2:3]
	v_add_co_u32 v2, vcc_lo, v8, v66
	v_add_co_ci_u32_e64 v3, null, v4, v67, vcc_lo
	s_clause 0x3
	global_load_dword v8, v[2:3], off
	global_load_dword v9, v[2:3], off offset:256
	global_load_dword v10, v[2:3], off offset:512
	;; [unrolled: 1-line block ×3, first 2 shown]
	v_add_nc_u32_e32 v2, s6, v7
	v_add_nc_u32_e32 v4, 4, v79
	v_mad_i64_i32 v[2:3], null, v2, s9, 0
	v_mad_i64_i32 v[4:5], null, s2, v4, 0
	v_lshlrev_b64 v[68:69], 2, v[2:3]
	v_lshlrev_b64 v[4:5], 2, v[4:5]
	v_add_co_u32 v2, vcc_lo, s18, v68
	v_add_co_ci_u32_e64 v3, null, s19, v69, vcc_lo
	v_add_co_u32 v2, vcc_lo, v2, v93
	v_add_co_ci_u32_e64 v3, null, 0, v3, vcc_lo
	;; [unrolled: 2-line block ×3, first 2 shown]
	global_load_dword v12, v[2:3], off
	v_add_co_u32 v4, vcc_lo, v4, v66
	v_add_co_ci_u32_e64 v5, null, v5, v67, vcc_lo
	s_clause 0x3
	global_load_dword v73, v[4:5], off
	global_load_dword v74, v[4:5], off offset:256
	global_load_dword v75, v[4:5], off offset:512
	;; [unrolled: 1-line block ×4, first 2 shown]
	v_lshlrev_b32_e32 v2, 4, v6
	v_lshl_add_u32 v72, v79, 2, v2
	s_waitcnt vmcnt(8)
	ds_write2st64_b32 v72, v8, v9 offset1:4
	s_waitcnt vmcnt(6)
	ds_write2st64_b32 v72, v10, v11 offset0:8 offset1:12
	s_waitcnt vmcnt(5)
	ds_write_b32 v76, v12 offset:8192
	s_waitcnt vmcnt(0) lgkmcnt(0)
	s_barrier
	buffer_gl0_inv
	ds_read_b128 v[34:37], v71
	ds_read_b128 v[30:33], v71 offset:512
	ds_read_b128 v[22:25], v71 offset:1024
	;; [unrolled: 1-line block ×15, first 2 shown]
	ds_write2st64_b32 v72, v73, v74 offset0:16 offset1:20
	ds_write2st64_b32 v72, v75, v77 offset0:24 offset1:28
	ds_write_b32 v76, v78 offset:9216
	s_waitcnt lgkmcnt(0)
	s_barrier
	buffer_gl0_inv
	v_add_f32_e32 v80, v35, v63
	v_add_f32_e32 v81, v34, v62
	v_min3_f32 v116, v81, v80, 0x7f7fffff
	v_add_f32_e32 v80, v31, v63
	v_add_f32_e32 v81, v30, v62
	;; [unrolled: 1-line block ×3, first 2 shown]
	v_min3_f32 v117, v81, v80, 0x7f7fffff
	v_add_f32_e32 v80, v23, v63
	v_add_f32_e32 v81, v22, v62
	v_min3_f32 v118, v81, v80, 0x7f7fffff
	v_add_f32_e32 v80, v19, v63
	v_add_f32_e32 v81, v18, v62
	v_min3_f32 v119, v81, v80, 0x7f7fffff
	v_add_f32_e32 v80, v15, v63
	v_add_f32_e32 v81, v14, v62
	v_min3_f32 v120, v81, v80, 0x7f7fffff
	v_add_f32_e32 v80, v11, v63
	v_add_f32_e32 v81, v10, v62
	v_min3_f32 v121, v81, v80, 0x7f7fffff
	v_add_f32_e32 v80, v7, v63
	v_add_f32_e32 v81, v6, v62
	v_add_f32_e32 v63, v3, v63
	v_add_f32_e32 v62, v2, v62
	v_min3_f32 v122, v81, v80, 0x7f7fffff
	v_min3_f32 v123, v62, v63, 0x7f7fffff
	v_add_f32_e32 v62, v35, v59
	v_add_f32_e32 v63, v34, v58
	v_min3_f32 v115, v63, v62, 0x7f7fffff
	v_add_f32_e32 v62, v31, v59
	v_add_f32_e32 v63, v30, v58
	v_min3_f32 v114, v63, v62, 0x7f7fffff
	v_add_f32_e32 v62, v23, v59
	v_add_f32_e32 v63, v22, v58
	v_min3_f32 v113, v63, v62, 0x7f7fffff
	v_add_f32_e32 v62, v19, v59
	v_add_f32_e32 v63, v18, v58
	v_min3_f32 v112, v63, v62, 0x7f7fffff
	v_add_f32_e32 v62, v15, v59
	v_add_f32_e32 v63, v14, v58
	v_min3_f32 v111, v63, v62, 0x7f7fffff
	v_add_f32_e32 v62, v11, v59
	v_add_f32_e32 v63, v10, v58
	v_min3_f32 v110, v63, v62, 0x7f7fffff
	v_add_f32_e32 v62, v7, v59
	v_add_f32_e32 v63, v6, v58
	v_add_f32_e32 v59, v3, v59
	v_add_f32_e32 v58, v2, v58
	v_min3_f32 v109, v63, v62, 0x7f7fffff
	v_min3_f32 v108, v58, v59, 0x7f7fffff
	v_add_f32_e32 v58, v35, v55
	v_add_f32_e32 v59, v34, v54
	v_min3_f32 v107, v59, v58, 0x7f7fffff
	v_add_f32_e32 v58, v31, v55
	v_add_f32_e32 v59, v30, v54
	;; [unrolled: 24-line block ×5, first 2 shown]
	v_min3_f32 v81, v47, v46, 0x7f7fffff
	v_add_f32_e32 v46, v23, v43
	v_add_f32_e32 v47, v22, v42
	v_min3_f32 v80, v47, v46, 0x7f7fffff
	v_add_f32_e32 v46, v19, v43
	v_add_f32_e32 v47, v18, v42
	v_min3_f32 v63, v47, v46, 0x7f7fffff
	v_add_f32_e32 v46, v15, v43
	v_add_f32_e32 v47, v14, v42
	v_min3_f32 v62, v47, v46, 0x7f7fffff
	v_add_f32_e32 v46, v11, v43
	v_add_f32_e32 v47, v10, v42
	v_min3_f32 v59, v47, v46, 0x7f7fffff
	v_add_f32_e32 v46, v7, v43
	v_add_f32_e32 v47, v6, v42
	v_add_f32_e32 v43, v3, v43
	v_add_f32_e32 v42, v2, v42
	;; [unrolled: 1-line block ×3, first 2 shown]
	v_min3_f32 v58, v47, v46, 0x7f7fffff
	v_min3_f32 v55, v42, v43, 0x7f7fffff
	v_add_f32_e32 v42, v35, v39
	v_add_f32_e32 v43, v34, v38
	;; [unrolled: 1-line block ×4, first 2 shown]
	v_min3_f32 v54, v43, v42, 0x7f7fffff
	v_add_f32_e32 v42, v31, v39
	v_add_f32_e32 v43, v30, v38
	v_min3_f32 v34, v34, v35, 0x7f7fffff
	v_add_f32_e32 v31, v31, v27
	v_add_f32_e32 v30, v30, v26
	v_min3_f32 v51, v43, v42, 0x7f7fffff
	v_add_f32_e32 v42, v23, v39
	v_add_f32_e32 v43, v22, v38
	v_min3_f32 v30, v30, v31, 0x7f7fffff
	v_add_f32_e32 v23, v23, v27
	v_add_f32_e32 v22, v22, v26
	v_min3_f32 v50, v43, v42, 0x7f7fffff
	v_add_f32_e32 v42, v19, v39
	v_add_f32_e32 v43, v18, v38
	v_min3_f32 v22, v22, v23, 0x7f7fffff
	v_add_f32_e32 v19, v19, v27
	v_add_f32_e32 v18, v18, v26
	v_min3_f32 v47, v43, v42, 0x7f7fffff
	v_add_f32_e32 v42, v15, v39
	v_add_f32_e32 v43, v14, v38
	v_min3_f32 v18, v18, v19, 0x7f7fffff
	v_add_f32_e32 v15, v15, v27
	v_add_f32_e32 v14, v14, v26
	v_min3_f32 v46, v43, v42, 0x7f7fffff
	v_add_f32_e32 v42, v11, v39
	v_add_f32_e32 v43, v10, v38
	v_add_f32_e32 v38, v2, v38
	v_add_f32_e32 v2, v2, v26
	v_min3_f32 v14, v14, v15, 0x7f7fffff
	v_add_f32_e32 v11, v11, v27
	v_min3_f32 v43, v43, v42, 0x7f7fffff
	v_add_f32_e32 v42, v7, v39
	v_add_f32_e32 v39, v3, v39
	;; [unrolled: 1-line block ×5, first 2 shown]
	v_min3_f32 v42, v124, v42, 0x7f7fffff
	v_min3_f32 v38, v38, v39, 0x7f7fffff
	;; [unrolled: 1-line block ×4, first 2 shown]
	v_add_f32_e32 v3, v37, v65
	v_add_f32_e32 v7, v36, v64
	v_min3_f32 v10, v10, v11, 0x7f7fffff
	v_min3_f32 v146, v7, v3, v116
	v_add_f32_e32 v3, v33, v65
	v_add_f32_e32 v7, v32, v64
	v_min3_f32 v143, v7, v3, v117
	v_add_f32_e32 v3, v25, v65
	v_add_f32_e32 v7, v24, v64
	v_min3_f32 v144, v7, v3, v118
	v_add_f32_e32 v3, v21, v65
	v_add_f32_e32 v7, v20, v64
	v_min3_f32 v140, v7, v3, v119
	v_add_f32_e32 v3, v17, v65
	v_add_f32_e32 v7, v16, v64
	v_min3_f32 v141, v7, v3, v120
	v_add_f32_e32 v3, v13, v65
	v_add_f32_e32 v7, v12, v64
	v_min3_f32 v136, v7, v3, v121
	v_add_f32_e32 v3, v9, v65
	v_add_f32_e32 v7, v8, v64
	v_min3_f32 v135, v7, v3, v122
	v_add_f32_e32 v3, v5, v65
	v_add_f32_e32 v7, v4, v64
	v_min3_f32 v131, v7, v3, v123
	v_add_f32_e32 v3, v37, v61
	v_add_f32_e32 v7, v36, v60
	v_min3_f32 v145, v7, v3, v115
	v_add_f32_e32 v3, v33, v61
	v_add_f32_e32 v7, v32, v60
	v_min3_f32 v139, v7, v3, v114
	v_add_f32_e32 v3, v25, v61
	v_add_f32_e32 v7, v24, v60
	v_min3_f32 v142, v7, v3, v113
	v_add_f32_e32 v3, v21, v61
	v_add_f32_e32 v7, v20, v60
	v_min3_f32 v137, v7, v3, v112
	v_add_f32_e32 v3, v17, v61
	v_add_f32_e32 v7, v16, v60
	v_min3_f32 v138, v7, v3, v111
	v_add_f32_e32 v3, v13, v61
	v_add_f32_e32 v7, v12, v60
	v_min3_f32 v132, v7, v3, v110
	v_add_f32_e32 v3, v9, v61
	v_add_f32_e32 v7, v8, v60
	v_min3_f32 v133, v7, v3, v109
	v_add_f32_e32 v3, v5, v61
	v_add_f32_e32 v7, v4, v60
	v_min3_f32 v129, v7, v3, v108
	v_add_f32_e32 v3, v37, v57
	v_add_f32_e32 v7, v36, v56
	v_min3_f32 v134, v7, v3, v107
	v_add_f32_e32 v3, v33, v57
	v_add_f32_e32 v7, v32, v56
	v_min3_f32 v128, v7, v3, v106
	v_add_f32_e32 v3, v25, v57
	v_add_f32_e32 v7, v24, v56
	v_min3_f32 v130, v7, v3, v105
	v_add_f32_e32 v3, v21, v57
	v_add_f32_e32 v7, v20, v56
	v_min3_f32 v126, v7, v3, v104
	v_add_f32_e32 v3, v17, v57
	v_add_f32_e32 v7, v16, v56
	v_min3_f32 v127, v7, v3, v103
	v_add_f32_e32 v3, v13, v57
	v_add_f32_e32 v7, v12, v56
	v_min3_f32 v122, v7, v3, v102
	v_add_f32_e32 v3, v9, v57
	v_add_f32_e32 v7, v8, v56
	v_min3_f32 v124, v7, v3, v101
	v_add_f32_e32 v3, v5, v57
	v_add_f32_e32 v7, v4, v56
	v_min3_f32 v119, v7, v3, v100
	v_add_f32_e32 v3, v37, v53
	v_add_f32_e32 v7, v36, v52
	v_min3_f32 v125, v7, v3, v99
	v_add_f32_e32 v3, v33, v53
	v_add_f32_e32 v7, v32, v52
	v_min3_f32 v118, v7, v3, v98
	v_add_f32_e32 v3, v25, v53
	v_add_f32_e32 v7, v24, v52
	v_min3_f32 v120, v7, v3, v97
	v_add_f32_e32 v3, v21, v53
	v_add_f32_e32 v7, v20, v52
	v_min3_f32 v114, v7, v3, v96
	v_add_f32_e32 v3, v17, v53
	v_add_f32_e32 v7, v16, v52
	v_min3_f32 v116, v7, v3, v95
	v_add_f32_e32 v3, v13, v53
	v_add_f32_e32 v7, v12, v52
	v_min3_f32 v110, v7, v3, v94
	v_add_f32_e32 v3, v9, v53
	v_add_f32_e32 v7, v8, v52
	v_min3_f32 v112, v7, v3, v92
	v_add_f32_e32 v3, v5, v53
	v_add_f32_e32 v7, v4, v52
	v_min3_f32 v106, v7, v3, v91
	v_add_f32_e32 v3, v37, v49
	v_add_f32_e32 v7, v36, v48
	v_min3_f32 v121, v7, v3, v90
	v_add_f32_e32 v3, v33, v49
	v_add_f32_e32 v7, v32, v48
	v_min3_f32 v115, v7, v3, v89
	v_add_f32_e32 v3, v25, v49
	v_add_f32_e32 v7, v24, v48
	v_min3_f32 v117, v7, v3, v88
	v_add_f32_e32 v3, v21, v49
	v_add_f32_e32 v7, v20, v48
	v_min3_f32 v111, v7, v3, v87
	v_add_f32_e32 v3, v17, v49
	v_add_f32_e32 v7, v16, v48
	v_min3_f32 v113, v7, v3, v86
	v_add_f32_e32 v3, v13, v49
	v_add_f32_e32 v7, v12, v48
	v_min3_f32 v107, v7, v3, v85
	v_add_f32_e32 v3, v9, v49
	v_add_f32_e32 v7, v8, v48
	v_min3_f32 v108, v7, v3, v84
	v_add_f32_e32 v3, v5, v49
	v_add_f32_e32 v7, v4, v48
	v_min3_f32 v103, v7, v3, v83
	v_add_f32_e32 v3, v37, v45
	v_add_f32_e32 v7, v36, v44
	v_min3_f32 v109, v7, v3, v82
	v_add_f32_e32 v3, v33, v45
	v_add_f32_e32 v7, v32, v44
	v_min3_f32 v104, v7, v3, v81
	v_add_f32_e32 v3, v25, v45
	v_add_f32_e32 v7, v24, v44
	v_min3_f32 v105, v7, v3, v80
	v_add_f32_e32 v3, v21, v45
	v_add_f32_e32 v7, v20, v44
	v_min3_f32 v101, v7, v3, v63
	v_add_f32_e32 v3, v17, v45
	v_add_f32_e32 v7, v16, v44
	v_min3_f32 v102, v7, v3, v62
	v_add_f32_e32 v3, v13, v45
	v_add_f32_e32 v7, v12, v44
	v_min3_f32 v98, v7, v3, v59
	v_add_f32_e32 v3, v9, v45
	v_add_f32_e32 v7, v8, v44
	v_min3_f32 v99, v7, v3, v58
	v_add_f32_e32 v3, v5, v45
	v_add_f32_e32 v7, v4, v44
	v_min3_f32 v92, v7, v3, v55
	v_add_f32_e32 v3, v37, v41
	v_add_f32_e32 v7, v36, v40
	v_min3_f32 v100, v7, v3, v54
	v_add_f32_e32 v3, v33, v41
	v_add_f32_e32 v7, v32, v40
	v_min3_f32 v96, v7, v3, v51
	v_add_f32_e32 v3, v25, v41
	v_add_f32_e32 v7, v24, v40
	v_min3_f32 v97, v7, v3, v50
	v_add_f32_e32 v3, v21, v41
	v_add_f32_e32 v7, v20, v40
	v_min3_f32 v90, v7, v3, v47
	v_add_f32_e32 v3, v17, v41
	v_add_f32_e32 v7, v16, v40
	v_min3_f32 v91, v7, v3, v46
	v_add_f32_e32 v3, v13, v41
	v_add_f32_e32 v7, v12, v40
	v_min3_f32 v88, v7, v3, v43
	v_add_f32_e32 v3, v9, v41
	v_add_f32_e32 v7, v8, v40
	v_min3_f32 v89, v7, v3, v42
	v_add_f32_e32 v3, v5, v41
	v_add_f32_e32 v7, v4, v40
	v_add_f32_e32 v4, v4, v28
	v_min3_f32 v86, v7, v3, v38
	v_add_f32_e32 v3, v37, v29
	v_add_f32_e32 v7, v36, v28
	v_min3_f32 v87, v7, v3, v34
	v_add_f32_e32 v3, v33, v29
	;; [unrolled: 3-line block ×8, first 2 shown]
	v_min3_f32 v123, v4, v3, v2
	s_cbranch_scc1 .LBB55_10
; %bb.8:
	v_add_nc_u32_e32 v2, 12, v79
	v_add_nc_u32_e32 v4, 8, v79
	v_add_co_u32 v6, vcc_lo, v68, v93
	v_add_co_ci_u32_e64 v7, null, 0, v69, vcc_lo
	v_mad_i64_i32 v[2:3], null, v2, s2, 0
	v_mad_i64_i32 v[4:5], null, v4, s2, 0
	v_add_co_u32 v6, vcc_lo, s18, v6
	v_add_co_ci_u32_e64 v7, null, s19, v7, vcc_lo
	v_lshlrev_b64 v[2:3], 2, v[2:3]
	v_add_co_u32 v68, vcc_lo, v6, 32
	v_lshlrev_b64 v[4:5], 2, v[4:5]
	v_add_co_ci_u32_e64 v69, null, 0, v7, vcc_lo
	v_add_co_u32 v79, vcc_lo, s16, v2
	v_add_co_ci_u32_e64 v93, null, s17, v3, vcc_lo
	v_add_co_u32 v94, vcc_lo, s16, v4
	v_add_nc_u32_e32 v73, 0x2000, v76
	v_or_b32_e32 v74, 0x2000, v70
	v_add_nc_u32_e32 v75, 0x1000, v72
	v_add_nc_u32_e32 v76, 0x2400, v76
	v_lshl_or_b32 v77, v0, 4, 0x1000
	v_lshl_add_u32 v78, v1, 4, 0x2400
	v_add_co_ci_u32_e64 v95, null, s17, v5, vcc_lo
	s_ashr_i32 s3, s2, 31
	s_add_i32 s9, s14, -8
	s_lshl_b64 s[2:3], s[2:3], 5
	s_mov_b32 s14, 0
.LBB55_9:                               ; =>This Inner Loop Header: Depth=1
	v_add_co_u32 v2, vcc_lo, v94, v66
	v_add_co_ci_u32_e64 v3, null, v95, v67, vcc_lo
	s_add_i32 s14, s14, 8
	s_clause 0x3
	global_load_dword v149, v[2:3], off
	global_load_dword v151, v[2:3], off offset:256
	global_load_dword v148, v[2:3], off offset:512
	;; [unrolled: 1-line block ×3, first 2 shown]
	global_load_dword v147, v[68:69], off
	ds_read_b128 v[30:33], v77
	ds_read_b128 v[26:29], v77 offset:512
	ds_read_b128 v[22:25], v77 offset:1024
	;; [unrolled: 1-line block ×7, first 2 shown]
	ds_read_b128 v[62:65], v78
	ds_read_b128 v[58:61], v78 offset:128
	ds_read_b128 v[54:57], v78 offset:256
	ds_read_b128 v[50:53], v78 offset:384
	ds_read_b128 v[46:49], v78 offset:512
	ds_read_b128 v[42:45], v78 offset:640
	ds_read_b128 v[38:41], v78 offset:768
	ds_read_b128 v[34:37], v78 offset:896
	s_cmp_ge_i32 s14, s9
	s_waitcnt vmcnt(3)
	ds_write2st64_b32 v72, v149, v151 offset1:4
	s_waitcnt vmcnt(1)
	ds_write2st64_b32 v72, v148, v150 offset0:8 offset1:12
	s_waitcnt vmcnt(0)
	ds_write_b32 v73, v147
	s_waitcnt lgkmcnt(10)
	v_add_f32_e32 v152, v31, v63
	v_add_f32_e32 v153, v30, v62
	s_waitcnt lgkmcnt(0)
	s_barrier
	buffer_gl0_inv
	v_min3_f32 v146, v153, v152, v146
	v_add_f32_e32 v152, v27, v63
	v_add_f32_e32 v153, v26, v62
	v_min3_f32 v152, v153, v152, v143
	v_add_f32_e32 v143, v23, v63
	v_add_f32_e32 v153, v22, v62
	v_min3_f32 v153, v153, v143, v144
	v_add_f32_e32 v143, v19, v63
	v_add_f32_e32 v144, v18, v62
	v_min3_f32 v154, v144, v143, v140
	v_add_f32_e32 v140, v15, v63
	v_add_f32_e32 v143, v14, v62
	v_min3_f32 v155, v143, v140, v141
	v_add_f32_e32 v140, v11, v63
	v_add_f32_e32 v141, v10, v62
	v_min3_f32 v156, v141, v140, v136
	v_add_f32_e32 v136, v7, v63
	v_add_f32_e32 v140, v6, v62
	v_add_f32_e32 v63, v3, v63
	v_add_f32_e32 v62, v2, v62
	v_min3_f32 v157, v140, v136, v135
	v_min3_f32 v158, v62, v63, v131
	v_add_f32_e32 v62, v31, v59
	v_add_f32_e32 v63, v30, v58
	v_min3_f32 v144, v63, v62, v145
	v_add_f32_e32 v62, v27, v59
	v_add_f32_e32 v63, v26, v58
	v_min3_f32 v143, v63, v62, v139
	v_add_f32_e32 v62, v23, v59
	v_add_f32_e32 v63, v22, v58
	v_min3_f32 v141, v63, v62, v142
	v_add_f32_e32 v62, v19, v59
	v_add_f32_e32 v63, v18, v58
	v_min3_f32 v140, v63, v62, v137
	v_add_f32_e32 v62, v15, v59
	v_add_f32_e32 v63, v14, v58
	v_min3_f32 v139, v63, v62, v138
	v_add_f32_e32 v62, v11, v59
	v_add_f32_e32 v63, v10, v58
	v_min3_f32 v138, v63, v62, v132
	v_add_f32_e32 v62, v7, v59
	v_add_f32_e32 v63, v6, v58
	v_add_f32_e32 v59, v3, v59
	v_add_f32_e32 v58, v2, v58
	v_min3_f32 v137, v63, v62, v133
	v_min3_f32 v136, v58, v59, v129
	v_add_f32_e32 v58, v31, v55
	v_add_f32_e32 v59, v30, v54
	;; [unrolled: 24-line block ×6, first 2 shown]
	v_add_f32_e32 v31, v31, v35
	v_add_f32_e32 v30, v30, v34
	v_min3_f32 v54, v43, v42, v100
	v_add_f32_e32 v42, v27, v39
	v_add_f32_e32 v43, v26, v38
	v_min3_f32 v30, v30, v31, v87
	;; [unrolled: 3-line block ×3, first 2 shown]
	v_add_f32_e32 v42, v23, v39
	v_add_f32_e32 v43, v22, v38
	;; [unrolled: 1-line block ×4, first 2 shown]
	v_min3_f32 v26, v26, v27, v84
	v_min3_f32 v50, v43, v42, v97
	v_add_f32_e32 v42, v19, v39
	v_add_f32_e32 v43, v18, v38
	v_min3_f32 v22, v22, v23, v85
	v_add_f32_e32 v19, v19, v35
	v_add_f32_e32 v18, v18, v34
	v_min3_f32 v47, v43, v42, v90
	v_add_f32_e32 v42, v15, v39
	v_add_f32_e32 v43, v14, v38
	v_add_f32_e32 v15, v15, v35
	v_add_f32_e32 v14, v14, v34
	v_min3_f32 v18, v18, v19, v82
	v_min3_f32 v46, v43, v42, v91
	v_add_f32_e32 v42, v11, v39
	v_add_f32_e32 v43, v10, v38
	v_min3_f32 v14, v14, v15, v83
	v_add_f32_e32 v11, v11, v35
	v_add_f32_e32 v10, v10, v34
	v_min3_f32 v43, v43, v42, v88
	v_add_f32_e32 v42, v7, v39
	v_add_f32_e32 v88, v6, v38
	v_add_f32_e32 v39, v3, v39
	v_add_f32_e32 v38, v2, v38
	;; [unrolled: 1-line block ×6, first 2 shown]
	v_min3_f32 v38, v38, v39, v86
	v_min3_f32 v10, v10, v11, v80
	;; [unrolled: 1-line block ×3, first 2 shown]
	v_add_f32_e32 v7, v32, v64
	v_min3_f32 v2, v2, v3, v123
	v_add_f32_e32 v3, v33, v65
	v_min3_f32 v42, v88, v42, v89
	v_min3_f32 v87, v7, v3, v146
	v_add_f32_e32 v3, v29, v65
	v_add_f32_e32 v7, v28, v64
	v_min3_f32 v86, v7, v3, v152
	v_add_f32_e32 v3, v25, v65
	v_add_f32_e32 v7, v24, v64
	;; [unrolled: 3-line block ×55, first 2 shown]
	v_add_f32_e32 v4, v4, v36
	v_min3_f32 v165, v7, v3, v38
	v_add_f32_e32 v3, v33, v37
	v_add_f32_e32 v7, v32, v36
	v_min3_f32 v166, v7, v3, v30
	v_add_f32_e32 v3, v29, v37
	;; [unrolled: 3-line block ×8, first 2 shown]
	v_min3_f32 v173, v4, v3, v2
	v_add_co_u32 v2, vcc_lo, v79, v66
	v_add_co_ci_u32_e64 v3, null, v93, v67, vcc_lo
	s_clause 0x3
	global_load_dword v149, v[2:3], off
	global_load_dword v151, v[2:3], off offset:256
	global_load_dword v148, v[2:3], off offset:512
	;; [unrolled: 1-line block ×4, first 2 shown]
	ds_read_b128 v[34:37], v71
	ds_read_b128 v[30:33], v71 offset:512
	ds_read_b128 v[26:29], v71 offset:1024
	;; [unrolled: 1-line block ×7, first 2 shown]
	ds_read_b128 v[62:65], v74
	ds_read_b128 v[58:61], v74 offset:128
	ds_read_b128 v[54:57], v74 offset:256
	;; [unrolled: 1-line block ×7, first 2 shown]
	v_add_co_u32 v68, vcc_lo, v68, 32
	v_add_co_ci_u32_e64 v69, null, 0, v69, vcc_lo
	v_add_co_u32 v79, vcc_lo, v79, s2
	v_add_co_ci_u32_e64 v93, null, s3, v93, vcc_lo
	;; [unrolled: 2-line block ×3, first 2 shown]
	s_waitcnt lgkmcnt(7)
	v_add_f32_e32 v103, v35, v63
	v_add_f32_e32 v104, v34, v62
	s_waitcnt vmcnt(3)
	ds_write2st64_b32 v75, v149, v151 offset1:4
	s_waitcnt vmcnt(1)
	ds_write2st64_b32 v75, v148, v150 offset0:8 offset1:12
	s_waitcnt vmcnt(0)
	ds_write_b32 v76, v147
	v_min3_f32 v118, v104, v103, v87
	v_add_f32_e32 v87, v31, v63
	v_add_f32_e32 v103, v30, v62
	s_waitcnt lgkmcnt(0)
	s_barrier
	buffer_gl0_inv
	v_min3_f32 v119, v103, v87, v86
	v_add_f32_e32 v86, v27, v63
	v_add_f32_e32 v87, v26, v62
	v_min3_f32 v120, v87, v86, v85
	v_add_f32_e32 v85, v23, v63
	v_add_f32_e32 v86, v22, v62
	;; [unrolled: 3-line block ×5, first 2 shown]
	v_add_f32_e32 v63, v3, v63
	v_add_f32_e32 v62, v2, v62
	v_min3_f32 v126, v83, v82, v81
	v_min3_f32 v127, v62, v63, v80
	v_add_f32_e32 v62, v35, v59
	v_add_f32_e32 v63, v34, v58
	v_min3_f32 v117, v63, v62, v88
	v_add_f32_e32 v62, v31, v59
	v_add_f32_e32 v63, v30, v58
	;; [unrolled: 3-line block ×7, first 2 shown]
	v_add_f32_e32 v59, v3, v59
	v_add_f32_e32 v58, v2, v58
	v_min3_f32 v111, v63, v62, v97
	v_min3_f32 v110, v58, v59, v98
	v_add_f32_e32 v58, v35, v55
	v_add_f32_e32 v59, v34, v54
	v_min3_f32 v109, v59, v58, v99
	v_add_f32_e32 v58, v31, v55
	v_add_f32_e32 v59, v30, v54
	;; [unrolled: 3-line block ×7, first 2 shown]
	v_add_f32_e32 v55, v3, v55
	v_add_f32_e32 v54, v2, v54
	v_add_f32_e32 v121, v6, v38
	v_min3_f32 v103, v59, v58, v123
	v_min3_f32 v102, v54, v55, v128
	v_add_f32_e32 v54, v35, v51
	v_add_f32_e32 v55, v34, v50
	v_min3_f32 v101, v55, v54, v129
	v_add_f32_e32 v54, v31, v51
	v_add_f32_e32 v55, v30, v50
	v_min3_f32 v100, v55, v54, v130
	v_add_f32_e32 v54, v27, v51
	v_add_f32_e32 v55, v26, v50
	v_min3_f32 v99, v55, v54, v131
	v_add_f32_e32 v54, v23, v51
	v_add_f32_e32 v55, v22, v50
	v_min3_f32 v98, v55, v54, v132
	v_add_f32_e32 v54, v19, v51
	v_add_f32_e32 v55, v18, v50
	v_min3_f32 v97, v55, v54, v133
	v_add_f32_e32 v54, v11, v51
	v_add_f32_e32 v55, v10, v50
	v_min3_f32 v96, v55, v54, v134
	v_add_f32_e32 v54, v7, v51
	v_add_f32_e32 v55, v6, v50
	v_add_f32_e32 v51, v3, v51
	v_add_f32_e32 v50, v2, v50
	v_min3_f32 v92, v55, v54, v135
	v_min3_f32 v91, v50, v51, v136
	v_add_f32_e32 v50, v35, v47
	v_add_f32_e32 v51, v34, v46
	v_min3_f32 v90, v51, v50, v137
	v_add_f32_e32 v50, v31, v47
	v_add_f32_e32 v51, v30, v46
	v_min3_f32 v89, v51, v50, v138
	v_add_f32_e32 v50, v27, v47
	v_add_f32_e32 v51, v26, v46
	v_min3_f32 v88, v51, v50, v139
	v_add_f32_e32 v50, v23, v47
	v_add_f32_e32 v51, v22, v46
	v_min3_f32 v87, v51, v50, v140
	v_add_f32_e32 v50, v19, v47
	v_add_f32_e32 v51, v18, v46
	v_min3_f32 v86, v51, v50, v141
	v_add_f32_e32 v50, v11, v47
	v_add_f32_e32 v51, v10, v46
	v_min3_f32 v85, v51, v50, v142
	v_add_f32_e32 v50, v7, v47
	;; [unrolled: 24-line block ×3, first 2 shown]
	v_add_f32_e32 v47, v6, v42
	v_add_f32_e32 v43, v3, v43
	;; [unrolled: 1-line block ×4, first 2 shown]
	v_min3_f32 v58, v47, v46, v156
	v_min3_f32 v55, v42, v43, v157
	v_add_f32_e32 v42, v35, v39
	v_add_f32_e32 v43, v34, v38
	v_add_f32_e32 v35, v35, v15
	v_add_f32_e32 v34, v34, v14
	v_min3_f32 v54, v43, v42, v158
	v_add_f32_e32 v42, v31, v39
	v_add_f32_e32 v43, v30, v38
	v_min3_f32 v34, v34, v35, v166
	v_add_f32_e32 v31, v31, v15
	v_add_f32_e32 v30, v30, v14
	;; [unrolled: 3-line block ×9, first 2 shown]
	v_add_f32_e32 v38, v2, v38
	v_add_f32_e32 v2, v2, v14
	v_min3_f32 v18, v18, v19, v170
	v_add_f32_e32 v11, v11, v15
	v_min3_f32 v43, v43, v42, v163
	v_add_f32_e32 v42, v7, v39
	v_add_f32_e32 v39, v3, v39
	;; [unrolled: 1-line block ×5, first 2 shown]
	v_min3_f32 v42, v121, v42, v164
	v_min3_f32 v38, v38, v39, v165
	;; [unrolled: 1-line block ×4, first 2 shown]
	v_add_f32_e32 v3, v37, v65
	v_add_f32_e32 v7, v36, v64
	v_min3_f32 v10, v10, v11, v171
	v_min3_f32 v146, v7, v3, v118
	v_add_f32_e32 v3, v33, v65
	v_add_f32_e32 v7, v32, v64
	v_min3_f32 v143, v7, v3, v119
	v_add_f32_e32 v3, v29, v65
	v_add_f32_e32 v7, v28, v64
	;; [unrolled: 3-line block ×55, first 2 shown]
	v_add_f32_e32 v4, v4, v16
	v_min3_f32 v86, v7, v3, v38
	v_add_f32_e32 v3, v37, v17
	v_add_f32_e32 v7, v36, v16
	v_min3_f32 v87, v7, v3, v34
	v_add_f32_e32 v3, v33, v17
	;; [unrolled: 3-line block ×8, first 2 shown]
	v_min3_f32 v123, v4, v3, v2
	s_cbranch_scc0 .LBB55_9
.LBB55_10:
	ds_read_b128 v[32:35], v71 offset:4096
	ds_read_b128 v[60:63], v70 offset:9216
	s_clause 0x2
	s_load_dword s3, s[4:5], 0x68
	s_load_dword s2, s[4:5], 0x50
	s_load_dwordx2 s[14:15], s[4:5], 0x70
	v_add_nc_u32_e32 v93, s6, v1
	v_add_nc_u32_e32 v76, s8, v0
	v_ashrrev_i32_e32 v77, 31, v76
	v_add_nc_u32_e32 v0, 32, v76
	v_lshlrev_b64 v[66:67], 2, v[76:77]
	v_ashrrev_i32_e32 v1, 31, v0
	s_waitcnt lgkmcnt(0)
	v_mad_i64_i32 v[2:3], null, v93, s3, 0
	v_mad_i64_i32 v[4:5], null, v93, s2, 0
	v_add_f32_e32 v6, v33, v61
	v_add_f32_e32 v7, v32, v60
	s_mul_i32 s5, s15, s7
	s_mul_hi_u32 s6, s14, s7
	s_mul_i32 s4, s14, s7
	v_add_f32_e32 v8, v35, v63
	s_add_i32 s5, s6, s5
	v_add_f32_e32 v9, v34, v62
	v_min3_f32 v6, v7, v6, v146
	v_lshlrev_b64 v[2:3], 2, v[2:3]
	s_lshl_b64 s[4:5], s[4:5], 2
	v_lshlrev_b64 v[4:5], 2, v[4:5]
	s_add_u32 s4, s10, s4
	v_min3_f32 v6, v9, v8, v6
	s_addc_u32 s5, s11, s5
	v_add_co_u32 v94, vcc_lo, s4, v2
	v_add_co_ci_u32_e64 v95, null, s5, v3, vcc_lo
	v_add_co_u32 v146, vcc_lo, s12, v4
	v_add_co_ci_u32_e64 v147, null, s13, v5, vcc_lo
	v_max_f32_e32 v2, v6, v6
	s_mov_b32 s6, -1
	s_mov_b32 vcc_lo, s0
	s_cbranch_vccz .LBB55_12
; %bb.11:
	v_add_co_u32 v3, vcc_lo, v94, v66
	v_min_f32_e32 v5, 0, v2
	v_add_co_ci_u32_e64 v4, null, v95, v67, vcc_lo
	s_mov_b32 s6, 0
	global_store_dword v[3:4], v5, off
.LBB55_12:
	ds_read_b128 v[28:31], v71 offset:4608
	ds_read_b128 v[24:27], v71 offset:5120
	v_lshlrev_b64 v[64:65], 2, v[0:1]
	v_mov_b32_e32 v69, 0
	s_andn2_b32 vcc_lo, exec_lo, s6
	s_cbranch_vccnz .LBB55_14
; %bb.13:
	v_add_co_u32 v0, vcc_lo, v146, v66
	v_add_co_ci_u32_e64 v1, null, v147, v67, vcc_lo
	global_load_dword v0, v[0:1], off
	s_waitcnt vmcnt(0)
	v_mul_f32_e32 v3, s1, v0
	v_add_co_u32 v0, vcc_lo, v94, v66
	v_add_co_ci_u32_e64 v1, null, v95, v67, vcc_lo
	v_min_f32_e32 v4, v3, v2
	v_add_co_u32 v2, vcc_lo, v146, v64
	v_add_co_ci_u32_e64 v3, null, v147, v65, vcc_lo
	global_store_dword v[0:1], v4, off
	global_load_dword v0, v[2:3], off
	s_waitcnt vmcnt(0)
	v_mul_f32_e32 v69, s1, v0
.LBB55_14:
	ds_read_b128 v[20:23], v71 offset:5632
	ds_read_b128 v[16:19], v71 offset:6144
	ds_read_b128 v[12:15], v71 offset:6656
	ds_read_b128 v[8:11], v71 offset:7168
	ds_read_b128 v[0:3], v71 offset:7680
	ds_read_b128 v[56:59], v70 offset:9344
	ds_read_b128 v[52:55], v70 offset:9472
	ds_read_b128 v[48:51], v70 offset:9600
	ds_read_b128 v[44:47], v70 offset:9728
	ds_read_b128 v[40:43], v70 offset:9856
	s_waitcnt lgkmcnt(11)
	v_add_f32_e32 v68, v29, v61
	v_add_f32_e32 v71, v28, v60
	s_waitcnt lgkmcnt(10)
	v_add_f32_e32 v72, v25, v61
	v_add_f32_e32 v73, v24, v60
	;; [unrolled: 1-line block ×4, first 2 shown]
	ds_read_b128 v[36:39], v70 offset:9984
	ds_read_b128 v[4:7], v70 offset:10112
	v_min3_f32 v71, v71, v68, v143
	v_min3_f32 v77, v73, v72, v144
	v_add_nc_u32_e32 v70, 64, v76
	v_min_f32_e32 v72, v75, v74
	v_add_f32_e32 v74, v27, v63
	v_add_f32_e32 v75, v26, v62
	v_add_nc_u32_e32 v68, 0x60, v76
	s_mov_b32 s6, -1
	v_min3_f32 v78, v69, v72, v71
	v_add_co_u32 v72, vcc_lo, v94, v64
	v_ashrrev_i32_e32 v71, 31, v70
	v_add_co_ci_u32_e64 v73, null, v95, v65, vcc_lo
	v_min3_f32 v74, v75, v74, v77
	v_ashrrev_i32_e32 v69, 31, v68
	v_lshlrev_b64 v[70:71], 2, v[70:71]
	global_store_dword v[72:73], v78, off
	s_mov_b32 vcc_lo, s0
	v_max_f32_e32 v72, v74, v74
	s_cbranch_vccz .LBB55_16
; %bb.15:
	v_add_co_u32 v73, vcc_lo, v94, v70
	v_min_f32_e32 v75, 0, v72
	v_add_co_ci_u32_e64 v74, null, v95, v71, vcc_lo
	s_mov_b32 s6, 0
	global_store_dword v[73:74], v75, off
.LBB55_16:
	v_lshlrev_b64 v[68:69], 2, v[68:69]
	v_mov_b32_e32 v73, 0
	s_andn2_b32 vcc_lo, exec_lo, s6
	s_cbranch_vccnz .LBB55_18
; %bb.17:
	v_add_co_u32 v73, vcc_lo, v146, v70
	v_add_co_ci_u32_e64 v74, null, v147, v71, vcc_lo
	global_load_dword v73, v[73:74], off
	s_waitcnt vmcnt(0)
	v_mul_f32_e32 v75, s1, v73
	v_add_co_u32 v73, vcc_lo, v94, v70
	v_add_co_ci_u32_e64 v74, null, v95, v71, vcc_lo
	v_add_co_u32 v77, vcc_lo, v146, v68
	v_min_f32_e32 v72, v75, v72
	v_add_co_ci_u32_e64 v78, null, v147, v69, vcc_lo
	global_store_dword v[73:74], v72, off
	global_load_dword v72, v[77:78], off
	s_waitcnt vmcnt(0)
	v_mul_f32_e32 v73, s1, v72
.LBB55_18:
	s_waitcnt lgkmcnt(11)
	v_add_f32_e32 v72, v21, v61
	v_add_f32_e32 v74, v20, v60
	s_waitcnt lgkmcnt(10)
	v_add_f32_e32 v75, v17, v61
	v_add_f32_e32 v77, v16, v60
	v_add_f32_e32 v78, v23, v63
	v_add_f32_e32 v79, v22, v62
	v_min3_f32 v140, v74, v72, v140
	v_add_nc_u32_e32 v74, 0x80, v76
	v_min3_f32 v141, v77, v75, v141
	v_add_f32_e32 v143, v18, v62
	v_min_f32_e32 v75, v79, v78
	v_add_f32_e32 v79, v19, v63
	v_add_co_u32 v77, vcc_lo, v94, v68
	v_add_nc_u32_e32 v72, 0xa0, v76
	v_min3_f32 v140, v73, v75, v140
	v_ashrrev_i32_e32 v75, 31, v74
	v_add_co_ci_u32_e64 v78, null, v95, v69, vcc_lo
	v_min3_f32 v79, v143, v79, v141
	v_ashrrev_i32_e32 v73, 31, v72
	v_lshlrev_b64 v[74:75], 2, v[74:75]
	global_store_dword v[77:78], v140, off
	s_mov_b32 s6, -1
	v_max_f32_e32 v77, v79, v79
	s_mov_b32 vcc_lo, s0
	s_cbranch_vccz .LBB55_20
; %bb.19:
	v_add_co_u32 v78, vcc_lo, v94, v74
	v_min_f32_e32 v140, 0, v77
	v_add_co_ci_u32_e64 v79, null, v95, v75, vcc_lo
	s_mov_b32 s6, 0
	global_store_dword v[78:79], v140, off
.LBB55_20:
	v_lshlrev_b64 v[72:73], 2, v[72:73]
	v_mov_b32_e32 v79, 0
	s_andn2_b32 vcc_lo, exec_lo, s6
	s_cbranch_vccnz .LBB55_22
; %bb.21:
	v_add_co_u32 v78, vcc_lo, v146, v74
	v_add_co_ci_u32_e64 v79, null, v147, v75, vcc_lo
	global_load_dword v78, v[78:79], off
	s_waitcnt vmcnt(0)
	v_mul_f32_e32 v140, s1, v78
	v_add_co_u32 v78, vcc_lo, v94, v74
	v_add_co_ci_u32_e64 v79, null, v95, v75, vcc_lo
	v_min_f32_e32 v77, v140, v77
	v_add_co_u32 v140, vcc_lo, v146, v72
	v_add_co_ci_u32_e64 v141, null, v147, v73, vcc_lo
	global_store_dword v[78:79], v77, off
	global_load_dword v77, v[140:141], off
	s_waitcnt vmcnt(0)
	v_mul_f32_e32 v79, s1, v77
.LBB55_22:
	s_waitcnt lgkmcnt(9)
	v_add_f32_e32 v77, v13, v61
	v_add_f32_e32 v78, v12, v60
	s_waitcnt lgkmcnt(8)
	v_add_f32_e32 v140, v9, v61
	v_add_f32_e32 v141, v8, v60
	;; [unrolled: 1-line block ×4, first 2 shown]
	v_min3_f32 v77, v78, v77, v136
	v_add_nc_u32_e32 v78, 0xe0, v76
	v_min3_f32 v140, v141, v140, v135
	v_add_nc_u32_e32 v135, 0xc0, v76
	v_min_f32_e32 v136, v144, v143
	v_add_f32_e32 v141, v11, v63
	v_add_f32_e32 v143, v10, v62
	v_add_co_u32 v76, vcc_lo, v94, v72
	v_min3_f32 v144, v79, v136, v77
	v_add_co_ci_u32_e64 v77, null, v95, v73, vcc_lo
	v_ashrrev_i32_e32 v136, 31, v135
	v_min3_f32 v140, v143, v141, v140
	v_ashrrev_i32_e32 v79, 31, v78
	global_store_dword v[76:77], v144, off
	s_mov_b32 s6, -1
	v_lshlrev_b64 v[76:77], 2, v[135:136]
	v_max_f32_e32 v135, v140, v140
	s_mov_b32 vcc_lo, s0
	s_cbranch_vccz .LBB55_24
; %bb.23:
	v_add_co_u32 v140, vcc_lo, v94, v76
	v_min_f32_e32 v136, 0, v135
	v_add_co_ci_u32_e64 v141, null, v95, v77, vcc_lo
	s_mov_b32 s6, 0
	global_store_dword v[140:141], v136, off
.LBB55_24:
	v_lshlrev_b64 v[78:79], 2, v[78:79]
	v_mov_b32_e32 v136, 0
	s_andn2_b32 vcc_lo, exec_lo, s6
	s_cbranch_vccnz .LBB55_26
; %bb.25:
	v_add_co_u32 v140, vcc_lo, v146, v76
	v_add_co_ci_u32_e64 v141, null, v147, v77, vcc_lo
	global_load_dword v136, v[140:141], off
	v_add_co_u32 v140, vcc_lo, v94, v76
	v_add_co_ci_u32_e64 v141, null, v95, v77, vcc_lo
	s_waitcnt vmcnt(0)
	v_mul_f32_e32 v136, s1, v136
	v_min_f32_e32 v143, v136, v135
	v_add_co_u32 v135, vcc_lo, v146, v78
	v_add_co_ci_u32_e64 v136, null, v147, v79, vcc_lo
	global_store_dword v[140:141], v143, off
	global_load_dword v135, v[135:136], off
	s_waitcnt vmcnt(0)
	v_mul_f32_e32 v136, s1, v135
.LBB55_26:
	s_waitcnt lgkmcnt(7)
	v_add_f32_e32 v61, v1, v61
	v_add_f32_e32 v60, v0, v60
	;; [unrolled: 1-line block ×4, first 2 shown]
	s_waitcnt lgkmcnt(6)
	v_add_f32_e32 v135, v33, v57
	v_add_f32_e32 v140, v32, v56
	v_min3_f32 v60, v60, v61, v131
	v_add_co_u32 v94, vcc_lo, v94, v78
	v_min_f32_e32 v61, v62, v63
	v_add_nc_u32_e32 v62, 8, v93
	v_min3_f32 v131, v140, v135, v145
	v_add_f32_e32 v135, v35, v59
	v_add_f32_e32 v140, v34, v58
	v_min3_f32 v136, v136, v61, v60
	v_mad_i64_i32 v[60:61], null, v62, s3, 0
	v_mad_i64_i32 v[62:63], null, v62, s2, 0
	v_add_co_ci_u32_e64 v95, null, v95, v79, vcc_lo
	v_min3_f32 v131, v140, v135, v131
	s_mov_b32 s6, -1
	v_lshlrev_b64 v[60:61], 2, v[60:61]
	global_store_dword v[94:95], v136, off
	v_lshlrev_b64 v[62:63], 2, v[62:63]
	v_max_f32_e32 v94, v131, v131
	v_add_co_u32 v60, vcc_lo, s4, v60
	v_add_co_ci_u32_e64 v61, null, s5, v61, vcc_lo
	v_add_co_u32 v62, vcc_lo, s12, v62
	v_add_co_ci_u32_e64 v63, null, s13, v63, vcc_lo
	s_mov_b32 vcc_lo, s0
	s_cbranch_vccz .LBB55_28
; %bb.27:
	v_add_co_u32 v135, vcc_lo, v60, v66
	v_min_f32_e32 v95, 0, v94
	v_add_co_ci_u32_e64 v136, null, v61, v67, vcc_lo
	s_mov_b32 s6, 0
	global_store_dword v[135:136], v95, off
.LBB55_28:
	v_mov_b32_e32 v95, 0
	s_andn2_b32 vcc_lo, exec_lo, s6
	s_cbranch_vccnz .LBB55_30
; %bb.29:
	v_add_co_u32 v135, vcc_lo, v62, v66
	v_add_co_ci_u32_e64 v136, null, v63, v67, vcc_lo
	global_load_dword v95, v[135:136], off
	v_add_co_u32 v135, vcc_lo, v60, v66
	v_add_co_ci_u32_e64 v136, null, v61, v67, vcc_lo
	s_waitcnt vmcnt(0)
	v_mul_f32_e32 v95, s1, v95
	v_min_f32_e32 v131, v95, v94
	v_add_co_u32 v94, vcc_lo, v62, v64
	v_add_co_ci_u32_e64 v95, null, v63, v65, vcc_lo
	global_store_dword v[135:136], v131, off
	global_load_dword v94, v[94:95], off
	s_waitcnt vmcnt(0)
	v_mul_f32_e32 v95, s1, v94
.LBB55_30:
	v_add_f32_e32 v94, v29, v57
	v_add_f32_e32 v131, v28, v56
	;; [unrolled: 1-line block ×6, first 2 shown]
	v_min3_f32 v94, v131, v94, v139
	v_add_f32_e32 v139, v26, v58
	v_min_f32_e32 v131, v136, v135
	v_add_f32_e32 v136, v27, v59
	v_min3_f32 v135, v141, v140, v142
	s_mov_b32 s6, -1
	v_min3_f32 v131, v95, v131, v94
	v_add_co_u32 v94, vcc_lo, v60, v64
	v_add_co_ci_u32_e64 v95, null, v61, v65, vcc_lo
	v_min3_f32 v135, v139, v136, v135
	s_mov_b32 vcc_lo, s0
	global_store_dword v[94:95], v131, off
	v_max_f32_e32 v94, v135, v135
	s_cbranch_vccz .LBB55_32
; %bb.31:
	v_add_co_u32 v135, vcc_lo, v60, v70
	v_min_f32_e32 v95, 0, v94
	v_add_co_ci_u32_e64 v136, null, v61, v71, vcc_lo
	s_mov_b32 s6, 0
	global_store_dword v[135:136], v95, off
.LBB55_32:
	v_mov_b32_e32 v95, 0
	s_andn2_b32 vcc_lo, exec_lo, s6
	s_cbranch_vccnz .LBB55_34
; %bb.33:
	v_add_co_u32 v135, vcc_lo, v62, v70
	v_add_co_ci_u32_e64 v136, null, v63, v71, vcc_lo
	global_load_dword v95, v[135:136], off
	v_add_co_u32 v135, vcc_lo, v60, v70
	v_add_co_ci_u32_e64 v136, null, v61, v71, vcc_lo
	s_waitcnt vmcnt(0)
	v_mul_f32_e32 v95, s1, v95
	v_min_f32_e32 v131, v95, v94
	v_add_co_u32 v94, vcc_lo, v62, v68
	v_add_co_ci_u32_e64 v95, null, v63, v69, vcc_lo
	global_store_dword v[135:136], v131, off
	global_load_dword v94, v[94:95], off
	s_waitcnt vmcnt(0)
	v_mul_f32_e32 v95, s1, v94
.LBB55_34:
	v_add_f32_e32 v94, v21, v57
	v_add_f32_e32 v131, v20, v56
	;; [unrolled: 1-line block ×6, first 2 shown]
	v_min3_f32 v94, v131, v94, v137
	v_add_f32_e32 v137, v18, v58
	v_min_f32_e32 v131, v136, v135
	v_add_f32_e32 v136, v19, v59
	v_min3_f32 v135, v140, v139, v138
	s_mov_b32 s6, -1
	v_min3_f32 v131, v95, v131, v94
	v_add_co_u32 v94, vcc_lo, v60, v68
	v_add_co_ci_u32_e64 v95, null, v61, v69, vcc_lo
	v_min3_f32 v135, v137, v136, v135
	s_mov_b32 vcc_lo, s0
	global_store_dword v[94:95], v131, off
	v_max_f32_e32 v94, v135, v135
	s_cbranch_vccz .LBB55_36
; %bb.35:
	v_add_co_u32 v135, vcc_lo, v60, v74
	v_min_f32_e32 v95, 0, v94
	v_add_co_ci_u32_e64 v136, null, v61, v75, vcc_lo
	s_mov_b32 s6, 0
	global_store_dword v[135:136], v95, off
.LBB55_36:
	v_mov_b32_e32 v95, 0
	s_andn2_b32 vcc_lo, exec_lo, s6
	s_cbranch_vccnz .LBB55_38
; %bb.37:
	v_add_co_u32 v135, vcc_lo, v62, v74
	v_add_co_ci_u32_e64 v136, null, v63, v75, vcc_lo
	global_load_dword v95, v[135:136], off
	v_add_co_u32 v135, vcc_lo, v60, v74
	v_add_co_ci_u32_e64 v136, null, v61, v75, vcc_lo
	s_waitcnt vmcnt(0)
	v_mul_f32_e32 v95, s1, v95
	v_min_f32_e32 v131, v95, v94
	v_add_co_u32 v94, vcc_lo, v62, v72
	v_add_co_ci_u32_e64 v95, null, v63, v73, vcc_lo
	global_store_dword v[135:136], v131, off
	global_load_dword v94, v[94:95], off
	s_waitcnt vmcnt(0)
	v_mul_f32_e32 v95, s1, v94
.LBB55_38:
	v_add_f32_e32 v94, v13, v57
	v_add_f32_e32 v131, v12, v56
	;; [unrolled: 1-line block ×6, first 2 shown]
	v_min3_f32 v94, v131, v94, v132
	s_mov_b32 s6, -1
	v_min_f32_e32 v131, v136, v135
	v_add_f32_e32 v135, v10, v58
	v_min3_f32 v132, v138, v137, v133
	v_add_f32_e32 v133, v11, v59
	v_min3_f32 v131, v95, v131, v94
	v_add_co_u32 v94, vcc_lo, v60, v72
	v_add_co_ci_u32_e64 v95, null, v61, v73, vcc_lo
	v_min3_f32 v132, v135, v133, v132
	s_mov_b32 vcc_lo, s0
	global_store_dword v[94:95], v131, off
	v_max_f32_e32 v94, v132, v132
	s_cbranch_vccz .LBB55_40
; %bb.39:
	v_add_co_u32 v131, vcc_lo, v60, v76
	v_min_f32_e32 v95, 0, v94
	v_add_co_ci_u32_e64 v132, null, v61, v77, vcc_lo
	s_mov_b32 s6, 0
	global_store_dword v[131:132], v95, off
.LBB55_40:
	v_mov_b32_e32 v95, 0
	s_andn2_b32 vcc_lo, exec_lo, s6
	s_cbranch_vccnz .LBB55_42
; %bb.41:
	v_add_co_u32 v131, vcc_lo, v62, v76
	v_add_co_ci_u32_e64 v132, null, v63, v77, vcc_lo
	global_load_dword v95, v[131:132], off
	v_add_co_u32 v131, vcc_lo, v60, v76
	v_add_co_ci_u32_e64 v132, null, v61, v77, vcc_lo
	v_add_co_u32 v62, vcc_lo, v62, v78
	v_add_co_ci_u32_e64 v63, null, v63, v79, vcc_lo
	s_waitcnt vmcnt(0)
	v_mul_f32_e32 v95, s1, v95
	v_min_f32_e32 v94, v95, v94
	global_store_dword v[131:132], v94, off
	global_load_dword v62, v[62:63], off
	s_waitcnt vmcnt(0)
	v_mul_f32_e32 v95, s1, v62
.LBB55_42:
	v_add_f32_e32 v57, v1, v57
	v_add_f32_e32 v56, v0, v56
	;; [unrolled: 1-line block ×4, first 2 shown]
	s_waitcnt lgkmcnt(5)
	v_add_f32_e32 v62, v33, v53
	v_add_f32_e32 v63, v32, v52
	v_min3_f32 v56, v56, v57, v129
	v_add_f32_e32 v94, v34, v54
	v_min_f32_e32 v57, v58, v59
	v_add_nc_u32_e32 v58, 16, v93
	v_min3_f32 v62, v63, v62, v134
	v_add_f32_e32 v63, v35, v55
	v_add_co_u32 v60, vcc_lo, v60, v78
	v_min3_f32 v95, v95, v57, v56
	v_mad_i64_i32 v[56:57], null, v58, s3, 0
	v_mad_i64_i32 v[58:59], null, v58, s2, 0
	v_add_co_ci_u32_e64 v61, null, v61, v79, vcc_lo
	v_min3_f32 v62, v94, v63, v62
	s_mov_b32 s6, -1
	v_lshlrev_b64 v[56:57], 2, v[56:57]
	global_store_dword v[60:61], v95, off
	v_lshlrev_b64 v[58:59], 2, v[58:59]
	v_max_f32_e32 v60, v62, v62
	v_add_co_u32 v56, vcc_lo, s4, v56
	v_add_co_ci_u32_e64 v57, null, s5, v57, vcc_lo
	v_add_co_u32 v58, vcc_lo, s12, v58
	v_add_co_ci_u32_e64 v59, null, s13, v59, vcc_lo
	s_mov_b32 vcc_lo, s0
	s_cbranch_vccz .LBB55_44
; %bb.43:
	v_add_co_u32 v61, vcc_lo, v56, v66
	v_min_f32_e32 v63, 0, v60
	v_add_co_ci_u32_e64 v62, null, v57, v67, vcc_lo
	s_mov_b32 s6, 0
	global_store_dword v[61:62], v63, off
.LBB55_44:
	v_mov_b32_e32 v61, 0
	s_andn2_b32 vcc_lo, exec_lo, s6
	s_cbranch_vccnz .LBB55_46
; %bb.45:
	v_add_co_u32 v61, vcc_lo, v58, v66
	v_add_co_ci_u32_e64 v62, null, v59, v67, vcc_lo
	global_load_dword v61, v[61:62], off
	s_waitcnt vmcnt(0)
	v_mul_f32_e32 v63, s1, v61
	v_add_co_u32 v61, vcc_lo, v56, v66
	v_add_co_ci_u32_e64 v62, null, v57, v67, vcc_lo
	v_add_co_u32 v94, vcc_lo, v58, v64
	v_min_f32_e32 v60, v63, v60
	v_add_co_ci_u32_e64 v95, null, v59, v65, vcc_lo
	global_store_dword v[61:62], v60, off
	global_load_dword v60, v[94:95], off
	s_waitcnt vmcnt(0)
	v_mul_f32_e32 v61, s1, v60
.LBB55_46:
	v_add_f32_e32 v60, v29, v53
	v_add_f32_e32 v62, v28, v52
	v_add_f32_e32 v63, v31, v55
	v_add_f32_e32 v94, v30, v54
	v_add_f32_e32 v95, v25, v53
	v_add_f32_e32 v129, v24, v52
	v_min3_f32 v60, v62, v60, v128
	s_mov_b32 s6, -1
	v_min_f32_e32 v62, v94, v63
	v_add_f32_e32 v94, v27, v55
	v_min3_f32 v63, v129, v95, v130
	v_add_f32_e32 v95, v26, v54
	v_min3_f32 v62, v61, v62, v60
	v_add_co_u32 v60, vcc_lo, v56, v64
	v_add_co_ci_u32_e64 v61, null, v57, v65, vcc_lo
	v_min3_f32 v63, v95, v94, v63
	s_mov_b32 vcc_lo, s0
	global_store_dword v[60:61], v62, off
	v_max_f32_e32 v60, v63, v63
	s_cbranch_vccz .LBB55_48
; %bb.47:
	v_add_co_u32 v61, vcc_lo, v56, v70
	v_min_f32_e32 v63, 0, v60
	v_add_co_ci_u32_e64 v62, null, v57, v71, vcc_lo
	s_mov_b32 s6, 0
	global_store_dword v[61:62], v63, off
.LBB55_48:
	v_mov_b32_e32 v61, 0
	s_andn2_b32 vcc_lo, exec_lo, s6
	s_cbranch_vccnz .LBB55_50
; %bb.49:
	v_add_co_u32 v61, vcc_lo, v58, v70
	v_add_co_ci_u32_e64 v62, null, v59, v71, vcc_lo
	global_load_dword v61, v[61:62], off
	s_waitcnt vmcnt(0)
	v_mul_f32_e32 v63, s1, v61
	v_add_co_u32 v61, vcc_lo, v56, v70
	v_add_co_ci_u32_e64 v62, null, v57, v71, vcc_lo
	v_add_co_u32 v94, vcc_lo, v58, v68
	v_min_f32_e32 v60, v63, v60
	v_add_co_ci_u32_e64 v95, null, v59, v69, vcc_lo
	global_store_dword v[61:62], v60, off
	global_load_dword v60, v[94:95], off
	s_waitcnt vmcnt(0)
	v_mul_f32_e32 v61, s1, v60
.LBB55_50:
	v_add_f32_e32 v60, v21, v53
	v_add_f32_e32 v62, v20, v52
	v_add_f32_e32 v63, v23, v55
	v_add_f32_e32 v94, v22, v54
	v_add_f32_e32 v95, v17, v53
	v_add_f32_e32 v128, v16, v52
	v_min3_f32 v60, v62, v60, v126
	s_mov_b32 s6, -1
	v_min_f32_e32 v62, v94, v63
	v_add_f32_e32 v94, v19, v55
	v_min3_f32 v63, v128, v95, v127
	v_add_f32_e32 v95, v18, v54
	v_min3_f32 v62, v61, v62, v60
	v_add_co_u32 v60, vcc_lo, v56, v68
	v_add_co_ci_u32_e64 v61, null, v57, v69, vcc_lo
	v_min3_f32 v63, v95, v94, v63
	s_mov_b32 vcc_lo, s0
	global_store_dword v[60:61], v62, off
	v_max_f32_e32 v60, v63, v63
	;; [unrolled: 46-line block ×3, first 2 shown]
	s_cbranch_vccz .LBB55_56
; %bb.55:
	v_add_co_u32 v61, vcc_lo, v56, v76
	v_min_f32_e32 v63, 0, v60
	v_add_co_ci_u32_e64 v62, null, v57, v77, vcc_lo
	s_mov_b32 s6, 0
	global_store_dword v[61:62], v63, off
.LBB55_56:
	v_mov_b32_e32 v61, 0
	s_andn2_b32 vcc_lo, exec_lo, s6
	s_cbranch_vccnz .LBB55_58
; %bb.57:
	v_add_co_u32 v61, vcc_lo, v58, v76
	v_add_co_ci_u32_e64 v62, null, v59, v77, vcc_lo
	global_load_dword v61, v[61:62], off
	s_waitcnt vmcnt(0)
	v_mul_f32_e32 v63, s1, v61
	v_add_co_u32 v61, vcc_lo, v56, v76
	v_add_co_ci_u32_e64 v62, null, v57, v77, vcc_lo
	v_add_co_u32 v58, vcc_lo, v58, v78
	v_min_f32_e32 v60, v63, v60
	v_add_co_ci_u32_e64 v59, null, v59, v79, vcc_lo
	global_store_dword v[61:62], v60, off
	global_load_dword v58, v[58:59], off
	s_waitcnt vmcnt(0)
	v_mul_f32_e32 v61, s1, v58
.LBB55_58:
	v_add_f32_e32 v53, v1, v53
	v_add_f32_e32 v52, v0, v52
	;; [unrolled: 1-line block ×4, first 2 shown]
	s_waitcnt lgkmcnt(4)
	v_add_f32_e32 v58, v33, v49
	v_add_f32_e32 v59, v32, v48
	v_min3_f32 v52, v52, v53, v119
	v_add_f32_e32 v60, v34, v50
	v_min_f32_e32 v53, v54, v55
	v_add_nc_u32_e32 v54, 24, v93
	v_min3_f32 v58, v59, v58, v125
	v_add_f32_e32 v59, v35, v51
	v_add_co_u32 v56, vcc_lo, v56, v78
	v_min3_f32 v61, v61, v53, v52
	v_mad_i64_i32 v[52:53], null, v54, s3, 0
	v_mad_i64_i32 v[54:55], null, v54, s2, 0
	v_add_co_ci_u32_e64 v57, null, v57, v79, vcc_lo
	v_min3_f32 v58, v60, v59, v58
	s_mov_b32 s6, -1
	v_lshlrev_b64 v[52:53], 2, v[52:53]
	global_store_dword v[56:57], v61, off
	v_lshlrev_b64 v[54:55], 2, v[54:55]
	v_max_f32_e32 v56, v58, v58
	v_add_co_u32 v52, vcc_lo, s4, v52
	v_add_co_ci_u32_e64 v53, null, s5, v53, vcc_lo
	v_add_co_u32 v54, vcc_lo, s12, v54
	v_add_co_ci_u32_e64 v55, null, s13, v55, vcc_lo
	s_mov_b32 vcc_lo, s0
	s_cbranch_vccz .LBB55_60
; %bb.59:
	v_add_co_u32 v57, vcc_lo, v52, v66
	v_min_f32_e32 v59, 0, v56
	v_add_co_ci_u32_e64 v58, null, v53, v67, vcc_lo
	s_mov_b32 s6, 0
	global_store_dword v[57:58], v59, off
.LBB55_60:
	v_mov_b32_e32 v57, 0
	s_andn2_b32 vcc_lo, exec_lo, s6
	s_cbranch_vccnz .LBB55_62
; %bb.61:
	v_add_co_u32 v57, vcc_lo, v54, v66
	v_add_co_ci_u32_e64 v58, null, v55, v67, vcc_lo
	global_load_dword v57, v[57:58], off
	s_waitcnt vmcnt(0)
	v_mul_f32_e32 v59, s1, v57
	v_add_co_u32 v57, vcc_lo, v52, v66
	v_add_co_ci_u32_e64 v58, null, v53, v67, vcc_lo
	v_min_f32_e32 v56, v59, v56
	v_add_co_u32 v59, vcc_lo, v54, v64
	v_add_co_ci_u32_e64 v60, null, v55, v65, vcc_lo
	global_store_dword v[57:58], v56, off
	global_load_dword v56, v[59:60], off
	s_waitcnt vmcnt(0)
	v_mul_f32_e32 v57, s1, v56
.LBB55_62:
	v_add_f32_e32 v56, v29, v49
	v_add_f32_e32 v58, v28, v48
	v_add_f32_e32 v59, v31, v51
	v_add_f32_e32 v60, v30, v50
	v_add_f32_e32 v61, v25, v49
	v_add_f32_e32 v62, v24, v48
	v_min3_f32 v56, v58, v56, v118
	s_mov_b32 s6, -1
	v_min_f32_e32 v58, v60, v59
	v_add_f32_e32 v60, v27, v51
	v_min3_f32 v59, v62, v61, v120
	v_add_f32_e32 v61, v26, v50
	v_min3_f32 v58, v57, v58, v56
	v_add_co_u32 v56, vcc_lo, v52, v64
	v_add_co_ci_u32_e64 v57, null, v53, v65, vcc_lo
	v_min3_f32 v59, v61, v60, v59
	s_mov_b32 vcc_lo, s0
	global_store_dword v[56:57], v58, off
	v_max_f32_e32 v56, v59, v59
	s_cbranch_vccz .LBB55_64
; %bb.63:
	v_add_co_u32 v57, vcc_lo, v52, v70
	v_min_f32_e32 v59, 0, v56
	v_add_co_ci_u32_e64 v58, null, v53, v71, vcc_lo
	s_mov_b32 s6, 0
	global_store_dword v[57:58], v59, off
.LBB55_64:
	v_mov_b32_e32 v57, 0
	s_andn2_b32 vcc_lo, exec_lo, s6
	s_cbranch_vccnz .LBB55_66
; %bb.65:
	v_add_co_u32 v57, vcc_lo, v54, v70
	v_add_co_ci_u32_e64 v58, null, v55, v71, vcc_lo
	global_load_dword v57, v[57:58], off
	s_waitcnt vmcnt(0)
	v_mul_f32_e32 v59, s1, v57
	v_add_co_u32 v57, vcc_lo, v52, v70
	v_add_co_ci_u32_e64 v58, null, v53, v71, vcc_lo
	v_min_f32_e32 v56, v59, v56
	v_add_co_u32 v59, vcc_lo, v54, v68
	v_add_co_ci_u32_e64 v60, null, v55, v69, vcc_lo
	global_store_dword v[57:58], v56, off
	global_load_dword v56, v[59:60], off
	s_waitcnt vmcnt(0)
	v_mul_f32_e32 v57, s1, v56
.LBB55_66:
	v_add_f32_e32 v56, v21, v49
	v_add_f32_e32 v58, v20, v48
	v_add_f32_e32 v59, v23, v51
	v_add_f32_e32 v60, v22, v50
	v_add_f32_e32 v61, v17, v49
	v_add_f32_e32 v62, v16, v48
	v_min3_f32 v56, v58, v56, v114
	s_mov_b32 s6, -1
	v_min_f32_e32 v58, v60, v59
	v_add_f32_e32 v60, v19, v51
	v_min3_f32 v59, v62, v61, v116
	v_add_f32_e32 v61, v18, v50
	v_min3_f32 v58, v57, v58, v56
	v_add_co_u32 v56, vcc_lo, v52, v68
	v_add_co_ci_u32_e64 v57, null, v53, v69, vcc_lo
	v_min3_f32 v59, v61, v60, v59
	s_mov_b32 vcc_lo, s0
	global_store_dword v[56:57], v58, off
	v_max_f32_e32 v56, v59, v59
	s_cbranch_vccz .LBB55_68
; %bb.67:
	v_add_co_u32 v57, vcc_lo, v52, v74
	v_min_f32_e32 v59, 0, v56
	v_add_co_ci_u32_e64 v58, null, v53, v75, vcc_lo
	s_mov_b32 s6, 0
	global_store_dword v[57:58], v59, off
.LBB55_68:
	v_mov_b32_e32 v57, 0
	s_andn2_b32 vcc_lo, exec_lo, s6
	s_cbranch_vccnz .LBB55_70
; %bb.69:
	v_add_co_u32 v57, vcc_lo, v54, v74
	v_add_co_ci_u32_e64 v58, null, v55, v75, vcc_lo
	global_load_dword v57, v[57:58], off
	s_waitcnt vmcnt(0)
	v_mul_f32_e32 v59, s1, v57
	v_add_co_u32 v57, vcc_lo, v52, v74
	v_add_co_ci_u32_e64 v58, null, v53, v75, vcc_lo
	v_min_f32_e32 v56, v59, v56
	v_add_co_u32 v59, vcc_lo, v54, v72
	v_add_co_ci_u32_e64 v60, null, v55, v73, vcc_lo
	global_store_dword v[57:58], v56, off
	global_load_dword v56, v[59:60], off
	s_waitcnt vmcnt(0)
	v_mul_f32_e32 v57, s1, v56
.LBB55_70:
	v_add_f32_e32 v56, v13, v49
	v_add_f32_e32 v58, v12, v48
	v_add_f32_e32 v59, v15, v51
	v_add_f32_e32 v60, v14, v50
	v_add_f32_e32 v61, v9, v49
	v_add_f32_e32 v62, v8, v48
	v_min3_f32 v56, v58, v56, v110
	s_mov_b32 s6, -1
	v_min_f32_e32 v58, v60, v59
	v_add_f32_e32 v60, v11, v51
	v_min3_f32 v59, v62, v61, v112
	v_add_f32_e32 v61, v10, v50
	v_min3_f32 v58, v57, v58, v56
	v_add_co_u32 v56, vcc_lo, v52, v72
	v_add_co_ci_u32_e64 v57, null, v53, v73, vcc_lo
	v_min3_f32 v59, v61, v60, v59
	s_mov_b32 vcc_lo, s0
	global_store_dword v[56:57], v58, off
	v_max_f32_e32 v56, v59, v59
	s_cbranch_vccz .LBB55_72
; %bb.71:
	v_add_co_u32 v57, vcc_lo, v52, v76
	v_min_f32_e32 v59, 0, v56
	v_add_co_ci_u32_e64 v58, null, v53, v77, vcc_lo
	s_mov_b32 s6, 0
	global_store_dword v[57:58], v59, off
.LBB55_72:
	v_mov_b32_e32 v57, 0
	s_andn2_b32 vcc_lo, exec_lo, s6
	s_cbranch_vccnz .LBB55_74
; %bb.73:
	v_add_co_u32 v57, vcc_lo, v54, v76
	v_add_co_ci_u32_e64 v58, null, v55, v77, vcc_lo
	global_load_dword v57, v[57:58], off
	s_waitcnt vmcnt(0)
	v_mul_f32_e32 v59, s1, v57
	v_add_co_u32 v57, vcc_lo, v52, v76
	v_add_co_ci_u32_e64 v58, null, v53, v77, vcc_lo
	v_add_co_u32 v54, vcc_lo, v54, v78
	v_min_f32_e32 v56, v59, v56
	v_add_co_ci_u32_e64 v55, null, v55, v79, vcc_lo
	global_store_dword v[57:58], v56, off
	global_load_dword v54, v[54:55], off
	s_waitcnt vmcnt(0)
	v_mul_f32_e32 v57, s1, v54
.LBB55_74:
	v_add_f32_e32 v49, v1, v49
	v_add_f32_e32 v48, v0, v48
	;; [unrolled: 1-line block ×4, first 2 shown]
	s_waitcnt lgkmcnt(3)
	v_add_f32_e32 v54, v33, v45
	v_add_f32_e32 v55, v32, v44
	v_min3_f32 v48, v48, v49, v106
	v_add_f32_e32 v56, v34, v46
	v_min_f32_e32 v49, v50, v51
	v_add_nc_u32_e32 v50, 32, v93
	v_min3_f32 v54, v55, v54, v121
	v_add_f32_e32 v55, v35, v47
	v_add_co_u32 v52, vcc_lo, v52, v78
	v_min3_f32 v57, v57, v49, v48
	v_mad_i64_i32 v[48:49], null, v50, s3, 0
	v_mad_i64_i32 v[50:51], null, v50, s2, 0
	v_add_co_ci_u32_e64 v53, null, v53, v79, vcc_lo
	v_min3_f32 v54, v56, v55, v54
	s_mov_b32 s6, -1
	v_lshlrev_b64 v[48:49], 2, v[48:49]
	global_store_dword v[52:53], v57, off
	v_lshlrev_b64 v[50:51], 2, v[50:51]
	v_max_f32_e32 v52, v54, v54
	v_add_co_u32 v48, vcc_lo, s4, v48
	v_add_co_ci_u32_e64 v49, null, s5, v49, vcc_lo
	v_add_co_u32 v50, vcc_lo, s12, v50
	v_add_co_ci_u32_e64 v51, null, s13, v51, vcc_lo
	s_mov_b32 vcc_lo, s0
	s_cbranch_vccz .LBB55_76
; %bb.75:
	v_add_co_u32 v53, vcc_lo, v48, v66
	v_min_f32_e32 v55, 0, v52
	v_add_co_ci_u32_e64 v54, null, v49, v67, vcc_lo
	s_mov_b32 s6, 0
	global_store_dword v[53:54], v55, off
.LBB55_76:
	v_mov_b32_e32 v53, 0
	s_andn2_b32 vcc_lo, exec_lo, s6
	s_cbranch_vccnz .LBB55_78
; %bb.77:
	v_add_co_u32 v53, vcc_lo, v50, v66
	v_add_co_ci_u32_e64 v54, null, v51, v67, vcc_lo
	global_load_dword v53, v[53:54], off
	s_waitcnt vmcnt(0)
	v_mul_f32_e32 v55, s1, v53
	v_add_co_u32 v53, vcc_lo, v48, v66
	v_add_co_ci_u32_e64 v54, null, v49, v67, vcc_lo
	v_min_f32_e32 v52, v55, v52
	v_add_co_u32 v55, vcc_lo, v50, v64
	v_add_co_ci_u32_e64 v56, null, v51, v65, vcc_lo
	global_store_dword v[53:54], v52, off
	global_load_dword v52, v[55:56], off
	s_waitcnt vmcnt(0)
	v_mul_f32_e32 v53, s1, v52
.LBB55_78:
	v_add_f32_e32 v52, v29, v45
	v_add_f32_e32 v54, v28, v44
	v_add_f32_e32 v55, v31, v47
	v_add_f32_e32 v56, v30, v46
	v_add_f32_e32 v57, v25, v45
	v_add_f32_e32 v58, v24, v44
	v_min3_f32 v52, v54, v52, v115
	s_mov_b32 s6, -1
	v_min_f32_e32 v54, v56, v55
	v_add_f32_e32 v56, v27, v47
	v_min3_f32 v55, v58, v57, v117
	v_add_f32_e32 v57, v26, v46
	v_min3_f32 v54, v53, v54, v52
	v_add_co_u32 v52, vcc_lo, v48, v64
	v_add_co_ci_u32_e64 v53, null, v49, v65, vcc_lo
	v_min3_f32 v55, v57, v56, v55
	s_mov_b32 vcc_lo, s0
	global_store_dword v[52:53], v54, off
	v_max_f32_e32 v52, v55, v55
	s_cbranch_vccz .LBB55_80
; %bb.79:
	v_add_co_u32 v53, vcc_lo, v48, v70
	v_min_f32_e32 v55, 0, v52
	v_add_co_ci_u32_e64 v54, null, v49, v71, vcc_lo
	s_mov_b32 s6, 0
	global_store_dword v[53:54], v55, off
.LBB55_80:
	v_mov_b32_e32 v53, 0
	s_andn2_b32 vcc_lo, exec_lo, s6
	s_cbranch_vccnz .LBB55_82
; %bb.81:
	v_add_co_u32 v53, vcc_lo, v50, v70
	v_add_co_ci_u32_e64 v54, null, v51, v71, vcc_lo
	global_load_dword v53, v[53:54], off
	s_waitcnt vmcnt(0)
	v_mul_f32_e32 v55, s1, v53
	v_add_co_u32 v53, vcc_lo, v48, v70
	v_add_co_ci_u32_e64 v54, null, v49, v71, vcc_lo
	v_min_f32_e32 v52, v55, v52
	v_add_co_u32 v55, vcc_lo, v50, v68
	v_add_co_ci_u32_e64 v56, null, v51, v69, vcc_lo
	global_store_dword v[53:54], v52, off
	global_load_dword v52, v[55:56], off
	s_waitcnt vmcnt(0)
	v_mul_f32_e32 v53, s1, v52
.LBB55_82:
	v_add_f32_e32 v52, v21, v45
	v_add_f32_e32 v54, v20, v44
	v_add_f32_e32 v55, v23, v47
	v_add_f32_e32 v56, v22, v46
	v_add_f32_e32 v57, v17, v45
	v_add_f32_e32 v58, v16, v44
	v_min3_f32 v52, v54, v52, v111
	s_mov_b32 s6, -1
	v_min_f32_e32 v54, v56, v55
	v_add_f32_e32 v56, v19, v47
	v_min3_f32 v55, v58, v57, v113
	v_add_f32_e32 v57, v18, v46
	v_min3_f32 v54, v53, v54, v52
	v_add_co_u32 v52, vcc_lo, v48, v68
	v_add_co_ci_u32_e64 v53, null, v49, v69, vcc_lo
	v_min3_f32 v55, v57, v56, v55
	s_mov_b32 vcc_lo, s0
	global_store_dword v[52:53], v54, off
	v_max_f32_e32 v52, v55, v55
	;; [unrolled: 46-line block ×3, first 2 shown]
	s_cbranch_vccz .LBB55_88
; %bb.87:
	v_add_co_u32 v53, vcc_lo, v48, v76
	v_min_f32_e32 v55, 0, v52
	v_add_co_ci_u32_e64 v54, null, v49, v77, vcc_lo
	s_mov_b32 s6, 0
	global_store_dword v[53:54], v55, off
.LBB55_88:
	v_mov_b32_e32 v53, 0
	s_andn2_b32 vcc_lo, exec_lo, s6
	s_cbranch_vccnz .LBB55_90
; %bb.89:
	v_add_co_u32 v53, vcc_lo, v50, v76
	v_add_co_ci_u32_e64 v54, null, v51, v77, vcc_lo
	global_load_dword v53, v[53:54], off
	s_waitcnt vmcnt(0)
	v_mul_f32_e32 v55, s1, v53
	v_add_co_u32 v53, vcc_lo, v48, v76
	v_add_co_ci_u32_e64 v54, null, v49, v77, vcc_lo
	v_add_co_u32 v50, vcc_lo, v50, v78
	v_min_f32_e32 v52, v55, v52
	v_add_co_ci_u32_e64 v51, null, v51, v79, vcc_lo
	global_store_dword v[53:54], v52, off
	global_load_dword v50, v[50:51], off
	s_waitcnt vmcnt(0)
	v_mul_f32_e32 v53, s1, v50
.LBB55_90:
	v_add_f32_e32 v45, v1, v45
	v_add_f32_e32 v44, v0, v44
	;; [unrolled: 1-line block ×4, first 2 shown]
	s_waitcnt lgkmcnt(2)
	v_add_f32_e32 v50, v33, v41
	v_add_f32_e32 v51, v32, v40
	v_min3_f32 v44, v44, v45, v103
	v_add_f32_e32 v52, v34, v42
	v_min_f32_e32 v45, v46, v47
	v_add_nc_u32_e32 v46, 40, v93
	v_min3_f32 v50, v51, v50, v109
	v_add_f32_e32 v51, v35, v43
	v_add_co_u32 v48, vcc_lo, v48, v78
	v_min3_f32 v53, v53, v45, v44
	v_mad_i64_i32 v[44:45], null, v46, s3, 0
	v_mad_i64_i32 v[46:47], null, v46, s2, 0
	v_add_co_ci_u32_e64 v49, null, v49, v79, vcc_lo
	v_min3_f32 v50, v52, v51, v50
	s_mov_b32 s6, -1
	v_lshlrev_b64 v[44:45], 2, v[44:45]
	global_store_dword v[48:49], v53, off
	v_lshlrev_b64 v[46:47], 2, v[46:47]
	v_max_f32_e32 v48, v50, v50
	v_add_co_u32 v44, vcc_lo, s4, v44
	v_add_co_ci_u32_e64 v45, null, s5, v45, vcc_lo
	v_add_co_u32 v46, vcc_lo, s12, v46
	v_add_co_ci_u32_e64 v47, null, s13, v47, vcc_lo
	s_mov_b32 vcc_lo, s0
	s_cbranch_vccz .LBB55_92
; %bb.91:
	v_add_co_u32 v49, vcc_lo, v44, v66
	v_min_f32_e32 v51, 0, v48
	v_add_co_ci_u32_e64 v50, null, v45, v67, vcc_lo
	s_mov_b32 s6, 0
	global_store_dword v[49:50], v51, off
.LBB55_92:
	v_mov_b32_e32 v49, 0
	s_andn2_b32 vcc_lo, exec_lo, s6
	s_cbranch_vccnz .LBB55_94
; %bb.93:
	v_add_co_u32 v49, vcc_lo, v46, v66
	v_add_co_ci_u32_e64 v50, null, v47, v67, vcc_lo
	global_load_dword v49, v[49:50], off
	s_waitcnt vmcnt(0)
	v_mul_f32_e32 v51, s1, v49
	v_add_co_u32 v49, vcc_lo, v44, v66
	v_add_co_ci_u32_e64 v50, null, v45, v67, vcc_lo
	v_min_f32_e32 v48, v51, v48
	v_add_co_u32 v51, vcc_lo, v46, v64
	v_add_co_ci_u32_e64 v52, null, v47, v65, vcc_lo
	global_store_dword v[49:50], v48, off
	global_load_dword v48, v[51:52], off
	s_waitcnt vmcnt(0)
	v_mul_f32_e32 v49, s1, v48
.LBB55_94:
	v_add_f32_e32 v48, v29, v41
	v_add_f32_e32 v50, v28, v40
	v_add_f32_e32 v51, v31, v43
	v_add_f32_e32 v52, v30, v42
	v_add_f32_e32 v53, v25, v41
	v_add_f32_e32 v54, v24, v40
	v_min3_f32 v48, v50, v48, v104
	s_mov_b32 s6, -1
	v_min_f32_e32 v50, v52, v51
	v_add_f32_e32 v52, v27, v43
	v_min3_f32 v51, v54, v53, v105
	v_add_f32_e32 v53, v26, v42
	v_min3_f32 v50, v49, v50, v48
	v_add_co_u32 v48, vcc_lo, v44, v64
	v_add_co_ci_u32_e64 v49, null, v45, v65, vcc_lo
	v_min3_f32 v51, v53, v52, v51
	s_mov_b32 vcc_lo, s0
	global_store_dword v[48:49], v50, off
	v_max_f32_e32 v48, v51, v51
	s_cbranch_vccz .LBB55_96
; %bb.95:
	v_add_co_u32 v49, vcc_lo, v44, v70
	v_min_f32_e32 v51, 0, v48
	v_add_co_ci_u32_e64 v50, null, v45, v71, vcc_lo
	s_mov_b32 s6, 0
	global_store_dword v[49:50], v51, off
.LBB55_96:
	v_mov_b32_e32 v49, 0
	s_andn2_b32 vcc_lo, exec_lo, s6
	s_cbranch_vccnz .LBB55_98
; %bb.97:
	v_add_co_u32 v49, vcc_lo, v46, v70
	v_add_co_ci_u32_e64 v50, null, v47, v71, vcc_lo
	global_load_dword v49, v[49:50], off
	s_waitcnt vmcnt(0)
	v_mul_f32_e32 v51, s1, v49
	v_add_co_u32 v49, vcc_lo, v44, v70
	v_add_co_ci_u32_e64 v50, null, v45, v71, vcc_lo
	v_min_f32_e32 v48, v51, v48
	v_add_co_u32 v51, vcc_lo, v46, v68
	v_add_co_ci_u32_e64 v52, null, v47, v69, vcc_lo
	global_store_dword v[49:50], v48, off
	global_load_dword v48, v[51:52], off
	s_waitcnt vmcnt(0)
	v_mul_f32_e32 v49, s1, v48
.LBB55_98:
	v_add_f32_e32 v48, v21, v41
	v_add_f32_e32 v50, v20, v40
	v_add_f32_e32 v51, v23, v43
	v_add_f32_e32 v52, v22, v42
	v_add_f32_e32 v53, v17, v41
	v_add_f32_e32 v54, v16, v40
	v_min3_f32 v48, v50, v48, v101
	s_mov_b32 s6, -1
	v_min_f32_e32 v50, v52, v51
	v_add_f32_e32 v52, v19, v43
	v_min3_f32 v51, v54, v53, v102
	v_add_f32_e32 v53, v18, v42
	v_min3_f32 v50, v49, v50, v48
	v_add_co_u32 v48, vcc_lo, v44, v68
	v_add_co_ci_u32_e64 v49, null, v45, v69, vcc_lo
	v_min3_f32 v51, v53, v52, v51
	s_mov_b32 vcc_lo, s0
	global_store_dword v[48:49], v50, off
	v_max_f32_e32 v48, v51, v51
	s_cbranch_vccz .LBB55_100
; %bb.99:
	v_add_co_u32 v49, vcc_lo, v44, v74
	v_min_f32_e32 v51, 0, v48
	v_add_co_ci_u32_e64 v50, null, v45, v75, vcc_lo
	s_mov_b32 s6, 0
	global_store_dword v[49:50], v51, off
.LBB55_100:
	v_mov_b32_e32 v49, 0
	s_andn2_b32 vcc_lo, exec_lo, s6
	s_cbranch_vccnz .LBB55_102
; %bb.101:
	v_add_co_u32 v49, vcc_lo, v46, v74
	v_add_co_ci_u32_e64 v50, null, v47, v75, vcc_lo
	global_load_dword v49, v[49:50], off
	s_waitcnt vmcnt(0)
	v_mul_f32_e32 v51, s1, v49
	v_add_co_u32 v49, vcc_lo, v44, v74
	v_add_co_ci_u32_e64 v50, null, v45, v75, vcc_lo
	v_min_f32_e32 v48, v51, v48
	v_add_co_u32 v51, vcc_lo, v46, v72
	v_add_co_ci_u32_e64 v52, null, v47, v73, vcc_lo
	global_store_dword v[49:50], v48, off
	global_load_dword v48, v[51:52], off
	s_waitcnt vmcnt(0)
	v_mul_f32_e32 v49, s1, v48
.LBB55_102:
	v_add_f32_e32 v48, v13, v41
	v_add_f32_e32 v50, v12, v40
	v_add_f32_e32 v51, v15, v43
	v_add_f32_e32 v52, v14, v42
	v_add_f32_e32 v53, v9, v41
	v_add_f32_e32 v54, v8, v40
	v_min3_f32 v48, v50, v48, v98
	s_mov_b32 s6, -1
	v_min_f32_e32 v50, v52, v51
	v_add_f32_e32 v52, v11, v43
	v_min3_f32 v51, v54, v53, v99
	v_add_f32_e32 v53, v10, v42
	v_min3_f32 v50, v49, v50, v48
	v_add_co_u32 v48, vcc_lo, v44, v72
	v_add_co_ci_u32_e64 v49, null, v45, v73, vcc_lo
	v_min3_f32 v51, v53, v52, v51
	s_mov_b32 vcc_lo, s0
	global_store_dword v[48:49], v50, off
	v_max_f32_e32 v48, v51, v51
	s_cbranch_vccz .LBB55_104
; %bb.103:
	v_add_co_u32 v49, vcc_lo, v44, v76
	v_min_f32_e32 v51, 0, v48
	v_add_co_ci_u32_e64 v50, null, v45, v77, vcc_lo
	s_mov_b32 s6, 0
	global_store_dword v[49:50], v51, off
.LBB55_104:
	v_mov_b32_e32 v49, 0
	s_andn2_b32 vcc_lo, exec_lo, s6
	s_cbranch_vccnz .LBB55_106
; %bb.105:
	v_add_co_u32 v49, vcc_lo, v46, v76
	v_add_co_ci_u32_e64 v50, null, v47, v77, vcc_lo
	global_load_dword v49, v[49:50], off
	s_waitcnt vmcnt(0)
	v_mul_f32_e32 v51, s1, v49
	v_add_co_u32 v49, vcc_lo, v44, v76
	v_add_co_ci_u32_e64 v50, null, v45, v77, vcc_lo
	v_add_co_u32 v46, vcc_lo, v46, v78
	v_min_f32_e32 v48, v51, v48
	v_add_co_ci_u32_e64 v47, null, v47, v79, vcc_lo
	global_store_dword v[49:50], v48, off
	global_load_dword v46, v[46:47], off
	s_waitcnt vmcnt(0)
	v_mul_f32_e32 v49, s1, v46
.LBB55_106:
	v_add_f32_e32 v41, v1, v41
	v_add_f32_e32 v40, v0, v40
	;; [unrolled: 1-line block ×4, first 2 shown]
	s_waitcnt lgkmcnt(1)
	v_add_f32_e32 v46, v33, v37
	v_add_f32_e32 v47, v32, v36
	v_min3_f32 v40, v40, v41, v92
	v_add_f32_e32 v48, v34, v38
	v_min_f32_e32 v41, v42, v43
	v_add_nc_u32_e32 v42, 48, v93
	v_min3_f32 v46, v47, v46, v100
	v_add_f32_e32 v47, v35, v39
	v_add_co_u32 v44, vcc_lo, v44, v78
	v_min3_f32 v49, v49, v41, v40
	v_mad_i64_i32 v[40:41], null, v42, s3, 0
	v_mad_i64_i32 v[42:43], null, v42, s2, 0
	v_add_co_ci_u32_e64 v45, null, v45, v79, vcc_lo
	v_min3_f32 v46, v48, v47, v46
	s_mov_b32 s6, -1
	v_lshlrev_b64 v[40:41], 2, v[40:41]
	global_store_dword v[44:45], v49, off
	v_lshlrev_b64 v[42:43], 2, v[42:43]
	v_max_f32_e32 v44, v46, v46
	v_add_co_u32 v40, vcc_lo, s4, v40
	v_add_co_ci_u32_e64 v41, null, s5, v41, vcc_lo
	v_add_co_u32 v42, vcc_lo, s12, v42
	v_add_co_ci_u32_e64 v43, null, s13, v43, vcc_lo
	s_mov_b32 vcc_lo, s0
	s_cbranch_vccz .LBB55_108
; %bb.107:
	v_add_co_u32 v45, vcc_lo, v40, v66
	v_min_f32_e32 v47, 0, v44
	v_add_co_ci_u32_e64 v46, null, v41, v67, vcc_lo
	s_mov_b32 s6, 0
	global_store_dword v[45:46], v47, off
.LBB55_108:
	v_mov_b32_e32 v45, 0
	s_andn2_b32 vcc_lo, exec_lo, s6
	s_cbranch_vccnz .LBB55_110
; %bb.109:
	v_add_co_u32 v45, vcc_lo, v42, v66
	v_add_co_ci_u32_e64 v46, null, v43, v67, vcc_lo
	global_load_dword v45, v[45:46], off
	s_waitcnt vmcnt(0)
	v_mul_f32_e32 v47, s1, v45
	v_add_co_u32 v45, vcc_lo, v40, v66
	v_add_co_ci_u32_e64 v46, null, v41, v67, vcc_lo
	v_min_f32_e32 v44, v47, v44
	v_add_co_u32 v47, vcc_lo, v42, v64
	v_add_co_ci_u32_e64 v48, null, v43, v65, vcc_lo
	global_store_dword v[45:46], v44, off
	global_load_dword v44, v[47:48], off
	s_waitcnt vmcnt(0)
	v_mul_f32_e32 v45, s1, v44
.LBB55_110:
	v_add_f32_e32 v44, v29, v37
	v_add_f32_e32 v46, v28, v36
	v_add_f32_e32 v47, v31, v39
	v_add_f32_e32 v48, v30, v38
	v_add_f32_e32 v49, v25, v37
	v_add_f32_e32 v50, v24, v36
	v_min3_f32 v44, v46, v44, v96
	s_mov_b32 s6, -1
	v_min_f32_e32 v46, v48, v47
	v_add_f32_e32 v48, v27, v39
	v_min3_f32 v47, v50, v49, v97
	v_add_f32_e32 v49, v26, v38
	v_min3_f32 v46, v45, v46, v44
	v_add_co_u32 v44, vcc_lo, v40, v64
	v_add_co_ci_u32_e64 v45, null, v41, v65, vcc_lo
	v_min3_f32 v47, v49, v48, v47
	s_mov_b32 vcc_lo, s0
	global_store_dword v[44:45], v46, off
	v_max_f32_e32 v44, v47, v47
	s_cbranch_vccz .LBB55_112
; %bb.111:
	v_add_co_u32 v45, vcc_lo, v40, v70
	v_min_f32_e32 v47, 0, v44
	v_add_co_ci_u32_e64 v46, null, v41, v71, vcc_lo
	s_mov_b32 s6, 0
	global_store_dword v[45:46], v47, off
.LBB55_112:
	v_mov_b32_e32 v45, 0
	s_andn2_b32 vcc_lo, exec_lo, s6
	s_cbranch_vccnz .LBB55_114
; %bb.113:
	v_add_co_u32 v45, vcc_lo, v42, v70
	v_add_co_ci_u32_e64 v46, null, v43, v71, vcc_lo
	global_load_dword v45, v[45:46], off
	s_waitcnt vmcnt(0)
	v_mul_f32_e32 v47, s1, v45
	v_add_co_u32 v45, vcc_lo, v40, v70
	v_add_co_ci_u32_e64 v46, null, v41, v71, vcc_lo
	v_min_f32_e32 v44, v47, v44
	v_add_co_u32 v47, vcc_lo, v42, v68
	v_add_co_ci_u32_e64 v48, null, v43, v69, vcc_lo
	global_store_dword v[45:46], v44, off
	global_load_dword v44, v[47:48], off
	s_waitcnt vmcnt(0)
	v_mul_f32_e32 v45, s1, v44
.LBB55_114:
	v_add_f32_e32 v44, v21, v37
	v_add_f32_e32 v46, v20, v36
	v_add_f32_e32 v47, v23, v39
	v_add_f32_e32 v48, v22, v38
	v_add_f32_e32 v49, v17, v37
	v_add_f32_e32 v50, v16, v36
	v_min3_f32 v44, v46, v44, v90
	s_mov_b32 s6, -1
	v_min_f32_e32 v46, v48, v47
	v_add_f32_e32 v48, v19, v39
	v_min3_f32 v47, v50, v49, v91
	v_add_f32_e32 v49, v18, v38
	v_min3_f32 v46, v45, v46, v44
	v_add_co_u32 v44, vcc_lo, v40, v68
	v_add_co_ci_u32_e64 v45, null, v41, v69, vcc_lo
	v_min3_f32 v47, v49, v48, v47
	s_mov_b32 vcc_lo, s0
	global_store_dword v[44:45], v46, off
	v_max_f32_e32 v44, v47, v47
	;; [unrolled: 46-line block ×3, first 2 shown]
	s_cbranch_vccz .LBB55_120
; %bb.119:
	v_add_co_u32 v45, vcc_lo, v40, v76
	v_min_f32_e32 v47, 0, v44
	v_add_co_ci_u32_e64 v46, null, v41, v77, vcc_lo
	s_mov_b32 s6, 0
	global_store_dword v[45:46], v47, off
.LBB55_120:
	v_mov_b32_e32 v45, 0
	s_andn2_b32 vcc_lo, exec_lo, s6
	s_cbranch_vccnz .LBB55_122
; %bb.121:
	v_add_co_u32 v45, vcc_lo, v42, v76
	v_add_co_ci_u32_e64 v46, null, v43, v77, vcc_lo
	global_load_dword v45, v[45:46], off
	s_waitcnt vmcnt(0)
	v_mul_f32_e32 v47, s1, v45
	v_add_co_u32 v45, vcc_lo, v40, v76
	v_add_co_ci_u32_e64 v46, null, v41, v77, vcc_lo
	v_add_co_u32 v42, vcc_lo, v42, v78
	v_min_f32_e32 v44, v47, v44
	v_add_co_ci_u32_e64 v43, null, v43, v79, vcc_lo
	global_store_dword v[45:46], v44, off
	global_load_dword v42, v[42:43], off
	s_waitcnt vmcnt(0)
	v_mul_f32_e32 v45, s1, v42
.LBB55_122:
	v_add_f32_e32 v37, v1, v37
	v_add_f32_e32 v36, v0, v36
	;; [unrolled: 1-line block ×4, first 2 shown]
	s_waitcnt lgkmcnt(0)
	v_add_f32_e32 v33, v33, v5
	v_add_f32_e32 v32, v32, v4
	v_min3_f32 v36, v36, v37, v86
	v_add_f32_e32 v42, v35, v7
	v_min_f32_e32 v37, v38, v39
	v_add_nc_u32_e32 v39, 56, v93
	v_min3_f32 v38, v32, v33, v87
	v_add_f32_e32 v43, v34, v6
	v_min3_f32 v44, v45, v37, v36
	v_mad_i64_i32 v[32:33], null, v39, s3, 0
	v_mad_i64_i32 v[34:35], null, v39, s2, 0
	v_add_co_u32 v36, vcc_lo, v40, v78
	v_add_co_ci_u32_e64 v37, null, v41, v79, vcc_lo
	v_lshlrev_b64 v[32:33], 2, v[32:33]
	v_min3_f32 v38, v43, v42, v38
	v_lshlrev_b64 v[34:35], 2, v[34:35]
	global_store_dword v[36:37], v44, off
	s_mov_b32 s2, -1
	v_add_co_u32 v32, vcc_lo, s4, v32
	v_add_co_ci_u32_e64 v33, null, s5, v33, vcc_lo
	v_add_co_u32 v34, vcc_lo, s12, v34
	v_add_co_ci_u32_e64 v35, null, s13, v35, vcc_lo
	v_max_f32_e32 v36, v38, v38
	s_mov_b32 vcc_lo, s0
	s_cbranch_vccz .LBB55_124
; %bb.123:
	v_add_co_u32 v37, vcc_lo, v32, v66
	v_min_f32_e32 v39, 0, v36
	v_add_co_ci_u32_e64 v38, null, v33, v67, vcc_lo
	s_mov_b32 s2, 0
	global_store_dword v[37:38], v39, off
.LBB55_124:
	v_mov_b32_e32 v37, 0
	s_andn2_b32 vcc_lo, exec_lo, s2
	s_cbranch_vccnz .LBB55_126
; %bb.125:
	v_add_co_u32 v37, vcc_lo, v34, v66
	v_add_co_ci_u32_e64 v38, null, v35, v67, vcc_lo
	global_load_dword v37, v[37:38], off
	s_waitcnt vmcnt(0)
	v_mul_f32_e32 v39, s1, v37
	v_add_co_u32 v37, vcc_lo, v32, v66
	v_add_co_ci_u32_e64 v38, null, v33, v67, vcc_lo
	v_min_f32_e32 v36, v39, v36
	v_add_co_u32 v39, vcc_lo, v34, v64
	v_add_co_ci_u32_e64 v40, null, v35, v65, vcc_lo
	global_store_dword v[37:38], v36, off
	global_load_dword v36, v[39:40], off
	s_waitcnt vmcnt(0)
	v_mul_f32_e32 v37, s1, v36
.LBB55_126:
	v_add_f32_e32 v29, v29, v5
	v_add_f32_e32 v28, v28, v4
	v_add_f32_e32 v31, v31, v7
	v_add_f32_e32 v30, v30, v6
	v_add_f32_e32 v25, v25, v5
	v_add_f32_e32 v24, v24, v4
	v_min3_f32 v28, v28, v29, v84
	v_add_f32_e32 v27, v27, v7
	v_min_f32_e32 v29, v30, v31
	v_add_f32_e32 v26, v26, v6
	v_min3_f32 v30, v24, v25, v85
	v_add_co_u32 v24, vcc_lo, v32, v64
	v_min3_f32 v28, v37, v29, v28
	v_add_co_ci_u32_e64 v25, null, v33, v65, vcc_lo
	v_min3_f32 v26, v26, v27, v30
	s_mov_b32 s2, -1
	s_mov_b32 vcc_lo, s0
	global_store_dword v[24:25], v28, off
	v_max_f32_e32 v24, v26, v26
	s_cbranch_vccz .LBB55_128
; %bb.127:
	v_add_co_u32 v25, vcc_lo, v32, v70
	v_min_f32_e32 v27, 0, v24
	v_add_co_ci_u32_e64 v26, null, v33, v71, vcc_lo
	s_mov_b32 s2, 0
	global_store_dword v[25:26], v27, off
.LBB55_128:
	v_mov_b32_e32 v25, 0
	s_andn2_b32 vcc_lo, exec_lo, s2
	s_cbranch_vccnz .LBB55_130
; %bb.129:
	v_add_co_u32 v25, vcc_lo, v34, v70
	v_add_co_ci_u32_e64 v26, null, v35, v71, vcc_lo
	global_load_dword v25, v[25:26], off
	s_waitcnt vmcnt(0)
	v_mul_f32_e32 v27, s1, v25
	v_add_co_u32 v25, vcc_lo, v32, v70
	v_add_co_ci_u32_e64 v26, null, v33, v71, vcc_lo
	v_min_f32_e32 v24, v27, v24
	v_add_co_u32 v27, vcc_lo, v34, v68
	v_add_co_ci_u32_e64 v28, null, v35, v69, vcc_lo
	global_store_dword v[25:26], v24, off
	global_load_dword v24, v[27:28], off
	s_waitcnt vmcnt(0)
	v_mul_f32_e32 v25, s1, v24
.LBB55_130:
	v_add_f32_e32 v21, v21, v5
	v_add_f32_e32 v20, v20, v4
	v_add_f32_e32 v23, v23, v7
	v_add_f32_e32 v22, v22, v6
	v_add_f32_e32 v17, v17, v5
	v_add_f32_e32 v16, v16, v4
	v_min3_f32 v20, v20, v21, v82
	v_add_f32_e32 v19, v19, v7
	v_min_f32_e32 v21, v22, v23
	v_add_f32_e32 v18, v18, v6
	v_min3_f32 v22, v16, v17, v83
	v_add_co_u32 v16, vcc_lo, v32, v68
	v_min3_f32 v20, v25, v21, v20
	v_add_co_ci_u32_e64 v17, null, v33, v69, vcc_lo
	v_min3_f32 v18, v18, v19, v22
	s_mov_b32 s2, -1
	s_mov_b32 vcc_lo, s0
	global_store_dword v[16:17], v20, off
	v_max_f32_e32 v16, v18, v18
	;; [unrolled: 46-line block ×3, first 2 shown]
	s_cbranch_vccz .LBB55_136
; %bb.135:
	v_add_co_u32 v9, vcc_lo, v32, v76
	v_min_f32_e32 v11, 0, v8
	v_add_co_ci_u32_e64 v10, null, v33, v77, vcc_lo
	s_mov_b32 s2, 0
	global_store_dword v[9:10], v11, off
.LBB55_136:
	v_mov_b32_e32 v9, 0
	s_andn2_b32 vcc_lo, exec_lo, s2
	s_cbranch_vccnz .LBB55_138
; %bb.137:
	v_add_co_u32 v9, vcc_lo, v34, v76
	v_add_co_ci_u32_e64 v10, null, v35, v77, vcc_lo
	global_load_dword v9, v[9:10], off
	s_waitcnt vmcnt(0)
	v_mul_f32_e32 v11, s1, v9
	v_add_co_u32 v9, vcc_lo, v32, v76
	v_add_co_ci_u32_e64 v10, null, v33, v77, vcc_lo
	v_min_f32_e32 v8, v11, v8
	v_add_co_u32 v11, vcc_lo, v34, v78
	v_add_co_ci_u32_e64 v12, null, v35, v79, vcc_lo
	global_store_dword v[9:10], v8, off
	global_load_dword v8, v[11:12], off
	s_waitcnt vmcnt(0)
	v_mul_f32_e32 v9, s1, v8
.LBB55_138:
	v_add_f32_e32 v3, v3, v7
	v_add_f32_e32 v2, v2, v6
	;; [unrolled: 1-line block ×4, first 2 shown]
	v_min_f32_e32 v2, v2, v3
	v_min3_f32 v0, v0, v1, v123
	v_min3_f32 v2, v9, v2, v0
	v_add_co_u32 v0, vcc_lo, v32, v78
	v_add_co_ci_u32_e64 v1, null, v33, v79, vcc_lo
	global_store_dword v[0:1], v2, off
	s_endpgm
.LBB55_139:
	s_mov_b64 s[16:17], 0
	s_andn2_b32 vcc_lo, exec_lo, s8
	s_mov_b32 s0, -1
	s_cbranch_vccz .LBB55_2
	s_branch .LBB55_3
	.section	.rodata,"a",@progbits
	.p2align	6, 0x0
	.amdhsa_kernel _ZN12_GLOBAL__N_120geam_min_plus_kernelIf15HIP_vector_typeIfLj2EEfLi32ELi8ELi256ELi64ELi4ELi64ELi4ELi4ELi64ELc78ELc78ELb1ELb0ELb1EfKffEEviiiT16_PT17_ilS6_ilS4_S6_ilPT18_ili26rocblas_geam_ex_operation_
		.amdhsa_group_segment_fixed_size 10240
		.amdhsa_private_segment_fixed_size 0
		.amdhsa_kernarg_size 128
		.amdhsa_user_sgpr_count 6
		.amdhsa_user_sgpr_private_segment_buffer 1
		.amdhsa_user_sgpr_dispatch_ptr 0
		.amdhsa_user_sgpr_queue_ptr 0
		.amdhsa_user_sgpr_kernarg_segment_ptr 1
		.amdhsa_user_sgpr_dispatch_id 0
		.amdhsa_user_sgpr_flat_scratch_init 0
		.amdhsa_user_sgpr_private_segment_size 0
		.amdhsa_wavefront_size32 1
		.amdhsa_uses_dynamic_stack 0
		.amdhsa_system_sgpr_private_segment_wavefront_offset 0
		.amdhsa_system_sgpr_workgroup_id_x 1
		.amdhsa_system_sgpr_workgroup_id_y 0
		.amdhsa_system_sgpr_workgroup_id_z 1
		.amdhsa_system_sgpr_workgroup_info 0
		.amdhsa_system_vgpr_workitem_id 1
		.amdhsa_next_free_vgpr 174
		.amdhsa_next_free_sgpr 22
		.amdhsa_reserve_vcc 1
		.amdhsa_reserve_flat_scratch 0
		.amdhsa_float_round_mode_32 0
		.amdhsa_float_round_mode_16_64 0
		.amdhsa_float_denorm_mode_32 3
		.amdhsa_float_denorm_mode_16_64 3
		.amdhsa_dx10_clamp 1
		.amdhsa_ieee_mode 1
		.amdhsa_fp16_overflow 0
		.amdhsa_workgroup_processor_mode 1
		.amdhsa_memory_ordered 1
		.amdhsa_forward_progress 1
		.amdhsa_shared_vgpr_count 0
		.amdhsa_exception_fp_ieee_invalid_op 0
		.amdhsa_exception_fp_denorm_src 0
		.amdhsa_exception_fp_ieee_div_zero 0
		.amdhsa_exception_fp_ieee_overflow 0
		.amdhsa_exception_fp_ieee_underflow 0
		.amdhsa_exception_fp_ieee_inexact 0
		.amdhsa_exception_int_div_zero 0
	.end_amdhsa_kernel
	.section	.text._ZN12_GLOBAL__N_120geam_min_plus_kernelIf15HIP_vector_typeIfLj2EEfLi32ELi8ELi256ELi64ELi4ELi64ELi4ELi4ELi64ELc78ELc78ELb1ELb0ELb1EfKffEEviiiT16_PT17_ilS6_ilS4_S6_ilPT18_ili26rocblas_geam_ex_operation_,"axG",@progbits,_ZN12_GLOBAL__N_120geam_min_plus_kernelIf15HIP_vector_typeIfLj2EEfLi32ELi8ELi256ELi64ELi4ELi64ELi4ELi4ELi64ELc78ELc78ELb1ELb0ELb1EfKffEEviiiT16_PT17_ilS6_ilS4_S6_ilPT18_ili26rocblas_geam_ex_operation_,comdat
.Lfunc_end55:
	.size	_ZN12_GLOBAL__N_120geam_min_plus_kernelIf15HIP_vector_typeIfLj2EEfLi32ELi8ELi256ELi64ELi4ELi64ELi4ELi4ELi64ELc78ELc78ELb1ELb0ELb1EfKffEEviiiT16_PT17_ilS6_ilS4_S6_ilPT18_ili26rocblas_geam_ex_operation_, .Lfunc_end55-_ZN12_GLOBAL__N_120geam_min_plus_kernelIf15HIP_vector_typeIfLj2EEfLi32ELi8ELi256ELi64ELi4ELi64ELi4ELi4ELi64ELc78ELc78ELb1ELb0ELb1EfKffEEviiiT16_PT17_ilS6_ilS4_S6_ilPT18_ili26rocblas_geam_ex_operation_
                                        ; -- End function
	.set _ZN12_GLOBAL__N_120geam_min_plus_kernelIf15HIP_vector_typeIfLj2EEfLi32ELi8ELi256ELi64ELi4ELi64ELi4ELi4ELi64ELc78ELc78ELb1ELb0ELb1EfKffEEviiiT16_PT17_ilS6_ilS4_S6_ilPT18_ili26rocblas_geam_ex_operation_.num_vgpr, 174
	.set _ZN12_GLOBAL__N_120geam_min_plus_kernelIf15HIP_vector_typeIfLj2EEfLi32ELi8ELi256ELi64ELi4ELi64ELi4ELi4ELi64ELc78ELc78ELb1ELb0ELb1EfKffEEviiiT16_PT17_ilS6_ilS4_S6_ilPT18_ili26rocblas_geam_ex_operation_.num_agpr, 0
	.set _ZN12_GLOBAL__N_120geam_min_plus_kernelIf15HIP_vector_typeIfLj2EEfLi32ELi8ELi256ELi64ELi4ELi64ELi4ELi4ELi64ELc78ELc78ELb1ELb0ELb1EfKffEEviiiT16_PT17_ilS6_ilS4_S6_ilPT18_ili26rocblas_geam_ex_operation_.numbered_sgpr, 22
	.set _ZN12_GLOBAL__N_120geam_min_plus_kernelIf15HIP_vector_typeIfLj2EEfLi32ELi8ELi256ELi64ELi4ELi64ELi4ELi4ELi64ELc78ELc78ELb1ELb0ELb1EfKffEEviiiT16_PT17_ilS6_ilS4_S6_ilPT18_ili26rocblas_geam_ex_operation_.num_named_barrier, 0
	.set _ZN12_GLOBAL__N_120geam_min_plus_kernelIf15HIP_vector_typeIfLj2EEfLi32ELi8ELi256ELi64ELi4ELi64ELi4ELi4ELi64ELc78ELc78ELb1ELb0ELb1EfKffEEviiiT16_PT17_ilS6_ilS4_S6_ilPT18_ili26rocblas_geam_ex_operation_.private_seg_size, 0
	.set _ZN12_GLOBAL__N_120geam_min_plus_kernelIf15HIP_vector_typeIfLj2EEfLi32ELi8ELi256ELi64ELi4ELi64ELi4ELi4ELi64ELc78ELc78ELb1ELb0ELb1EfKffEEviiiT16_PT17_ilS6_ilS4_S6_ilPT18_ili26rocblas_geam_ex_operation_.uses_vcc, 1
	.set _ZN12_GLOBAL__N_120geam_min_plus_kernelIf15HIP_vector_typeIfLj2EEfLi32ELi8ELi256ELi64ELi4ELi64ELi4ELi4ELi64ELc78ELc78ELb1ELb0ELb1EfKffEEviiiT16_PT17_ilS6_ilS4_S6_ilPT18_ili26rocblas_geam_ex_operation_.uses_flat_scratch, 0
	.set _ZN12_GLOBAL__N_120geam_min_plus_kernelIf15HIP_vector_typeIfLj2EEfLi32ELi8ELi256ELi64ELi4ELi64ELi4ELi4ELi64ELc78ELc78ELb1ELb0ELb1EfKffEEviiiT16_PT17_ilS6_ilS4_S6_ilPT18_ili26rocblas_geam_ex_operation_.has_dyn_sized_stack, 0
	.set _ZN12_GLOBAL__N_120geam_min_plus_kernelIf15HIP_vector_typeIfLj2EEfLi32ELi8ELi256ELi64ELi4ELi64ELi4ELi4ELi64ELc78ELc78ELb1ELb0ELb1EfKffEEviiiT16_PT17_ilS6_ilS4_S6_ilPT18_ili26rocblas_geam_ex_operation_.has_recursion, 0
	.set _ZN12_GLOBAL__N_120geam_min_plus_kernelIf15HIP_vector_typeIfLj2EEfLi32ELi8ELi256ELi64ELi4ELi64ELi4ELi4ELi64ELc78ELc78ELb1ELb0ELb1EfKffEEviiiT16_PT17_ilS6_ilS4_S6_ilPT18_ili26rocblas_geam_ex_operation_.has_indirect_call, 0
	.section	.AMDGPU.csdata,"",@progbits
; Kernel info:
; codeLenInByte = 16840
; TotalNumSgprs: 24
; NumVgprs: 174
; ScratchSize: 0
; MemoryBound: 0
; FloatMode: 240
; IeeeMode: 1
; LDSByteSize: 10240 bytes/workgroup (compile time only)
; SGPRBlocks: 0
; VGPRBlocks: 21
; NumSGPRsForWavesPerEU: 24
; NumVGPRsForWavesPerEU: 174
; Occupancy: 5
; WaveLimiterHint : 1
; COMPUTE_PGM_RSRC2:SCRATCH_EN: 0
; COMPUTE_PGM_RSRC2:USER_SGPR: 6
; COMPUTE_PGM_RSRC2:TRAP_HANDLER: 0
; COMPUTE_PGM_RSRC2:TGID_X_EN: 1
; COMPUTE_PGM_RSRC2:TGID_Y_EN: 0
; COMPUTE_PGM_RSRC2:TGID_Z_EN: 1
; COMPUTE_PGM_RSRC2:TIDIG_COMP_CNT: 1
	.section	.text._ZN12_GLOBAL__N_120geam_min_plus_kernelIf15HIP_vector_typeIfLj2EEfLi32ELi8ELi256ELi64ELi4ELi64ELi4ELi4ELi64ELc78ELc78ELb0ELb0ELb1EfKffEEviiiT16_PT17_ilS6_ilS4_S6_ilPT18_ili26rocblas_geam_ex_operation_,"axG",@progbits,_ZN12_GLOBAL__N_120geam_min_plus_kernelIf15HIP_vector_typeIfLj2EEfLi32ELi8ELi256ELi64ELi4ELi64ELi4ELi4ELi64ELc78ELc78ELb0ELb0ELb1EfKffEEviiiT16_PT17_ilS6_ilS4_S6_ilPT18_ili26rocblas_geam_ex_operation_,comdat
	.globl	_ZN12_GLOBAL__N_120geam_min_plus_kernelIf15HIP_vector_typeIfLj2EEfLi32ELi8ELi256ELi64ELi4ELi64ELi4ELi4ELi64ELc78ELc78ELb0ELb0ELb1EfKffEEviiiT16_PT17_ilS6_ilS4_S6_ilPT18_ili26rocblas_geam_ex_operation_ ; -- Begin function _ZN12_GLOBAL__N_120geam_min_plus_kernelIf15HIP_vector_typeIfLj2EEfLi32ELi8ELi256ELi64ELi4ELi64ELi4ELi4ELi64ELc78ELc78ELb0ELb0ELb1EfKffEEviiiT16_PT17_ilS6_ilS4_S6_ilPT18_ili26rocblas_geam_ex_operation_
	.p2align	8
	.type	_ZN12_GLOBAL__N_120geam_min_plus_kernelIf15HIP_vector_typeIfLj2EEfLi32ELi8ELi256ELi64ELi4ELi64ELi4ELi4ELi64ELc78ELc78ELb0ELb0ELb1EfKffEEviiiT16_PT17_ilS6_ilS4_S6_ilPT18_ili26rocblas_geam_ex_operation_,@function
_ZN12_GLOBAL__N_120geam_min_plus_kernelIf15HIP_vector_typeIfLj2EEfLi32ELi8ELi256ELi64ELi4ELi64ELi4ELi4ELi64ELc78ELc78ELb0ELb0ELb1EfKffEEviiiT16_PT17_ilS6_ilS4_S6_ilPT18_ili26rocblas_geam_ex_operation_: ; @_ZN12_GLOBAL__N_120geam_min_plus_kernelIf15HIP_vector_typeIfLj2EEfLi32ELi8ELi256ELi64ELi4ELi64ELi4ELi4ELi64ELc78ELc78ELb0ELb0ELb1EfKffEEviiiT16_PT17_ilS6_ilS4_S6_ilPT18_ili26rocblas_geam_ex_operation_
; %bb.0:
	s_clause 0x1
	s_load_dwordx2 s[14:15], s[4:5], 0x8
	s_load_dwordx4 s[8:11], s[4:5], 0x20
	s_waitcnt lgkmcnt(0)
	v_cmp_eq_f32_e64 s0, s15, 0
	s_and_b32 s1, exec_lo, s0
	s_mov_b32 vcc_lo, s1
	s_cbranch_vccnz .LBB56_175
; %bb.1:
	s_load_dwordx2 s[2:3], s[4:5], 0x10
	s_mul_i32 s9, s9, s7
	s_mul_hi_u32 s12, s8, s7
	s_mul_i32 s8, s8, s7
	s_add_i32 s9, s12, s9
	s_lshl_b64 s[8:9], s[8:9], 2
	s_waitcnt lgkmcnt(0)
	s_add_u32 s16, s2, s8
	s_addc_u32 s17, s3, s9
	s_andn2_b32 vcc_lo, exec_lo, s0
	s_mov_b32 s0, -1
	s_cbranch_vccnz .LBB56_3
.LBB56_2:
	s_mov_b32 s0, 0
.LBB56_3:
	s_mov_b64 s[12:13], 0
	s_andn2_b32 vcc_lo, exec_lo, s0
	s_mov_b64 s[18:19], 0
	s_cbranch_vccnz .LBB56_5
; %bb.4:
	s_load_dwordx2 s[2:3], s[4:5], 0x38
	s_waitcnt lgkmcnt(0)
	s_mul_i32 s0, s3, s7
	s_mul_hi_u32 s3, s2, s7
	s_mul_i32 s2, s2, s7
	s_add_i32 s3, s3, s0
	s_lshl_b64 s[2:3], s[2:3], 2
	s_add_u32 s18, s10, s2
	s_addc_u32 s19, s11, s3
.LBB56_5:
	s_clause 0x1
	s_load_dword s3, s[4:5], 0x40
	s_load_dwordx4 s[8:11], s[4:5], 0x58
	v_cmp_neq_f32_e64 s23, s15, 0
	s_waitcnt lgkmcnt(0)
	v_cmp_eq_f32_e64 s0, s3, 0
	s_and_b32 s0, exec_lo, s0
	s_mov_b32 vcc_lo, s0
	s_cbranch_vccnz .LBB56_7
; %bb.6:
	s_load_dwordx2 s[12:13], s[4:5], 0x48
	s_mul_i32 s2, s9, s7
	s_mul_hi_u32 s9, s8, s7
	s_mul_i32 s8, s8, s7
	s_add_i32 s9, s9, s2
	s_lshl_b64 s[8:9], s[8:9], 2
	s_waitcnt lgkmcnt(0)
	s_add_u32 s12, s12, s8
	s_addc_u32 s13, s13, s9
.LBB56_7:
	s_clause 0x1
	s_load_dword s2, s[4:5], 0x0
	s_load_dword s8, s[4:5], 0x18
	v_lshl_add_u32 v9, v1, 5, v0
	v_cndmask_b32_e64 v7, 0, 1, s23
	v_mov_b32_e32 v4, 0
	v_lshrrev_b32_e32 v66, 6, v9
	v_and_b32_e32 v67, 63, v9
	s_waitcnt lgkmcnt(0)
	s_add_i32 s2, s2, -1
	s_ashr_i32 s9, s2, 31
	s_lshr_b32 s9, s9, 24
	s_add_i32 s2, s2, s9
	s_ashr_i32 s2, s2, 8
	s_add_i32 s9, s2, 1
	s_not_b32 s2, s2
	v_cvt_f32_u32_e32 v2, s9
	v_rcp_iflag_f32_e32 v2, v2
	v_mul_f32_e32 v2, 0x4f7ffffe, v2
	v_cvt_u32_f32_e32 v2, v2
	v_readfirstlane_b32 s20, v2
	v_mad_i64_i32 v[2:3], null, s8, v66, 0
	s_mul_i32 s2, s2, s20
	s_mul_hi_u32 s2, s20, s2
	v_lshlrev_b64 v[5:6], 2, v[2:3]
	s_add_i32 s20, s20, s2
	s_mul_hi_u32 s2, s6, s20
	s_mul_i32 s20, s2, s9
	s_add_i32 s21, s2, 1
	s_sub_i32 s20, s6, s20
	v_add_co_u32 v10, vcc_lo, s16, v5
	s_sub_i32 s22, s20, s9
	s_cmp_ge_u32 s20, s9
	v_add_co_ci_u32_e64 v11, null, s17, v6, vcc_lo
	s_cselect_b32 s2, s21, s2
	s_cselect_b32 s20, s22, s20
	s_add_i32 s21, s2, 1
	s_cmp_ge_u32 s20, s9
	v_mov_b32_e32 v5, 0
	s_cselect_b32 s21, s21, s2
	s_andn2_b32 vcc_lo, exec_lo, s23
	s_mul_i32 s22, s21, s9
	s_mov_b32 s23, -1
	s_sub_i32 s2, s6, s22
	s_lshl_b32 s20, s2, 8
	v_cmp_ne_u32_e64 s2, 1, v7
	v_or_b32_e32 v2, s20, v67
	v_ashrrev_i32_e32 v3, 31, v2
	s_cbranch_vccnz .LBB56_9
; %bb.8:
	v_lshlrev_b64 v[4:5], 2, v[2:3]
	v_add_co_u32 v4, vcc_lo, v10, v4
	v_add_co_ci_u32_e64 v5, null, v11, v5, vcc_lo
	s_clause 0x1
	global_load_dword v6, v[4:5], off
	global_load_dword v4, v[4:5], off offset:256
	s_waitcnt vmcnt(1)
	v_mul_f32_e32 v5, s15, v6
	s_waitcnt vmcnt(0)
	v_mul_f32_e32 v4, s15, v4
.LBB56_9:
	s_ashr_i32 s9, s8, 31
	s_mov_b32 vcc_lo, s1
                                        ; implicit-def: $vgpr6
	s_cbranch_vccz .LBB56_11
; %bb.10:
	s_mov_b32 s23, 0
	v_mov_b32_e32 v6, s23
.LBB56_11:
	v_mov_b32_e32 v7, 0
	v_mov_b32_e32 v8, 0
	s_andn2_b32 vcc_lo, exec_lo, s23
	s_cbranch_vccnz .LBB56_13
; %bb.12:
	v_lshlrev_b64 v[12:13], 2, v[2:3]
	v_add_co_u32 v10, vcc_lo, v10, v12
	v_add_co_ci_u32_e64 v11, null, v11, v13, vcc_lo
	s_clause 0x1
	global_load_dword v6, v[10:11], off offset:512
	global_load_dword v8, v[10:11], off offset:768
	s_waitcnt vmcnt(1)
	v_mul_f32_e32 v6, s15, v6
	s_waitcnt vmcnt(0)
	v_mul_f32_e32 v8, s15, v8
.LBB56_13:
	s_load_dword s23, s[4:5], 0x30
	v_lshrrev_b32_e32 v9, 2, v9
	v_and_b32_e32 v10, 3, v0
	s_lshl_b32 s21, s21, 6
	s_and_b32 vcc_lo, exec_lo, s2
	v_add_nc_u32_e32 v69, s21, v9
	v_lshlrev_b32_e32 v68, 2, v10
	s_cbranch_vccnz .LBB56_15
; %bb.14:
	s_waitcnt lgkmcnt(0)
	v_mad_i64_i32 v[10:11], null, v69, s23, 0
	v_lshlrev_b64 v[10:11], 2, v[10:11]
	v_add_co_u32 v7, vcc_lo, s18, v10
	v_add_co_ci_u32_e64 v11, null, s19, v11, vcc_lo
	v_add_co_u32 v10, vcc_lo, v7, v68
	v_add_co_ci_u32_e64 v11, null, 0, v11, vcc_lo
	global_load_dword v7, v[10:11], off
	s_waitcnt vmcnt(0)
	v_mul_f32_e32 v7, s15, v7
.LBB56_15:
	v_add_nc_u32_e32 v10, 4, v66
	v_mov_b32_e32 v70, 0
	v_mov_b32_e32 v71, 0
	v_mad_i64_i32 v[10:11], null, s8, v10, 0
	v_lshlrev_b64 v[10:11], 2, v[10:11]
	v_add_co_u32 v10, vcc_lo, s16, v10
	v_add_co_ci_u32_e64 v11, null, s17, v11, vcc_lo
	s_and_b32 vcc_lo, exec_lo, s2
	s_cbranch_vccnz .LBB56_17
; %bb.16:
	v_lshlrev_b64 v[12:13], 2, v[2:3]
	v_add_co_u32 v12, vcc_lo, v10, v12
	v_add_co_ci_u32_e64 v13, null, v11, v13, vcc_lo
	s_clause 0x1
	global_load_dword v14, v[12:13], off
	global_load_dword v12, v[12:13], off offset:256
	s_waitcnt vmcnt(1)
	v_mul_f32_e32 v71, s15, v14
	s_waitcnt vmcnt(0)
	v_mul_f32_e32 v70, s15, v12
.LBB56_17:
	s_mov_b32 vcc_lo, s1
	s_cbranch_vccz .LBB56_19
; %bb.18:
	s_mov_b32 s24, 0
	v_mov_b32_e32 v72, s24
	v_mov_b32_e32 v73, 0
	;; [unrolled: 1-line block ×3, first 2 shown]
	s_cbranch_execz .LBB56_20
	s_branch .LBB56_21
.LBB56_19:
                                        ; implicit-def: $vgpr72
	v_mov_b32_e32 v73, 0
	v_mov_b32_e32 v77, 0
.LBB56_20:
	v_lshlrev_b64 v[2:3], 2, v[2:3]
	v_add_co_u32 v2, vcc_lo, v10, v2
	v_add_co_ci_u32_e64 v3, null, v11, v3, vcc_lo
	s_clause 0x1
	global_load_dword v10, v[2:3], off offset:512
	global_load_dword v2, v[2:3], off offset:768
	s_waitcnt vmcnt(1)
	v_mul_f32_e32 v72, s15, v10
	s_waitcnt vmcnt(0)
	v_mul_f32_e32 v77, s15, v2
.LBB56_21:
	s_and_b32 vcc_lo, exec_lo, s2
	s_cbranch_vccnz .LBB56_23
; %bb.22:
	s_waitcnt lgkmcnt(0)
	v_mad_i64_i32 v[2:3], null, v69, s23, 0
	v_lshlrev_b64 v[2:3], 2, v[2:3]
	v_add_co_u32 v2, vcc_lo, s18, v2
	v_add_co_ci_u32_e64 v3, null, s19, v3, vcc_lo
	v_add_co_u32 v2, vcc_lo, v2, v68
	v_add_co_ci_u32_e64 v3, null, 0, v3, vcc_lo
	global_load_dword v2, v[2:3], off offset:16
	s_waitcnt vmcnt(0)
	v_mul_f32_e32 v73, s15, v2
.LBB56_23:
	v_lshlrev_b32_e32 v2, 4, v67
	v_lshl_or_b32 v144, v9, 4, v68
	v_lshlrev_b32_e32 v75, 4, v0
	v_lshlrev_b32_e32 v74, 4, v1
	s_cmp_lt_i32 s14, 9
	v_lshl_add_u32 v76, v66, 2, v2
	ds_write2st64_b32 v76, v5, v4 offset1:4
	ds_write2st64_b32 v76, v6, v8 offset0:8 offset1:12
	ds_write_b32 v144, v7 offset:8192
	s_waitcnt lgkmcnt(0)
	s_barrier
	buffer_gl0_inv
	ds_read_b128 v[34:37], v75
	ds_read_b128 v[30:33], v75 offset:512
	ds_read_b128 v[26:29], v75 offset:1024
	;; [unrolled: 1-line block ×15, first 2 shown]
	ds_write2st64_b32 v76, v71, v70 offset0:16 offset1:20
	ds_write2st64_b32 v76, v72, v77 offset0:24 offset1:28
	ds_write_b32 v144, v73 offset:9216
	s_waitcnt lgkmcnt(0)
	s_barrier
	buffer_gl0_inv
	v_add_f32_e32 v78, v35, v63
	v_add_f32_e32 v79, v34, v62
	;; [unrolled: 1-line block ×4, first 2 shown]
	v_min3_f32 v78, v79, v78, 0x7f7fffff
	v_add_f32_e32 v79, v31, v63
	v_add_f32_e32 v121, v6, v38
	v_min3_f32 v79, v80, v79, 0x7f7fffff
	v_add_f32_e32 v80, v27, v63
	v_min3_f32 v115, v81, v80, 0x7f7fffff
	v_add_f32_e32 v80, v19, v63
	v_add_f32_e32 v81, v18, v62
	v_min3_f32 v116, v81, v80, 0x7f7fffff
	v_add_f32_e32 v80, v15, v63
	v_add_f32_e32 v81, v14, v62
	v_min3_f32 v117, v81, v80, 0x7f7fffff
	v_add_f32_e32 v80, v11, v63
	v_add_f32_e32 v81, v10, v62
	v_min3_f32 v118, v81, v80, 0x7f7fffff
	v_add_f32_e32 v80, v7, v63
	v_add_f32_e32 v81, v6, v62
	v_add_f32_e32 v63, v3, v63
	v_add_f32_e32 v62, v2, v62
	v_min3_f32 v119, v81, v80, 0x7f7fffff
	v_min3_f32 v120, v62, v63, 0x7f7fffff
	v_add_f32_e32 v62, v35, v59
	v_add_f32_e32 v63, v34, v58
	v_min3_f32 v114, v63, v62, 0x7f7fffff
	v_add_f32_e32 v62, v31, v59
	v_add_f32_e32 v63, v30, v58
	v_min3_f32 v113, v63, v62, 0x7f7fffff
	v_add_f32_e32 v62, v27, v59
	v_add_f32_e32 v63, v26, v58
	v_min3_f32 v112, v63, v62, 0x7f7fffff
	v_add_f32_e32 v62, v19, v59
	v_add_f32_e32 v63, v18, v58
	v_min3_f32 v111, v63, v62, 0x7f7fffff
	v_add_f32_e32 v62, v15, v59
	v_add_f32_e32 v63, v14, v58
	v_min3_f32 v110, v63, v62, 0x7f7fffff
	v_add_f32_e32 v62, v11, v59
	v_add_f32_e32 v63, v10, v58
	v_min3_f32 v109, v63, v62, 0x7f7fffff
	v_add_f32_e32 v62, v7, v59
	v_add_f32_e32 v63, v6, v58
	v_add_f32_e32 v59, v3, v59
	v_add_f32_e32 v58, v2, v58
	v_min3_f32 v108, v63, v62, 0x7f7fffff
	v_min3_f32 v107, v58, v59, 0x7f7fffff
	v_add_f32_e32 v58, v35, v55
	v_add_f32_e32 v59, v34, v54
	v_min3_f32 v106, v59, v58, 0x7f7fffff
	v_add_f32_e32 v58, v31, v55
	v_add_f32_e32 v59, v30, v54
	v_min3_f32 v105, v59, v58, 0x7f7fffff
	v_add_f32_e32 v58, v27, v55
	;; [unrolled: 24-line block ×5, first 2 shown]
	v_add_f32_e32 v47, v26, v42
	v_min3_f32 v80, v47, v46, 0x7f7fffff
	v_add_f32_e32 v46, v19, v43
	v_add_f32_e32 v47, v18, v42
	v_min3_f32 v63, v47, v46, 0x7f7fffff
	v_add_f32_e32 v46, v15, v43
	;; [unrolled: 3-line block ×4, first 2 shown]
	v_add_f32_e32 v47, v6, v42
	v_add_f32_e32 v43, v3, v43
	;; [unrolled: 1-line block ×4, first 2 shown]
	v_min3_f32 v58, v47, v46, 0x7f7fffff
	v_min3_f32 v55, v42, v43, 0x7f7fffff
	v_add_f32_e32 v42, v35, v39
	v_add_f32_e32 v43, v34, v38
	;; [unrolled: 1-line block ×4, first 2 shown]
	v_min3_f32 v54, v43, v42, 0x7f7fffff
	v_add_f32_e32 v42, v31, v39
	v_add_f32_e32 v43, v30, v38
	v_min3_f32 v34, v34, v35, 0x7f7fffff
	v_add_f32_e32 v31, v31, v23
	v_add_f32_e32 v30, v30, v22
	;; [unrolled: 3-line block ×9, first 2 shown]
	v_add_f32_e32 v38, v2, v38
	v_add_f32_e32 v2, v2, v22
	v_min3_f32 v14, v14, v15, 0x7f7fffff
	v_add_f32_e32 v11, v11, v23
	v_min3_f32 v43, v43, v42, 0x7f7fffff
	v_add_f32_e32 v42, v7, v39
	v_add_f32_e32 v39, v3, v39
	;; [unrolled: 1-line block ×5, first 2 shown]
	v_min3_f32 v42, v121, v42, 0x7f7fffff
	v_min3_f32 v38, v38, v39, 0x7f7fffff
	;; [unrolled: 1-line block ×4, first 2 shown]
	v_add_f32_e32 v3, v37, v65
	v_add_f32_e32 v7, v36, v64
	v_min3_f32 v10, v10, v11, 0x7f7fffff
	v_min3_f32 v142, v7, v3, v78
	v_add_f32_e32 v3, v33, v65
	v_add_f32_e32 v7, v32, v64
	v_min3_f32 v139, v7, v3, v79
	v_add_f32_e32 v3, v29, v65
	v_add_f32_e32 v7, v28, v64
	;; [unrolled: 3-line block ×55, first 2 shown]
	v_add_f32_e32 v4, v4, v24
	v_min3_f32 v87, v7, v3, v38
	v_add_f32_e32 v3, v37, v25
	v_add_f32_e32 v7, v36, v24
	v_min3_f32 v88, v7, v3, v34
	v_add_f32_e32 v3, v33, v25
	;; [unrolled: 3-line block ×8, first 2 shown]
	v_min3_f32 v84, v4, v3, v2
	s_cbranch_scc1 .LBB56_46
; %bb.24:
	v_mad_i64_i32 v[2:3], null, s23, v69, 0
	v_lshl_or_b32 v4, s6, 8, v67
	v_add_nc_u32_e32 v5, 12, v66
	v_add_nc_u32_e32 v7, 8, v66
	s_lshl_b32 s6, s22, 8
	v_add_nc_u32_e32 v77, 0x2000, v144
	v_or_b32_e32 v138, 0x2000, v74
	v_lshlrev_b64 v[2:3], 2, v[2:3]
	v_or_b32_e32 v143, 0x1000, v76
	v_add_nc_u32_e32 v144, 0x2400, v144
	v_lshl_or_b32 v145, v0, 4, 0x1000
	v_lshl_add_u32 v146, v1, 4, 0x2400
	s_add_i32 s14, s14, -8
	v_add_co_u32 v6, vcc_lo, v2, v68
	v_add_co_ci_u32_e64 v3, null, 0, v3, vcc_lo
	v_subrev_nc_u32_e32 v2, s6, v4
	v_mad_i64_i32 v[4:5], null, v5, s8, 0
	v_add_co_u32 v8, vcc_lo, s18, v6
	v_mad_i64_i32 v[6:7], null, v7, s8, 0
	v_add_co_ci_u32_e64 v9, null, s19, v3, vcc_lo
	v_ashrrev_i32_e32 v3, 31, v2
	v_lshlrev_b64 v[4:5], 2, v[4:5]
	v_add_co_u32 v70, vcc_lo, v8, 32
	v_add_co_ci_u32_e64 v71, null, 0, v9, vcc_lo
	v_lshlrev_b64 v[72:73], 2, v[2:3]
	v_lshlrev_b64 v[2:3], 2, v[6:7]
	v_add_co_u32 v147, vcc_lo, s16, v4
	v_add_co_ci_u32_e64 v148, null, s17, v5, vcc_lo
	s_lshl_b64 s[8:9], s[8:9], 5
	v_add_co_u32 v149, vcc_lo, s16, v2
	v_add_co_ci_u32_e64 v150, null, s17, v3, vcc_lo
	s_mov_b32 s6, 0
	s_mov_b32 s16, 0
	s_branch .LBB56_26
.LBB56_25:                              ;   in Loop: Header=BB56_26 Depth=1
	v_add_f32_e32 v3, v39, v67
	v_add_f32_e32 v4, v38, v66
	;; [unrolled: 1-line block ×6, first 2 shown]
	v_min3_f32 v142, v4, v3, v142
	v_add_f32_e32 v3, v27, v67
	v_min3_f32 v155, v155, v5, v139
	v_add_f32_e32 v4, v26, v66
	;; [unrolled: 2-line block ×3, first 2 shown]
	v_add_f32_e32 v139, v22, v66
	v_add_f32_e32 v140, v19, v67
	;; [unrolled: 1-line block ×7, first 2 shown]
	v_min3_f32 v160, v4, v3, v78
	v_min3_f32 v141, v139, v5, v141
	v_add_f32_e32 v3, v39, v63
	v_add_f32_e32 v4, v38, v62
	v_min3_f32 v139, v66, v67, v135
	v_add_f32_e32 v5, v35, v63
	v_add_f32_e32 v66, v34, v62
	v_min3_f32 v140, v157, v140, v79
	v_min3_f32 v137, v159, v158, v137
	v_add_f32_e32 v67, v31, v63
	v_add_f32_e32 v78, v30, v62
	v_add_f32_e32 v79, v27, v63
	v_add_f32_e32 v157, v26, v62
	v_add_f32_e32 v158, v23, v63
	v_add_f32_e32 v159, v22, v62
	v_min3_f32 v136, v4, v3, v136
	v_min3_f32 v135, v66, v5, v133
	v_add_f32_e32 v3, v19, v63
	v_add_f32_e32 v4, v18, v62
	v_add_f32_e32 v5, v15, v63
	v_add_f32_e32 v66, v14, v62
	;; [unrolled: 8-line block ×3, first 2 shown]
	v_min3_f32 v134, v4, v3, v128
	v_min3_f32 v128, v66, v5, v130
	;; [unrolled: 1-line block ×3, first 2 shown]
	v_add_f32_e32 v3, v31, v59
	v_add_f32_e32 v4, v30, v58
	v_add_f32_e32 v5, v27, v59
	v_add_f32_e32 v62, v26, v58
	v_min3_f32 v129, v78, v67, v129
	v_min3_f32 v126, v157, v79, v126
	v_add_f32_e32 v63, v23, v59
	v_add_f32_e32 v66, v22, v58
	v_add_f32_e32 v67, v19, v59
	v_add_f32_e32 v78, v18, v58
	v_add_f32_e32 v79, v15, v59
	v_add_f32_e32 v157, v14, v58
	v_min3_f32 v130, v4, v3, v125
	v_min3_f32 v123, v62, v5, v123
	v_add_f32_e32 v3, v7, v59
	v_add_f32_e32 v4, v6, v58
	;; [unrolled: 8-line block ×3, first 2 shown]
	v_add_f32_e32 v67, v27, v55
	v_add_f32_e32 v78, v26, v54
	v_min3_f32 v125, v4, v3, v119
	v_min3_f32 v119, v58, v5, v120
	;; [unrolled: 1-line block ×3, first 2 shown]
	v_add_f32_e32 v3, v23, v55
	v_add_f32_e32 v4, v22, v54
	;; [unrolled: 1-line block ×8, first 2 shown]
	v_min3_f32 v118, v66, v63, v118
	v_add_f32_e32 v63, v39, v51
	v_add_f32_e32 v66, v38, v50
	v_min3_f32 v115, v4, v3, v115
	v_min3_f32 v113, v58, v5, v113
	;; [unrolled: 1-line block ×4, first 2 shown]
	v_add_f32_e32 v3, v35, v51
	v_add_f32_e32 v4, v34, v50
	v_add_f32_e32 v5, v31, v51
	v_add_f32_e32 v54, v30, v50
	v_add_f32_e32 v55, v27, v51
	v_add_f32_e32 v58, v26, v50
	v_add_f32_e32 v59, v23, v51
	v_add_f32_e32 v62, v22, v50
	v_min3_f32 v122, v157, v79, v122
	v_min3_f32 v116, v78, v67, v116
	v_min3_f32 v112, v66, v63, v112
	v_add_f32_e32 v63, v19, v51
	v_add_f32_e32 v66, v18, v50
	v_min3_f32 v109, v4, v3, v109
	v_min3_f32 v78, v54, v5, v110
	;; [unrolled: 1-line block ×4, first 2 shown]
	v_add_f32_e32 v3, v15, v51
	v_add_f32_e32 v4, v14, v50
	;; [unrolled: 1-line block ×10, first 2 shown]
	v_min3_f32 v106, v66, v63, v106
	v_min3_f32 v105, v4, v3, v105
	;; [unrolled: 1-line block ×6, first 2 shown]
	v_add_f32_e32 v3, v27, v47
	v_add_f32_e32 v4, v26, v46
	;; [unrolled: 1-line block ×10, first 2 shown]
	v_min3_f32 v99, v4, v3, v99
	v_min3_f32 v54, v50, v5, v100
	;; [unrolled: 1-line block ×5, first 2 shown]
	v_add_f32_e32 v3, v39, v43
	v_add_f32_e32 v4, v38, v42
	;; [unrolled: 1-line block ×10, first 2 shown]
	v_min3_f32 v95, v4, v3, v96
	v_min3_f32 v46, v46, v5, v93
	;; [unrolled: 1-line block ×4, first 2 shown]
	v_add_f32_e32 v3, v19, v43
	v_add_f32_e32 v4, v18, v42
	;; [unrolled: 1-line block ×6, first 2 shown]
	v_min3_f32 v51, v100, v98, v92
	v_add_f32_e32 v92, v35, v11
	v_min3_f32 v35, v4, v3, v89
	v_min3_f32 v3, v91, v5, v90
	;; [unrolled: 1-line block ×3, first 2 shown]
	v_add_f32_e32 v31, v31, v11
	v_add_f32_e32 v30, v30, v10
	;; [unrolled: 1-line block ×13, first 2 shown]
	v_min3_f32 v14, v30, v31, v85
	v_min3_f32 v22, v26, v27, v82
	;; [unrolled: 1-line block ×5, first 2 shown]
	v_add_f32_e32 v7, v7, v11
	v_add_f32_e32 v6, v6, v10
	;; [unrolled: 1-line block ×10, first 2 shown]
	v_min3_f32 v4, v42, v43, v87
	v_min3_f32 v7, v6, v7, v84
	;; [unrolled: 1-line block ×6, first 2 shown]
	v_add_f32_e32 v6, v25, v69
	v_add_f32_e32 v10, v24, v68
	;; [unrolled: 1-line block ×10, first 2 shown]
	v_min3_f32 v132, v159, v158, v132
	v_min3_f32 v34, v34, v92, v86
	;; [unrolled: 1-line block ×7, first 2 shown]
	v_add_f32_e32 v6, v37, v65
	v_add_f32_e32 v10, v36, v64
	v_add_f32_e32 v15, v33, v65
	v_add_f32_e32 v18, v32, v64
	v_add_f32_e32 v19, v29, v65
	v_add_f32_e32 v30, v28, v64
	v_add_f32_e32 v31, v25, v65
	v_add_f32_e32 v38, v24, v64
	v_add_f32_e32 v39, v21, v65
	v_add_f32_e32 v42, v20, v64
	v_min3_f32 v87, v10, v6, v135
	v_min3_f32 v88, v18, v15, v133
	v_min3_f32 v89, v30, v19, v131
	v_min3_f32 v90, v38, v31, v132
	v_min3_f32 v91, v42, v39, v134
	v_add_f32_e32 v6, v17, v65
	v_add_f32_e32 v10, v16, v64
	v_add_f32_e32 v15, v9, v65
	v_add_f32_e32 v18, v8, v64
	v_add_f32_e32 v19, v41, v61
	v_add_f32_e32 v30, v40, v60
	v_add_f32_e32 v31, v37, v61
	v_add_f32_e32 v38, v36, v60
	v_add_f32_e32 v39, v33, v61
	v_add_f32_e32 v42, v32, v60
	v_min3_f32 v92, v10, v6, v128
	v_min3_f32 v93, v18, v15, v127
	v_min3_f32 v94, v30, v19, v129
	v_min3_f32 v96, v38, v31, v126
	v_min3_f32 v97, v42, v39, v130
	;; [unrolled: 15-line block ×10, first 2 shown]
	v_add_f32_e32 v10, v29, v13
	v_add_f32_e32 v25, v25, v13
	;; [unrolled: 1-line block ×6, first 2 shown]
	ds_read_b128 v[3:6], v75
	ds_read_b128 v[61:64], v138
	v_add_f32_e32 v9, v9, v13
	ds_read_b128 v[13:16], v75 offset:512
	ds_read_b128 v[17:20], v75 offset:1024
	v_add_f32_e32 v28, v28, v12
	v_add_f32_e32 v24, v24, v12
	;; [unrolled: 1-line block ×3, first 2 shown]
	v_min3_f32 v136, v29, v21, v26
	v_min3_f32 v137, v31, v30, v27
	;; [unrolled: 1-line block ×5, first 2 shown]
	ds_read_b128 v[33:36], v75 offset:1536
	ds_read_b128 v[29:32], v75 offset:2048
	;; [unrolled: 1-line block ×12, first 2 shown]
	v_add_co_u32 v70, vcc_lo, v70, 32
	v_add_co_ci_u32_e64 v71, null, 0, v71, vcc_lo
	v_add_co_u32 v147, vcc_lo, v147, s8
	s_waitcnt lgkmcnt(14)
	v_add_f32_e32 v140, v4, v62
	v_add_f32_e32 v141, v3, v61
	s_waitcnt lgkmcnt(13)
	v_add_f32_e32 v142, v14, v62
	v_add_f32_e32 v155, v13, v61
	;; [unrolled: 3-line block ×3, first 2 shown]
	v_min3_f32 v11, v141, v140, v11
	s_waitcnt lgkmcnt(11)
	v_add_f32_e32 v140, v34, v62
	v_min3_f32 v80, v155, v142, v80
	v_add_f32_e32 v141, v33, v61
	v_min3_f32 v81, v157, v156, v81
	s_waitcnt lgkmcnt(10)
	v_add_f32_e32 v142, v30, v62
	v_add_f32_e32 v155, v29, v61
	s_waitcnt lgkmcnt(9)
	v_add_f32_e32 v156, v26, v62
	v_add_f32_e32 v157, v25, v61
	;; [unrolled: 3-line block ×4, first 2 shown]
	v_min3_f32 v82, v141, v140, v82
	v_min3_f32 v69, v155, v142, v69
	;; [unrolled: 1-line block ×5, first 2 shown]
	s_waitcnt lgkmcnt(6)
	v_add_f32_e32 v62, v4, v66
	v_add_f32_e32 v85, v3, v65
	;; [unrolled: 1-line block ×10, first 2 shown]
	v_min3_f32 v62, v85, v62, v86
	v_min3_f32 v85, v141, v140, v87
	;; [unrolled: 1-line block ×5, first 2 shown]
	v_add_f32_e32 v89, v26, v66
	v_add_f32_e32 v90, v25, v65
	;; [unrolled: 1-line block ×6, first 2 shown]
	s_waitcnt lgkmcnt(5)
	v_add_f32_e32 v142, v4, v58
	v_add_f32_e32 v155, v3, v57
	;; [unrolled: 1-line block ×4, first 2 shown]
	v_min3_f32 v89, v90, v89, v91
	v_min3_f32 v90, v141, v140, v92
	;; [unrolled: 1-line block ×5, first 2 shown]
	v_add_f32_e32 v92, v18, v58
	v_add_f32_e32 v93, v17, v57
	;; [unrolled: 1-line block ×10, first 2 shown]
	v_min3_f32 v92, v93, v92, v97
	v_min3_f32 v93, v96, v94, v98
	;; [unrolled: 1-line block ×5, first 2 shown]
	v_add_f32_e32 v58, v8, v58
	v_add_f32_e32 v57, v7, v57
	s_waitcnt lgkmcnt(4)
	v_add_f32_e32 v98, v4, v54
	v_add_f32_e32 v100, v3, v53
	;; [unrolled: 1-line block ×8, first 2 shown]
	v_min3_f32 v57, v57, v58, v103
	v_min3_f32 v58, v100, v98, v104
	;; [unrolled: 1-line block ×5, first 2 shown]
	v_add_f32_e32 v102, v30, v54
	v_add_f32_e32 v103, v29, v53
	v_add_f32_e32 v104, v26, v54
	v_add_f32_e32 v108, v25, v53
	v_add_f32_e32 v110, v22, v54
	v_add_f32_e32 v116, v21, v53
	v_add_f32_e32 v54, v8, v54
	v_add_f32_e32 v53, v7, v53
	s_waitcnt lgkmcnt(3)
	v_add_f32_e32 v140, v4, v50
	v_add_f32_e32 v141, v3, v49
	v_min3_f32 v102, v103, v102, v115
	v_min3_f32 v103, v108, v104, v113
	;; [unrolled: 1-line block ×5, first 2 shown]
	v_add_f32_e32 v108, v14, v50
	v_add_f32_e32 v110, v13, v49
	;; [unrolled: 1-line block ×10, first 2 shown]
	v_min3_f32 v108, v110, v108, v109
	v_min3_f32 v110, v112, v111, v78
	;; [unrolled: 1-line block ×4, first 2 shown]
	v_add_f32_e32 v78, v22, v50
	v_add_f32_e32 v79, v21, v49
	v_add_f32_e32 v50, v8, v50
	v_add_f32_e32 v49, v7, v49
	s_waitcnt lgkmcnt(2)
	v_add_f32_e32 v107, v4, v46
	v_add_f32_e32 v109, v3, v45
	;; [unrolled: 1-line block ×6, first 2 shown]
	v_min3_f32 v105, v79, v78, v105
	v_min3_f32 v49, v49, v50, v117
	;; [unrolled: 1-line block ×5, first 2 shown]
	v_add_f32_e32 v78, v34, v46
	v_add_f32_e32 v79, v33, v45
	;; [unrolled: 1-line block ×10, first 2 shown]
	v_min3_f32 v99, v79, v78, v99
	v_min3_f32 v159, v109, v107, v121
	s_waitcnt lgkmcnt(1)
	v_add_f32_e32 v78, v3, v41
	v_add_f32_e32 v79, v14, v42
	v_min3_f32 v45, v45, v46, v124
	v_add_f32_e32 v46, v4, v42
	v_add_f32_e32 v107, v13, v41
	s_waitcnt lgkmcnt(0)
	v_add_f32_e32 v4, v4, v38
	v_add_f32_e32 v3, v3, v37
	;; [unrolled: 1-line block ×4, first 2 shown]
	v_min3_f32 v160, v112, v111, v122
	v_add_f32_e32 v109, v18, v42
	v_add_f32_e32 v111, v17, v41
	v_min3_f32 v46, v78, v46, v95
	v_min3_f32 v162, v107, v79, v125
	v_add_f32_e32 v95, v22, v42
	v_add_f32_e32 v107, v21, v41
	v_min3_f32 v3, v3, v4, v132
	v_min3_f32 v4, v13, v14, v133
	v_add_f32_e32 v13, v18, v38
	v_add_f32_e32 v14, v17, v37
	;; [unrolled: 1-line block ×6, first 2 shown]
	v_min3_f32 v161, v114, v113, v123
	v_add_f32_e32 v112, v34, v42
	v_add_f32_e32 v113, v33, v41
	;; [unrolled: 1-line block ×8, first 2 shown]
	v_min3_f32 v12, v18, v17, v12
	v_min3_f32 v18, v21, v22, v137
	v_add_f32_e32 v8, v8, v38
	v_add_f32_e32 v7, v7, v37
	v_add_f32_e32 v21, v6, v64
	v_add_f32_e32 v22, v5, v63
	v_add_f32_e32 v30, v30, v38
	v_add_f32_e32 v29, v29, v37
	v_add_f32_e32 v26, v26, v38
	v_add_f32_e32 v25, v25, v37
	v_min3_f32 v7, v7, v8, v139
	v_min3_f32 v142, v22, v21, v11
	v_add_f32_e32 v8, v32, v64
	v_add_f32_e32 v11, v31, v63
	v_min3_f32 v106, v141, v140, v106
	v_min3_f32 v13, v14, v13, v134
	;; [unrolled: 1-line block ×4, first 2 shown]
	v_add_f32_e32 v25, v16, v64
	v_add_f32_e32 v26, v15, v63
	;; [unrolled: 1-line block ×8, first 2 shown]
	v_min3_f32 v141, v11, v8, v69
	v_add_f32_e32 v8, v16, v68
	v_add_f32_e32 v11, v15, v67
	v_min3_f32 v166, v79, v78, v129
	v_min3_f32 v139, v26, v25, v80
	;; [unrolled: 1-line block ×4, first 2 shown]
	v_add_f32_e32 v25, v24, v64
	v_add_f32_e32 v26, v23, v63
	;; [unrolled: 1-line block ×6, first 2 shown]
	v_min3_f32 v79, v22, v21, v83
	v_add_f32_e32 v21, v20, v68
	v_add_f32_e32 v22, v19, v67
	v_min3_f32 v133, v11, v8, v85
	v_add_f32_e32 v8, v24, v68
	v_add_f32_e32 v11, v23, v67
	v_min3_f32 v167, v107, v95, v130
	v_min3_f32 v137, v26, v25, v84
	;; [unrolled: 1-line block ×4, first 2 shown]
	v_add_f32_e32 v25, v36, v68
	v_add_f32_e32 v26, v35, v67
	;; [unrolled: 1-line block ×6, first 2 shown]
	v_min3_f32 v134, v22, v21, v86
	v_add_f32_e32 v21, v10, v68
	v_add_f32_e32 v22, v9, v67
	v_min3_f32 v130, v11, v8, v90
	v_add_f32_e32 v8, v36, v60
	v_add_f32_e32 v11, v35, v59
	v_min3_f32 v164, v113, v112, v127
	v_min3_f32 v165, v115, v114, v128
	;; [unrolled: 1-line block ×6, first 2 shown]
	v_add_f32_e32 v25, v6, v60
	v_add_f32_e32 v26, v5, v59
	;; [unrolled: 1-line block ×6, first 2 shown]
	v_min3_f32 v127, v22, v21, v65
	v_add_f32_e32 v21, v32, v60
	v_add_f32_e32 v22, v31, v59
	v_min3_f32 v123, v11, v8, v93
	v_add_f32_e32 v8, v6, v56
	v_add_f32_e32 v11, v5, v55
	v_min3_f32 v163, v111, v109, v126
	v_min3_f32 v129, v26, v25, v66
	;; [unrolled: 1-line block ×4, first 2 shown]
	v_add_f32_e32 v25, v28, v60
	v_add_f32_e32 v26, v27, v59
	v_add_f32_e32 v29, v24, v60
	v_add_f32_e32 v30, v23, v59
	v_add_f32_e32 v33, v10, v60
	v_add_f32_e32 v34, v9, v59
	v_min3_f32 v124, v22, v21, v94
	v_add_f32_e32 v21, v16, v56
	v_add_f32_e32 v22, v15, v55
	v_min3_f32 v120, v11, v8, v58
	v_add_f32_e32 v8, v28, v56
	v_add_f32_e32 v11, v27, v55
	v_min3_f32 v121, v26, v25, v96
	v_min3_f32 v122, v30, v29, v97
	v_min3_f32 v119, v34, v33, v57
	v_add_f32_e32 v25, v20, v56
	v_add_f32_e32 v26, v19, v55
	v_add_f32_e32 v29, v36, v56
	v_add_f32_e32 v30, v35, v55
	v_add_f32_e32 v33, v32, v56
	v_add_f32_e32 v34, v31, v55
	v_min3_f32 v117, v22, v21, v98
	v_add_f32_e32 v21, v24, v56
	v_add_f32_e32 v22, v23, v55
	v_min3_f32 v113, v11, v8, v103
	v_add_f32_e32 v8, v20, v52
	v_add_f32_e32 v11, v19, v51
	v_min3_f32 v118, v26, v25, v100
	v_min3_f32 v116, v30, v29, v101
	v_min3_f32 v115, v34, v33, v102
	;; [unrolled: 15-line block ×5, first 2 shown]
	v_add_f32_e32 v25, v24, v48
	v_add_f32_e32 v26, v23, v47
	;; [unrolled: 1-line block ×6, first 2 shown]
	v_min3_f32 v97, v22, v21, v160
	v_add_f32_e32 v21, v20, v44
	v_add_f32_e32 v22, v19, v43
	v_min3_f32 v93, v11, v8, v162
	v_add_f32_e32 v8, v24, v44
	v_add_f32_e32 v11, v23, v43
	;; [unrolled: 1-line block ×8, first 2 shown]
	v_min3_f32 v98, v26, v25, v161
	v_min3_f32 v95, v30, v29, v45
	;; [unrolled: 1-line block ×3, first 2 shown]
	v_add_f32_e32 v25, v36, v44
	v_add_f32_e32 v26, v35, v43
	;; [unrolled: 1-line block ×6, first 2 shown]
	v_min3_f32 v94, v22, v21, v163
	v_add_f32_e32 v21, v10, v44
	v_add_f32_e32 v22, v9, v43
	v_min3_f32 v90, v11, v8, v167
	v_min3_f32 v88, v5, v6, v3
	;; [unrolled: 1-line block ×4, first 2 shown]
	v_add_f32_e32 v3, v36, v40
	v_add_f32_e32 v4, v35, v39
	;; [unrolled: 1-line block ×10, first 2 shown]
	v_add_co_ci_u32_e64 v148, null, s9, v148, vcc_lo
	v_add_co_u32 v149, vcc_lo, v149, s8
	v_min3_f32 v91, v26, v25, v164
	v_min3_f32 v92, v30, v29, v165
	;; [unrolled: 1-line block ×9, first 2 shown]
	v_add_co_ci_u32_e64 v150, null, s9, v150, vcc_lo
	s_add_i32 s16, s16, 8
	ds_write2st64_b32 v143, v2, v151 offset1:4
	ds_write2st64_b32 v143, v152, v154 offset0:8 offset1:12
	ds_write_b32 v144, v153
	s_cmp_ge_i32 s16, s14
	s_waitcnt lgkmcnt(0)
	s_barrier
	buffer_gl0_inv
	s_cbranch_scc1 .LBB56_46
.LBB56_26:                              ; =>This Inner Loop Header: Depth=1
	s_mov_b32 s17, -1
	s_mov_b32 vcc_lo, s1
                                        ; implicit-def: $vgpr2_vgpr3_vgpr4_vgpr5
	s_cbranch_vccnz .LBB56_37
; %bb.27:                               ;   in Loop: Header=BB56_26 Depth=1
	v_mov_b32_e32 v3, 0
	s_andn2_b32 vcc_lo, exec_lo, s17
	s_cbranch_vccz .LBB56_38
.LBB56_28:                              ;   in Loop: Header=BB56_26 Depth=1
	s_mov_b32 s17, -1
	s_mov_b32 vcc_lo, s1
                                        ; implicit-def: $vgpr4
	s_cbranch_vccnz .LBB56_39
.LBB56_29:                              ;   in Loop: Header=BB56_26 Depth=1
	v_mov_b32_e32 v5, 0
	v_mov_b32_e32 v151, 0
	s_andn2_b32 vcc_lo, exec_lo, s17
	s_cbranch_vccz .LBB56_40
.LBB56_30:                              ;   in Loop: Header=BB56_26 Depth=1
	s_and_b32 vcc_lo, exec_lo, s2
	s_cbranch_vccnz .LBB56_32
.LBB56_31:                              ;   in Loop: Header=BB56_26 Depth=1
	global_load_dword v5, v[70:71], off
	s_waitcnt vmcnt(0)
	v_mul_f32_e32 v5, s15, v5
.LBB56_32:                              ;   in Loop: Header=BB56_26 Depth=1
	ds_read_b128 v[38:41], v145
	ds_read_b128 v[34:37], v145 offset:512
	ds_read_b128 v[30:33], v145 offset:1024
	;; [unrolled: 1-line block ×7, first 2 shown]
	ds_read_b128 v[66:69], v146
	ds_read_b128 v[62:65], v146 offset:128
	ds_read_b128 v[58:61], v146 offset:256
	;; [unrolled: 1-line block ×7, first 2 shown]
	s_mov_b32 s17, -1
	s_mov_b32 vcc_lo, s1
	ds_write2st64_b32 v76, v2, v3 offset1:4
	ds_write2st64_b32 v76, v4, v151 offset0:8 offset1:12
	ds_write_b32 v77, v5
	s_waitcnt lgkmcnt(0)
	s_barrier
	buffer_gl0_inv
                                        ; implicit-def: $vgpr2_vgpr3_vgpr4_vgpr5
	s_cbranch_vccnz .LBB56_41
; %bb.33:                               ;   in Loop: Header=BB56_26 Depth=1
	v_mov_b32_e32 v151, 0
	s_andn2_b32 vcc_lo, exec_lo, s17
	s_cbranch_vccz .LBB56_42
.LBB56_34:                              ;   in Loop: Header=BB56_26 Depth=1
	s_mov_b32 s17, -1
	s_mov_b32 vcc_lo, s1
                                        ; implicit-def: $vgpr152
	s_cbranch_vccnz .LBB56_43
.LBB56_35:                              ;   in Loop: Header=BB56_26 Depth=1
	v_mov_b32_e32 v153, 0
	v_mov_b32_e32 v154, 0
	s_andn2_b32 vcc_lo, exec_lo, s17
	s_cbranch_vccz .LBB56_44
.LBB56_36:                              ;   in Loop: Header=BB56_26 Depth=1
	s_and_b32 vcc_lo, exec_lo, s2
	s_cbranch_vccz .LBB56_45
	s_branch .LBB56_25
.LBB56_37:                              ;   in Loop: Header=BB56_26 Depth=1
	v_mov_b32_e32 v2, s6
	v_mov_b32_e32 v3, 0
	s_cbranch_execnz .LBB56_28
.LBB56_38:                              ;   in Loop: Header=BB56_26 Depth=1
	v_add_co_u32 v2, vcc_lo, v149, v72
	v_add_co_ci_u32_e64 v3, null, v150, v73, vcc_lo
	s_clause 0x1
	global_load_dword v4, v[2:3], off
	global_load_dword v3, v[2:3], off offset:256
	s_waitcnt vmcnt(1)
	v_mul_f32_e32 v2, s15, v4
	s_waitcnt vmcnt(0)
	v_mul_f32_e32 v3, s15, v3
	s_mov_b32 s17, -1
	s_mov_b32 vcc_lo, s1
                                        ; implicit-def: $vgpr4
	s_cbranch_vccz .LBB56_29
.LBB56_39:                              ;   in Loop: Header=BB56_26 Depth=1
	v_mov_b32_e32 v4, s6
	v_mov_b32_e32 v5, 0
	;; [unrolled: 1-line block ×3, first 2 shown]
	s_cbranch_execnz .LBB56_30
.LBB56_40:                              ;   in Loop: Header=BB56_26 Depth=1
	v_add_co_u32 v6, vcc_lo, v149, v72
	v_add_co_ci_u32_e64 v7, null, v150, v73, vcc_lo
	s_clause 0x1
	global_load_dword v4, v[6:7], off offset:512
	global_load_dword v6, v[6:7], off offset:768
	s_waitcnt vmcnt(1)
	v_mul_f32_e32 v4, s15, v4
	s_waitcnt vmcnt(0)
	v_mul_f32_e32 v151, s15, v6
	s_and_b32 vcc_lo, exec_lo, s2
	s_cbranch_vccz .LBB56_31
	s_branch .LBB56_32
.LBB56_41:                              ;   in Loop: Header=BB56_26 Depth=1
	v_mov_b32_e32 v2, s6
	v_mov_b32_e32 v151, 0
	s_cbranch_execnz .LBB56_34
.LBB56_42:                              ;   in Loop: Header=BB56_26 Depth=1
	v_add_co_u32 v2, vcc_lo, v147, v72
	v_add_co_ci_u32_e64 v3, null, v148, v73, vcc_lo
	s_clause 0x1
	global_load_dword v4, v[2:3], off
	global_load_dword v3, v[2:3], off offset:256
	s_waitcnt vmcnt(1)
	v_mul_f32_e32 v2, s15, v4
	s_waitcnt vmcnt(0)
	v_mul_f32_e32 v151, s15, v3
	s_mov_b32 s17, -1
	s_mov_b32 vcc_lo, s1
                                        ; implicit-def: $vgpr152
	s_cbranch_vccz .LBB56_35
.LBB56_43:                              ;   in Loop: Header=BB56_26 Depth=1
	v_mov_b32_e32 v152, s6
	v_mov_b32_e32 v153, 0
	;; [unrolled: 1-line block ×3, first 2 shown]
	s_cbranch_execnz .LBB56_36
.LBB56_44:                              ;   in Loop: Header=BB56_26 Depth=1
	v_add_co_u32 v3, vcc_lo, v147, v72
	v_add_co_ci_u32_e64 v4, null, v148, v73, vcc_lo
	s_clause 0x1
	global_load_dword v5, v[3:4], off offset:512
	global_load_dword v3, v[3:4], off offset:768
	s_waitcnt vmcnt(1)
	v_mul_f32_e32 v152, s15, v5
	s_waitcnt vmcnt(0)
	v_mul_f32_e32 v154, s15, v3
	s_and_b32 vcc_lo, exec_lo, s2
	s_cbranch_vccnz .LBB56_25
.LBB56_45:                              ;   in Loop: Header=BB56_26 Depth=1
	global_load_dword v3, v[70:71], off offset:16
	s_waitcnt vmcnt(0)
	v_mul_f32_e32 v153, s15, v3
	s_branch .LBB56_25
.LBB56_46:
	ds_read_b128 v[32:35], v75 offset:4096
	ds_read_b128 v[60:63], v74 offset:9216
	s_clause 0x2
	s_load_dword s2, s[4:5], 0x68
	s_load_dword s1, s[4:5], 0x50
	s_load_dwordx2 s[8:9], s[4:5], 0x70
	v_add_nc_u32_e32 v138, s21, v1
	v_add_nc_u32_e32 v76, s20, v0
	v_ashrrev_i32_e32 v77, 31, v76
	v_add_nc_u32_e32 v0, 32, v76
	v_lshlrev_b64 v[66:67], 2, v[76:77]
	v_ashrrev_i32_e32 v1, 31, v0
	s_waitcnt lgkmcnt(0)
	v_mad_i64_i32 v[2:3], null, v138, s2, 0
	v_mad_i64_i32 v[4:5], null, v138, s1, 0
	v_add_f32_e32 v6, v33, v61
	v_add_f32_e32 v7, v32, v60
	s_mul_i32 s5, s9, s7
	s_mul_hi_u32 s6, s8, s7
	s_mul_i32 s4, s8, s7
	v_add_f32_e32 v8, v35, v63
	s_add_i32 s5, s6, s5
	v_add_f32_e32 v9, v34, v62
	v_min3_f32 v6, v7, v6, v142
	v_lshlrev_b64 v[2:3], 2, v[2:3]
	s_lshl_b64 s[4:5], s[4:5], 2
	v_lshlrev_b64 v[4:5], 2, v[4:5]
	s_add_u32 s4, s10, s4
	v_min3_f32 v6, v9, v8, v6
	s_addc_u32 s5, s11, s5
	v_add_co_u32 v142, vcc_lo, s4, v2
	v_add_co_ci_u32_e64 v143, null, s5, v3, vcc_lo
	v_add_co_u32 v144, vcc_lo, s12, v4
	v_add_co_ci_u32_e64 v145, null, s13, v5, vcc_lo
	v_max_f32_e32 v2, v6, v6
	s_mov_b32 s6, -1
	s_mov_b32 vcc_lo, s0
	s_cbranch_vccz .LBB56_48
; %bb.47:
	v_add_co_u32 v3, vcc_lo, v142, v66
	v_min_f32_e32 v5, 0, v2
	v_add_co_ci_u32_e64 v4, null, v143, v67, vcc_lo
	s_mov_b32 s6, 0
	global_store_dword v[3:4], v5, off
.LBB56_48:
	ds_read_b128 v[28:31], v75 offset:4608
	ds_read_b128 v[24:27], v75 offset:5120
	v_lshlrev_b64 v[64:65], 2, v[0:1]
	v_mov_b32_e32 v69, 0
	s_andn2_b32 vcc_lo, exec_lo, s6
	s_cbranch_vccnz .LBB56_50
; %bb.49:
	v_add_co_u32 v0, vcc_lo, v144, v66
	v_add_co_ci_u32_e64 v1, null, v145, v67, vcc_lo
	global_load_dword v0, v[0:1], off
	s_waitcnt vmcnt(0)
	v_mul_f32_e32 v3, s3, v0
	v_add_co_u32 v0, vcc_lo, v142, v66
	v_add_co_ci_u32_e64 v1, null, v143, v67, vcc_lo
	v_min_f32_e32 v4, v3, v2
	v_add_co_u32 v2, vcc_lo, v144, v64
	v_add_co_ci_u32_e64 v3, null, v145, v65, vcc_lo
	global_store_dword v[0:1], v4, off
	global_load_dword v0, v[2:3], off
	s_waitcnt vmcnt(0)
	v_mul_f32_e32 v69, s3, v0
.LBB56_50:
	ds_read_b128 v[20:23], v75 offset:5632
	ds_read_b128 v[16:19], v75 offset:6144
	;; [unrolled: 1-line block ×10, first 2 shown]
	s_waitcnt lgkmcnt(11)
	v_add_f32_e32 v68, v29, v61
	v_add_f32_e32 v70, v28, v60
	s_waitcnt lgkmcnt(10)
	v_add_f32_e32 v71, v25, v61
	v_add_f32_e32 v72, v24, v60
	;; [unrolled: 1-line block ×4, first 2 shown]
	ds_read_b128 v[36:39], v74 offset:9984
	ds_read_b128 v[4:7], v74 offset:10112
	v_min3_f32 v74, v70, v68, v139
	v_min3_f32 v77, v72, v71, v140
	v_add_nc_u32_e32 v70, 64, v76
	v_min_f32_e32 v71, v75, v73
	v_add_f32_e32 v75, v27, v63
	v_add_f32_e32 v139, v26, v62
	v_add_co_u32 v72, vcc_lo, v142, v64
	v_min3_f32 v74, v69, v71, v74
	v_ashrrev_i32_e32 v71, 31, v70
	v_add_nc_u32_e32 v68, 0x60, v76
	v_add_co_ci_u32_e64 v73, null, v143, v65, vcc_lo
	v_min3_f32 v75, v139, v75, v77
	v_lshlrev_b64 v[70:71], 2, v[70:71]
	v_ashrrev_i32_e32 v69, 31, v68
	global_store_dword v[72:73], v74, off
	s_mov_b32 s6, -1
	v_max_f32_e32 v72, v75, v75
	s_mov_b32 vcc_lo, s0
	s_cbranch_vccz .LBB56_52
; %bb.51:
	v_add_co_u32 v73, vcc_lo, v142, v70
	v_min_f32_e32 v75, 0, v72
	v_add_co_ci_u32_e64 v74, null, v143, v71, vcc_lo
	s_mov_b32 s6, 0
	global_store_dword v[73:74], v75, off
.LBB56_52:
	v_lshlrev_b64 v[68:69], 2, v[68:69]
	v_mov_b32_e32 v73, 0
	s_andn2_b32 vcc_lo, exec_lo, s6
	s_cbranch_vccnz .LBB56_54
; %bb.53:
	v_add_co_u32 v73, vcc_lo, v144, v70
	v_add_co_ci_u32_e64 v74, null, v145, v71, vcc_lo
	global_load_dword v73, v[73:74], off
	s_waitcnt vmcnt(0)
	v_mul_f32_e32 v75, s3, v73
	v_add_co_u32 v73, vcc_lo, v142, v70
	v_add_co_ci_u32_e64 v74, null, v143, v71, vcc_lo
	v_add_co_u32 v139, vcc_lo, v144, v68
	v_min_f32_e32 v72, v75, v72
	v_add_co_ci_u32_e64 v140, null, v145, v69, vcc_lo
	global_store_dword v[73:74], v72, off
	global_load_dword v72, v[139:140], off
	s_waitcnt vmcnt(0)
	v_mul_f32_e32 v73, s3, v72
.LBB56_54:
	s_waitcnt lgkmcnt(11)
	v_add_f32_e32 v72, v21, v61
	v_add_f32_e32 v74, v20, v60
	s_waitcnt lgkmcnt(10)
	v_add_f32_e32 v75, v17, v61
	v_add_f32_e32 v77, v16, v60
	;; [unrolled: 1-line block ×4, first 2 shown]
	v_min3_f32 v78, v74, v72, v78
	v_add_nc_u32_e32 v74, 0x80, v76
	v_min3_f32 v141, v77, v75, v141
	v_add_co_u32 v77, vcc_lo, v142, v68
	v_min_f32_e32 v75, v140, v139
	v_add_f32_e32 v139, v19, v63
	v_add_f32_e32 v140, v18, v62
	v_add_nc_u32_e32 v72, 0xa0, v76
	s_mov_b32 s6, -1
	v_min3_f32 v146, v73, v75, v78
	v_ashrrev_i32_e32 v75, 31, v74
	v_add_co_ci_u32_e64 v78, null, v143, v69, vcc_lo
	v_min3_f32 v139, v140, v139, v141
	v_ashrrev_i32_e32 v73, 31, v72
	v_lshlrev_b64 v[74:75], 2, v[74:75]
	global_store_dword v[77:78], v146, off
	s_mov_b32 vcc_lo, s0
	v_max_f32_e32 v77, v139, v139
	s_cbranch_vccz .LBB56_56
; %bb.55:
	v_add_co_u32 v139, vcc_lo, v142, v74
	v_min_f32_e32 v78, 0, v77
	v_add_co_ci_u32_e64 v140, null, v143, v75, vcc_lo
	s_mov_b32 s6, 0
	global_store_dword v[139:140], v78, off
.LBB56_56:
	v_lshlrev_b64 v[72:73], 2, v[72:73]
	v_mov_b32_e32 v139, 0
	s_andn2_b32 vcc_lo, exec_lo, s6
	s_cbranch_vccnz .LBB56_58
; %bb.57:
	v_add_co_u32 v139, vcc_lo, v144, v74
	v_add_co_ci_u32_e64 v140, null, v145, v75, vcc_lo
	global_load_dword v78, v[139:140], off
	v_add_co_u32 v139, vcc_lo, v142, v74
	v_add_co_ci_u32_e64 v140, null, v143, v75, vcc_lo
	s_waitcnt vmcnt(0)
	v_mul_f32_e32 v78, s3, v78
	v_min_f32_e32 v141, v78, v77
	v_add_co_u32 v77, vcc_lo, v144, v72
	v_add_co_ci_u32_e64 v78, null, v145, v73, vcc_lo
	global_store_dword v[139:140], v141, off
	global_load_dword v77, v[77:78], off
	s_waitcnt vmcnt(0)
	v_mul_f32_e32 v139, s3, v77
.LBB56_58:
	s_waitcnt lgkmcnt(9)
	v_add_f32_e32 v77, v13, v61
	v_add_f32_e32 v78, v12, v60
	s_waitcnt lgkmcnt(8)
	v_add_f32_e32 v140, v9, v61
	v_add_f32_e32 v141, v8, v60
	;; [unrolled: 1-line block ×4, first 2 shown]
	v_min3_f32 v77, v78, v77, v79
	v_add_nc_u32_e32 v78, 0xe0, v76
	v_min3_f32 v79, v141, v140, v137
	v_add_nc_u32_e32 v140, 0xc0, v76
	v_min_f32_e32 v137, v147, v146
	v_add_f32_e32 v146, v11, v63
	v_add_f32_e32 v147, v10, v62
	v_add_co_u32 v76, vcc_lo, v142, v72
	v_min3_f32 v137, v139, v137, v77
	v_add_co_ci_u32_e64 v77, null, v143, v73, vcc_lo
	v_ashrrev_i32_e32 v141, 31, v140
	v_min3_f32 v139, v147, v146, v79
	v_ashrrev_i32_e32 v79, 31, v78
	global_store_dword v[76:77], v137, off
	s_mov_b32 s6, -1
	v_lshlrev_b64 v[76:77], 2, v[140:141]
	v_max_f32_e32 v137, v139, v139
	s_mov_b32 vcc_lo, s0
	s_cbranch_vccz .LBB56_60
; %bb.59:
	v_add_co_u32 v139, vcc_lo, v142, v76
	v_min_f32_e32 v141, 0, v137
	v_add_co_ci_u32_e64 v140, null, v143, v77, vcc_lo
	s_mov_b32 s6, 0
	global_store_dword v[139:140], v141, off
.LBB56_60:
	v_lshlrev_b64 v[78:79], 2, v[78:79]
	v_mov_b32_e32 v139, 0
	s_andn2_b32 vcc_lo, exec_lo, s6
	s_cbranch_vccnz .LBB56_62
; %bb.61:
	v_add_co_u32 v139, vcc_lo, v144, v76
	v_add_co_ci_u32_e64 v140, null, v145, v77, vcc_lo
	global_load_dword v139, v[139:140], off
	s_waitcnt vmcnt(0)
	v_mul_f32_e32 v141, s3, v139
	v_add_co_u32 v139, vcc_lo, v142, v76
	v_add_co_ci_u32_e64 v140, null, v143, v77, vcc_lo
	v_add_co_u32 v144, vcc_lo, v144, v78
	v_min_f32_e32 v137, v141, v137
	v_add_co_ci_u32_e64 v145, null, v145, v79, vcc_lo
	global_store_dword v[139:140], v137, off
	global_load_dword v137, v[144:145], off
	s_waitcnt vmcnt(0)
	v_mul_f32_e32 v139, s3, v137
.LBB56_62:
	s_waitcnt lgkmcnt(7)
	v_add_f32_e32 v61, v1, v61
	v_add_f32_e32 v60, v0, v60
	;; [unrolled: 1-line block ×4, first 2 shown]
	s_waitcnt lgkmcnt(6)
	v_add_f32_e32 v137, v33, v57
	v_add_f32_e32 v140, v32, v56
	v_min3_f32 v60, v60, v61, v135
	v_add_f32_e32 v141, v34, v58
	v_min_f32_e32 v61, v62, v63
	v_add_nc_u32_e32 v62, 8, v138
	v_min3_f32 v137, v140, v137, v136
	v_add_f32_e32 v140, v35, v59
	v_add_co_u32 v135, vcc_lo, v142, v78
	v_min3_f32 v139, v139, v61, v60
	v_mad_i64_i32 v[60:61], null, v62, s2, 0
	v_mad_i64_i32 v[62:63], null, v62, s1, 0
	v_add_co_ci_u32_e64 v136, null, v143, v79, vcc_lo
	v_min3_f32 v137, v141, v140, v137
	s_mov_b32 s6, -1
	v_lshlrev_b64 v[60:61], 2, v[60:61]
	global_store_dword v[135:136], v139, off
	v_lshlrev_b64 v[62:63], 2, v[62:63]
	v_max_f32_e32 v135, v137, v137
	v_add_co_u32 v60, vcc_lo, s4, v60
	v_add_co_ci_u32_e64 v61, null, s5, v61, vcc_lo
	v_add_co_u32 v62, vcc_lo, s12, v62
	v_add_co_ci_u32_e64 v63, null, s13, v63, vcc_lo
	s_mov_b32 vcc_lo, s0
	s_cbranch_vccz .LBB56_64
; %bb.63:
	v_add_co_u32 v136, vcc_lo, v60, v66
	v_min_f32_e32 v139, 0, v135
	v_add_co_ci_u32_e64 v137, null, v61, v67, vcc_lo
	s_mov_b32 s6, 0
	global_store_dword v[136:137], v139, off
.LBB56_64:
	v_mov_b32_e32 v136, 0
	s_andn2_b32 vcc_lo, exec_lo, s6
	s_cbranch_vccnz .LBB56_66
; %bb.65:
	v_add_co_u32 v136, vcc_lo, v62, v66
	v_add_co_ci_u32_e64 v137, null, v63, v67, vcc_lo
	global_load_dword v136, v[136:137], off
	s_waitcnt vmcnt(0)
	v_mul_f32_e32 v139, s3, v136
	v_add_co_u32 v136, vcc_lo, v60, v66
	v_add_co_ci_u32_e64 v137, null, v61, v67, vcc_lo
	v_min_f32_e32 v135, v139, v135
	v_add_co_u32 v139, vcc_lo, v62, v64
	v_add_co_ci_u32_e64 v140, null, v63, v65, vcc_lo
	global_store_dword v[136:137], v135, off
	global_load_dword v135, v[139:140], off
	s_waitcnt vmcnt(0)
	v_mul_f32_e32 v136, s3, v135
.LBB56_66:
	v_add_f32_e32 v135, v29, v57
	v_add_f32_e32 v137, v28, v56
	;; [unrolled: 1-line block ×6, first 2 shown]
	v_min3_f32 v133, v137, v135, v133
	s_mov_b32 s6, -1
	v_min_f32_e32 v135, v140, v139
	v_add_f32_e32 v139, v27, v59
	v_min3_f32 v137, v142, v141, v134
	v_add_f32_e32 v140, v26, v58
	v_min3_f32 v135, v136, v135, v133
	v_add_co_u32 v133, vcc_lo, v60, v64
	v_add_co_ci_u32_e64 v134, null, v61, v65, vcc_lo
	v_min3_f32 v136, v140, v139, v137
	s_mov_b32 vcc_lo, s0
	global_store_dword v[133:134], v135, off
	v_max_f32_e32 v133, v136, v136
	s_cbranch_vccz .LBB56_68
; %bb.67:
	v_add_co_u32 v134, vcc_lo, v60, v70
	v_min_f32_e32 v136, 0, v133
	v_add_co_ci_u32_e64 v135, null, v61, v71, vcc_lo
	s_mov_b32 s6, 0
	global_store_dword v[134:135], v136, off
.LBB56_68:
	v_mov_b32_e32 v134, 0
	s_andn2_b32 vcc_lo, exec_lo, s6
	s_cbranch_vccnz .LBB56_70
; %bb.69:
	v_add_co_u32 v134, vcc_lo, v62, v70
	v_add_co_ci_u32_e64 v135, null, v63, v71, vcc_lo
	global_load_dword v134, v[134:135], off
	s_waitcnt vmcnt(0)
	v_mul_f32_e32 v136, s3, v134
	v_add_co_u32 v134, vcc_lo, v60, v70
	v_add_co_ci_u32_e64 v135, null, v61, v71, vcc_lo
	v_min_f32_e32 v133, v136, v133
	v_add_co_u32 v136, vcc_lo, v62, v68
	v_add_co_ci_u32_e64 v137, null, v63, v69, vcc_lo
	global_store_dword v[134:135], v133, off
	global_load_dword v133, v[136:137], off
	s_waitcnt vmcnt(0)
	v_mul_f32_e32 v134, s3, v133
.LBB56_70:
	v_add_f32_e32 v133, v21, v57
	v_add_f32_e32 v135, v20, v56
	;; [unrolled: 1-line block ×6, first 2 shown]
	v_min3_f32 v131, v135, v133, v131
	s_mov_b32 s6, -1
	v_min_f32_e32 v133, v137, v136
	v_add_f32_e32 v136, v19, v59
	v_min3_f32 v135, v140, v139, v132
	v_add_f32_e32 v137, v18, v58
	v_min3_f32 v133, v134, v133, v131
	v_add_co_u32 v131, vcc_lo, v60, v68
	v_add_co_ci_u32_e64 v132, null, v61, v69, vcc_lo
	v_min3_f32 v134, v137, v136, v135
	s_mov_b32 vcc_lo, s0
	global_store_dword v[131:132], v133, off
	v_max_f32_e32 v131, v134, v134
	s_cbranch_vccz .LBB56_72
; %bb.71:
	v_add_co_u32 v132, vcc_lo, v60, v74
	v_min_f32_e32 v134, 0, v131
	v_add_co_ci_u32_e64 v133, null, v61, v75, vcc_lo
	s_mov_b32 s6, 0
	global_store_dword v[132:133], v134, off
.LBB56_72:
	v_mov_b32_e32 v132, 0
	s_andn2_b32 vcc_lo, exec_lo, s6
	s_cbranch_vccnz .LBB56_74
; %bb.73:
	v_add_co_u32 v132, vcc_lo, v62, v74
	v_add_co_ci_u32_e64 v133, null, v63, v75, vcc_lo
	global_load_dword v132, v[132:133], off
	s_waitcnt vmcnt(0)
	v_mul_f32_e32 v134, s3, v132
	v_add_co_u32 v132, vcc_lo, v60, v74
	v_add_co_ci_u32_e64 v133, null, v61, v75, vcc_lo
	v_min_f32_e32 v131, v134, v131
	v_add_co_u32 v134, vcc_lo, v62, v72
	v_add_co_ci_u32_e64 v135, null, v63, v73, vcc_lo
	global_store_dword v[132:133], v131, off
	global_load_dword v131, v[134:135], off
	s_waitcnt vmcnt(0)
	v_mul_f32_e32 v132, s3, v131
.LBB56_74:
	v_add_f32_e32 v131, v13, v57
	v_add_f32_e32 v133, v12, v56
	;; [unrolled: 1-line block ×6, first 2 shown]
	v_min3_f32 v128, v133, v131, v128
	s_mov_b32 s6, -1
	v_min_f32_e32 v131, v135, v134
	v_add_f32_e32 v134, v11, v59
	v_min3_f32 v133, v137, v136, v130
	v_add_f32_e32 v135, v10, v58
	v_add_co_u32 v130, vcc_lo, v60, v72
	v_min3_f32 v128, v132, v131, v128
	v_add_co_ci_u32_e64 v131, null, v61, v73, vcc_lo
	v_min3_f32 v132, v135, v134, v133
	s_mov_b32 vcc_lo, s0
	global_store_dword v[130:131], v128, off
	v_max_f32_e32 v128, v132, v132
	s_cbranch_vccz .LBB56_76
; %bb.75:
	v_add_co_u32 v130, vcc_lo, v60, v76
	v_min_f32_e32 v132, 0, v128
	v_add_co_ci_u32_e64 v131, null, v61, v77, vcc_lo
	s_mov_b32 s6, 0
	global_store_dword v[130:131], v132, off
.LBB56_76:
	v_mov_b32_e32 v130, 0
	s_andn2_b32 vcc_lo, exec_lo, s6
	s_cbranch_vccnz .LBB56_78
; %bb.77:
	v_add_co_u32 v130, vcc_lo, v62, v76
	v_add_co_ci_u32_e64 v131, null, v63, v77, vcc_lo
	global_load_dword v130, v[130:131], off
	s_waitcnt vmcnt(0)
	v_mul_f32_e32 v132, s3, v130
	v_add_co_u32 v130, vcc_lo, v60, v76
	v_add_co_ci_u32_e64 v131, null, v61, v77, vcc_lo
	v_add_co_u32 v62, vcc_lo, v62, v78
	v_min_f32_e32 v128, v132, v128
	v_add_co_ci_u32_e64 v63, null, v63, v79, vcc_lo
	global_store_dword v[130:131], v128, off
	global_load_dword v62, v[62:63], off
	s_waitcnt vmcnt(0)
	v_mul_f32_e32 v130, s3, v62
.LBB56_78:
	v_add_f32_e32 v57, v1, v57
	v_add_f32_e32 v56, v0, v56
	;; [unrolled: 1-line block ×4, first 2 shown]
	s_waitcnt lgkmcnt(5)
	v_add_f32_e32 v62, v33, v53
	v_add_f32_e32 v63, v32, v52
	v_min3_f32 v56, v56, v57, v127
	v_add_f32_e32 v127, v34, v54
	v_min_f32_e32 v57, v58, v59
	v_add_nc_u32_e32 v58, 16, v138
	v_min3_f32 v62, v63, v62, v129
	v_add_f32_e32 v63, v35, v55
	v_add_co_u32 v60, vcc_lo, v60, v78
	v_min3_f32 v128, v130, v57, v56
	v_mad_i64_i32 v[56:57], null, v58, s2, 0
	v_mad_i64_i32 v[58:59], null, v58, s1, 0
	v_add_co_ci_u32_e64 v61, null, v61, v79, vcc_lo
	v_min3_f32 v62, v127, v63, v62
	s_mov_b32 s6, -1
	v_lshlrev_b64 v[56:57], 2, v[56:57]
	global_store_dword v[60:61], v128, off
	v_lshlrev_b64 v[58:59], 2, v[58:59]
	v_max_f32_e32 v60, v62, v62
	v_add_co_u32 v56, vcc_lo, s4, v56
	v_add_co_ci_u32_e64 v57, null, s5, v57, vcc_lo
	v_add_co_u32 v58, vcc_lo, s12, v58
	v_add_co_ci_u32_e64 v59, null, s13, v59, vcc_lo
	s_mov_b32 vcc_lo, s0
	s_cbranch_vccz .LBB56_80
; %bb.79:
	v_add_co_u32 v61, vcc_lo, v56, v66
	v_min_f32_e32 v63, 0, v60
	v_add_co_ci_u32_e64 v62, null, v57, v67, vcc_lo
	s_mov_b32 s6, 0
	global_store_dword v[61:62], v63, off
.LBB56_80:
	v_mov_b32_e32 v61, 0
	s_andn2_b32 vcc_lo, exec_lo, s6
	s_cbranch_vccnz .LBB56_82
; %bb.81:
	v_add_co_u32 v61, vcc_lo, v58, v66
	v_add_co_ci_u32_e64 v62, null, v59, v67, vcc_lo
	global_load_dword v61, v[61:62], off
	s_waitcnt vmcnt(0)
	v_mul_f32_e32 v63, s3, v61
	v_add_co_u32 v61, vcc_lo, v56, v66
	v_add_co_ci_u32_e64 v62, null, v57, v67, vcc_lo
	v_add_co_u32 v127, vcc_lo, v58, v64
	v_min_f32_e32 v60, v63, v60
	v_add_co_ci_u32_e64 v128, null, v59, v65, vcc_lo
	global_store_dword v[61:62], v60, off
	global_load_dword v60, v[127:128], off
	s_waitcnt vmcnt(0)
	v_mul_f32_e32 v61, s3, v60
.LBB56_82:
	v_add_f32_e32 v60, v29, v53
	v_add_f32_e32 v62, v28, v52
	v_add_f32_e32 v63, v31, v55
	v_add_f32_e32 v127, v30, v54
	v_add_f32_e32 v128, v25, v53
	v_add_f32_e32 v129, v24, v52
	v_min3_f32 v60, v62, v60, v126
	v_add_f32_e32 v126, v26, v54
	v_min_f32_e32 v62, v127, v63
	s_mov_b32 s6, -1
	v_min3_f32 v63, v129, v128, v125
	v_add_f32_e32 v125, v27, v55
	v_min3_f32 v62, v61, v62, v60
	v_add_co_u32 v60, vcc_lo, v56, v64
	v_add_co_ci_u32_e64 v61, null, v57, v65, vcc_lo
	v_min3_f32 v63, v126, v125, v63
	s_mov_b32 vcc_lo, s0
	global_store_dword v[60:61], v62, off
	v_max_f32_e32 v60, v63, v63
	s_cbranch_vccz .LBB56_84
; %bb.83:
	v_add_co_u32 v61, vcc_lo, v56, v70
	v_min_f32_e32 v63, 0, v60
	v_add_co_ci_u32_e64 v62, null, v57, v71, vcc_lo
	s_mov_b32 s6, 0
	global_store_dword v[61:62], v63, off
.LBB56_84:
	v_mov_b32_e32 v61, 0
	s_andn2_b32 vcc_lo, exec_lo, s6
	s_cbranch_vccnz .LBB56_86
; %bb.85:
	v_add_co_u32 v61, vcc_lo, v58, v70
	v_add_co_ci_u32_e64 v62, null, v59, v71, vcc_lo
	global_load_dword v61, v[61:62], off
	s_waitcnt vmcnt(0)
	v_mul_f32_e32 v63, s3, v61
	v_add_co_u32 v61, vcc_lo, v56, v70
	v_add_co_ci_u32_e64 v62, null, v57, v71, vcc_lo
	v_add_co_u32 v125, vcc_lo, v58, v68
	v_min_f32_e32 v60, v63, v60
	v_add_co_ci_u32_e64 v126, null, v59, v69, vcc_lo
	global_store_dword v[61:62], v60, off
	global_load_dword v60, v[125:126], off
	s_waitcnt vmcnt(0)
	v_mul_f32_e32 v61, s3, v60
.LBB56_86:
	v_add_f32_e32 v60, v21, v53
	v_add_f32_e32 v62, v20, v52
	v_add_f32_e32 v63, v23, v55
	v_add_f32_e32 v125, v22, v54
	v_add_f32_e32 v126, v17, v53
	v_add_f32_e32 v127, v16, v52
	v_min3_f32 v60, v62, v60, v123
	v_add_f32_e32 v123, v19, v55
	v_min_f32_e32 v62, v125, v63
	s_mov_b32 s6, -1
	v_min3_f32 v63, v127, v126, v124
	v_add_f32_e32 v124, v18, v54
	v_min3_f32 v62, v61, v62, v60
	v_add_co_u32 v60, vcc_lo, v56, v68
	v_add_co_ci_u32_e64 v61, null, v57, v69, vcc_lo
	v_min3_f32 v63, v124, v123, v63
	s_mov_b32 vcc_lo, s0
	global_store_dword v[60:61], v62, off
	v_max_f32_e32 v60, v63, v63
	;; [unrolled: 46-line block ×3, first 2 shown]
	s_cbranch_vccz .LBB56_92
; %bb.91:
	v_add_co_u32 v61, vcc_lo, v56, v76
	v_min_f32_e32 v63, 0, v60
	v_add_co_ci_u32_e64 v62, null, v57, v77, vcc_lo
	s_mov_b32 s6, 0
	global_store_dword v[61:62], v63, off
.LBB56_92:
	v_mov_b32_e32 v61, 0
	s_andn2_b32 vcc_lo, exec_lo, s6
	s_cbranch_vccnz .LBB56_94
; %bb.93:
	v_add_co_u32 v61, vcc_lo, v58, v76
	v_add_co_ci_u32_e64 v62, null, v59, v77, vcc_lo
	global_load_dword v61, v[61:62], off
	s_waitcnt vmcnt(0)
	v_mul_f32_e32 v63, s3, v61
	v_add_co_u32 v61, vcc_lo, v56, v76
	v_add_co_ci_u32_e64 v62, null, v57, v77, vcc_lo
	v_add_co_u32 v58, vcc_lo, v58, v78
	v_min_f32_e32 v60, v63, v60
	v_add_co_ci_u32_e64 v59, null, v59, v79, vcc_lo
	global_store_dword v[61:62], v60, off
	global_load_dword v58, v[58:59], off
	s_waitcnt vmcnt(0)
	v_mul_f32_e32 v61, s3, v58
.LBB56_94:
	v_add_f32_e32 v53, v1, v53
	v_add_f32_e32 v52, v0, v52
	;; [unrolled: 1-line block ×4, first 2 shown]
	s_waitcnt lgkmcnt(4)
	v_add_f32_e32 v58, v33, v49
	v_add_f32_e32 v59, v32, v48
	v_min3_f32 v52, v52, v53, v119
	v_add_f32_e32 v60, v34, v50
	v_min_f32_e32 v53, v54, v55
	v_add_nc_u32_e32 v54, 24, v138
	v_min3_f32 v58, v59, v58, v120
	v_add_f32_e32 v59, v35, v51
	v_add_co_u32 v56, vcc_lo, v56, v78
	v_min3_f32 v61, v61, v53, v52
	v_mad_i64_i32 v[52:53], null, v54, s2, 0
	v_mad_i64_i32 v[54:55], null, v54, s1, 0
	v_add_co_ci_u32_e64 v57, null, v57, v79, vcc_lo
	v_min3_f32 v58, v60, v59, v58
	s_mov_b32 s6, -1
	v_lshlrev_b64 v[52:53], 2, v[52:53]
	global_store_dword v[56:57], v61, off
	v_lshlrev_b64 v[54:55], 2, v[54:55]
	v_max_f32_e32 v56, v58, v58
	v_add_co_u32 v52, vcc_lo, s4, v52
	v_add_co_ci_u32_e64 v53, null, s5, v53, vcc_lo
	v_add_co_u32 v54, vcc_lo, s12, v54
	v_add_co_ci_u32_e64 v55, null, s13, v55, vcc_lo
	s_mov_b32 vcc_lo, s0
	s_cbranch_vccz .LBB56_96
; %bb.95:
	v_add_co_u32 v57, vcc_lo, v52, v66
	v_min_f32_e32 v59, 0, v56
	v_add_co_ci_u32_e64 v58, null, v53, v67, vcc_lo
	s_mov_b32 s6, 0
	global_store_dword v[57:58], v59, off
.LBB56_96:
	v_mov_b32_e32 v57, 0
	s_andn2_b32 vcc_lo, exec_lo, s6
	s_cbranch_vccnz .LBB56_98
; %bb.97:
	v_add_co_u32 v57, vcc_lo, v54, v66
	v_add_co_ci_u32_e64 v58, null, v55, v67, vcc_lo
	global_load_dword v57, v[57:58], off
	s_waitcnt vmcnt(0)
	v_mul_f32_e32 v59, s3, v57
	v_add_co_u32 v57, vcc_lo, v52, v66
	v_add_co_ci_u32_e64 v58, null, v53, v67, vcc_lo
	v_min_f32_e32 v56, v59, v56
	v_add_co_u32 v59, vcc_lo, v54, v64
	v_add_co_ci_u32_e64 v60, null, v55, v65, vcc_lo
	global_store_dword v[57:58], v56, off
	global_load_dword v56, v[59:60], off
	s_waitcnt vmcnt(0)
	v_mul_f32_e32 v57, s3, v56
.LBB56_98:
	v_add_f32_e32 v56, v29, v49
	v_add_f32_e32 v58, v28, v48
	v_add_f32_e32 v59, v31, v51
	v_add_f32_e32 v60, v30, v50
	v_add_f32_e32 v61, v25, v49
	v_add_f32_e32 v62, v24, v48
	v_min3_f32 v56, v58, v56, v117
	s_mov_b32 s6, -1
	v_min_f32_e32 v58, v60, v59
	v_add_f32_e32 v60, v27, v51
	v_min3_f32 v59, v62, v61, v118
	v_add_f32_e32 v61, v26, v50
	v_min3_f32 v58, v57, v58, v56
	v_add_co_u32 v56, vcc_lo, v52, v64
	v_add_co_ci_u32_e64 v57, null, v53, v65, vcc_lo
	v_min3_f32 v59, v61, v60, v59
	s_mov_b32 vcc_lo, s0
	global_store_dword v[56:57], v58, off
	v_max_f32_e32 v56, v59, v59
	s_cbranch_vccz .LBB56_100
; %bb.99:
	v_add_co_u32 v57, vcc_lo, v52, v70
	v_min_f32_e32 v59, 0, v56
	v_add_co_ci_u32_e64 v58, null, v53, v71, vcc_lo
	s_mov_b32 s6, 0
	global_store_dword v[57:58], v59, off
.LBB56_100:
	v_mov_b32_e32 v57, 0
	s_andn2_b32 vcc_lo, exec_lo, s6
	s_cbranch_vccnz .LBB56_102
; %bb.101:
	v_add_co_u32 v57, vcc_lo, v54, v70
	v_add_co_ci_u32_e64 v58, null, v55, v71, vcc_lo
	global_load_dword v57, v[57:58], off
	s_waitcnt vmcnt(0)
	v_mul_f32_e32 v59, s3, v57
	v_add_co_u32 v57, vcc_lo, v52, v70
	v_add_co_ci_u32_e64 v58, null, v53, v71, vcc_lo
	v_min_f32_e32 v56, v59, v56
	v_add_co_u32 v59, vcc_lo, v54, v68
	v_add_co_ci_u32_e64 v60, null, v55, v69, vcc_lo
	global_store_dword v[57:58], v56, off
	global_load_dword v56, v[59:60], off
	s_waitcnt vmcnt(0)
	v_mul_f32_e32 v57, s3, v56
.LBB56_102:
	v_add_f32_e32 v56, v21, v49
	v_add_f32_e32 v58, v20, v48
	v_add_f32_e32 v59, v23, v51
	v_add_f32_e32 v60, v22, v50
	v_add_f32_e32 v61, v17, v49
	v_add_f32_e32 v62, v16, v48
	v_min3_f32 v56, v58, v56, v116
	s_mov_b32 s6, -1
	v_min_f32_e32 v58, v60, v59
	v_add_f32_e32 v60, v19, v51
	v_min3_f32 v59, v62, v61, v115
	v_add_f32_e32 v61, v18, v50
	v_min3_f32 v58, v57, v58, v56
	v_add_co_u32 v56, vcc_lo, v52, v68
	v_add_co_ci_u32_e64 v57, null, v53, v69, vcc_lo
	v_min3_f32 v59, v61, v60, v59
	s_mov_b32 vcc_lo, s0
	global_store_dword v[56:57], v58, off
	v_max_f32_e32 v56, v59, v59
	s_cbranch_vccz .LBB56_104
; %bb.103:
	v_add_co_u32 v57, vcc_lo, v52, v74
	v_min_f32_e32 v59, 0, v56
	v_add_co_ci_u32_e64 v58, null, v53, v75, vcc_lo
	s_mov_b32 s6, 0
	global_store_dword v[57:58], v59, off
.LBB56_104:
	v_mov_b32_e32 v57, 0
	s_andn2_b32 vcc_lo, exec_lo, s6
	s_cbranch_vccnz .LBB56_106
; %bb.105:
	v_add_co_u32 v57, vcc_lo, v54, v74
	v_add_co_ci_u32_e64 v58, null, v55, v75, vcc_lo
	global_load_dword v57, v[57:58], off
	s_waitcnt vmcnt(0)
	v_mul_f32_e32 v59, s3, v57
	v_add_co_u32 v57, vcc_lo, v52, v74
	v_add_co_ci_u32_e64 v58, null, v53, v75, vcc_lo
	v_min_f32_e32 v56, v59, v56
	v_add_co_u32 v59, vcc_lo, v54, v72
	v_add_co_ci_u32_e64 v60, null, v55, v73, vcc_lo
	global_store_dword v[57:58], v56, off
	global_load_dword v56, v[59:60], off
	s_waitcnt vmcnt(0)
	v_mul_f32_e32 v57, s3, v56
.LBB56_106:
	v_add_f32_e32 v56, v13, v49
	v_add_f32_e32 v58, v12, v48
	v_add_f32_e32 v59, v15, v51
	v_add_f32_e32 v60, v14, v50
	v_add_f32_e32 v61, v9, v49
	v_add_f32_e32 v62, v8, v48
	v_min3_f32 v56, v58, v56, v113
	s_mov_b32 s6, -1
	v_min_f32_e32 v58, v60, v59
	v_add_f32_e32 v60, v11, v51
	v_min3_f32 v59, v62, v61, v114
	v_add_f32_e32 v61, v10, v50
	v_min3_f32 v58, v57, v58, v56
	v_add_co_u32 v56, vcc_lo, v52, v72
	v_add_co_ci_u32_e64 v57, null, v53, v73, vcc_lo
	v_min3_f32 v59, v61, v60, v59
	s_mov_b32 vcc_lo, s0
	global_store_dword v[56:57], v58, off
	v_max_f32_e32 v56, v59, v59
	s_cbranch_vccz .LBB56_108
; %bb.107:
	v_add_co_u32 v57, vcc_lo, v52, v76
	v_min_f32_e32 v59, 0, v56
	v_add_co_ci_u32_e64 v58, null, v53, v77, vcc_lo
	s_mov_b32 s6, 0
	global_store_dword v[57:58], v59, off
.LBB56_108:
	v_mov_b32_e32 v57, 0
	s_andn2_b32 vcc_lo, exec_lo, s6
	s_cbranch_vccnz .LBB56_110
; %bb.109:
	v_add_co_u32 v57, vcc_lo, v54, v76
	v_add_co_ci_u32_e64 v58, null, v55, v77, vcc_lo
	global_load_dword v57, v[57:58], off
	s_waitcnt vmcnt(0)
	v_mul_f32_e32 v59, s3, v57
	v_add_co_u32 v57, vcc_lo, v52, v76
	v_add_co_ci_u32_e64 v58, null, v53, v77, vcc_lo
	v_add_co_u32 v54, vcc_lo, v54, v78
	v_min_f32_e32 v56, v59, v56
	v_add_co_ci_u32_e64 v55, null, v55, v79, vcc_lo
	global_store_dword v[57:58], v56, off
	global_load_dword v54, v[54:55], off
	s_waitcnt vmcnt(0)
	v_mul_f32_e32 v57, s3, v54
.LBB56_110:
	v_add_f32_e32 v49, v1, v49
	v_add_f32_e32 v48, v0, v48
	;; [unrolled: 1-line block ×4, first 2 shown]
	s_waitcnt lgkmcnt(3)
	v_add_f32_e32 v54, v33, v45
	v_add_f32_e32 v55, v32, v44
	v_min3_f32 v48, v48, v49, v111
	v_add_f32_e32 v56, v34, v46
	v_min_f32_e32 v49, v50, v51
	v_add_nc_u32_e32 v50, 32, v138
	v_min3_f32 v54, v55, v54, v112
	v_add_f32_e32 v55, v35, v47
	v_add_co_u32 v52, vcc_lo, v52, v78
	v_min3_f32 v57, v57, v49, v48
	v_mad_i64_i32 v[48:49], null, v50, s2, 0
	v_mad_i64_i32 v[50:51], null, v50, s1, 0
	v_add_co_ci_u32_e64 v53, null, v53, v79, vcc_lo
	v_min3_f32 v54, v56, v55, v54
	s_mov_b32 s6, -1
	v_lshlrev_b64 v[48:49], 2, v[48:49]
	global_store_dword v[52:53], v57, off
	v_lshlrev_b64 v[50:51], 2, v[50:51]
	v_max_f32_e32 v52, v54, v54
	v_add_co_u32 v48, vcc_lo, s4, v48
	v_add_co_ci_u32_e64 v49, null, s5, v49, vcc_lo
	v_add_co_u32 v50, vcc_lo, s12, v50
	v_add_co_ci_u32_e64 v51, null, s13, v51, vcc_lo
	s_mov_b32 vcc_lo, s0
	s_cbranch_vccz .LBB56_112
; %bb.111:
	v_add_co_u32 v53, vcc_lo, v48, v66
	v_min_f32_e32 v55, 0, v52
	v_add_co_ci_u32_e64 v54, null, v49, v67, vcc_lo
	s_mov_b32 s6, 0
	global_store_dword v[53:54], v55, off
.LBB56_112:
	v_mov_b32_e32 v53, 0
	s_andn2_b32 vcc_lo, exec_lo, s6
	s_cbranch_vccnz .LBB56_114
; %bb.113:
	v_add_co_u32 v53, vcc_lo, v50, v66
	v_add_co_ci_u32_e64 v54, null, v51, v67, vcc_lo
	global_load_dword v53, v[53:54], off
	s_waitcnt vmcnt(0)
	v_mul_f32_e32 v55, s3, v53
	v_add_co_u32 v53, vcc_lo, v48, v66
	v_add_co_ci_u32_e64 v54, null, v49, v67, vcc_lo
	v_min_f32_e32 v52, v55, v52
	v_add_co_u32 v55, vcc_lo, v50, v64
	v_add_co_ci_u32_e64 v56, null, v51, v65, vcc_lo
	global_store_dword v[53:54], v52, off
	global_load_dword v52, v[55:56], off
	s_waitcnt vmcnt(0)
	v_mul_f32_e32 v53, s3, v52
.LBB56_114:
	v_add_f32_e32 v52, v29, v45
	v_add_f32_e32 v54, v28, v44
	v_add_f32_e32 v55, v31, v47
	v_add_f32_e32 v56, v30, v46
	v_add_f32_e32 v57, v25, v45
	v_add_f32_e32 v58, v24, v44
	v_min3_f32 v52, v54, v52, v109
	s_mov_b32 s6, -1
	v_min_f32_e32 v54, v56, v55
	v_add_f32_e32 v56, v27, v47
	v_min3_f32 v55, v58, v57, v110
	v_add_f32_e32 v57, v26, v46
	v_min3_f32 v54, v53, v54, v52
	v_add_co_u32 v52, vcc_lo, v48, v64
	v_add_co_ci_u32_e64 v53, null, v49, v65, vcc_lo
	v_min3_f32 v55, v57, v56, v55
	s_mov_b32 vcc_lo, s0
	global_store_dword v[52:53], v54, off
	v_max_f32_e32 v52, v55, v55
	s_cbranch_vccz .LBB56_116
; %bb.115:
	v_add_co_u32 v53, vcc_lo, v48, v70
	v_min_f32_e32 v55, 0, v52
	v_add_co_ci_u32_e64 v54, null, v49, v71, vcc_lo
	s_mov_b32 s6, 0
	global_store_dword v[53:54], v55, off
.LBB56_116:
	v_mov_b32_e32 v53, 0
	s_andn2_b32 vcc_lo, exec_lo, s6
	s_cbranch_vccnz .LBB56_118
; %bb.117:
	v_add_co_u32 v53, vcc_lo, v50, v70
	v_add_co_ci_u32_e64 v54, null, v51, v71, vcc_lo
	global_load_dword v53, v[53:54], off
	s_waitcnt vmcnt(0)
	v_mul_f32_e32 v55, s3, v53
	v_add_co_u32 v53, vcc_lo, v48, v70
	v_add_co_ci_u32_e64 v54, null, v49, v71, vcc_lo
	v_min_f32_e32 v52, v55, v52
	v_add_co_u32 v55, vcc_lo, v50, v68
	v_add_co_ci_u32_e64 v56, null, v51, v69, vcc_lo
	global_store_dword v[53:54], v52, off
	global_load_dword v52, v[55:56], off
	s_waitcnt vmcnt(0)
	v_mul_f32_e32 v53, s3, v52
.LBB56_118:
	v_add_f32_e32 v52, v21, v45
	v_add_f32_e32 v54, v20, v44
	v_add_f32_e32 v55, v23, v47
	v_add_f32_e32 v56, v22, v46
	v_add_f32_e32 v57, v17, v45
	v_add_f32_e32 v58, v16, v44
	v_min3_f32 v52, v54, v52, v107
	s_mov_b32 s6, -1
	v_min_f32_e32 v54, v56, v55
	v_add_f32_e32 v56, v19, v47
	v_min3_f32 v55, v58, v57, v108
	v_add_f32_e32 v57, v18, v46
	v_min3_f32 v54, v53, v54, v52
	v_add_co_u32 v52, vcc_lo, v48, v68
	v_add_co_ci_u32_e64 v53, null, v49, v69, vcc_lo
	v_min3_f32 v55, v57, v56, v55
	s_mov_b32 vcc_lo, s0
	global_store_dword v[52:53], v54, off
	v_max_f32_e32 v52, v55, v55
	;; [unrolled: 46-line block ×3, first 2 shown]
	s_cbranch_vccz .LBB56_124
; %bb.123:
	v_add_co_u32 v53, vcc_lo, v48, v76
	v_min_f32_e32 v55, 0, v52
	v_add_co_ci_u32_e64 v54, null, v49, v77, vcc_lo
	s_mov_b32 s6, 0
	global_store_dword v[53:54], v55, off
.LBB56_124:
	v_mov_b32_e32 v53, 0
	s_andn2_b32 vcc_lo, exec_lo, s6
	s_cbranch_vccnz .LBB56_126
; %bb.125:
	v_add_co_u32 v53, vcc_lo, v50, v76
	v_add_co_ci_u32_e64 v54, null, v51, v77, vcc_lo
	global_load_dword v53, v[53:54], off
	s_waitcnt vmcnt(0)
	v_mul_f32_e32 v55, s3, v53
	v_add_co_u32 v53, vcc_lo, v48, v76
	v_add_co_ci_u32_e64 v54, null, v49, v77, vcc_lo
	v_add_co_u32 v50, vcc_lo, v50, v78
	v_min_f32_e32 v52, v55, v52
	v_add_co_ci_u32_e64 v51, null, v51, v79, vcc_lo
	global_store_dword v[53:54], v52, off
	global_load_dword v50, v[50:51], off
	s_waitcnt vmcnt(0)
	v_mul_f32_e32 v53, s3, v50
.LBB56_126:
	v_add_f32_e32 v45, v1, v45
	v_add_f32_e32 v44, v0, v44
	;; [unrolled: 1-line block ×4, first 2 shown]
	s_waitcnt lgkmcnt(2)
	v_add_f32_e32 v50, v33, v41
	v_add_f32_e32 v51, v32, v40
	v_min3_f32 v44, v44, v45, v103
	v_add_f32_e32 v52, v34, v42
	v_min_f32_e32 v45, v46, v47
	v_add_nc_u32_e32 v46, 40, v138
	v_min3_f32 v50, v51, v50, v104
	v_add_f32_e32 v51, v35, v43
	v_add_co_u32 v48, vcc_lo, v48, v78
	v_min3_f32 v53, v53, v45, v44
	v_mad_i64_i32 v[44:45], null, v46, s2, 0
	v_mad_i64_i32 v[46:47], null, v46, s1, 0
	v_add_co_ci_u32_e64 v49, null, v49, v79, vcc_lo
	v_min3_f32 v50, v52, v51, v50
	s_mov_b32 s6, -1
	v_lshlrev_b64 v[44:45], 2, v[44:45]
	global_store_dword v[48:49], v53, off
	v_lshlrev_b64 v[46:47], 2, v[46:47]
	v_max_f32_e32 v48, v50, v50
	v_add_co_u32 v44, vcc_lo, s4, v44
	v_add_co_ci_u32_e64 v45, null, s5, v45, vcc_lo
	v_add_co_u32 v46, vcc_lo, s12, v46
	v_add_co_ci_u32_e64 v47, null, s13, v47, vcc_lo
	s_mov_b32 vcc_lo, s0
	s_cbranch_vccz .LBB56_128
; %bb.127:
	v_add_co_u32 v49, vcc_lo, v44, v66
	v_min_f32_e32 v51, 0, v48
	v_add_co_ci_u32_e64 v50, null, v45, v67, vcc_lo
	s_mov_b32 s6, 0
	global_store_dword v[49:50], v51, off
.LBB56_128:
	v_mov_b32_e32 v49, 0
	s_andn2_b32 vcc_lo, exec_lo, s6
	s_cbranch_vccnz .LBB56_130
; %bb.129:
	v_add_co_u32 v49, vcc_lo, v46, v66
	v_add_co_ci_u32_e64 v50, null, v47, v67, vcc_lo
	global_load_dword v49, v[49:50], off
	s_waitcnt vmcnt(0)
	v_mul_f32_e32 v51, s3, v49
	v_add_co_u32 v49, vcc_lo, v44, v66
	v_add_co_ci_u32_e64 v50, null, v45, v67, vcc_lo
	v_min_f32_e32 v48, v51, v48
	v_add_co_u32 v51, vcc_lo, v46, v64
	v_add_co_ci_u32_e64 v52, null, v47, v65, vcc_lo
	global_store_dword v[49:50], v48, off
	global_load_dword v48, v[51:52], off
	s_waitcnt vmcnt(0)
	v_mul_f32_e32 v49, s3, v48
.LBB56_130:
	v_add_f32_e32 v48, v29, v41
	v_add_f32_e32 v50, v28, v40
	v_add_f32_e32 v51, v31, v43
	v_add_f32_e32 v52, v30, v42
	v_add_f32_e32 v53, v25, v41
	v_add_f32_e32 v54, v24, v40
	v_min3_f32 v48, v50, v48, v101
	s_mov_b32 s6, -1
	v_min_f32_e32 v50, v52, v51
	v_add_f32_e32 v52, v27, v43
	v_min3_f32 v51, v54, v53, v102
	v_add_f32_e32 v53, v26, v42
	v_min3_f32 v50, v49, v50, v48
	v_add_co_u32 v48, vcc_lo, v44, v64
	v_add_co_ci_u32_e64 v49, null, v45, v65, vcc_lo
	v_min3_f32 v51, v53, v52, v51
	s_mov_b32 vcc_lo, s0
	global_store_dword v[48:49], v50, off
	v_max_f32_e32 v48, v51, v51
	s_cbranch_vccz .LBB56_132
; %bb.131:
	v_add_co_u32 v49, vcc_lo, v44, v70
	v_min_f32_e32 v51, 0, v48
	v_add_co_ci_u32_e64 v50, null, v45, v71, vcc_lo
	s_mov_b32 s6, 0
	global_store_dword v[49:50], v51, off
.LBB56_132:
	v_mov_b32_e32 v49, 0
	s_andn2_b32 vcc_lo, exec_lo, s6
	s_cbranch_vccnz .LBB56_134
; %bb.133:
	v_add_co_u32 v49, vcc_lo, v46, v70
	v_add_co_ci_u32_e64 v50, null, v47, v71, vcc_lo
	global_load_dword v49, v[49:50], off
	s_waitcnt vmcnt(0)
	v_mul_f32_e32 v51, s3, v49
	v_add_co_u32 v49, vcc_lo, v44, v70
	v_add_co_ci_u32_e64 v50, null, v45, v71, vcc_lo
	v_min_f32_e32 v48, v51, v48
	v_add_co_u32 v51, vcc_lo, v46, v68
	v_add_co_ci_u32_e64 v52, null, v47, v69, vcc_lo
	global_store_dword v[49:50], v48, off
	global_load_dword v48, v[51:52], off
	s_waitcnt vmcnt(0)
	v_mul_f32_e32 v49, s3, v48
.LBB56_134:
	v_add_f32_e32 v48, v21, v41
	v_add_f32_e32 v50, v20, v40
	v_add_f32_e32 v51, v23, v43
	v_add_f32_e32 v52, v22, v42
	v_add_f32_e32 v53, v17, v41
	v_add_f32_e32 v54, v16, v40
	v_min3_f32 v48, v50, v48, v99
	s_mov_b32 s6, -1
	v_min_f32_e32 v50, v52, v51
	v_add_f32_e32 v52, v19, v43
	v_min3_f32 v51, v54, v53, v100
	v_add_f32_e32 v53, v18, v42
	v_min3_f32 v50, v49, v50, v48
	v_add_co_u32 v48, vcc_lo, v44, v68
	v_add_co_ci_u32_e64 v49, null, v45, v69, vcc_lo
	v_min3_f32 v51, v53, v52, v51
	s_mov_b32 vcc_lo, s0
	global_store_dword v[48:49], v50, off
	v_max_f32_e32 v48, v51, v51
	;; [unrolled: 46-line block ×3, first 2 shown]
	s_cbranch_vccz .LBB56_140
; %bb.139:
	v_add_co_u32 v49, vcc_lo, v44, v76
	v_min_f32_e32 v51, 0, v48
	v_add_co_ci_u32_e64 v50, null, v45, v77, vcc_lo
	s_mov_b32 s6, 0
	global_store_dword v[49:50], v51, off
.LBB56_140:
	v_mov_b32_e32 v49, 0
	s_andn2_b32 vcc_lo, exec_lo, s6
	s_cbranch_vccnz .LBB56_142
; %bb.141:
	v_add_co_u32 v49, vcc_lo, v46, v76
	v_add_co_ci_u32_e64 v50, null, v47, v77, vcc_lo
	global_load_dword v49, v[49:50], off
	s_waitcnt vmcnt(0)
	v_mul_f32_e32 v51, s3, v49
	v_add_co_u32 v49, vcc_lo, v44, v76
	v_add_co_ci_u32_e64 v50, null, v45, v77, vcc_lo
	v_add_co_u32 v46, vcc_lo, v46, v78
	v_min_f32_e32 v48, v51, v48
	v_add_co_ci_u32_e64 v47, null, v47, v79, vcc_lo
	global_store_dword v[49:50], v48, off
	global_load_dword v46, v[46:47], off
	s_waitcnt vmcnt(0)
	v_mul_f32_e32 v49, s3, v46
.LBB56_142:
	v_add_f32_e32 v41, v1, v41
	v_add_f32_e32 v40, v0, v40
	;; [unrolled: 1-line block ×4, first 2 shown]
	s_waitcnt lgkmcnt(1)
	v_add_f32_e32 v46, v33, v37
	v_add_f32_e32 v47, v32, v36
	v_min3_f32 v40, v40, v41, v95
	v_add_f32_e32 v48, v34, v38
	v_min_f32_e32 v41, v42, v43
	v_add_nc_u32_e32 v42, 48, v138
	v_min3_f32 v46, v47, v46, v96
	v_add_f32_e32 v47, v35, v39
	v_add_co_u32 v44, vcc_lo, v44, v78
	v_min3_f32 v49, v49, v41, v40
	v_mad_i64_i32 v[40:41], null, v42, s2, 0
	v_mad_i64_i32 v[42:43], null, v42, s1, 0
	v_add_co_ci_u32_e64 v45, null, v45, v79, vcc_lo
	v_min3_f32 v46, v48, v47, v46
	s_mov_b32 s6, -1
	v_lshlrev_b64 v[40:41], 2, v[40:41]
	global_store_dword v[44:45], v49, off
	v_lshlrev_b64 v[42:43], 2, v[42:43]
	v_max_f32_e32 v44, v46, v46
	v_add_co_u32 v40, vcc_lo, s4, v40
	v_add_co_ci_u32_e64 v41, null, s5, v41, vcc_lo
	v_add_co_u32 v42, vcc_lo, s12, v42
	v_add_co_ci_u32_e64 v43, null, s13, v43, vcc_lo
	s_mov_b32 vcc_lo, s0
	s_cbranch_vccz .LBB56_144
; %bb.143:
	v_add_co_u32 v45, vcc_lo, v40, v66
	v_min_f32_e32 v47, 0, v44
	v_add_co_ci_u32_e64 v46, null, v41, v67, vcc_lo
	s_mov_b32 s6, 0
	global_store_dword v[45:46], v47, off
.LBB56_144:
	v_mov_b32_e32 v45, 0
	s_andn2_b32 vcc_lo, exec_lo, s6
	s_cbranch_vccnz .LBB56_146
; %bb.145:
	v_add_co_u32 v45, vcc_lo, v42, v66
	v_add_co_ci_u32_e64 v46, null, v43, v67, vcc_lo
	global_load_dword v45, v[45:46], off
	s_waitcnt vmcnt(0)
	v_mul_f32_e32 v47, s3, v45
	v_add_co_u32 v45, vcc_lo, v40, v66
	v_add_co_ci_u32_e64 v46, null, v41, v67, vcc_lo
	v_min_f32_e32 v44, v47, v44
	v_add_co_u32 v47, vcc_lo, v42, v64
	v_add_co_ci_u32_e64 v48, null, v43, v65, vcc_lo
	global_store_dword v[45:46], v44, off
	global_load_dword v44, v[47:48], off
	s_waitcnt vmcnt(0)
	v_mul_f32_e32 v45, s3, v44
.LBB56_146:
	v_add_f32_e32 v44, v29, v37
	v_add_f32_e32 v46, v28, v36
	v_add_f32_e32 v47, v31, v39
	v_add_f32_e32 v48, v30, v38
	v_add_f32_e32 v49, v25, v37
	v_add_f32_e32 v50, v24, v36
	v_min3_f32 v44, v46, v44, v93
	s_mov_b32 s6, -1
	v_min_f32_e32 v46, v48, v47
	v_add_f32_e32 v48, v27, v39
	v_min3_f32 v47, v50, v49, v94
	v_add_f32_e32 v49, v26, v38
	v_min3_f32 v46, v45, v46, v44
	v_add_co_u32 v44, vcc_lo, v40, v64
	v_add_co_ci_u32_e64 v45, null, v41, v65, vcc_lo
	v_min3_f32 v47, v49, v48, v47
	s_mov_b32 vcc_lo, s0
	global_store_dword v[44:45], v46, off
	v_max_f32_e32 v44, v47, v47
	s_cbranch_vccz .LBB56_148
; %bb.147:
	v_add_co_u32 v45, vcc_lo, v40, v70
	v_min_f32_e32 v47, 0, v44
	v_add_co_ci_u32_e64 v46, null, v41, v71, vcc_lo
	s_mov_b32 s6, 0
	global_store_dword v[45:46], v47, off
.LBB56_148:
	v_mov_b32_e32 v45, 0
	s_andn2_b32 vcc_lo, exec_lo, s6
	s_cbranch_vccnz .LBB56_150
; %bb.149:
	v_add_co_u32 v45, vcc_lo, v42, v70
	v_add_co_ci_u32_e64 v46, null, v43, v71, vcc_lo
	global_load_dword v45, v[45:46], off
	s_waitcnt vmcnt(0)
	v_mul_f32_e32 v47, s3, v45
	v_add_co_u32 v45, vcc_lo, v40, v70
	v_add_co_ci_u32_e64 v46, null, v41, v71, vcc_lo
	v_min_f32_e32 v44, v47, v44
	v_add_co_u32 v47, vcc_lo, v42, v68
	v_add_co_ci_u32_e64 v48, null, v43, v69, vcc_lo
	global_store_dword v[45:46], v44, off
	global_load_dword v44, v[47:48], off
	s_waitcnt vmcnt(0)
	v_mul_f32_e32 v45, s3, v44
.LBB56_150:
	v_add_f32_e32 v44, v21, v37
	v_add_f32_e32 v46, v20, v36
	v_add_f32_e32 v47, v23, v39
	v_add_f32_e32 v48, v22, v38
	v_add_f32_e32 v49, v17, v37
	v_add_f32_e32 v50, v16, v36
	v_min3_f32 v44, v46, v44, v91
	s_mov_b32 s6, -1
	v_min_f32_e32 v46, v48, v47
	v_add_f32_e32 v48, v19, v39
	v_min3_f32 v47, v50, v49, v92
	v_add_f32_e32 v49, v18, v38
	v_min3_f32 v46, v45, v46, v44
	v_add_co_u32 v44, vcc_lo, v40, v68
	v_add_co_ci_u32_e64 v45, null, v41, v69, vcc_lo
	v_min3_f32 v47, v49, v48, v47
	s_mov_b32 vcc_lo, s0
	global_store_dword v[44:45], v46, off
	v_max_f32_e32 v44, v47, v47
	;; [unrolled: 46-line block ×3, first 2 shown]
	s_cbranch_vccz .LBB56_156
; %bb.155:
	v_add_co_u32 v45, vcc_lo, v40, v76
	v_min_f32_e32 v47, 0, v44
	v_add_co_ci_u32_e64 v46, null, v41, v77, vcc_lo
	s_mov_b32 s6, 0
	global_store_dword v[45:46], v47, off
.LBB56_156:
	v_mov_b32_e32 v45, 0
	s_andn2_b32 vcc_lo, exec_lo, s6
	s_cbranch_vccnz .LBB56_158
; %bb.157:
	v_add_co_u32 v45, vcc_lo, v42, v76
	v_add_co_ci_u32_e64 v46, null, v43, v77, vcc_lo
	global_load_dword v45, v[45:46], off
	s_waitcnt vmcnt(0)
	v_mul_f32_e32 v47, s3, v45
	v_add_co_u32 v45, vcc_lo, v40, v76
	v_add_co_ci_u32_e64 v46, null, v41, v77, vcc_lo
	v_add_co_u32 v42, vcc_lo, v42, v78
	v_min_f32_e32 v44, v47, v44
	v_add_co_ci_u32_e64 v43, null, v43, v79, vcc_lo
	global_store_dword v[45:46], v44, off
	global_load_dword v42, v[42:43], off
	s_waitcnt vmcnt(0)
	v_mul_f32_e32 v45, s3, v42
.LBB56_158:
	v_add_f32_e32 v37, v1, v37
	v_add_f32_e32 v36, v0, v36
	;; [unrolled: 1-line block ×4, first 2 shown]
	s_waitcnt lgkmcnt(0)
	v_add_f32_e32 v33, v33, v5
	v_add_f32_e32 v32, v32, v4
	v_min3_f32 v36, v36, v37, v87
	v_add_f32_e32 v42, v35, v7
	v_min_f32_e32 v37, v38, v39
	v_add_nc_u32_e32 v39, 56, v138
	v_min3_f32 v38, v32, v33, v88
	v_add_f32_e32 v43, v34, v6
	v_min3_f32 v44, v45, v37, v36
	v_mad_i64_i32 v[32:33], null, v39, s2, 0
	v_mad_i64_i32 v[34:35], null, v39, s1, 0
	v_add_co_u32 v36, vcc_lo, v40, v78
	v_add_co_ci_u32_e64 v37, null, v41, v79, vcc_lo
	v_lshlrev_b64 v[32:33], 2, v[32:33]
	v_min3_f32 v38, v43, v42, v38
	v_lshlrev_b64 v[34:35], 2, v[34:35]
	global_store_dword v[36:37], v44, off
	s_mov_b32 s1, -1
	v_add_co_u32 v32, vcc_lo, s4, v32
	v_add_co_ci_u32_e64 v33, null, s5, v33, vcc_lo
	v_add_co_u32 v34, vcc_lo, s12, v34
	v_add_co_ci_u32_e64 v35, null, s13, v35, vcc_lo
	v_max_f32_e32 v36, v38, v38
	s_mov_b32 vcc_lo, s0
	s_cbranch_vccz .LBB56_160
; %bb.159:
	v_add_co_u32 v37, vcc_lo, v32, v66
	v_min_f32_e32 v39, 0, v36
	v_add_co_ci_u32_e64 v38, null, v33, v67, vcc_lo
	s_mov_b32 s1, 0
	global_store_dword v[37:38], v39, off
.LBB56_160:
	v_mov_b32_e32 v37, 0
	s_andn2_b32 vcc_lo, exec_lo, s1
	s_cbranch_vccnz .LBB56_162
; %bb.161:
	v_add_co_u32 v37, vcc_lo, v34, v66
	v_add_co_ci_u32_e64 v38, null, v35, v67, vcc_lo
	global_load_dword v37, v[37:38], off
	s_waitcnt vmcnt(0)
	v_mul_f32_e32 v39, s3, v37
	v_add_co_u32 v37, vcc_lo, v32, v66
	v_add_co_ci_u32_e64 v38, null, v33, v67, vcc_lo
	v_min_f32_e32 v36, v39, v36
	v_add_co_u32 v39, vcc_lo, v34, v64
	v_add_co_ci_u32_e64 v40, null, v35, v65, vcc_lo
	global_store_dword v[37:38], v36, off
	global_load_dword v36, v[39:40], off
	s_waitcnt vmcnt(0)
	v_mul_f32_e32 v37, s3, v36
.LBB56_162:
	v_add_f32_e32 v29, v29, v5
	v_add_f32_e32 v28, v28, v4
	v_add_f32_e32 v31, v31, v7
	v_add_f32_e32 v30, v30, v6
	v_add_f32_e32 v25, v25, v5
	v_add_f32_e32 v24, v24, v4
	v_min3_f32 v28, v28, v29, v86
	v_add_f32_e32 v27, v27, v7
	v_min_f32_e32 v29, v30, v31
	v_add_f32_e32 v26, v26, v6
	v_min3_f32 v30, v24, v25, v85
	v_add_co_u32 v24, vcc_lo, v32, v64
	v_min3_f32 v28, v37, v29, v28
	v_add_co_ci_u32_e64 v25, null, v33, v65, vcc_lo
	v_min3_f32 v26, v26, v27, v30
	s_mov_b32 s1, -1
	s_mov_b32 vcc_lo, s0
	global_store_dword v[24:25], v28, off
	v_max_f32_e32 v24, v26, v26
	s_cbranch_vccz .LBB56_164
; %bb.163:
	v_add_co_u32 v25, vcc_lo, v32, v70
	v_min_f32_e32 v27, 0, v24
	v_add_co_ci_u32_e64 v26, null, v33, v71, vcc_lo
	s_mov_b32 s1, 0
	global_store_dword v[25:26], v27, off
.LBB56_164:
	v_mov_b32_e32 v25, 0
	s_andn2_b32 vcc_lo, exec_lo, s1
	s_cbranch_vccnz .LBB56_166
; %bb.165:
	v_add_co_u32 v25, vcc_lo, v34, v70
	v_add_co_ci_u32_e64 v26, null, v35, v71, vcc_lo
	global_load_dword v25, v[25:26], off
	s_waitcnt vmcnt(0)
	v_mul_f32_e32 v27, s3, v25
	v_add_co_u32 v25, vcc_lo, v32, v70
	v_add_co_ci_u32_e64 v26, null, v33, v71, vcc_lo
	v_min_f32_e32 v24, v27, v24
	v_add_co_u32 v27, vcc_lo, v34, v68
	v_add_co_ci_u32_e64 v28, null, v35, v69, vcc_lo
	global_store_dword v[25:26], v24, off
	global_load_dword v24, v[27:28], off
	s_waitcnt vmcnt(0)
	v_mul_f32_e32 v25, s3, v24
.LBB56_166:
	v_add_f32_e32 v21, v21, v5
	v_add_f32_e32 v20, v20, v4
	v_add_f32_e32 v23, v23, v7
	v_add_f32_e32 v22, v22, v6
	v_add_f32_e32 v17, v17, v5
	v_add_f32_e32 v16, v16, v4
	v_min3_f32 v20, v20, v21, v82
	v_add_f32_e32 v19, v19, v7
	v_min_f32_e32 v21, v22, v23
	v_add_f32_e32 v18, v18, v6
	v_min3_f32 v22, v16, v17, v83
	v_add_co_u32 v16, vcc_lo, v32, v68
	v_min3_f32 v20, v25, v21, v20
	v_add_co_ci_u32_e64 v17, null, v33, v69, vcc_lo
	v_min3_f32 v18, v18, v19, v22
	s_mov_b32 s1, -1
	s_mov_b32 vcc_lo, s0
	global_store_dword v[16:17], v20, off
	v_max_f32_e32 v16, v18, v18
	;; [unrolled: 46-line block ×3, first 2 shown]
	s_cbranch_vccz .LBB56_172
; %bb.171:
	v_add_co_u32 v9, vcc_lo, v32, v76
	v_min_f32_e32 v11, 0, v8
	v_add_co_ci_u32_e64 v10, null, v33, v77, vcc_lo
	s_mov_b32 s1, 0
	global_store_dword v[9:10], v11, off
.LBB56_172:
	v_mov_b32_e32 v9, 0
	s_andn2_b32 vcc_lo, exec_lo, s1
	s_cbranch_vccnz .LBB56_174
; %bb.173:
	v_add_co_u32 v9, vcc_lo, v34, v76
	v_add_co_ci_u32_e64 v10, null, v35, v77, vcc_lo
	global_load_dword v9, v[9:10], off
	s_waitcnt vmcnt(0)
	v_mul_f32_e32 v11, s3, v9
	v_add_co_u32 v9, vcc_lo, v32, v76
	v_add_co_ci_u32_e64 v10, null, v33, v77, vcc_lo
	v_min_f32_e32 v8, v11, v8
	v_add_co_u32 v11, vcc_lo, v34, v78
	v_add_co_ci_u32_e64 v12, null, v35, v79, vcc_lo
	global_store_dword v[9:10], v8, off
	global_load_dword v8, v[11:12], off
	s_waitcnt vmcnt(0)
	v_mul_f32_e32 v9, s3, v8
.LBB56_174:
	v_add_f32_e32 v3, v3, v7
	v_add_f32_e32 v2, v2, v6
	;; [unrolled: 1-line block ×4, first 2 shown]
	v_min_f32_e32 v2, v2, v3
	v_min3_f32 v0, v0, v1, v84
	v_min3_f32 v2, v9, v2, v0
	v_add_co_u32 v0, vcc_lo, v32, v78
	v_add_co_ci_u32_e64 v1, null, v33, v79, vcc_lo
	global_store_dword v[0:1], v2, off
	s_endpgm
.LBB56_175:
	s_mov_b64 s[16:17], 0
	s_andn2_b32 vcc_lo, exec_lo, s0
	s_mov_b32 s0, -1
	s_cbranch_vccz .LBB56_2
	s_branch .LBB56_3
	.section	.rodata,"a",@progbits
	.p2align	6, 0x0
	.amdhsa_kernel _ZN12_GLOBAL__N_120geam_min_plus_kernelIf15HIP_vector_typeIfLj2EEfLi32ELi8ELi256ELi64ELi4ELi64ELi4ELi4ELi64ELc78ELc78ELb0ELb0ELb1EfKffEEviiiT16_PT17_ilS6_ilS4_S6_ilPT18_ili26rocblas_geam_ex_operation_
		.amdhsa_group_segment_fixed_size 10240
		.amdhsa_private_segment_fixed_size 0
		.amdhsa_kernarg_size 128
		.amdhsa_user_sgpr_count 6
		.amdhsa_user_sgpr_private_segment_buffer 1
		.amdhsa_user_sgpr_dispatch_ptr 0
		.amdhsa_user_sgpr_queue_ptr 0
		.amdhsa_user_sgpr_kernarg_segment_ptr 1
		.amdhsa_user_sgpr_dispatch_id 0
		.amdhsa_user_sgpr_flat_scratch_init 0
		.amdhsa_user_sgpr_private_segment_size 0
		.amdhsa_wavefront_size32 1
		.amdhsa_uses_dynamic_stack 0
		.amdhsa_system_sgpr_private_segment_wavefront_offset 0
		.amdhsa_system_sgpr_workgroup_id_x 1
		.amdhsa_system_sgpr_workgroup_id_y 0
		.amdhsa_system_sgpr_workgroup_id_z 1
		.amdhsa_system_sgpr_workgroup_info 0
		.amdhsa_system_vgpr_workitem_id 1
		.amdhsa_next_free_vgpr 168
		.amdhsa_next_free_sgpr 25
		.amdhsa_reserve_vcc 1
		.amdhsa_reserve_flat_scratch 0
		.amdhsa_float_round_mode_32 0
		.amdhsa_float_round_mode_16_64 0
		.amdhsa_float_denorm_mode_32 3
		.amdhsa_float_denorm_mode_16_64 3
		.amdhsa_dx10_clamp 1
		.amdhsa_ieee_mode 1
		.amdhsa_fp16_overflow 0
		.amdhsa_workgroup_processor_mode 1
		.amdhsa_memory_ordered 1
		.amdhsa_forward_progress 1
		.amdhsa_shared_vgpr_count 0
		.amdhsa_exception_fp_ieee_invalid_op 0
		.amdhsa_exception_fp_denorm_src 0
		.amdhsa_exception_fp_ieee_div_zero 0
		.amdhsa_exception_fp_ieee_overflow 0
		.amdhsa_exception_fp_ieee_underflow 0
		.amdhsa_exception_fp_ieee_inexact 0
		.amdhsa_exception_int_div_zero 0
	.end_amdhsa_kernel
	.section	.text._ZN12_GLOBAL__N_120geam_min_plus_kernelIf15HIP_vector_typeIfLj2EEfLi32ELi8ELi256ELi64ELi4ELi64ELi4ELi4ELi64ELc78ELc78ELb0ELb0ELb1EfKffEEviiiT16_PT17_ilS6_ilS4_S6_ilPT18_ili26rocblas_geam_ex_operation_,"axG",@progbits,_ZN12_GLOBAL__N_120geam_min_plus_kernelIf15HIP_vector_typeIfLj2EEfLi32ELi8ELi256ELi64ELi4ELi64ELi4ELi4ELi64ELc78ELc78ELb0ELb0ELb1EfKffEEviiiT16_PT17_ilS6_ilS4_S6_ilPT18_ili26rocblas_geam_ex_operation_,comdat
.Lfunc_end56:
	.size	_ZN12_GLOBAL__N_120geam_min_plus_kernelIf15HIP_vector_typeIfLj2EEfLi32ELi8ELi256ELi64ELi4ELi64ELi4ELi4ELi64ELc78ELc78ELb0ELb0ELb1EfKffEEviiiT16_PT17_ilS6_ilS4_S6_ilPT18_ili26rocblas_geam_ex_operation_, .Lfunc_end56-_ZN12_GLOBAL__N_120geam_min_plus_kernelIf15HIP_vector_typeIfLj2EEfLi32ELi8ELi256ELi64ELi4ELi64ELi4ELi4ELi64ELc78ELc78ELb0ELb0ELb1EfKffEEviiiT16_PT17_ilS6_ilS4_S6_ilPT18_ili26rocblas_geam_ex_operation_
                                        ; -- End function
	.set _ZN12_GLOBAL__N_120geam_min_plus_kernelIf15HIP_vector_typeIfLj2EEfLi32ELi8ELi256ELi64ELi4ELi64ELi4ELi4ELi64ELc78ELc78ELb0ELb0ELb1EfKffEEviiiT16_PT17_ilS6_ilS4_S6_ilPT18_ili26rocblas_geam_ex_operation_.num_vgpr, 168
	.set _ZN12_GLOBAL__N_120geam_min_plus_kernelIf15HIP_vector_typeIfLj2EEfLi32ELi8ELi256ELi64ELi4ELi64ELi4ELi4ELi64ELc78ELc78ELb0ELb0ELb1EfKffEEviiiT16_PT17_ilS6_ilS4_S6_ilPT18_ili26rocblas_geam_ex_operation_.num_agpr, 0
	.set _ZN12_GLOBAL__N_120geam_min_plus_kernelIf15HIP_vector_typeIfLj2EEfLi32ELi8ELi256ELi64ELi4ELi64ELi4ELi4ELi64ELc78ELc78ELb0ELb0ELb1EfKffEEviiiT16_PT17_ilS6_ilS4_S6_ilPT18_ili26rocblas_geam_ex_operation_.numbered_sgpr, 25
	.set _ZN12_GLOBAL__N_120geam_min_plus_kernelIf15HIP_vector_typeIfLj2EEfLi32ELi8ELi256ELi64ELi4ELi64ELi4ELi4ELi64ELc78ELc78ELb0ELb0ELb1EfKffEEviiiT16_PT17_ilS6_ilS4_S6_ilPT18_ili26rocblas_geam_ex_operation_.num_named_barrier, 0
	.set _ZN12_GLOBAL__N_120geam_min_plus_kernelIf15HIP_vector_typeIfLj2EEfLi32ELi8ELi256ELi64ELi4ELi64ELi4ELi4ELi64ELc78ELc78ELb0ELb0ELb1EfKffEEviiiT16_PT17_ilS6_ilS4_S6_ilPT18_ili26rocblas_geam_ex_operation_.private_seg_size, 0
	.set _ZN12_GLOBAL__N_120geam_min_plus_kernelIf15HIP_vector_typeIfLj2EEfLi32ELi8ELi256ELi64ELi4ELi64ELi4ELi4ELi64ELc78ELc78ELb0ELb0ELb1EfKffEEviiiT16_PT17_ilS6_ilS4_S6_ilPT18_ili26rocblas_geam_ex_operation_.uses_vcc, 1
	.set _ZN12_GLOBAL__N_120geam_min_plus_kernelIf15HIP_vector_typeIfLj2EEfLi32ELi8ELi256ELi64ELi4ELi64ELi4ELi4ELi64ELc78ELc78ELb0ELb0ELb1EfKffEEviiiT16_PT17_ilS6_ilS4_S6_ilPT18_ili26rocblas_geam_ex_operation_.uses_flat_scratch, 0
	.set _ZN12_GLOBAL__N_120geam_min_plus_kernelIf15HIP_vector_typeIfLj2EEfLi32ELi8ELi256ELi64ELi4ELi64ELi4ELi4ELi64ELc78ELc78ELb0ELb0ELb1EfKffEEviiiT16_PT17_ilS6_ilS4_S6_ilPT18_ili26rocblas_geam_ex_operation_.has_dyn_sized_stack, 0
	.set _ZN12_GLOBAL__N_120geam_min_plus_kernelIf15HIP_vector_typeIfLj2EEfLi32ELi8ELi256ELi64ELi4ELi64ELi4ELi4ELi64ELc78ELc78ELb0ELb0ELb1EfKffEEviiiT16_PT17_ilS6_ilS4_S6_ilPT18_ili26rocblas_geam_ex_operation_.has_recursion, 0
	.set _ZN12_GLOBAL__N_120geam_min_plus_kernelIf15HIP_vector_typeIfLj2EEfLi32ELi8ELi256ELi64ELi4ELi64ELi4ELi4ELi64ELc78ELc78ELb0ELb0ELb1EfKffEEviiiT16_PT17_ilS6_ilS4_S6_ilPT18_ili26rocblas_geam_ex_operation_.has_indirect_call, 0
	.section	.AMDGPU.csdata,"",@progbits
; Kernel info:
; codeLenInByte = 17608
; TotalNumSgprs: 27
; NumVgprs: 168
; ScratchSize: 0
; MemoryBound: 0
; FloatMode: 240
; IeeeMode: 1
; LDSByteSize: 10240 bytes/workgroup (compile time only)
; SGPRBlocks: 0
; VGPRBlocks: 20
; NumSGPRsForWavesPerEU: 27
; NumVGPRsForWavesPerEU: 168
; Occupancy: 5
; WaveLimiterHint : 1
; COMPUTE_PGM_RSRC2:SCRATCH_EN: 0
; COMPUTE_PGM_RSRC2:USER_SGPR: 6
; COMPUTE_PGM_RSRC2:TRAP_HANDLER: 0
; COMPUTE_PGM_RSRC2:TGID_X_EN: 1
; COMPUTE_PGM_RSRC2:TGID_Y_EN: 0
; COMPUTE_PGM_RSRC2:TGID_Z_EN: 1
; COMPUTE_PGM_RSRC2:TIDIG_COMP_CNT: 1
	.section	.text._ZN12_GLOBAL__N_120geam_min_plus_kernelIf15HIP_vector_typeIfLj2EEfLi32ELi8ELi256ELi64ELi4ELi64ELi4ELi4ELi64ELc78ELc78ELb0ELb1ELb1EPKfS3_fEEviiiT16_PT17_ilS7_ilS5_S7_ilPT18_ili26rocblas_geam_ex_operation_,"axG",@progbits,_ZN12_GLOBAL__N_120geam_min_plus_kernelIf15HIP_vector_typeIfLj2EEfLi32ELi8ELi256ELi64ELi4ELi64ELi4ELi4ELi64ELc78ELc78ELb0ELb1ELb1EPKfS3_fEEviiiT16_PT17_ilS7_ilS5_S7_ilPT18_ili26rocblas_geam_ex_operation_,comdat
	.globl	_ZN12_GLOBAL__N_120geam_min_plus_kernelIf15HIP_vector_typeIfLj2EEfLi32ELi8ELi256ELi64ELi4ELi64ELi4ELi4ELi64ELc78ELc78ELb0ELb1ELb1EPKfS3_fEEviiiT16_PT17_ilS7_ilS5_S7_ilPT18_ili26rocblas_geam_ex_operation_ ; -- Begin function _ZN12_GLOBAL__N_120geam_min_plus_kernelIf15HIP_vector_typeIfLj2EEfLi32ELi8ELi256ELi64ELi4ELi64ELi4ELi4ELi64ELc78ELc78ELb0ELb1ELb1EPKfS3_fEEviiiT16_PT17_ilS7_ilS5_S7_ilPT18_ili26rocblas_geam_ex_operation_
	.p2align	8
	.type	_ZN12_GLOBAL__N_120geam_min_plus_kernelIf15HIP_vector_typeIfLj2EEfLi32ELi8ELi256ELi64ELi4ELi64ELi4ELi4ELi64ELc78ELc78ELb0ELb1ELb1EPKfS3_fEEviiiT16_PT17_ilS7_ilS5_S7_ilPT18_ili26rocblas_geam_ex_operation_,@function
_ZN12_GLOBAL__N_120geam_min_plus_kernelIf15HIP_vector_typeIfLj2EEfLi32ELi8ELi256ELi64ELi4ELi64ELi4ELi4ELi64ELc78ELc78ELb0ELb1ELb1EPKfS3_fEEviiiT16_PT17_ilS7_ilS5_S7_ilPT18_ili26rocblas_geam_ex_operation_: ; @_ZN12_GLOBAL__N_120geam_min_plus_kernelIf15HIP_vector_typeIfLj2EEfLi32ELi8ELi256ELi64ELi4ELi64ELi4ELi4ELi64ELc78ELc78ELb0ELb1ELb1EPKfS3_fEEviiiT16_PT17_ilS7_ilS5_S7_ilPT18_ili26rocblas_geam_ex_operation_
; %bb.0:
	s_clause 0x1
	s_load_dwordx4 s[12:15], s[4:5], 0x10
	s_load_dwordx4 s[0:3], s[4:5], 0x28
	s_mov_b32 s18, s7
	s_mov_b32 s19, 0
	s_mov_b64 s[22:23], 0
	s_lshl_b64 s[16:17], s[18:19], 2
	s_mov_b64 s[20:21], 0
	s_waitcnt lgkmcnt(0)
	s_add_u32 s8, s12, s16
	s_addc_u32 s9, s13, s17
	s_load_dword s25, s[8:9], 0x0
	s_clause 0x1
	s_load_dwordx4 s[8:11], s[4:5], 0x40
	s_load_dwordx2 s[12:13], s[4:5], 0x50
	s_waitcnt lgkmcnt(0)
	v_cmp_eq_f32_e64 s19, s25, 0
	v_cmp_neq_f32_e64 s7, s25, 0
	s_add_u32 s10, s10, s16
	s_addc_u32 s11, s11, s17
	s_and_b32 vcc_lo, exec_lo, s19
	s_cbranch_vccnz .LBB57_2
; %bb.1:
	s_mul_i32 s1, s1, s18
	s_mul_hi_u32 s16, s0, s18
	s_mul_i32 s0, s0, s18
	s_add_i32 s1, s16, s1
	s_lshl_b64 s[0:1], s[0:1], 2
	s_add_u32 s20, s14, s0
	s_addc_u32 s21, s15, s1
.LBB57_2:
	s_load_dword s19, s[10:11], 0x0
	s_andn2_b32 vcc_lo, exec_lo, s7
	s_cbranch_vccnz .LBB57_4
; %bb.3:
	s_mul_i32 s0, s9, s18
	s_mul_hi_u32 s1, s8, s18
	s_add_i32 s1, s1, s0
	s_mul_i32 s0, s8, s18
	s_lshl_b64 s[0:1], s[0:1], 2
	s_add_u32 s22, s2, s0
	s_addc_u32 s23, s3, s1
.LBB57_4:
	s_load_dwordx4 s[8:11], s[4:5], 0x60
	s_waitcnt lgkmcnt(0)
	v_cmp_eq_f32_e64 s0, s19, 0
	v_cmp_neq_f32_e64 s24, s19, 0
	s_and_b32 vcc_lo, exec_lo, s0
	s_cbranch_vccnz .LBB57_6
; %bb.5:
	s_mul_i32 s0, s9, s18
	s_mul_hi_u32 s1, s8, s18
	s_add_i32 s1, s1, s0
	s_mul_i32 s0, s8, s18
	s_lshl_b64 s[0:1], s[0:1], 2
	s_add_u32 s16, s12, s0
	s_addc_u32 s17, s13, s1
	s_branch .LBB57_7
.LBB57_6:
	s_mov_b64 s[16:17], 0
.LBB57_7:
	s_load_dwordx4 s[12:15], s[4:5], 0x0
	s_waitcnt lgkmcnt(0)
	s_load_dword s15, s[4:5], 0x20
	v_lshl_add_u32 v7, v1, 5, v0
	v_cmp_eq_f32_e64 s27, s25, 0
	v_lshrrev_b32_e32 v70, 6, v7
	s_add_i32 s0, s12, -1
	s_ashr_i32 s1, s0, 31
	s_lshr_b32 s1, s1, 24
	s_add_i32 s0, s0, s1
	s_ashr_i32 s0, s0, 8
	s_add_i32 s1, s0, 1
	s_not_b32 s0, s0
	v_cvt_f32_u32_e32 v2, s1
	v_rcp_iflag_f32_e32 v2, v2
	v_mul_f32_e32 v2, 0x4f7ffffe, v2
	v_cvt_u32_f32_e32 v2, v2
	v_readfirstlane_b32 s2, v2
	v_and_b32_e32 v2, 63, v7
	s_mul_i32 s0, s0, s2
	s_mul_hi_u32 s0, s2, s0
	s_add_i32 s2, s2, s0
	s_mul_hi_u32 s0, s6, s2
	s_mul_i32 s2, s0, s1
	s_add_i32 s3, s0, 1
	s_sub_i32 s2, s6, s2
	s_sub_i32 s7, s2, s1
	s_cmp_ge_u32 s2, s1
	s_cselect_b32 s0, s3, s0
	s_cselect_b32 s2, s7, s2
	s_add_i32 s3, s0, 1
	s_cmp_ge_u32 s2, s1
	s_cselect_b32 s7, s3, s0
	s_add_i32 s26, s14, -1
	s_mul_i32 s0, s7, s1
	v_min_i32_e32 v3, s26, v70
	s_sub_i32 s0, s6, s0
	v_cmp_le_i32_e64 s3, s14, v70
	s_lshl_b32 s8, s0, 8
	s_waitcnt lgkmcnt(0)
	v_mad_i64_i32 v[3:4], null, s15, v3, 0
	v_or_b32_e32 v66, s8, v2
	v_cmp_le_i32_e32 vcc_lo, s12, v66
	v_lshlrev_b64 v[4:5], 2, v[3:4]
	v_ashrrev_i32_e32 v67, 31, v66
	s_or_b32 s1, vcc_lo, s3
	v_add_co_u32 v8, s0, s20, v4
	v_cndmask_b32_e64 v3, 0, 0x7f7fffff, s1
	v_add_co_ci_u32_e64 v9, null, s21, v5, s0
	s_nor_b32 s0, s27, s1
	s_and_saveexec_b32 s1, s0
	s_cbranch_execz .LBB57_9
; %bb.8:
	v_lshlrev_b64 v[3:4], 2, v[66:67]
	v_add_co_u32 v3, s0, v8, v3
	v_add_co_ci_u32_e64 v4, null, v9, v4, s0
	global_load_dword v3, v[3:4], off
	s_waitcnt vmcnt(0)
	v_mul_f32_e32 v3, s25, v3
.LBB57_9:
	s_or_b32 exec_lo, exec_lo, s1
	v_or_b32_e32 v4, 64, v66
	v_cmp_le_i32_e64 s0, s12, v4
	s_or_b32 s1, s0, s3
	v_cndmask_b32_e64 v4, 0, 0x7f7fffff, s1
	s_nor_b32 s1, s27, s1
	s_and_saveexec_b32 s2, s1
	s_cbranch_execz .LBB57_11
; %bb.10:
	v_lshlrev_b64 v[4:5], 2, v[66:67]
	v_add_co_u32 v4, s1, v8, v4
	v_add_co_ci_u32_e64 v5, null, v9, v5, s1
	global_load_dword v4, v[4:5], off offset:256
	s_waitcnt vmcnt(0)
	v_mul_f32_e32 v4, s25, v4
.LBB57_11:
	s_or_b32 exec_lo, exec_lo, s2
	v_or_b32_e32 v5, 0x80, v66
	v_cmp_le_i32_e64 s1, s12, v5
	s_or_b32 s2, s1, s3
	v_cndmask_b32_e64 v5, 0, 0x7f7fffff, s2
	s_nor_b32 s2, s27, s2
	s_and_saveexec_b32 s6, s2
	s_cbranch_execz .LBB57_13
; %bb.12:
	v_lshlrev_b64 v[5:6], 2, v[66:67]
	v_add_co_u32 v5, s2, v8, v5
	v_add_co_ci_u32_e64 v6, null, v9, v6, s2
	global_load_dword v5, v[5:6], off offset:512
	s_waitcnt vmcnt(0)
	v_mul_f32_e32 v5, s25, v5
.LBB57_13:
	;; [unrolled: 16-line block ×3, first 2 shown]
	s_or_b32 exec_lo, exec_lo, s6
	v_lshrrev_b32_e32 v7, 2, v7
	s_load_dword s28, s[4:5], 0x38
	s_lshl_b32 s9, s7, 6
	v_and_b32_e32 v73, 3, v0
	v_add_nc_u32_e32 v68, s9, v7
	v_cmp_le_i32_e64 s6, s14, v73
	v_cmp_le_i32_e64 s3, s13, v68
	s_or_b32 s6, s6, s3
	v_cndmask_b32_e64 v8, 0, 0x7f7fffff, s6
	s_nor_b32 s6, s27, s6
	s_and_saveexec_b32 s7, s6
	s_cbranch_execz .LBB57_17
; %bb.16:
	s_waitcnt lgkmcnt(0)
	v_mad_i64_i32 v[8:9], null, v68, s28, 0
	v_min_u32_e32 v10, s26, v73
	v_lshlrev_b32_e32 v10, 2, v10
	v_lshlrev_b64 v[8:9], 2, v[8:9]
	v_add_co_u32 v8, s6, s22, v8
	v_add_co_ci_u32_e64 v9, null, s23, v9, s6
	v_add_co_u32 v8, s6, v8, v10
	v_add_co_ci_u32_e64 v9, null, 0, v9, s6
	global_load_dword v8, v[8:9], off
	s_waitcnt vmcnt(0)
	v_mul_f32_e32 v8, s25, v8
.LBB57_17:
	s_or_b32 exec_lo, exec_lo, s7
	v_add_nc_u32_e32 v11, 4, v70
	v_min_i32_e32 v9, s26, v11
	v_cmp_le_i32_e64 s6, s14, v11
	v_mad_i64_i32 v[9:10], null, s15, v9, 0
	v_lshlrev_b64 v[9:10], 2, v[9:10]
	v_add_co_u32 v9, s7, s20, v9
	v_add_co_ci_u32_e64 v10, null, s21, v10, s7
	s_or_b32 s7, vcc_lo, s6
	v_cndmask_b32_e64 v69, 0, 0x7f7fffff, s7
	s_nor_b32 s7, s27, s7
	s_and_saveexec_b32 s29, s7
	s_cbranch_execz .LBB57_19
; %bb.18:
	v_lshlrev_b64 v[11:12], 2, v[66:67]
	v_add_co_u32 v11, s7, v9, v11
	v_add_co_ci_u32_e64 v12, null, v10, v12, s7
	global_load_dword v11, v[11:12], off
	s_waitcnt vmcnt(0)
	v_mul_f32_e32 v69, s25, v11
.LBB57_19:
	s_or_b32 exec_lo, exec_lo, s29
	s_or_b32 s7, s0, s6
	v_cndmask_b32_e64 v121, 0, 0x7f7fffff, s7
	s_nor_b32 s7, s27, s7
	s_and_saveexec_b32 s29, s7
	s_cbranch_execz .LBB57_21
; %bb.20:
	v_lshlrev_b64 v[11:12], 2, v[66:67]
	v_add_co_u32 v11, s7, v9, v11
	v_add_co_ci_u32_e64 v12, null, v10, v12, s7
	global_load_dword v11, v[11:12], off offset:256
	s_waitcnt vmcnt(0)
	v_mul_f32_e32 v121, s25, v11
.LBB57_21:
	s_or_b32 exec_lo, exec_lo, s29
	s_or_b32 s7, s1, s6
	v_cndmask_b32_e64 v132, 0, 0x7f7fffff, s7
	s_nor_b32 s7, s27, s7
	s_and_saveexec_b32 s29, s7
	s_cbranch_execz .LBB57_23
; %bb.22:
	v_lshlrev_b64 v[11:12], 2, v[66:67]
	v_add_co_u32 v11, s7, v9, v11
	v_add_co_ci_u32_e64 v12, null, v10, v12, s7
	global_load_dword v11, v[11:12], off offset:512
	s_waitcnt vmcnt(0)
	v_mul_f32_e32 v132, s25, v11
.LBB57_23:
	;; [unrolled: 14-line block ×3, first 2 shown]
	s_or_b32 exec_lo, exec_lo, s7
	v_or_b32_e32 v9, 4, v73
	v_cmp_le_i32_e64 s6, s14, v9
	s_or_b32 s6, s6, s3
	v_cndmask_b32_e64 v144, 0, 0x7f7fffff, s6
	s_nor_b32 s6, s27, s6
	s_and_saveexec_b32 s7, s6
	s_cbranch_execz .LBB57_27
; %bb.26:
	s_waitcnt lgkmcnt(0)
	v_mad_i64_i32 v[10:11], null, v68, s28, 0
	v_min_u32_e32 v12, s26, v9
	v_lshlrev_b64 v[9:10], 2, v[10:11]
	v_lshlrev_b32_e32 v11, 2, v12
	v_add_co_u32 v9, s6, s22, v9
	v_add_co_ci_u32_e64 v10, null, s23, v10, s6
	v_add_co_u32 v9, s6, v9, v11
	v_add_co_ci_u32_e64 v10, null, 0, v10, s6
	global_load_dword v9, v[9:10], off
	s_waitcnt vmcnt(0)
	v_mul_f32_e32 v144, s25, v9
.LBB57_27:
	s_or_b32 exec_lo, exec_lo, s7
	v_lshlrev_b32_e32 v2, 4, v2
	v_lshlrev_b32_e32 v142, 2, v73
	v_lshlrev_b32_e32 v72, 4, v0
	v_lshlrev_b32_e32 v71, 4, v1
	s_cmp_lt_i32 s14, 9
	v_lshl_add_u32 v74, v70, 2, v2
	v_lshl_or_b32 v143, v7, 4, v142
	ds_write2st64_b32 v74, v3, v4 offset1:4
	ds_write2st64_b32 v74, v5, v6 offset0:8 offset1:12
	ds_write_b32 v143, v8 offset:8192
	s_waitcnt lgkmcnt(0)
	s_barrier
	buffer_gl0_inv
	ds_read_b128 v[34:37], v72
	ds_read_b128 v[30:33], v72 offset:512
	ds_read_b128 v[26:29], v72 offset:1024
	;; [unrolled: 1-line block ×15, first 2 shown]
	ds_write2st64_b32 v74, v69, v121 offset0:16 offset1:20
	ds_write2st64_b32 v74, v132, v141 offset0:24 offset1:28
	ds_write_b32 v143, v144 offset:9216
	s_waitcnt lgkmcnt(0)
	s_barrier
	buffer_gl0_inv
	v_add_f32_e32 v75, v35, v63
	v_add_f32_e32 v76, v34, v62
	;; [unrolled: 1-line block ×6, first 2 shown]
	v_min3_f32 v75, v76, v75, 0x7f7fffff
	v_add_f32_e32 v76, v31, v63
	v_add_f32_e32 v81, v10, v62
	v_min3_f32 v76, v77, v76, 0x7f7fffff
	v_add_f32_e32 v77, v27, v63
	v_min3_f32 v77, v78, v77, 0x7f7fffff
	;; [unrolled: 2-line block ×5, first 2 shown]
	v_add_f32_e32 v79, v7, v63
	v_add_f32_e32 v81, v6, v62
	;; [unrolled: 1-line block ×4, first 2 shown]
	v_min3_f32 v118, v81, v79, 0x7f7fffff
	v_add_f32_e32 v79, v6, v38
	v_min3_f32 v119, v62, v63, 0x7f7fffff
	v_add_f32_e32 v62, v35, v59
	v_add_f32_e32 v63, v34, v58
	v_min3_f32 v116, v63, v62, 0x7f7fffff
	v_add_f32_e32 v62, v31, v59
	v_add_f32_e32 v63, v30, v58
	v_min3_f32 v115, v63, v62, 0x7f7fffff
	v_add_f32_e32 v62, v27, v59
	v_add_f32_e32 v63, v26, v58
	v_min3_f32 v114, v63, v62, 0x7f7fffff
	v_add_f32_e32 v62, v19, v59
	v_add_f32_e32 v63, v18, v58
	v_min3_f32 v113, v63, v62, 0x7f7fffff
	v_add_f32_e32 v62, v15, v59
	v_add_f32_e32 v63, v14, v58
	v_min3_f32 v112, v63, v62, 0x7f7fffff
	v_add_f32_e32 v62, v11, v59
	v_add_f32_e32 v63, v10, v58
	v_min3_f32 v111, v63, v62, 0x7f7fffff
	v_add_f32_e32 v62, v7, v59
	v_add_f32_e32 v63, v6, v58
	v_add_f32_e32 v59, v3, v59
	v_add_f32_e32 v58, v2, v58
	v_min3_f32 v110, v63, v62, 0x7f7fffff
	v_min3_f32 v109, v58, v59, 0x7f7fffff
	v_add_f32_e32 v58, v35, v55
	v_add_f32_e32 v59, v34, v54
	v_min3_f32 v108, v59, v58, 0x7f7fffff
	v_add_f32_e32 v58, v31, v55
	v_add_f32_e32 v59, v30, v54
	v_min3_f32 v107, v59, v58, 0x7f7fffff
	v_add_f32_e32 v58, v27, v55
	v_add_f32_e32 v59, v26, v54
	v_min3_f32 v106, v59, v58, 0x7f7fffff
	v_add_f32_e32 v58, v19, v55
	v_add_f32_e32 v59, v18, v54
	v_min3_f32 v105, v59, v58, 0x7f7fffff
	v_add_f32_e32 v58, v15, v55
	v_add_f32_e32 v59, v14, v54
	v_min3_f32 v104, v59, v58, 0x7f7fffff
	v_add_f32_e32 v58, v11, v55
	v_add_f32_e32 v59, v10, v54
	v_min3_f32 v103, v59, v58, 0x7f7fffff
	v_add_f32_e32 v58, v7, v55
	v_add_f32_e32 v59, v6, v54
	v_add_f32_e32 v55, v3, v55
	v_add_f32_e32 v54, v2, v54
	v_min3_f32 v102, v59, v58, 0x7f7fffff
	v_min3_f32 v101, v54, v55, 0x7f7fffff
	v_add_f32_e32 v54, v35, v51
	v_add_f32_e32 v55, v34, v50
	v_min3_f32 v100, v55, v54, 0x7f7fffff
	v_add_f32_e32 v54, v31, v51
	v_add_f32_e32 v55, v30, v50
	v_min3_f32 v99, v55, v54, 0x7f7fffff
	v_add_f32_e32 v54, v27, v51
	v_add_f32_e32 v55, v26, v50
	v_min3_f32 v98, v55, v54, 0x7f7fffff
	v_add_f32_e32 v54, v19, v51
	v_add_f32_e32 v55, v18, v50
	v_min3_f32 v97, v55, v54, 0x7f7fffff
	v_add_f32_e32 v54, v15, v51
	v_add_f32_e32 v55, v14, v50
	v_min3_f32 v96, v55, v54, 0x7f7fffff
	v_add_f32_e32 v54, v11, v51
	v_add_f32_e32 v55, v10, v50
	v_min3_f32 v95, v55, v54, 0x7f7fffff
	v_add_f32_e32 v54, v7, v51
	;; [unrolled: 24-line block ×4, first 2 shown]
	v_add_f32_e32 v47, v6, v42
	v_add_f32_e32 v43, v3, v43
	;; [unrolled: 1-line block ×4, first 2 shown]
	v_min3_f32 v58, v47, v46, 0x7f7fffff
	v_min3_f32 v55, v42, v43, 0x7f7fffff
	v_add_f32_e32 v42, v35, v39
	v_add_f32_e32 v43, v34, v38
	;; [unrolled: 1-line block ×4, first 2 shown]
	v_min3_f32 v54, v43, v42, 0x7f7fffff
	v_add_f32_e32 v42, v31, v39
	v_add_f32_e32 v43, v30, v38
	v_min3_f32 v34, v34, v35, 0x7f7fffff
	v_add_f32_e32 v31, v31, v23
	v_add_f32_e32 v30, v30, v22
	;; [unrolled: 3-line block ×9, first 2 shown]
	v_add_f32_e32 v38, v2, v38
	v_add_f32_e32 v2, v2, v22
	v_min3_f32 v14, v14, v15, 0x7f7fffff
	v_add_f32_e32 v11, v11, v23
	v_min3_f32 v43, v43, v42, 0x7f7fffff
	v_add_f32_e32 v42, v7, v39
	v_add_f32_e32 v39, v3, v39
	;; [unrolled: 1-line block ×5, first 2 shown]
	v_min3_f32 v42, v79, v42, 0x7f7fffff
	v_min3_f32 v38, v38, v39, 0x7f7fffff
	;; [unrolled: 1-line block ×4, first 2 shown]
	v_add_f32_e32 v3, v37, v65
	v_add_f32_e32 v7, v36, v64
	v_min3_f32 v10, v10, v11, 0x7f7fffff
	v_min3_f32 v81, v7, v3, v75
	v_add_f32_e32 v3, v33, v65
	v_add_f32_e32 v7, v32, v64
	v_min3_f32 v79, v7, v3, v76
	v_add_f32_e32 v3, v29, v65
	v_add_f32_e32 v7, v28, v64
	;; [unrolled: 3-line block ×55, first 2 shown]
	v_add_f32_e32 v4, v4, v24
	v_min3_f32 v89, v7, v3, v38
	v_add_f32_e32 v3, v37, v25
	v_add_f32_e32 v7, v36, v24
	v_min3_f32 v88, v7, v3, v34
	v_add_f32_e32 v3, v33, v25
	;; [unrolled: 3-line block ×8, first 2 shown]
	v_min3_f32 v92, v4, v3, v2
	s_cbranch_scc1 .LBB57_50
; %bb.28:
	v_mad_i64_i32 v[2:3], null, s28, v68, 0
	v_lshlrev_b64 v[66:67], 2, v[66:67]
	v_add_nc_u32_e32 v121, 0x2000, v143
	v_or_b32_e32 v132, 0x2000, v71
	v_or_b32_e32 v141, 0x1000, v74
	v_add_nc_u32_e32 v143, 0x2400, v143
	v_lshl_or_b32 v144, v0, 4, 0x1000
	v_lshlrev_b64 v[2:3], 2, v[2:3]
	v_add_co_u32 v2, s6, v2, v142
	v_add_co_ci_u32_e64 v3, null, 0, v3, s6
	v_lshl_add_u32 v142, v1, 4, 0x2400
	v_add_co_u32 v2, s6, s22, v2
	v_add_co_ci_u32_e64 v3, null, s23, v3, s6
	s_add_i32 s22, s14, -8
	v_add_co_u32 v68, s6, v2, 32
	v_add_co_ci_u32_e64 v69, null, 0, v3, s6
	s_mov_b32 s23, 0
	s_branch .LBB57_30
.LBB57_29:                              ;   in Loop: Header=BB57_30 Depth=1
	s_or_b32 exec_lo, exec_lo, s6
	v_add_f32_e32 v150, v23, v63
	v_add_f32_e32 v151, v22, v62
	;; [unrolled: 1-line block ×6, first 2 shown]
	v_min3_f32 v81, v151, v150, v81
	v_add_f32_e32 v150, v7, v63
	v_min3_f32 v79, v153, v152, v79
	v_add_f32_e32 v151, v6, v62
	;; [unrolled: 2-line block ×3, first 2 shown]
	v_add_f32_e32 v153, v34, v62
	v_add_f32_e32 v154, v31, v63
	;; [unrolled: 1-line block ×7, first 2 shown]
	v_min3_f32 v75, v151, v150, v75
	v_min3_f32 v76, v153, v152, v76
	v_add_f32_e32 v150, v15, v59
	v_add_f32_e32 v151, v14, v58
	v_min3_f32 v62, v62, v63, v140
	v_add_f32_e32 v63, v23, v59
	v_add_f32_e32 v140, v22, v58
	;; [unrolled: 1-line block ×4, first 2 shown]
	v_min3_f32 v78, v155, v154, v78
	v_min3_f32 v80, v157, v156, v80
	v_add_f32_e32 v154, v7, v59
	v_add_f32_e32 v155, v6, v58
	v_add_f32_e32 v156, v35, v59
	v_add_f32_e32 v157, v34, v58
	v_min3_f32 v63, v140, v63, v139
	v_min3_f32 v138, v151, v150, v138
	;; [unrolled: 1-line block ×3, first 2 shown]
	v_add_f32_e32 v139, v31, v59
	v_add_f32_e32 v140, v30, v58
	;; [unrolled: 1-line block ×8, first 2 shown]
	v_min3_f32 v136, v155, v154, v136
	v_add_f32_e32 v154, v15, v55
	v_add_f32_e32 v155, v14, v54
	v_min3_f32 v134, v140, v139, v134
	v_min3_f32 v133, v151, v150, v133
	;; [unrolled: 1-line block ×4, first 2 shown]
	v_add_f32_e32 v130, v11, v55
	v_add_f32_e32 v131, v10, v54
	;; [unrolled: 1-line block ×6, first 2 shown]
	v_min3_f32 v129, v155, v154, v129
	v_add_f32_e32 v152, v31, v55
	v_add_f32_e32 v153, v30, v54
	;; [unrolled: 1-line block ×4, first 2 shown]
	v_min3_f32 v128, v131, v130, v128
	v_min3_f32 v127, v140, v139, v127
	;; [unrolled: 1-line block ×3, first 2 shown]
	v_add_f32_e32 v55, v3, v55
	v_add_f32_e32 v54, v2, v54
	;; [unrolled: 1-line block ×8, first 2 shown]
	v_min3_f32 v125, v153, v152, v125
	v_add_f32_e32 v152, v7, v51
	v_add_f32_e32 v153, v6, v50
	v_min3_f32 v54, v54, v55, v122
	v_min3_f32 v55, v131, v130, v123
	;; [unrolled: 1-line block ×4, first 2 shown]
	v_add_f32_e32 v122, v35, v51
	v_add_f32_e32 v123, v34, v50
	;; [unrolled: 1-line block ×10, first 2 shown]
	v_min3_f32 v117, v123, v122, v117
	v_min3_f32 v116, v131, v130, v116
	;; [unrolled: 1-line block ×3, first 2 shown]
	v_add_f32_e32 v114, v14, v46
	v_min3_f32 v51, v151, v150, v113
	v_add_f32_e32 v113, v15, v47
	v_add_f32_e32 v122, v11, v47
	;; [unrolled: 1-line block ×5, first 2 shown]
	v_min3_f32 v115, v140, v139, v115
	v_add_f32_e32 v139, v35, v47
	v_add_f32_e32 v140, v34, v46
	;; [unrolled: 1-line block ×4, first 2 shown]
	v_min3_f32 v112, v114, v113, v112
	v_min3_f32 v111, v123, v122, v111
	;; [unrolled: 1-line block ×3, first 2 shown]
	v_add_f32_e32 v113, v27, v47
	v_add_f32_e32 v114, v26, v46
	;; [unrolled: 1-line block ×8, first 2 shown]
	v_min3_f32 v109, v140, v139, v109
	v_add_f32_e32 v139, v11, v43
	v_add_f32_e32 v140, v10, v42
	v_min3_f32 v107, v114, v113, v107
	v_min3_f32 v46, v46, v47, v106
	;; [unrolled: 1-line block ×4, first 2 shown]
	v_add_f32_e32 v105, v7, v43
	v_add_f32_e32 v106, v6, v42
	;; [unrolled: 1-line block ×10, first 2 shown]
	v_min3_f32 v102, v106, v105, v102
	v_add_f32_e32 v105, v15, v39
	v_add_f32_e32 v106, v14, v38
	;; [unrolled: 1-line block ×3, first 2 shown]
	v_min3_f32 v42, v42, v43, v98
	v_add_f32_e32 v43, v23, v39
	v_add_f32_e32 v98, v22, v38
	;; [unrolled: 1-line block ×5, first 2 shown]
	v_min3_f32 v101, v114, v113, v101
	v_min3_f32 v100, v123, v122, v100
	v_add_f32_e32 v113, v11, v39
	v_add_f32_e32 v114, v10, v38
	;; [unrolled: 1-line block ×4, first 2 shown]
	v_min3_f32 v22, v22, v23, v88
	v_min3_f32 v14, v14, v15, v87
	v_add_f32_e32 v11, v11, v19
	v_add_f32_e32 v10, v10, v18
	;; [unrolled: 1-line block ×6, first 2 shown]
	v_min3_f32 v99, v131, v130, v99
	v_add_f32_e32 v130, v35, v39
	v_add_f32_e32 v131, v34, v38
	v_min3_f32 v43, v98, v43, v97
	v_min3_f32 v96, v106, v105, v96
	v_add_f32_e32 v97, v31, v39
	v_add_f32_e32 v98, v30, v38
	;; [unrolled: 1-line block ×10, first 2 shown]
	v_min3_f32 v10, v10, v11, v86
	v_min3_f32 v34, v6, v7, v85
	;; [unrolled: 1-line block ×3, first 2 shown]
	v_add_f32_e32 v3, v3, v19
	v_add_f32_e32 v2, v2, v18
	;; [unrolled: 1-line block ×6, first 2 shown]
	v_min3_f32 v30, v30, v31, v83
	v_min3_f32 v26, v26, v27, v82
	v_add_f32_e32 v18, v13, v65
	v_add_f32_e32 v19, v12, v64
	v_add_f32_e32 v27, v9, v65
	v_add_f32_e32 v31, v8, v64
	v_min3_f32 v35, v2, v3, v92
	v_min3_f32 v81, v7, v6, v81
	;; [unrolled: 1-line block ×3, first 2 shown]
	v_add_f32_e32 v2, v37, v65
	v_add_f32_e32 v3, v36, v64
	;; [unrolled: 1-line block ×6, first 2 shown]
	v_min3_f32 v77, v19, v18, v77
	v_min3_f32 v75, v31, v27, v75
	v_add_f32_e32 v18, v5, v65
	v_add_f32_e32 v19, v4, v64
	;; [unrolled: 1-line block ×4, first 2 shown]
	v_min3_f32 v76, v3, v2, v76
	v_min3_f32 v78, v7, v6, v78
	;; [unrolled: 1-line block ×3, first 2 shown]
	v_add_f32_e32 v2, v17, v61
	v_add_f32_e32 v3, v16, v60
	;; [unrolled: 1-line block ×6, first 2 shown]
	v_min3_f32 v135, v157, v156, v135
	v_min3_f32 v82, v19, v18, v62
	;; [unrolled: 1-line block ×3, first 2 shown]
	v_add_f32_e32 v18, v37, v61
	v_add_f32_e32 v19, v36, v60
	;; [unrolled: 1-line block ×4, first 2 shown]
	v_min3_f32 v84, v3, v2, v138
	v_min3_f32 v85, v7, v6, v137
	;; [unrolled: 1-line block ×3, first 2 shown]
	v_add_f32_e32 v2, v29, v61
	v_add_f32_e32 v3, v28, v60
	;; [unrolled: 1-line block ×6, first 2 shown]
	v_min3_f32 v91, v98, v97, v91
	v_min3_f32 v38, v38, v39, v89
	;; [unrolled: 1-line block ×4, first 2 shown]
	v_add_f32_e32 v18, v17, v57
	v_add_f32_e32 v19, v16, v56
	;; [unrolled: 1-line block ×4, first 2 shown]
	v_min3_f32 v89, v3, v2, v133
	v_min3_f32 v92, v7, v6, v58
	;; [unrolled: 1-line block ×3, first 2 shown]
	v_add_f32_e32 v2, v9, v57
	v_add_f32_e32 v3, v8, v56
	v_add_f32_e32 v6, v37, v57
	v_add_f32_e32 v7, v36, v56
	v_add_f32_e32 v11, v33, v57
	v_add_f32_e32 v15, v32, v56
	v_min3_f32 v124, v155, v154, v124
	v_min3_f32 v95, v114, v113, v95
	;; [unrolled: 1-line block ×5, first 2 shown]
	v_add_f32_e32 v18, v29, v57
	v_add_f32_e32 v19, v28, v56
	;; [unrolled: 1-line block ×4, first 2 shown]
	v_min3_f32 v106, v3, v2, v127
	v_min3_f32 v113, v7, v6, v126
	;; [unrolled: 1-line block ×3, first 2 shown]
	v_add_f32_e32 v2, v25, v53
	v_add_f32_e32 v3, v24, v52
	;; [unrolled: 1-line block ×6, first 2 shown]
	v_min3_f32 v118, v153, v152, v118
	v_min3_f32 v94, v123, v122, v94
	;; [unrolled: 1-line block ×4, first 2 shown]
	v_add_f32_e32 v18, v9, v53
	v_add_f32_e32 v19, v8, v52
	;; [unrolled: 1-line block ×4, first 2 shown]
	v_min3_f32 v124, v3, v2, v55
	v_min3_f32 v120, v7, v6, v120
	;; [unrolled: 1-line block ×3, first 2 shown]
	v_add_f32_e32 v2, v33, v53
	v_add_f32_e32 v3, v32, v52
	;; [unrolled: 1-line block ×6, first 2 shown]
	v_min3_f32 v118, v19, v18, v118
	v_min3_f32 v117, v31, v27, v117
	v_add_f32_e32 v18, v25, v49
	v_add_f32_e32 v19, v24, v48
	v_add_f32_e32 v27, v17, v49
	v_add_f32_e32 v31, v16, v48
	v_min3_f32 v116, v3, v2, v116
	v_min3_f32 v115, v7, v6, v115
	v_min3_f32 v125, v15, v11, v50
	v_add_f32_e32 v2, v13, v49
	v_add_f32_e32 v3, v12, v48
	v_add_f32_e32 v6, v9, v49
	v_add_f32_e32 v7, v8, v48
	v_add_f32_e32 v11, v37, v49
	v_add_f32_e32 v15, v36, v48
	v_min3_f32 v108, v151, v150, v108
	v_min3_f32 v126, v19, v18, v51
	v_min3_f32 v112, v31, v27, v112
	v_add_f32_e32 v18, v33, v49
	v_add_f32_e32 v19, v32, v48
	v_add_f32_e32 v27, v29, v49
	v_add_f32_e32 v31, v28, v48
	v_min3_f32 v111, v3, v2, v111
	v_min3_f32 v110, v7, v6, v110
	v_min3_f32 v109, v15, v11, v109
	v_add_f32_e32 v2, v5, v49
	v_add_f32_e32 v3, v4, v48
	v_add_f32_e32 v6, v25, v45
	v_add_f32_e32 v7, v24, v44
	v_add_f32_e32 v11, v17, v45
	v_add_f32_e32 v15, v16, v44
	v_min3_f32 v103, v140, v139, v103
	;; [unrolled: 16-line block ×3, first 2 shown]
	v_min3_f32 v102, v31, v27, v102
	v_add_f32_e32 v18, v5, v45
	v_add_f32_e32 v19, v4, v44
	;; [unrolled: 1-line block ×4, first 2 shown]
	v_min3_f32 v101, v3, v2, v101
	v_min3_f32 v100, v7, v6, v100
	;; [unrolled: 1-line block ×3, first 2 shown]
	v_add_f32_e32 v2, v17, v41
	v_add_f32_e32 v3, v16, v40
	;; [unrolled: 1-line block ×6, first 2 shown]
	v_min3_f32 v93, v131, v130, v93
	v_min3_f32 v129, v19, v18, v42
	;; [unrolled: 1-line block ×3, first 2 shown]
	v_add_f32_e32 v18, v37, v41
	v_add_f32_e32 v19, v36, v40
	;; [unrolled: 1-line block ×4, first 2 shown]
	v_min3_f32 v96, v3, v2, v96
	v_min3_f32 v95, v7, v6, v95
	;; [unrolled: 1-line block ×3, first 2 shown]
	v_add_f32_e32 v2, v29, v41
	v_add_f32_e32 v3, v28, v40
	;; [unrolled: 1-line block ×10, first 2 shown]
	v_min3_f32 v93, v19, v18, v93
	v_min3_f32 v91, v31, v27, v91
	;; [unrolled: 1-line block ×7, first 2 shown]
	v_add_f32_e32 v18, v9, v21
	v_add_f32_e32 v19, v8, v20
	;; [unrolled: 1-line block ×8, first 2 shown]
	ds_read_b128 v[6:9], v72
	ds_read_b128 v[10:13], v132
	v_add_f32_e32 v21, v5, v21
	ds_read_b128 v[14:17], v72 offset:512
	v_add_f32_e32 v20, v4, v20
	ds_read_b128 v[2:5], v72 offset:1024
	v_min3_f32 v136, v19, v18, v34
	v_min3_f32 v137, v24, v22, v23
	;; [unrolled: 1-line block ×5, first 2 shown]
	ds_read_b128 v[18:21], v72 offset:1536
	ds_read_b128 v[22:25], v72 offset:2048
	;; [unrolled: 1-line block ×12, first 2 shown]
	v_add_co_u32 v68, s6, v68, 32
	v_add_co_ci_u32_e64 v69, null, 0, v69, s6
	s_add_i32 s23, s23, 8
	ds_write2st64_b32 v141, v145, v146 offset1:4
	ds_write2st64_b32 v141, v147, v148 offset0:8 offset1:12
	ds_write_b32 v143, v149
	s_cmp_ge_i32 s23, s22
	s_waitcnt lgkmcnt(0)
	v_add_f32_e32 v150, v7, v11
	v_add_f32_e32 v151, v6, v10
	;; [unrolled: 1-line block ×6, first 2 shown]
	v_min3_f32 v81, v151, v150, v81
	v_add_f32_e32 v150, v19, v11
	v_min3_f32 v79, v153, v152, v79
	v_add_f32_e32 v151, v18, v10
	;; [unrolled: 2-line block ×3, first 2 shown]
	v_add_f32_e32 v153, v22, v10
	v_add_f32_e32 v154, v27, v11
	v_add_f32_e32 v155, v26, v10
	v_add_f32_e32 v156, v31, v11
	v_add_f32_e32 v157, v30, v10
	v_add_f32_e32 v11, v35, v11
	v_add_f32_e32 v10, v34, v10
	v_min3_f32 v75, v151, v150, v75
	v_min3_f32 v76, v153, v152, v76
	v_min3_f32 v78, v155, v154, v78
	v_min3_f32 v80, v157, v156, v80
	v_min3_f32 v10, v10, v11, v82
	v_add_f32_e32 v11, v7, v39
	v_add_f32_e32 v82, v6, v38
	v_add_f32_e32 v150, v15, v39
	v_add_f32_e32 v151, v14, v38
	v_add_f32_e32 v152, v3, v39
	v_add_f32_e32 v153, v2, v38
	v_add_f32_e32 v154, v19, v39
	v_add_f32_e32 v155, v18, v38
	v_add_f32_e32 v156, v23, v39
	v_add_f32_e32 v157, v22, v38
	v_min3_f32 v11, v82, v11, v83
	v_min3_f32 v82, v151, v150, v84
	v_min3_f32 v83, v153, v152, v85
	v_min3_f32 v84, v155, v154, v86
	v_min3_f32 v85, v157, v156, v87
	v_add_f32_e32 v86, v27, v39
	v_add_f32_e32 v87, v26, v38
	v_add_f32_e32 v150, v31, v39
	;; [unrolled: 15-line block ×6, first 2 shown]
	v_add_f32_e32 v122, v2, v50
	v_add_f32_e32 v123, v19, v51
	v_add_f32_e32 v124, v18, v50
	v_add_f32_e32 v125, v23, v51
	v_add_f32_e32 v126, v22, v50
	v_add_f32_e32 v150, v27, v51
	v_add_f32_e32 v151, v26, v50
	v_min3_f32 v112, v119, v118, v112
	v_min3_f32 v111, v122, v120, v111
	;; [unrolled: 1-line block ×4, first 2 shown]
	v_add_f32_e32 v118, v31, v51
	v_add_f32_e32 v119, v30, v50
	;; [unrolled: 1-line block ×10, first 2 shown]
	v_min3_f32 v107, v119, v118, v107
	v_min3_f32 v50, v50, v51, v127
	;; [unrolled: 1-line block ×5, first 2 shown]
	v_add_f32_e32 v118, v19, v55
	v_add_f32_e32 v119, v18, v54
	v_add_f32_e32 v120, v23, v55
	v_add_f32_e32 v122, v22, v54
	v_add_f32_e32 v123, v27, v55
	v_add_f32_e32 v124, v26, v54
	v_add_f32_e32 v125, v31, v55
	v_add_f32_e32 v126, v30, v54
	v_add_f32_e32 v55, v35, v55
	v_add_f32_e32 v54, v34, v54
	v_min3_f32 v102, v119, v118, v102
	v_min3_f32 v101, v122, v120, v101
	;; [unrolled: 1-line block ×3, first 2 shown]
	v_add_f32_e32 v118, v6, v58
	v_min3_f32 v54, v54, v55, v129
	v_add_f32_e32 v55, v7, v59
	v_add_f32_e32 v119, v15, v59
	;; [unrolled: 1-line block ×9, first 2 shown]
	v_min3_f32 v99, v126, v125, v99
	v_add_f32_e32 v124, v19, v59
	v_add_f32_e32 v125, v18, v58
	;; [unrolled: 1-line block ×4, first 2 shown]
	v_min3_f32 v55, v118, v55, v130
	v_min3_f32 v96, v120, v119, v96
	;; [unrolled: 1-line block ×3, first 2 shown]
	v_add_f32_e32 v118, v27, v59
	v_add_f32_e32 v119, v26, v58
	;; [unrolled: 1-line block ×6, first 2 shown]
	v_min3_f32 v6, v6, v7, v133
	v_min3_f32 v7, v14, v15, v134
	v_add_f32_e32 v3, v3, v63
	v_add_f32_e32 v2, v2, v62
	v_add_f32_e32 v14, v19, v63
	v_add_f32_e32 v15, v18, v62
	v_add_f32_e32 v18, v23, v63
	v_add_f32_e32 v19, v22, v62
	v_add_f32_e32 v22, v27, v63
	v_add_f32_e32 v23, v26, v62
	v_add_f32_e32 v26, v31, v63
	v_add_f32_e32 v27, v30, v62
	v_min3_f32 v58, v58, v59, v131
	v_min3_f32 v2, v2, v3, v135
	v_min3_f32 v3, v15, v14, v136
	v_min3_f32 v14, v19, v18, v137
	v_min3_f32 v15, v23, v22, v138
	v_min3_f32 v18, v27, v26, v139
	v_add_f32_e32 v19, v35, v63
	v_add_f32_e32 v22, v34, v62
	;; [unrolled: 1-line block ×10, first 2 shown]
	v_min3_f32 v19, v22, v19, v140
	v_min3_f32 v81, v26, v23, v81
	v_min3_f32 v79, v30, v27, v79
	v_min3_f32 v77, v34, v31, v77
	v_min3_f32 v75, v59, v35, v75
	v_add_f32_e32 v22, v25, v13
	v_add_f32_e32 v23, v24, v12
	;; [unrolled: 1-line block ×10, first 2 shown]
	v_min3_f32 v76, v23, v22, v76
	v_min3_f32 v78, v27, v26, v78
	;; [unrolled: 1-line block ×3, first 2 shown]
	v_add_f32_e32 v10, v17, v41
	v_min3_f32 v139, v35, v34, v11
	v_add_f32_e32 v11, v16, v40
	v_add_f32_e32 v12, v5, v41
	;; [unrolled: 1-line block ×3, first 2 shown]
	v_min3_f32 v80, v31, v30, v80
	v_add_f32_e32 v22, v21, v41
	v_min3_f32 v138, v11, v10, v82
	v_add_f32_e32 v10, v33, v41
	;; [unrolled: 2-line block ×3, first 2 shown]
	v_add_f32_e32 v12, v37, v41
	v_add_f32_e32 v13, v36, v40
	;; [unrolled: 1-line block ×7, first 2 shown]
	v_min3_f32 v133, v11, v10, v87
	v_min3_f32 v131, v13, v12, v38
	v_add_f32_e32 v10, v21, v45
	v_add_f32_e32 v11, v20, v44
	v_add_f32_e32 v12, v25, v45
	v_add_f32_e32 v13, v24, v44
	v_min3_f32 v93, v127, v126, v93
	v_min3_f32 v136, v23, v22, v84
	v_min3_f32 v135, v27, v26, v85
	v_min3_f32 v134, v31, v30, v86
	v_add_f32_e32 v22, v9, v45
	v_add_f32_e32 v23, v8, v44
	v_add_f32_e32 v26, v17, v45
	v_add_f32_e32 v27, v16, v44
	v_add_f32_e32 v30, v5, v45
	v_add_f32_e32 v31, v4, v44
	v_min3_f32 v127, v11, v10, v92
	v_min3_f32 v126, v13, v12, v97
	v_add_f32_e32 v10, v9, v49
	v_add_f32_e32 v11, v8, v48
	v_add_f32_e32 v12, v17, v49
	v_add_f32_e32 v13, v16, v48
	v_min3_f32 v90, v122, v120, v90
	v_min3_f32 v130, v23, v22, v39
	v_min3_f32 v129, v27, v26, v88
	v_min3_f32 v128, v31, v30, v89
	v_add_f32_e32 v22, v29, v45
	v_add_f32_e32 v23, v28, v44
	v_add_f32_e32 v26, v33, v45
	v_add_f32_e32 v27, v32, v44
	v_add_f32_e32 v30, v37, v45
	v_add_f32_e32 v31, v36, v44
	;; [unrolled: 16-line block ×5, first 2 shown]
	v_min3_f32 v106, v11, v10, v50
	v_min3_f32 v105, v13, v12, v51
	v_add_f32_e32 v10, v25, v57
	v_add_f32_e32 v11, v24, v56
	v_add_f32_e32 v12, v29, v57
	v_add_f32_e32 v13, v28, v56
	v_min3_f32 v109, v23, v22, v109
	v_min3_f32 v108, v27, v26, v108
	;; [unrolled: 1-line block ×3, first 2 shown]
	v_add_f32_e32 v22, v17, v57
	v_add_f32_e32 v23, v16, v56
	;; [unrolled: 1-line block ×6, first 2 shown]
	v_min3_f32 v101, v11, v10, v101
	v_min3_f32 v100, v13, v12, v100
	v_add_f32_e32 v10, v17, v61
	v_add_f32_e32 v11, v16, v60
	;; [unrolled: 1-line block ×4, first 2 shown]
	v_min3_f32 v104, v23, v22, v104
	v_min3_f32 v103, v27, v26, v103
	;; [unrolled: 1-line block ×3, first 2 shown]
	v_add_f32_e32 v22, v33, v57
	v_add_f32_e32 v23, v32, v56
	;; [unrolled: 1-line block ×6, first 2 shown]
	v_min3_f32 v96, v11, v10, v96
	v_min3_f32 v95, v13, v12, v95
	v_add_f32_e32 v10, v33, v61
	v_add_f32_e32 v11, v32, v60
	;; [unrolled: 1-line block ×10, first 2 shown]
	v_min3_f32 v99, v23, v22, v99
	v_min3_f32 v98, v27, v26, v54
	;; [unrolled: 1-line block ×3, first 2 shown]
	v_add_f32_e32 v22, v21, v61
	v_add_f32_e32 v23, v20, v60
	;; [unrolled: 1-line block ×6, first 2 shown]
	v_min3_f32 v90, v11, v10, v90
	v_min3_f32 v89, v13, v12, v58
	;; [unrolled: 1-line block ×5, first 2 shown]
	v_add_f32_e32 v2, v21, v65
	v_add_f32_e32 v4, v20, v64
	;; [unrolled: 1-line block ×10, first 2 shown]
	v_min3_f32 v94, v23, v22, v94
	v_min3_f32 v93, v27, v26, v93
	v_min3_f32 v91, v31, v30, v91
	v_min3_f32 v85, v4, v2, v3
	v_min3_f32 v84, v6, v5, v14
	v_min3_f32 v83, v8, v7, v15
	v_min3_f32 v82, v10, v9, v18
	v_min3_f32 v92, v12, v11, v19
	s_barrier
	buffer_gl0_inv
	s_cbranch_scc1 .LBB57_50
.LBB57_30:                              ; =>This Inner Loop Header: Depth=1
	v_add_nc_u32_e32 v2, s23, v70
	v_add_nc_u32_e32 v5, 8, v2
	v_min_i32_e32 v3, s26, v5
	v_cmp_le_i32_e64 s6, s14, v5
	v_mad_i64_i32 v[3:4], null, v3, s15, 0
	v_lshlrev_b64 v[3:4], 2, v[3:4]
	v_add_co_u32 v3, s7, s20, v3
	v_add_co_ci_u32_e64 v4, null, s21, v4, s7
	s_or_b32 s7, vcc_lo, s6
	v_cndmask_b32_e64 v145, 0, 0x7f7fffff, s7
	s_nor_b32 s7, s27, s7
	s_and_saveexec_b32 s28, s7
	s_cbranch_execz .LBB57_32
; %bb.31:                               ;   in Loop: Header=BB57_30 Depth=1
	v_add_co_u32 v5, s7, v3, v66
	v_add_co_ci_u32_e64 v6, null, v4, v67, s7
	global_load_dword v5, v[5:6], off
	s_waitcnt vmcnt(0)
	v_mul_f32_e32 v145, s25, v5
.LBB57_32:                              ;   in Loop: Header=BB57_30 Depth=1
	s_or_b32 exec_lo, exec_lo, s28
	s_or_b32 s7, s0, s6
	v_cndmask_b32_e64 v146, 0, 0x7f7fffff, s7
	s_nor_b32 s7, s27, s7
	s_and_saveexec_b32 s28, s7
	s_cbranch_execz .LBB57_34
; %bb.33:                               ;   in Loop: Header=BB57_30 Depth=1
	v_add_co_u32 v5, s7, v3, v66
	v_add_co_ci_u32_e64 v6, null, v4, v67, s7
	global_load_dword v5, v[5:6], off offset:256
	s_waitcnt vmcnt(0)
	v_mul_f32_e32 v146, s25, v5
.LBB57_34:                              ;   in Loop: Header=BB57_30 Depth=1
	s_or_b32 exec_lo, exec_lo, s28
	s_or_b32 s7, s1, s6
	v_cndmask_b32_e64 v147, 0, 0x7f7fffff, s7
	s_nor_b32 s7, s27, s7
	s_and_saveexec_b32 s28, s7
	s_cbranch_execz .LBB57_36
; %bb.35:                               ;   in Loop: Header=BB57_30 Depth=1
	v_add_co_u32 v5, s7, v3, v66
	v_add_co_ci_u32_e64 v6, null, v4, v67, s7
	global_load_dword v5, v[5:6], off offset:512
	s_waitcnt vmcnt(0)
	v_mul_f32_e32 v147, s25, v5
.LBB57_36:                              ;   in Loop: Header=BB57_30 Depth=1
	;; [unrolled: 13-line block ×3, first 2 shown]
	s_or_b32 exec_lo, exec_lo, s7
	v_add_nc_u32_e32 v149, s23, v73
	v_add_nc_u32_e32 v3, 8, v149
	v_cmp_le_i32_e64 s6, s14, v3
	s_or_b32 s6, s6, s3
	v_cndmask_b32_e64 v150, 0, 0x7f7fffff, s6
	s_nor_b32 s7, s27, s6
	s_and_saveexec_b32 s6, s7
	s_cbranch_execz .LBB57_40
; %bb.39:                               ;   in Loop: Header=BB57_30 Depth=1
	global_load_dword v3, v[68:69], off
	s_waitcnt vmcnt(0)
	v_mul_f32_e32 v150, s25, v3
.LBB57_40:                              ;   in Loop: Header=BB57_30 Depth=1
	s_or_b32 exec_lo, exec_lo, s6
	v_add_nc_u32_e32 v153, 12, v2
	ds_read_b128 v[22:25], v144
	ds_read_b128 v[14:17], v144 offset:512
	ds_read_b128 v[10:13], v144 offset:1024
	;; [unrolled: 1-line block ×7, first 2 shown]
	ds_read_b128 v[62:65], v142
	ds_read_b128 v[58:61], v142 offset:128
	ds_read_b128 v[54:57], v142 offset:256
	;; [unrolled: 1-line block ×3, first 2 shown]
	v_min_i32_e32 v18, s26, v153
	v_cmp_le_i32_e64 s6, s14, v153
	v_mad_i64_i32 v[151:152], null, v18, s15, 0
	ds_read_b128 v[46:49], v142 offset:512
	ds_read_b128 v[42:45], v142 offset:640
	;; [unrolled: 1-line block ×4, first 2 shown]
	ds_write2st64_b32 v74, v145, v146 offset1:4
	ds_write2st64_b32 v74, v147, v148 offset0:8 offset1:12
	ds_write_b32 v121, v150
	s_or_b32 s28, vcc_lo, s6
	s_waitcnt lgkmcnt(0)
	v_cndmask_b32_e64 v145, 0, 0x7f7fffff, s28
	v_lshlrev_b64 v[151:152], 2, v[151:152]
	s_barrier
	buffer_gl0_inv
	v_add_co_u32 v150, s7, s20, v151
	v_add_co_ci_u32_e64 v151, null, s21, v152, s7
	s_nor_b32 s7, s27, s28
	s_and_saveexec_b32 s28, s7
	s_cbranch_execz .LBB57_42
; %bb.41:                               ;   in Loop: Header=BB57_30 Depth=1
	v_add_co_u32 v145, s7, v150, v66
	v_add_co_ci_u32_e64 v146, null, v151, v67, s7
	global_load_dword v145, v[145:146], off
	s_waitcnt vmcnt(0)
	v_mul_f32_e32 v145, s25, v145
.LBB57_42:                              ;   in Loop: Header=BB57_30 Depth=1
	s_or_b32 exec_lo, exec_lo, s28
	s_or_b32 s7, s0, s6
	v_cndmask_b32_e64 v146, 0, 0x7f7fffff, s7
	s_nor_b32 s7, s27, s7
	s_and_saveexec_b32 s28, s7
	s_cbranch_execz .LBB57_44
; %bb.43:                               ;   in Loop: Header=BB57_30 Depth=1
	v_add_co_u32 v146, s7, v150, v66
	v_add_co_ci_u32_e64 v147, null, v151, v67, s7
	global_load_dword v146, v[146:147], off offset:256
	s_waitcnt vmcnt(0)
	v_mul_f32_e32 v146, s25, v146
.LBB57_44:                              ;   in Loop: Header=BB57_30 Depth=1
	s_or_b32 exec_lo, exec_lo, s28
	s_or_b32 s7, s1, s6
	v_cndmask_b32_e64 v147, 0, 0x7f7fffff, s7
	s_nor_b32 s7, s27, s7
	s_and_saveexec_b32 s28, s7
	s_cbranch_execz .LBB57_46
; %bb.45:                               ;   in Loop: Header=BB57_30 Depth=1
	v_add_co_u32 v147, s7, v150, v66
	v_add_co_ci_u32_e64 v148, null, v151, v67, s7
	global_load_dword v147, v[147:148], off offset:512
	s_waitcnt vmcnt(0)
	v_mul_f32_e32 v147, s25, v147
.LBB57_46:                              ;   in Loop: Header=BB57_30 Depth=1
	s_or_b32 exec_lo, exec_lo, s28
	s_or_b32 s6, s2, s6
	v_cndmask_b32_e64 v148, 0, 0x7f7fffff, s6
	s_nor_b32 s6, s27, s6
	s_and_saveexec_b32 s7, s6
	s_cbranch_execz .LBB57_48
; %bb.47:                               ;   in Loop: Header=BB57_30 Depth=1
	v_add_co_u32 v150, s6, v150, v66
	v_add_co_ci_u32_e64 v151, null, v151, v67, s6
	global_load_dword v148, v[150:151], off offset:768
	s_waitcnt vmcnt(0)
	v_mul_f32_e32 v148, s25, v148
.LBB57_48:                              ;   in Loop: Header=BB57_30 Depth=1
	s_or_b32 exec_lo, exec_lo, s7
	v_add_nc_u32_e32 v149, 12, v149
	v_cmp_le_i32_e64 s6, s14, v149
	s_or_b32 s6, s6, s3
	v_cndmask_b32_e64 v149, 0, 0x7f7fffff, s6
	s_nor_b32 s7, s27, s6
	s_and_saveexec_b32 s6, s7
	s_cbranch_execz .LBB57_29
; %bb.49:                               ;   in Loop: Header=BB57_30 Depth=1
	global_load_dword v149, v[68:69], off offset:16
	s_waitcnt vmcnt(0)
	v_mul_f32_e32 v149, s25, v149
	s_branch .LBB57_29
.LBB57_50:
	s_clause 0x2
	s_load_dwordx2 s[0:1], s[4:5], 0x78
	s_load_dword s15, s[4:5], 0x58
	s_load_dword s14, s[4:5], 0x70
	ds_read_b128 v[34:37], v72 offset:4096
	ds_read_b128 v[30:33], v72 offset:4608
	;; [unrolled: 1-line block ×12, first 2 shown]
	v_add_nc_u32_e32 v132, s9, v1
	ds_read_b128 v[46:49], v71 offset:9728
	ds_read_b128 v[42:45], v71 offset:9856
	;; [unrolled: 1-line block ×4, first 2 shown]
	v_add_nc_u32_e32 v0, s8, v0
	v_cndmask_b32_e64 v121, 0, 1, s24
	v_cmp_gt_i32_e64 s8, s13, v132
	v_ashrrev_i32_e32 v1, 31, v0
	s_waitcnt lgkmcnt(0)
	s_mul_i32 s1, s1, s18
	v_mad_i64_i32 v[66:67], null, v132, s15, 0
	v_mad_i64_i32 v[68:69], null, v132, s14, 0
	s_mul_hi_u32 s2, s0, s18
	s_mul_i32 s0, s0, s18
	s_add_i32 s1, s2, s1
	s_lshl_b64 s[0:1], s[0:1], 2
	v_lshlrev_b64 v[66:67], 2, v[66:67]
	v_lshlrev_b64 v[68:69], 2, v[68:69]
	s_add_u32 s9, s10, s0
	s_addc_u32 s10, s11, s1
	v_cmp_gt_i32_e64 s0, s12, v0
	v_add_co_u32 v143, vcc_lo, s16, v66
	v_add_co_ci_u32_e64 v144, null, s17, v67, vcc_lo
	v_add_co_u32 v141, vcc_lo, s9, v68
	v_add_co_ci_u32_e64 v142, null, s10, v69, vcc_lo
	s_and_b32 s2, s0, s8
	s_and_saveexec_b32 s1, s2
	s_cbranch_execz .LBB57_55
; %bb.51:
	v_lshlrev_b64 v[66:67], 2, v[0:1]
	s_andn2_b32 vcc_lo, exec_lo, s24
	s_cbranch_vccnz .LBB57_53
; %bb.52:
	v_add_co_u32 v68, vcc_lo, v143, v66
	v_add_co_ci_u32_e64 v69, null, v144, v67, vcc_lo
	global_load_dword v68, v[68:69], off
	s_waitcnt vmcnt(0)
	v_mul_f32_e32 v68, s19, v68
	s_branch .LBB57_54
.LBB57_53:
	v_mov_b32_e32 v68, 0
.LBB57_54:
	v_add_f32_e32 v69, v35, v63
	v_add_f32_e32 v70, v34, v62
	;; [unrolled: 1-line block ×4, first 2 shown]
	v_add_co_u32 v66, vcc_lo, v141, v66
	v_min3_f32 v69, v70, v69, v81
	v_add_co_ci_u32_e64 v67, null, v142, v67, vcc_lo
	v_min_f32_e32 v70, v72, v71
	v_min3_f32 v68, v68, v70, v69
	global_store_dword v[66:67], v68, off
.LBB57_55:
	s_or_b32 exec_lo, exec_lo, s1
	v_add_nc_u32_e32 v66, 32, v0
	v_cmp_gt_i32_e64 s1, s12, v66
	v_ashrrev_i32_e32 v67, 31, v66
	s_and_b32 s3, s1, s8
	s_and_saveexec_b32 s2, s3
	s_cbranch_execz .LBB57_60
; %bb.56:
	v_cmp_ne_u32_e32 vcc_lo, 1, v121
	v_lshlrev_b64 v[68:69], 2, v[66:67]
	s_cbranch_vccnz .LBB57_58
; %bb.57:
	v_add_co_u32 v70, vcc_lo, v143, v68
	v_add_co_ci_u32_e64 v71, null, v144, v69, vcc_lo
	global_load_dword v70, v[70:71], off
	s_waitcnt vmcnt(0)
	v_mul_f32_e32 v70, s19, v70
	s_branch .LBB57_59
.LBB57_58:
	v_mov_b32_e32 v70, 0
.LBB57_59:
	v_add_f32_e32 v71, v31, v63
	v_add_f32_e32 v72, v30, v62
	v_add_f32_e32 v73, v33, v65
	v_add_f32_e32 v74, v32, v64
	v_add_co_u32 v68, vcc_lo, v141, v68
	v_min3_f32 v71, v72, v71, v79
	v_add_co_ci_u32_e64 v69, null, v142, v69, vcc_lo
	v_min_f32_e32 v72, v74, v73
	v_min3_f32 v70, v70, v72, v71
	global_store_dword v[68:69], v70, off
.LBB57_60:
	s_or_b32 exec_lo, exec_lo, s2
	v_add_nc_u32_e32 v68, 64, v0
	v_cmp_gt_i32_e64 s2, s12, v68
	v_ashrrev_i32_e32 v69, 31, v68
	s_and_b32 s4, s2, s8
	s_and_saveexec_b32 s3, s4
	s_cbranch_execz .LBB57_65
; %bb.61:
	v_cmp_ne_u32_e32 vcc_lo, 1, v121
	v_lshlrev_b64 v[70:71], 2, v[68:69]
	s_cbranch_vccnz .LBB57_63
; %bb.62:
	v_add_co_u32 v72, vcc_lo, v143, v70
	v_add_co_ci_u32_e64 v73, null, v144, v71, vcc_lo
	global_load_dword v72, v[72:73], off
	s_waitcnt vmcnt(0)
	v_mul_f32_e32 v72, s19, v72
	s_branch .LBB57_64
.LBB57_63:
	v_mov_b32_e32 v72, 0
.LBB57_64:
	v_add_f32_e32 v73, v27, v63
	v_add_f32_e32 v74, v26, v62
	v_add_f32_e32 v79, v29, v65
	v_add_f32_e32 v81, v28, v64
	v_add_co_u32 v70, vcc_lo, v141, v70
	v_min3_f32 v73, v74, v73, v77
	v_add_co_ci_u32_e64 v71, null, v142, v71, vcc_lo
	v_min_f32_e32 v74, v81, v79
	v_min3_f32 v72, v72, v74, v73
	global_store_dword v[70:71], v72, off
.LBB57_65:
	;; [unrolled: 32-line block ×6, first 2 shown]
	s_or_b32 exec_lo, exec_lo, s7
	v_add_nc_u32_e32 v78, 0xe0, v0
	v_cmp_gt_i32_e64 s7, s12, v78
	v_ashrrev_i32_e32 v79, 31, v78
	s_and_b32 s11, s7, s8
	s_and_saveexec_b32 s8, s11
	s_cbranch_execz .LBB57_90
; %bb.86:
	v_cmp_ne_u32_e32 vcc_lo, 1, v121
	v_lshlrev_b64 v[80:81], 2, v[78:79]
	s_cbranch_vccnz .LBB57_88
; %bb.87:
	v_add_co_u32 v143, vcc_lo, v143, v80
	v_add_co_ci_u32_e64 v144, null, v144, v81, vcc_lo
	global_load_dword v143, v[143:144], off
	s_waitcnt vmcnt(0)
	v_mul_f32_e32 v143, s19, v143
	s_branch .LBB57_89
.LBB57_88:
	v_mov_b32_e32 v143, 0
.LBB57_89:
	v_add_f32_e32 v63, v3, v63
	v_add_f32_e32 v62, v2, v62
	;; [unrolled: 1-line block ×4, first 2 shown]
	v_min3_f32 v62, v62, v63, v140
	v_min_f32_e32 v63, v64, v65
	v_min3_f32 v64, v143, v63, v62
	v_add_co_u32 v62, vcc_lo, v141, v80
	v_add_co_ci_u32_e64 v63, null, v142, v81, vcc_lo
	global_store_dword v[62:63], v64, off
.LBB57_90:
	s_or_b32 exec_lo, exec_lo, s8
	v_add_nc_u32_e32 v80, 8, v132
	v_mad_i64_i32 v[62:63], null, v80, s15, 0
	v_mad_i64_i32 v[64:65], null, v80, s14, 0
	v_cmp_gt_i32_e64 s8, s13, v80
	v_lshlrev_b64 v[62:63], 2, v[62:63]
	s_and_b32 s12, s0, s8
	v_lshlrev_b64 v[64:65], 2, v[64:65]
	v_add_co_u32 v80, vcc_lo, s16, v62
	v_add_co_ci_u32_e64 v81, null, s17, v63, vcc_lo
	v_add_co_u32 v64, vcc_lo, s9, v64
	v_add_co_ci_u32_e64 v65, null, s10, v65, vcc_lo
	s_and_saveexec_b32 s11, s12
	s_cbranch_execnz .LBB57_98
; %bb.91:
	s_or_b32 exec_lo, exec_lo, s11
	s_and_b32 s12, s1, s8
	s_and_saveexec_b32 s11, s12
	s_cbranch_execnz .LBB57_102
.LBB57_92:
	s_or_b32 exec_lo, exec_lo, s11
	s_and_b32 s12, s2, s8
	s_and_saveexec_b32 s11, s12
	s_cbranch_execnz .LBB57_106
.LBB57_93:
	s_or_b32 exec_lo, exec_lo, s11
	s_and_b32 s12, s3, s8
	s_and_saveexec_b32 s11, s12
	s_cbranch_execnz .LBB57_110
.LBB57_94:
	s_or_b32 exec_lo, exec_lo, s11
	s_and_b32 s12, s4, s8
	s_and_saveexec_b32 s11, s12
	s_cbranch_execnz .LBB57_114
.LBB57_95:
	s_or_b32 exec_lo, exec_lo, s11
	s_and_b32 s12, s5, s8
	s_and_saveexec_b32 s11, s12
	s_cbranch_execnz .LBB57_118
.LBB57_96:
	s_or_b32 exec_lo, exec_lo, s11
	s_and_b32 s12, s6, s8
	s_and_saveexec_b32 s11, s12
	s_cbranch_execnz .LBB57_122
.LBB57_97:
	s_or_b32 exec_lo, exec_lo, s11
	s_and_b32 s11, s7, s8
	s_and_saveexec_b32 s8, s11
	s_cbranch_execnz .LBB57_126
	s_branch .LBB57_130
.LBB57_98:
	v_cmp_ne_u32_e32 vcc_lo, 1, v121
	v_lshlrev_b64 v[62:63], 2, v[0:1]
	s_cbranch_vccnz .LBB57_100
; %bb.99:
	v_add_co_u32 v140, vcc_lo, v80, v62
	v_add_co_ci_u32_e64 v141, null, v81, v63, vcc_lo
	global_load_dword v140, v[140:141], off
	s_waitcnt vmcnt(0)
	v_mul_f32_e32 v140, s19, v140
	s_branch .LBB57_101
.LBB57_100:
	v_mov_b32_e32 v140, 0
.LBB57_101:
	v_add_f32_e32 v141, v35, v59
	v_add_f32_e32 v142, v34, v58
	;; [unrolled: 1-line block ×4, first 2 shown]
	v_add_co_u32 v62, vcc_lo, v64, v62
	v_min3_f32 v139, v142, v141, v139
	v_add_co_ci_u32_e64 v63, null, v65, v63, vcc_lo
	v_min_f32_e32 v141, v144, v143
	v_min3_f32 v139, v140, v141, v139
	global_store_dword v[62:63], v139, off
	s_or_b32 exec_lo, exec_lo, s11
	s_and_b32 s12, s1, s8
	s_and_saveexec_b32 s11, s12
	s_cbranch_execz .LBB57_92
.LBB57_102:
	v_cmp_ne_u32_e32 vcc_lo, 1, v121
	v_lshlrev_b64 v[62:63], 2, v[66:67]
	s_cbranch_vccnz .LBB57_104
; %bb.103:
	v_add_co_u32 v139, vcc_lo, v80, v62
	v_add_co_ci_u32_e64 v140, null, v81, v63, vcc_lo
	global_load_dword v139, v[139:140], off
	s_waitcnt vmcnt(0)
	v_mul_f32_e32 v139, s19, v139
	s_branch .LBB57_105
.LBB57_104:
	v_mov_b32_e32 v139, 0
.LBB57_105:
	v_add_f32_e32 v140, v31, v59
	v_add_f32_e32 v141, v30, v58
	;; [unrolled: 1-line block ×4, first 2 shown]
	v_add_co_u32 v62, vcc_lo, v64, v62
	v_min3_f32 v138, v141, v140, v138
	v_add_co_ci_u32_e64 v63, null, v65, v63, vcc_lo
	v_min_f32_e32 v140, v143, v142
	v_min3_f32 v138, v139, v140, v138
	global_store_dword v[62:63], v138, off
	s_or_b32 exec_lo, exec_lo, s11
	s_and_b32 s12, s2, s8
	s_and_saveexec_b32 s11, s12
	s_cbranch_execz .LBB57_93
.LBB57_106:
	v_cmp_ne_u32_e32 vcc_lo, 1, v121
	v_lshlrev_b64 v[62:63], 2, v[68:69]
	s_cbranch_vccnz .LBB57_108
; %bb.107:
	v_add_co_u32 v138, vcc_lo, v80, v62
	v_add_co_ci_u32_e64 v139, null, v81, v63, vcc_lo
	global_load_dword v138, v[138:139], off
	s_waitcnt vmcnt(0)
	v_mul_f32_e32 v138, s19, v138
	s_branch .LBB57_109
.LBB57_108:
	v_mov_b32_e32 v138, 0
.LBB57_109:
	v_add_f32_e32 v139, v27, v59
	v_add_f32_e32 v140, v26, v58
	;; [unrolled: 1-line block ×4, first 2 shown]
	v_add_co_u32 v62, vcc_lo, v64, v62
	v_min3_f32 v137, v140, v139, v137
	v_add_co_ci_u32_e64 v63, null, v65, v63, vcc_lo
	v_min_f32_e32 v139, v142, v141
	v_min3_f32 v137, v138, v139, v137
	global_store_dword v[62:63], v137, off
	s_or_b32 exec_lo, exec_lo, s11
	s_and_b32 s12, s3, s8
	s_and_saveexec_b32 s11, s12
	s_cbranch_execz .LBB57_94
.LBB57_110:
	v_cmp_ne_u32_e32 vcc_lo, 1, v121
	v_lshlrev_b64 v[62:63], 2, v[70:71]
	s_cbranch_vccnz .LBB57_112
; %bb.111:
	v_add_co_u32 v137, vcc_lo, v80, v62
	v_add_co_ci_u32_e64 v138, null, v81, v63, vcc_lo
	global_load_dword v137, v[137:138], off
	s_waitcnt vmcnt(0)
	v_mul_f32_e32 v137, s19, v137
	s_branch .LBB57_113
.LBB57_112:
	v_mov_b32_e32 v137, 0
.LBB57_113:
	v_add_f32_e32 v138, v23, v59
	v_add_f32_e32 v139, v22, v58
	;; [unrolled: 1-line block ×4, first 2 shown]
	v_add_co_u32 v62, vcc_lo, v64, v62
	v_min3_f32 v136, v139, v138, v136
	v_add_co_ci_u32_e64 v63, null, v65, v63, vcc_lo
	v_min_f32_e32 v138, v141, v140
	v_min3_f32 v136, v137, v138, v136
	global_store_dword v[62:63], v136, off
	s_or_b32 exec_lo, exec_lo, s11
	s_and_b32 s12, s4, s8
	s_and_saveexec_b32 s11, s12
	s_cbranch_execz .LBB57_95
.LBB57_114:
	v_cmp_ne_u32_e32 vcc_lo, 1, v121
	v_lshlrev_b64 v[62:63], 2, v[72:73]
	s_cbranch_vccnz .LBB57_116
; %bb.115:
	v_add_co_u32 v136, vcc_lo, v80, v62
	v_add_co_ci_u32_e64 v137, null, v81, v63, vcc_lo
	global_load_dword v136, v[136:137], off
	s_waitcnt vmcnt(0)
	v_mul_f32_e32 v136, s19, v136
	s_branch .LBB57_117
.LBB57_116:
	v_mov_b32_e32 v136, 0
.LBB57_117:
	v_add_f32_e32 v137, v19, v59
	v_add_f32_e32 v138, v18, v58
	;; [unrolled: 1-line block ×4, first 2 shown]
	v_add_co_u32 v62, vcc_lo, v64, v62
	v_min3_f32 v135, v138, v137, v135
	v_add_co_ci_u32_e64 v63, null, v65, v63, vcc_lo
	v_min_f32_e32 v137, v140, v139
	v_min3_f32 v135, v136, v137, v135
	global_store_dword v[62:63], v135, off
	s_or_b32 exec_lo, exec_lo, s11
	s_and_b32 s12, s5, s8
	s_and_saveexec_b32 s11, s12
	s_cbranch_execz .LBB57_96
.LBB57_118:
	v_cmp_ne_u32_e32 vcc_lo, 1, v121
	v_lshlrev_b64 v[62:63], 2, v[74:75]
	s_cbranch_vccnz .LBB57_120
; %bb.119:
	v_add_co_u32 v135, vcc_lo, v80, v62
	v_add_co_ci_u32_e64 v136, null, v81, v63, vcc_lo
	global_load_dword v135, v[135:136], off
	s_waitcnt vmcnt(0)
	v_mul_f32_e32 v135, s19, v135
	s_branch .LBB57_121
.LBB57_120:
	v_mov_b32_e32 v135, 0
.LBB57_121:
	v_add_f32_e32 v136, v15, v59
	v_add_f32_e32 v137, v14, v58
	;; [unrolled: 1-line block ×4, first 2 shown]
	v_add_co_u32 v62, vcc_lo, v64, v62
	v_min3_f32 v134, v137, v136, v134
	v_add_co_ci_u32_e64 v63, null, v65, v63, vcc_lo
	v_min_f32_e32 v136, v139, v138
	v_min3_f32 v134, v135, v136, v134
	global_store_dword v[62:63], v134, off
	s_or_b32 exec_lo, exec_lo, s11
	s_and_b32 s12, s6, s8
	s_and_saveexec_b32 s11, s12
	s_cbranch_execz .LBB57_97
.LBB57_122:
	v_cmp_ne_u32_e32 vcc_lo, 1, v121
	v_lshlrev_b64 v[62:63], 2, v[76:77]
	s_cbranch_vccnz .LBB57_124
; %bb.123:
	v_add_co_u32 v134, vcc_lo, v80, v62
	v_add_co_ci_u32_e64 v135, null, v81, v63, vcc_lo
	global_load_dword v134, v[134:135], off
	s_waitcnt vmcnt(0)
	v_mul_f32_e32 v134, s19, v134
	s_branch .LBB57_125
.LBB57_124:
	v_mov_b32_e32 v134, 0
.LBB57_125:
	v_add_f32_e32 v135, v11, v59
	v_add_f32_e32 v136, v10, v58
	;; [unrolled: 1-line block ×4, first 2 shown]
	v_add_co_u32 v62, vcc_lo, v64, v62
	v_min3_f32 v133, v136, v135, v133
	v_add_co_ci_u32_e64 v63, null, v65, v63, vcc_lo
	v_min_f32_e32 v135, v138, v137
	v_min3_f32 v133, v134, v135, v133
	global_store_dword v[62:63], v133, off
	s_or_b32 exec_lo, exec_lo, s11
	s_and_b32 s11, s7, s8
	s_and_saveexec_b32 s8, s11
	s_cbranch_execz .LBB57_130
.LBB57_126:
	v_cmp_ne_u32_e32 vcc_lo, 1, v121
	v_lshlrev_b64 v[62:63], 2, v[78:79]
	s_cbranch_vccnz .LBB57_128
; %bb.127:
	v_add_co_u32 v80, vcc_lo, v80, v62
	v_add_co_ci_u32_e64 v81, null, v81, v63, vcc_lo
	global_load_dword v80, v[80:81], off
	s_waitcnt vmcnt(0)
	v_mul_f32_e32 v80, s19, v80
	s_branch .LBB57_129
.LBB57_128:
	v_mov_b32_e32 v80, 0
.LBB57_129:
	v_add_f32_e32 v59, v3, v59
	v_add_f32_e32 v58, v2, v58
	;; [unrolled: 1-line block ×4, first 2 shown]
	v_min3_f32 v58, v58, v59, v131
	v_min_f32_e32 v59, v60, v61
	v_min3_f32 v60, v80, v59, v58
	v_add_co_u32 v58, vcc_lo, v64, v62
	v_add_co_ci_u32_e64 v59, null, v65, v63, vcc_lo
	global_store_dword v[58:59], v60, off
.LBB57_130:
	s_or_b32 exec_lo, exec_lo, s8
	v_add_nc_u32_e32 v62, 16, v132
	v_mad_i64_i32 v[58:59], null, v62, s15, 0
	v_mad_i64_i32 v[60:61], null, v62, s14, 0
	v_cmp_gt_i32_e64 s8, s13, v62
	v_lshlrev_b64 v[58:59], 2, v[58:59]
	s_and_b32 s12, s0, s8
	v_lshlrev_b64 v[60:61], 2, v[60:61]
	v_add_co_u32 v62, vcc_lo, s16, v58
	v_add_co_ci_u32_e64 v63, null, s17, v59, vcc_lo
	v_add_co_u32 v60, vcc_lo, s9, v60
	v_add_co_ci_u32_e64 v61, null, s10, v61, vcc_lo
	s_and_saveexec_b32 s11, s12
	s_cbranch_execnz .LBB57_138
; %bb.131:
	s_or_b32 exec_lo, exec_lo, s11
	s_and_b32 s12, s1, s8
	s_and_saveexec_b32 s11, s12
	s_cbranch_execnz .LBB57_142
.LBB57_132:
	s_or_b32 exec_lo, exec_lo, s11
	s_and_b32 s12, s2, s8
	s_and_saveexec_b32 s11, s12
	s_cbranch_execnz .LBB57_146
.LBB57_133:
	s_or_b32 exec_lo, exec_lo, s11
	s_and_b32 s12, s3, s8
	s_and_saveexec_b32 s11, s12
	s_cbranch_execnz .LBB57_150
.LBB57_134:
	s_or_b32 exec_lo, exec_lo, s11
	s_and_b32 s12, s4, s8
	s_and_saveexec_b32 s11, s12
	s_cbranch_execnz .LBB57_154
.LBB57_135:
	s_or_b32 exec_lo, exec_lo, s11
	s_and_b32 s12, s5, s8
	s_and_saveexec_b32 s11, s12
	s_cbranch_execnz .LBB57_158
.LBB57_136:
	s_or_b32 exec_lo, exec_lo, s11
	s_and_b32 s12, s6, s8
	s_and_saveexec_b32 s11, s12
	s_cbranch_execnz .LBB57_162
.LBB57_137:
	s_or_b32 exec_lo, exec_lo, s11
	s_and_b32 s11, s7, s8
	s_and_saveexec_b32 s8, s11
	s_cbranch_execnz .LBB57_166
	s_branch .LBB57_170
.LBB57_138:
	v_cmp_ne_u32_e32 vcc_lo, 1, v121
	v_lshlrev_b64 v[58:59], 2, v[0:1]
	s_cbranch_vccnz .LBB57_140
; %bb.139:
	v_add_co_u32 v64, vcc_lo, v62, v58
	v_add_co_ci_u32_e64 v65, null, v63, v59, vcc_lo
	global_load_dword v64, v[64:65], off
	s_waitcnt vmcnt(0)
	v_mul_f32_e32 v64, s19, v64
	s_branch .LBB57_141
.LBB57_140:
	v_mov_b32_e32 v64, 0
.LBB57_141:
	v_add_f32_e32 v65, v35, v55
	v_add_f32_e32 v80, v34, v54
	;; [unrolled: 1-line block ×4, first 2 shown]
	v_add_co_u32 v58, vcc_lo, v60, v58
	v_min3_f32 v65, v80, v65, v130
	v_add_co_ci_u32_e64 v59, null, v61, v59, vcc_lo
	v_min_f32_e32 v80, v131, v81
	v_min3_f32 v64, v64, v80, v65
	global_store_dword v[58:59], v64, off
	s_or_b32 exec_lo, exec_lo, s11
	s_and_b32 s12, s1, s8
	s_and_saveexec_b32 s11, s12
	s_cbranch_execz .LBB57_132
.LBB57_142:
	v_cmp_ne_u32_e32 vcc_lo, 1, v121
	v_lshlrev_b64 v[58:59], 2, v[66:67]
	s_cbranch_vccnz .LBB57_144
; %bb.143:
	v_add_co_u32 v64, vcc_lo, v62, v58
	v_add_co_ci_u32_e64 v65, null, v63, v59, vcc_lo
	global_load_dword v64, v[64:65], off
	s_waitcnt vmcnt(0)
	v_mul_f32_e32 v64, s19, v64
	s_branch .LBB57_145
.LBB57_144:
	v_mov_b32_e32 v64, 0
.LBB57_145:
	v_add_f32_e32 v65, v31, v55
	v_add_f32_e32 v80, v30, v54
	;; [unrolled: 1-line block ×4, first 2 shown]
	v_add_co_u32 v58, vcc_lo, v60, v58
	v_min3_f32 v65, v80, v65, v129
	v_add_co_ci_u32_e64 v59, null, v61, v59, vcc_lo
	v_min_f32_e32 v80, v130, v81
	v_min3_f32 v64, v64, v80, v65
	global_store_dword v[58:59], v64, off
	s_or_b32 exec_lo, exec_lo, s11
	s_and_b32 s12, s2, s8
	s_and_saveexec_b32 s11, s12
	s_cbranch_execz .LBB57_133
.LBB57_146:
	v_cmp_ne_u32_e32 vcc_lo, 1, v121
	v_lshlrev_b64 v[58:59], 2, v[68:69]
	s_cbranch_vccnz .LBB57_148
; %bb.147:
	v_add_co_u32 v64, vcc_lo, v62, v58
	v_add_co_ci_u32_e64 v65, null, v63, v59, vcc_lo
	global_load_dword v64, v[64:65], off
	s_waitcnt vmcnt(0)
	v_mul_f32_e32 v64, s19, v64
	s_branch .LBB57_149
.LBB57_148:
	v_mov_b32_e32 v64, 0
.LBB57_149:
	v_add_f32_e32 v65, v27, v55
	v_add_f32_e32 v80, v26, v54
	;; [unrolled: 1-line block ×4, first 2 shown]
	v_add_co_u32 v58, vcc_lo, v60, v58
	v_min3_f32 v65, v80, v65, v128
	v_add_co_ci_u32_e64 v59, null, v61, v59, vcc_lo
	v_min_f32_e32 v80, v129, v81
	v_min3_f32 v64, v64, v80, v65
	global_store_dword v[58:59], v64, off
	s_or_b32 exec_lo, exec_lo, s11
	s_and_b32 s12, s3, s8
	s_and_saveexec_b32 s11, s12
	s_cbranch_execz .LBB57_134
.LBB57_150:
	v_cmp_ne_u32_e32 vcc_lo, 1, v121
	v_lshlrev_b64 v[58:59], 2, v[70:71]
	s_cbranch_vccnz .LBB57_152
; %bb.151:
	v_add_co_u32 v64, vcc_lo, v62, v58
	v_add_co_ci_u32_e64 v65, null, v63, v59, vcc_lo
	global_load_dword v64, v[64:65], off
	s_waitcnt vmcnt(0)
	v_mul_f32_e32 v64, s19, v64
	s_branch .LBB57_153
.LBB57_152:
	v_mov_b32_e32 v64, 0
.LBB57_153:
	v_add_f32_e32 v65, v23, v55
	v_add_f32_e32 v80, v22, v54
	;; [unrolled: 1-line block ×4, first 2 shown]
	v_add_co_u32 v58, vcc_lo, v60, v58
	v_min3_f32 v65, v80, v65, v127
	v_add_co_ci_u32_e64 v59, null, v61, v59, vcc_lo
	v_min_f32_e32 v80, v128, v81
	v_min3_f32 v64, v64, v80, v65
	global_store_dword v[58:59], v64, off
	s_or_b32 exec_lo, exec_lo, s11
	s_and_b32 s12, s4, s8
	s_and_saveexec_b32 s11, s12
	s_cbranch_execz .LBB57_135
.LBB57_154:
	v_cmp_ne_u32_e32 vcc_lo, 1, v121
	v_lshlrev_b64 v[58:59], 2, v[72:73]
	s_cbranch_vccnz .LBB57_156
; %bb.155:
	v_add_co_u32 v64, vcc_lo, v62, v58
	v_add_co_ci_u32_e64 v65, null, v63, v59, vcc_lo
	global_load_dword v64, v[64:65], off
	s_waitcnt vmcnt(0)
	v_mul_f32_e32 v64, s19, v64
	s_branch .LBB57_157
.LBB57_156:
	v_mov_b32_e32 v64, 0
.LBB57_157:
	v_add_f32_e32 v65, v19, v55
	v_add_f32_e32 v80, v18, v54
	;; [unrolled: 1-line block ×4, first 2 shown]
	v_add_co_u32 v58, vcc_lo, v60, v58
	v_min3_f32 v65, v80, v65, v126
	v_add_co_ci_u32_e64 v59, null, v61, v59, vcc_lo
	v_min_f32_e32 v80, v127, v81
	v_min3_f32 v64, v64, v80, v65
	global_store_dword v[58:59], v64, off
	s_or_b32 exec_lo, exec_lo, s11
	s_and_b32 s12, s5, s8
	s_and_saveexec_b32 s11, s12
	s_cbranch_execz .LBB57_136
.LBB57_158:
	v_cmp_ne_u32_e32 vcc_lo, 1, v121
	v_lshlrev_b64 v[58:59], 2, v[74:75]
	s_cbranch_vccnz .LBB57_160
; %bb.159:
	v_add_co_u32 v64, vcc_lo, v62, v58
	v_add_co_ci_u32_e64 v65, null, v63, v59, vcc_lo
	global_load_dword v64, v[64:65], off
	s_waitcnt vmcnt(0)
	v_mul_f32_e32 v64, s19, v64
	s_branch .LBB57_161
.LBB57_160:
	v_mov_b32_e32 v64, 0
.LBB57_161:
	v_add_f32_e32 v65, v15, v55
	v_add_f32_e32 v80, v14, v54
	;; [unrolled: 1-line block ×4, first 2 shown]
	v_add_co_u32 v58, vcc_lo, v60, v58
	v_min3_f32 v65, v80, v65, v125
	v_add_co_ci_u32_e64 v59, null, v61, v59, vcc_lo
	v_min_f32_e32 v80, v126, v81
	v_min3_f32 v64, v64, v80, v65
	global_store_dword v[58:59], v64, off
	s_or_b32 exec_lo, exec_lo, s11
	s_and_b32 s12, s6, s8
	s_and_saveexec_b32 s11, s12
	s_cbranch_execz .LBB57_137
.LBB57_162:
	v_cmp_ne_u32_e32 vcc_lo, 1, v121
	v_lshlrev_b64 v[58:59], 2, v[76:77]
	s_cbranch_vccnz .LBB57_164
; %bb.163:
	v_add_co_u32 v64, vcc_lo, v62, v58
	v_add_co_ci_u32_e64 v65, null, v63, v59, vcc_lo
	global_load_dword v64, v[64:65], off
	s_waitcnt vmcnt(0)
	v_mul_f32_e32 v64, s19, v64
	s_branch .LBB57_165
.LBB57_164:
	v_mov_b32_e32 v64, 0
.LBB57_165:
	v_add_f32_e32 v65, v11, v55
	v_add_f32_e32 v80, v10, v54
	;; [unrolled: 1-line block ×4, first 2 shown]
	v_add_co_u32 v58, vcc_lo, v60, v58
	v_min3_f32 v65, v80, v65, v124
	v_add_co_ci_u32_e64 v59, null, v61, v59, vcc_lo
	v_min_f32_e32 v80, v125, v81
	v_min3_f32 v64, v64, v80, v65
	global_store_dword v[58:59], v64, off
	s_or_b32 exec_lo, exec_lo, s11
	s_and_b32 s11, s7, s8
	s_and_saveexec_b32 s8, s11
	s_cbranch_execz .LBB57_170
.LBB57_166:
	v_cmp_ne_u32_e32 vcc_lo, 1, v121
	v_lshlrev_b64 v[58:59], 2, v[78:79]
	s_cbranch_vccnz .LBB57_168
; %bb.167:
	v_add_co_u32 v62, vcc_lo, v62, v58
	v_add_co_ci_u32_e64 v63, null, v63, v59, vcc_lo
	global_load_dword v62, v[62:63], off
	s_waitcnt vmcnt(0)
	v_mul_f32_e32 v62, s19, v62
	s_branch .LBB57_169
.LBB57_168:
	v_mov_b32_e32 v62, 0
.LBB57_169:
	v_add_f32_e32 v55, v3, v55
	v_add_f32_e32 v54, v2, v54
	;; [unrolled: 1-line block ×4, first 2 shown]
	v_min3_f32 v54, v54, v55, v122
	v_min_f32_e32 v55, v56, v57
	v_min3_f32 v56, v62, v55, v54
	v_add_co_u32 v54, vcc_lo, v60, v58
	v_add_co_ci_u32_e64 v55, null, v61, v59, vcc_lo
	global_store_dword v[54:55], v56, off
.LBB57_170:
	s_or_b32 exec_lo, exec_lo, s8
	v_add_nc_u32_e32 v58, 24, v132
	v_mad_i64_i32 v[54:55], null, v58, s15, 0
	v_mad_i64_i32 v[56:57], null, v58, s14, 0
	v_cmp_gt_i32_e64 s8, s13, v58
	v_lshlrev_b64 v[54:55], 2, v[54:55]
	s_and_b32 s12, s0, s8
	v_lshlrev_b64 v[56:57], 2, v[56:57]
	v_add_co_u32 v58, vcc_lo, s16, v54
	v_add_co_ci_u32_e64 v59, null, s17, v55, vcc_lo
	v_add_co_u32 v56, vcc_lo, s9, v56
	v_add_co_ci_u32_e64 v57, null, s10, v57, vcc_lo
	s_and_saveexec_b32 s11, s12
	s_cbranch_execnz .LBB57_178
; %bb.171:
	s_or_b32 exec_lo, exec_lo, s11
	s_and_b32 s12, s1, s8
	s_and_saveexec_b32 s11, s12
	s_cbranch_execnz .LBB57_182
.LBB57_172:
	s_or_b32 exec_lo, exec_lo, s11
	s_and_b32 s12, s2, s8
	s_and_saveexec_b32 s11, s12
	s_cbranch_execnz .LBB57_186
.LBB57_173:
	s_or_b32 exec_lo, exec_lo, s11
	s_and_b32 s12, s3, s8
	s_and_saveexec_b32 s11, s12
	s_cbranch_execnz .LBB57_190
.LBB57_174:
	s_or_b32 exec_lo, exec_lo, s11
	s_and_b32 s12, s4, s8
	s_and_saveexec_b32 s11, s12
	s_cbranch_execnz .LBB57_194
.LBB57_175:
	s_or_b32 exec_lo, exec_lo, s11
	s_and_b32 s12, s5, s8
	s_and_saveexec_b32 s11, s12
	s_cbranch_execnz .LBB57_198
.LBB57_176:
	s_or_b32 exec_lo, exec_lo, s11
	s_and_b32 s12, s6, s8
	s_and_saveexec_b32 s11, s12
	s_cbranch_execnz .LBB57_202
.LBB57_177:
	s_or_b32 exec_lo, exec_lo, s11
	s_and_b32 s11, s7, s8
	s_and_saveexec_b32 s8, s11
	s_cbranch_execnz .LBB57_206
	s_branch .LBB57_210
.LBB57_178:
	v_cmp_ne_u32_e32 vcc_lo, 1, v121
	v_lshlrev_b64 v[54:55], 2, v[0:1]
	s_cbranch_vccnz .LBB57_180
; %bb.179:
	v_add_co_u32 v60, vcc_lo, v58, v54
	v_add_co_ci_u32_e64 v61, null, v59, v55, vcc_lo
	global_load_dword v60, v[60:61], off
	s_waitcnt vmcnt(0)
	v_mul_f32_e32 v60, s19, v60
	s_branch .LBB57_181
.LBB57_180:
	v_mov_b32_e32 v60, 0
.LBB57_181:
	v_add_f32_e32 v61, v35, v51
	v_add_f32_e32 v62, v34, v50
	;; [unrolled: 1-line block ×4, first 2 shown]
	v_add_co_u32 v54, vcc_lo, v56, v54
	v_min3_f32 v61, v62, v61, v123
	v_add_co_ci_u32_e64 v55, null, v57, v55, vcc_lo
	v_min_f32_e32 v62, v64, v63
	v_min3_f32 v60, v60, v62, v61
	global_store_dword v[54:55], v60, off
	s_or_b32 exec_lo, exec_lo, s11
	s_and_b32 s12, s1, s8
	s_and_saveexec_b32 s11, s12
	s_cbranch_execz .LBB57_172
.LBB57_182:
	v_cmp_ne_u32_e32 vcc_lo, 1, v121
	v_lshlrev_b64 v[54:55], 2, v[66:67]
	s_cbranch_vccnz .LBB57_184
; %bb.183:
	v_add_co_u32 v60, vcc_lo, v58, v54
	v_add_co_ci_u32_e64 v61, null, v59, v55, vcc_lo
	global_load_dword v60, v[60:61], off
	s_waitcnt vmcnt(0)
	v_mul_f32_e32 v60, s19, v60
	s_branch .LBB57_185
.LBB57_184:
	v_mov_b32_e32 v60, 0
.LBB57_185:
	v_add_f32_e32 v61, v31, v51
	v_add_f32_e32 v62, v30, v50
	v_add_f32_e32 v63, v33, v53
	v_add_f32_e32 v64, v32, v52
	v_add_co_u32 v54, vcc_lo, v56, v54
	v_min3_f32 v61, v62, v61, v120
	v_add_co_ci_u32_e64 v55, null, v57, v55, vcc_lo
	v_min_f32_e32 v62, v64, v63
	v_min3_f32 v60, v60, v62, v61
	global_store_dword v[54:55], v60, off
	s_or_b32 exec_lo, exec_lo, s11
	s_and_b32 s12, s2, s8
	s_and_saveexec_b32 s11, s12
	s_cbranch_execz .LBB57_173
.LBB57_186:
	v_cmp_ne_u32_e32 vcc_lo, 1, v121
	v_lshlrev_b64 v[54:55], 2, v[68:69]
	s_cbranch_vccnz .LBB57_188
; %bb.187:
	v_add_co_u32 v60, vcc_lo, v58, v54
	v_add_co_ci_u32_e64 v61, null, v59, v55, vcc_lo
	global_load_dword v60, v[60:61], off
	s_waitcnt vmcnt(0)
	v_mul_f32_e32 v60, s19, v60
	s_branch .LBB57_189
.LBB57_188:
	v_mov_b32_e32 v60, 0
.LBB57_189:
	v_add_f32_e32 v61, v27, v51
	v_add_f32_e32 v62, v26, v50
	;; [unrolled: 1-line block ×4, first 2 shown]
	v_add_co_u32 v54, vcc_lo, v56, v54
	v_min3_f32 v61, v62, v61, v119
	v_add_co_ci_u32_e64 v55, null, v57, v55, vcc_lo
	v_min_f32_e32 v62, v64, v63
	v_min3_f32 v60, v60, v62, v61
	global_store_dword v[54:55], v60, off
	s_or_b32 exec_lo, exec_lo, s11
	s_and_b32 s12, s3, s8
	s_and_saveexec_b32 s11, s12
	s_cbranch_execz .LBB57_174
.LBB57_190:
	v_cmp_ne_u32_e32 vcc_lo, 1, v121
	v_lshlrev_b64 v[54:55], 2, v[70:71]
	s_cbranch_vccnz .LBB57_192
; %bb.191:
	v_add_co_u32 v60, vcc_lo, v58, v54
	v_add_co_ci_u32_e64 v61, null, v59, v55, vcc_lo
	global_load_dword v60, v[60:61], off
	s_waitcnt vmcnt(0)
	v_mul_f32_e32 v60, s19, v60
	s_branch .LBB57_193
.LBB57_192:
	v_mov_b32_e32 v60, 0
.LBB57_193:
	v_add_f32_e32 v61, v23, v51
	v_add_f32_e32 v62, v22, v50
	;; [unrolled: 1-line block ×4, first 2 shown]
	v_add_co_u32 v54, vcc_lo, v56, v54
	v_min3_f32 v61, v62, v61, v118
	v_add_co_ci_u32_e64 v55, null, v57, v55, vcc_lo
	v_min_f32_e32 v62, v64, v63
	v_min3_f32 v60, v60, v62, v61
	global_store_dword v[54:55], v60, off
	s_or_b32 exec_lo, exec_lo, s11
	s_and_b32 s12, s4, s8
	s_and_saveexec_b32 s11, s12
	s_cbranch_execz .LBB57_175
.LBB57_194:
	v_cmp_ne_u32_e32 vcc_lo, 1, v121
	v_lshlrev_b64 v[54:55], 2, v[72:73]
	s_cbranch_vccnz .LBB57_196
; %bb.195:
	v_add_co_u32 v60, vcc_lo, v58, v54
	v_add_co_ci_u32_e64 v61, null, v59, v55, vcc_lo
	global_load_dword v60, v[60:61], off
	s_waitcnt vmcnt(0)
	v_mul_f32_e32 v60, s19, v60
	s_branch .LBB57_197
.LBB57_196:
	v_mov_b32_e32 v60, 0
.LBB57_197:
	v_add_f32_e32 v61, v19, v51
	v_add_f32_e32 v62, v18, v50
	;; [unrolled: 1-line block ×4, first 2 shown]
	v_add_co_u32 v54, vcc_lo, v56, v54
	v_min3_f32 v61, v62, v61, v117
	v_add_co_ci_u32_e64 v55, null, v57, v55, vcc_lo
	v_min_f32_e32 v62, v64, v63
	v_min3_f32 v60, v60, v62, v61
	global_store_dword v[54:55], v60, off
	s_or_b32 exec_lo, exec_lo, s11
	s_and_b32 s12, s5, s8
	s_and_saveexec_b32 s11, s12
	s_cbranch_execz .LBB57_176
.LBB57_198:
	v_cmp_ne_u32_e32 vcc_lo, 1, v121
	v_lshlrev_b64 v[54:55], 2, v[74:75]
	s_cbranch_vccnz .LBB57_200
; %bb.199:
	v_add_co_u32 v60, vcc_lo, v58, v54
	v_add_co_ci_u32_e64 v61, null, v59, v55, vcc_lo
	global_load_dword v60, v[60:61], off
	s_waitcnt vmcnt(0)
	v_mul_f32_e32 v60, s19, v60
	s_branch .LBB57_201
.LBB57_200:
	v_mov_b32_e32 v60, 0
.LBB57_201:
	v_add_f32_e32 v61, v15, v51
	v_add_f32_e32 v62, v14, v50
	;; [unrolled: 1-line block ×4, first 2 shown]
	v_add_co_u32 v54, vcc_lo, v56, v54
	v_min3_f32 v61, v62, v61, v116
	v_add_co_ci_u32_e64 v55, null, v57, v55, vcc_lo
	v_min_f32_e32 v62, v64, v63
	v_min3_f32 v60, v60, v62, v61
	global_store_dword v[54:55], v60, off
	s_or_b32 exec_lo, exec_lo, s11
	s_and_b32 s12, s6, s8
	s_and_saveexec_b32 s11, s12
	s_cbranch_execz .LBB57_177
.LBB57_202:
	v_cmp_ne_u32_e32 vcc_lo, 1, v121
	v_lshlrev_b64 v[54:55], 2, v[76:77]
	s_cbranch_vccnz .LBB57_204
; %bb.203:
	v_add_co_u32 v60, vcc_lo, v58, v54
	v_add_co_ci_u32_e64 v61, null, v59, v55, vcc_lo
	global_load_dword v60, v[60:61], off
	s_waitcnt vmcnt(0)
	v_mul_f32_e32 v60, s19, v60
	s_branch .LBB57_205
.LBB57_204:
	v_mov_b32_e32 v60, 0
.LBB57_205:
	v_add_f32_e32 v61, v11, v51
	v_add_f32_e32 v62, v10, v50
	;; [unrolled: 1-line block ×4, first 2 shown]
	v_add_co_u32 v54, vcc_lo, v56, v54
	v_min3_f32 v61, v62, v61, v115
	v_add_co_ci_u32_e64 v55, null, v57, v55, vcc_lo
	v_min_f32_e32 v62, v64, v63
	v_min3_f32 v60, v60, v62, v61
	global_store_dword v[54:55], v60, off
	s_or_b32 exec_lo, exec_lo, s11
	s_and_b32 s11, s7, s8
	s_and_saveexec_b32 s8, s11
	s_cbranch_execz .LBB57_210
.LBB57_206:
	v_cmp_ne_u32_e32 vcc_lo, 1, v121
	v_lshlrev_b64 v[54:55], 2, v[78:79]
	s_cbranch_vccnz .LBB57_208
; %bb.207:
	v_add_co_u32 v58, vcc_lo, v58, v54
	v_add_co_ci_u32_e64 v59, null, v59, v55, vcc_lo
	global_load_dword v58, v[58:59], off
	s_waitcnt vmcnt(0)
	v_mul_f32_e32 v58, s19, v58
	s_branch .LBB57_209
.LBB57_208:
	v_mov_b32_e32 v58, 0
.LBB57_209:
	v_add_f32_e32 v51, v3, v51
	v_add_f32_e32 v50, v2, v50
	;; [unrolled: 1-line block ×4, first 2 shown]
	v_min3_f32 v50, v50, v51, v114
	v_min_f32_e32 v51, v52, v53
	v_min3_f32 v52, v58, v51, v50
	v_add_co_u32 v50, vcc_lo, v56, v54
	v_add_co_ci_u32_e64 v51, null, v57, v55, vcc_lo
	global_store_dword v[50:51], v52, off
.LBB57_210:
	s_or_b32 exec_lo, exec_lo, s8
	v_add_nc_u32_e32 v54, 32, v132
	v_mad_i64_i32 v[50:51], null, v54, s15, 0
	v_mad_i64_i32 v[52:53], null, v54, s14, 0
	v_cmp_gt_i32_e64 s8, s13, v54
	v_lshlrev_b64 v[50:51], 2, v[50:51]
	s_and_b32 s12, s0, s8
	v_lshlrev_b64 v[52:53], 2, v[52:53]
	v_add_co_u32 v54, vcc_lo, s16, v50
	v_add_co_ci_u32_e64 v55, null, s17, v51, vcc_lo
	v_add_co_u32 v52, vcc_lo, s9, v52
	v_add_co_ci_u32_e64 v53, null, s10, v53, vcc_lo
	s_and_saveexec_b32 s11, s12
	s_cbranch_execnz .LBB57_218
; %bb.211:
	s_or_b32 exec_lo, exec_lo, s11
	s_and_b32 s12, s1, s8
	s_and_saveexec_b32 s11, s12
	s_cbranch_execnz .LBB57_222
.LBB57_212:
	s_or_b32 exec_lo, exec_lo, s11
	s_and_b32 s12, s2, s8
	s_and_saveexec_b32 s11, s12
	s_cbranch_execnz .LBB57_226
.LBB57_213:
	s_or_b32 exec_lo, exec_lo, s11
	s_and_b32 s12, s3, s8
	s_and_saveexec_b32 s11, s12
	s_cbranch_execnz .LBB57_230
.LBB57_214:
	s_or_b32 exec_lo, exec_lo, s11
	s_and_b32 s12, s4, s8
	s_and_saveexec_b32 s11, s12
	s_cbranch_execnz .LBB57_234
.LBB57_215:
	s_or_b32 exec_lo, exec_lo, s11
	s_and_b32 s12, s5, s8
	s_and_saveexec_b32 s11, s12
	s_cbranch_execnz .LBB57_238
.LBB57_216:
	s_or_b32 exec_lo, exec_lo, s11
	s_and_b32 s12, s6, s8
	s_and_saveexec_b32 s11, s12
	s_cbranch_execnz .LBB57_242
.LBB57_217:
	s_or_b32 exec_lo, exec_lo, s11
	s_and_b32 s11, s7, s8
	s_and_saveexec_b32 s8, s11
	s_cbranch_execnz .LBB57_246
	s_branch .LBB57_250
.LBB57_218:
	v_cmp_ne_u32_e32 vcc_lo, 1, v121
	v_lshlrev_b64 v[50:51], 2, v[0:1]
	s_cbranch_vccnz .LBB57_220
; %bb.219:
	v_add_co_u32 v56, vcc_lo, v54, v50
	v_add_co_ci_u32_e64 v57, null, v55, v51, vcc_lo
	global_load_dword v56, v[56:57], off
	s_waitcnt vmcnt(0)
	v_mul_f32_e32 v56, s19, v56
	s_branch .LBB57_221
.LBB57_220:
	v_mov_b32_e32 v56, 0
.LBB57_221:
	v_add_f32_e32 v57, v35, v47
	v_add_f32_e32 v58, v34, v46
	;; [unrolled: 1-line block ×4, first 2 shown]
	v_add_co_u32 v50, vcc_lo, v52, v50
	v_min3_f32 v57, v58, v57, v113
	v_add_co_ci_u32_e64 v51, null, v53, v51, vcc_lo
	v_min_f32_e32 v58, v60, v59
	v_min3_f32 v56, v56, v58, v57
	global_store_dword v[50:51], v56, off
	s_or_b32 exec_lo, exec_lo, s11
	s_and_b32 s12, s1, s8
	s_and_saveexec_b32 s11, s12
	s_cbranch_execz .LBB57_212
.LBB57_222:
	v_cmp_ne_u32_e32 vcc_lo, 1, v121
	v_lshlrev_b64 v[50:51], 2, v[66:67]
	s_cbranch_vccnz .LBB57_224
; %bb.223:
	v_add_co_u32 v56, vcc_lo, v54, v50
	v_add_co_ci_u32_e64 v57, null, v55, v51, vcc_lo
	global_load_dword v56, v[56:57], off
	s_waitcnt vmcnt(0)
	v_mul_f32_e32 v56, s19, v56
	s_branch .LBB57_225
.LBB57_224:
	v_mov_b32_e32 v56, 0
.LBB57_225:
	v_add_f32_e32 v57, v31, v47
	v_add_f32_e32 v58, v30, v46
	;; [unrolled: 1-line block ×4, first 2 shown]
	v_add_co_u32 v50, vcc_lo, v52, v50
	v_min3_f32 v57, v58, v57, v112
	v_add_co_ci_u32_e64 v51, null, v53, v51, vcc_lo
	v_min_f32_e32 v58, v60, v59
	v_min3_f32 v56, v56, v58, v57
	global_store_dword v[50:51], v56, off
	s_or_b32 exec_lo, exec_lo, s11
	s_and_b32 s12, s2, s8
	s_and_saveexec_b32 s11, s12
	s_cbranch_execz .LBB57_213
.LBB57_226:
	v_cmp_ne_u32_e32 vcc_lo, 1, v121
	v_lshlrev_b64 v[50:51], 2, v[68:69]
	s_cbranch_vccnz .LBB57_228
; %bb.227:
	v_add_co_u32 v56, vcc_lo, v54, v50
	v_add_co_ci_u32_e64 v57, null, v55, v51, vcc_lo
	global_load_dword v56, v[56:57], off
	s_waitcnt vmcnt(0)
	v_mul_f32_e32 v56, s19, v56
	s_branch .LBB57_229
.LBB57_228:
	v_mov_b32_e32 v56, 0
.LBB57_229:
	v_add_f32_e32 v57, v27, v47
	v_add_f32_e32 v58, v26, v46
	;; [unrolled: 1-line block ×4, first 2 shown]
	v_add_co_u32 v50, vcc_lo, v52, v50
	v_min3_f32 v57, v58, v57, v111
	v_add_co_ci_u32_e64 v51, null, v53, v51, vcc_lo
	v_min_f32_e32 v58, v60, v59
	v_min3_f32 v56, v56, v58, v57
	global_store_dword v[50:51], v56, off
	s_or_b32 exec_lo, exec_lo, s11
	s_and_b32 s12, s3, s8
	s_and_saveexec_b32 s11, s12
	s_cbranch_execz .LBB57_214
.LBB57_230:
	v_cmp_ne_u32_e32 vcc_lo, 1, v121
	v_lshlrev_b64 v[50:51], 2, v[70:71]
	s_cbranch_vccnz .LBB57_232
; %bb.231:
	v_add_co_u32 v56, vcc_lo, v54, v50
	v_add_co_ci_u32_e64 v57, null, v55, v51, vcc_lo
	global_load_dword v56, v[56:57], off
	s_waitcnt vmcnt(0)
	v_mul_f32_e32 v56, s19, v56
	s_branch .LBB57_233
.LBB57_232:
	v_mov_b32_e32 v56, 0
.LBB57_233:
	v_add_f32_e32 v57, v23, v47
	v_add_f32_e32 v58, v22, v46
	;; [unrolled: 1-line block ×4, first 2 shown]
	v_add_co_u32 v50, vcc_lo, v52, v50
	v_min3_f32 v57, v58, v57, v110
	v_add_co_ci_u32_e64 v51, null, v53, v51, vcc_lo
	v_min_f32_e32 v58, v60, v59
	v_min3_f32 v56, v56, v58, v57
	global_store_dword v[50:51], v56, off
	s_or_b32 exec_lo, exec_lo, s11
	s_and_b32 s12, s4, s8
	s_and_saveexec_b32 s11, s12
	s_cbranch_execz .LBB57_215
.LBB57_234:
	v_cmp_ne_u32_e32 vcc_lo, 1, v121
	v_lshlrev_b64 v[50:51], 2, v[72:73]
	s_cbranch_vccnz .LBB57_236
; %bb.235:
	v_add_co_u32 v56, vcc_lo, v54, v50
	v_add_co_ci_u32_e64 v57, null, v55, v51, vcc_lo
	global_load_dword v56, v[56:57], off
	s_waitcnt vmcnt(0)
	v_mul_f32_e32 v56, s19, v56
	s_branch .LBB57_237
.LBB57_236:
	v_mov_b32_e32 v56, 0
.LBB57_237:
	v_add_f32_e32 v57, v19, v47
	v_add_f32_e32 v58, v18, v46
	;; [unrolled: 1-line block ×4, first 2 shown]
	v_add_co_u32 v50, vcc_lo, v52, v50
	v_min3_f32 v57, v58, v57, v109
	v_add_co_ci_u32_e64 v51, null, v53, v51, vcc_lo
	v_min_f32_e32 v58, v60, v59
	v_min3_f32 v56, v56, v58, v57
	global_store_dword v[50:51], v56, off
	s_or_b32 exec_lo, exec_lo, s11
	s_and_b32 s12, s5, s8
	s_and_saveexec_b32 s11, s12
	s_cbranch_execz .LBB57_216
.LBB57_238:
	v_cmp_ne_u32_e32 vcc_lo, 1, v121
	v_lshlrev_b64 v[50:51], 2, v[74:75]
	s_cbranch_vccnz .LBB57_240
; %bb.239:
	v_add_co_u32 v56, vcc_lo, v54, v50
	v_add_co_ci_u32_e64 v57, null, v55, v51, vcc_lo
	global_load_dword v56, v[56:57], off
	s_waitcnt vmcnt(0)
	v_mul_f32_e32 v56, s19, v56
	s_branch .LBB57_241
.LBB57_240:
	v_mov_b32_e32 v56, 0
.LBB57_241:
	v_add_f32_e32 v57, v15, v47
	v_add_f32_e32 v58, v14, v46
	;; [unrolled: 1-line block ×4, first 2 shown]
	v_add_co_u32 v50, vcc_lo, v52, v50
	v_min3_f32 v57, v58, v57, v108
	v_add_co_ci_u32_e64 v51, null, v53, v51, vcc_lo
	v_min_f32_e32 v58, v60, v59
	v_min3_f32 v56, v56, v58, v57
	global_store_dword v[50:51], v56, off
	s_or_b32 exec_lo, exec_lo, s11
	s_and_b32 s12, s6, s8
	s_and_saveexec_b32 s11, s12
	s_cbranch_execz .LBB57_217
.LBB57_242:
	v_cmp_ne_u32_e32 vcc_lo, 1, v121
	v_lshlrev_b64 v[50:51], 2, v[76:77]
	s_cbranch_vccnz .LBB57_244
; %bb.243:
	v_add_co_u32 v56, vcc_lo, v54, v50
	v_add_co_ci_u32_e64 v57, null, v55, v51, vcc_lo
	global_load_dword v56, v[56:57], off
	s_waitcnt vmcnt(0)
	v_mul_f32_e32 v56, s19, v56
	s_branch .LBB57_245
.LBB57_244:
	v_mov_b32_e32 v56, 0
.LBB57_245:
	v_add_f32_e32 v57, v11, v47
	v_add_f32_e32 v58, v10, v46
	;; [unrolled: 1-line block ×4, first 2 shown]
	v_add_co_u32 v50, vcc_lo, v52, v50
	v_min3_f32 v57, v58, v57, v107
	v_add_co_ci_u32_e64 v51, null, v53, v51, vcc_lo
	v_min_f32_e32 v58, v60, v59
	v_min3_f32 v56, v56, v58, v57
	global_store_dword v[50:51], v56, off
	s_or_b32 exec_lo, exec_lo, s11
	s_and_b32 s11, s7, s8
	s_and_saveexec_b32 s8, s11
	s_cbranch_execz .LBB57_250
.LBB57_246:
	v_cmp_ne_u32_e32 vcc_lo, 1, v121
	v_lshlrev_b64 v[50:51], 2, v[78:79]
	s_cbranch_vccnz .LBB57_248
; %bb.247:
	v_add_co_u32 v54, vcc_lo, v54, v50
	v_add_co_ci_u32_e64 v55, null, v55, v51, vcc_lo
	global_load_dword v54, v[54:55], off
	s_waitcnt vmcnt(0)
	v_mul_f32_e32 v54, s19, v54
	s_branch .LBB57_249
.LBB57_248:
	v_mov_b32_e32 v54, 0
.LBB57_249:
	v_add_f32_e32 v47, v3, v47
	v_add_f32_e32 v46, v2, v46
	;; [unrolled: 1-line block ×4, first 2 shown]
	v_min3_f32 v46, v46, v47, v106
	v_min_f32_e32 v47, v48, v49
	v_min3_f32 v48, v54, v47, v46
	v_add_co_u32 v46, vcc_lo, v52, v50
	v_add_co_ci_u32_e64 v47, null, v53, v51, vcc_lo
	global_store_dword v[46:47], v48, off
.LBB57_250:
	s_or_b32 exec_lo, exec_lo, s8
	v_add_nc_u32_e32 v50, 40, v132
	v_mad_i64_i32 v[46:47], null, v50, s15, 0
	v_mad_i64_i32 v[48:49], null, v50, s14, 0
	v_cmp_gt_i32_e64 s8, s13, v50
	v_lshlrev_b64 v[46:47], 2, v[46:47]
	s_and_b32 s12, s0, s8
	v_lshlrev_b64 v[48:49], 2, v[48:49]
	v_add_co_u32 v50, vcc_lo, s16, v46
	v_add_co_ci_u32_e64 v51, null, s17, v47, vcc_lo
	v_add_co_u32 v48, vcc_lo, s9, v48
	v_add_co_ci_u32_e64 v49, null, s10, v49, vcc_lo
	s_and_saveexec_b32 s11, s12
	s_cbranch_execnz .LBB57_258
; %bb.251:
	s_or_b32 exec_lo, exec_lo, s11
	s_and_b32 s12, s1, s8
	s_and_saveexec_b32 s11, s12
	s_cbranch_execnz .LBB57_262
.LBB57_252:
	s_or_b32 exec_lo, exec_lo, s11
	s_and_b32 s12, s2, s8
	s_and_saveexec_b32 s11, s12
	s_cbranch_execnz .LBB57_266
.LBB57_253:
	s_or_b32 exec_lo, exec_lo, s11
	s_and_b32 s12, s3, s8
	s_and_saveexec_b32 s11, s12
	s_cbranch_execnz .LBB57_270
.LBB57_254:
	s_or_b32 exec_lo, exec_lo, s11
	s_and_b32 s12, s4, s8
	s_and_saveexec_b32 s11, s12
	s_cbranch_execnz .LBB57_274
.LBB57_255:
	s_or_b32 exec_lo, exec_lo, s11
	s_and_b32 s12, s5, s8
	s_and_saveexec_b32 s11, s12
	s_cbranch_execnz .LBB57_278
.LBB57_256:
	s_or_b32 exec_lo, exec_lo, s11
	s_and_b32 s12, s6, s8
	s_and_saveexec_b32 s11, s12
	s_cbranch_execnz .LBB57_282
.LBB57_257:
	s_or_b32 exec_lo, exec_lo, s11
	s_and_b32 s11, s7, s8
	s_and_saveexec_b32 s8, s11
	s_cbranch_execnz .LBB57_286
	s_branch .LBB57_290
.LBB57_258:
	v_cmp_ne_u32_e32 vcc_lo, 1, v121
	v_lshlrev_b64 v[46:47], 2, v[0:1]
	s_cbranch_vccnz .LBB57_260
; %bb.259:
	v_add_co_u32 v52, vcc_lo, v50, v46
	v_add_co_ci_u32_e64 v53, null, v51, v47, vcc_lo
	global_load_dword v52, v[52:53], off
	s_waitcnt vmcnt(0)
	v_mul_f32_e32 v52, s19, v52
	s_branch .LBB57_261
.LBB57_260:
	v_mov_b32_e32 v52, 0
.LBB57_261:
	v_add_f32_e32 v53, v35, v43
	v_add_f32_e32 v54, v34, v42
	;; [unrolled: 1-line block ×4, first 2 shown]
	v_add_co_u32 v46, vcc_lo, v48, v46
	v_min3_f32 v53, v54, v53, v105
	v_add_co_ci_u32_e64 v47, null, v49, v47, vcc_lo
	v_min_f32_e32 v54, v56, v55
	v_min3_f32 v52, v52, v54, v53
	global_store_dword v[46:47], v52, off
	s_or_b32 exec_lo, exec_lo, s11
	s_and_b32 s12, s1, s8
	s_and_saveexec_b32 s11, s12
	s_cbranch_execz .LBB57_252
.LBB57_262:
	v_cmp_ne_u32_e32 vcc_lo, 1, v121
	v_lshlrev_b64 v[46:47], 2, v[66:67]
	s_cbranch_vccnz .LBB57_264
; %bb.263:
	v_add_co_u32 v52, vcc_lo, v50, v46
	v_add_co_ci_u32_e64 v53, null, v51, v47, vcc_lo
	global_load_dword v52, v[52:53], off
	s_waitcnt vmcnt(0)
	v_mul_f32_e32 v52, s19, v52
	s_branch .LBB57_265
.LBB57_264:
	v_mov_b32_e32 v52, 0
.LBB57_265:
	v_add_f32_e32 v53, v31, v43
	v_add_f32_e32 v54, v30, v42
	;; [unrolled: 1-line block ×4, first 2 shown]
	v_add_co_u32 v46, vcc_lo, v48, v46
	v_min3_f32 v53, v54, v53, v104
	v_add_co_ci_u32_e64 v47, null, v49, v47, vcc_lo
	v_min_f32_e32 v54, v56, v55
	v_min3_f32 v52, v52, v54, v53
	global_store_dword v[46:47], v52, off
	s_or_b32 exec_lo, exec_lo, s11
	s_and_b32 s12, s2, s8
	s_and_saveexec_b32 s11, s12
	s_cbranch_execz .LBB57_253
.LBB57_266:
	v_cmp_ne_u32_e32 vcc_lo, 1, v121
	v_lshlrev_b64 v[46:47], 2, v[68:69]
	s_cbranch_vccnz .LBB57_268
; %bb.267:
	v_add_co_u32 v52, vcc_lo, v50, v46
	v_add_co_ci_u32_e64 v53, null, v51, v47, vcc_lo
	global_load_dword v52, v[52:53], off
	s_waitcnt vmcnt(0)
	v_mul_f32_e32 v52, s19, v52
	s_branch .LBB57_269
.LBB57_268:
	v_mov_b32_e32 v52, 0
.LBB57_269:
	v_add_f32_e32 v53, v27, v43
	v_add_f32_e32 v54, v26, v42
	v_add_f32_e32 v55, v29, v45
	v_add_f32_e32 v56, v28, v44
	v_add_co_u32 v46, vcc_lo, v48, v46
	v_min3_f32 v53, v54, v53, v103
	v_add_co_ci_u32_e64 v47, null, v49, v47, vcc_lo
	v_min_f32_e32 v54, v56, v55
	v_min3_f32 v52, v52, v54, v53
	global_store_dword v[46:47], v52, off
	s_or_b32 exec_lo, exec_lo, s11
	s_and_b32 s12, s3, s8
	s_and_saveexec_b32 s11, s12
	s_cbranch_execz .LBB57_254
.LBB57_270:
	v_cmp_ne_u32_e32 vcc_lo, 1, v121
	v_lshlrev_b64 v[46:47], 2, v[70:71]
	s_cbranch_vccnz .LBB57_272
; %bb.271:
	v_add_co_u32 v52, vcc_lo, v50, v46
	v_add_co_ci_u32_e64 v53, null, v51, v47, vcc_lo
	global_load_dword v52, v[52:53], off
	s_waitcnt vmcnt(0)
	v_mul_f32_e32 v52, s19, v52
	s_branch .LBB57_273
.LBB57_272:
	v_mov_b32_e32 v52, 0
.LBB57_273:
	v_add_f32_e32 v53, v23, v43
	v_add_f32_e32 v54, v22, v42
	;; [unrolled: 1-line block ×4, first 2 shown]
	v_add_co_u32 v46, vcc_lo, v48, v46
	v_min3_f32 v53, v54, v53, v102
	v_add_co_ci_u32_e64 v47, null, v49, v47, vcc_lo
	v_min_f32_e32 v54, v56, v55
	v_min3_f32 v52, v52, v54, v53
	global_store_dword v[46:47], v52, off
	s_or_b32 exec_lo, exec_lo, s11
	s_and_b32 s12, s4, s8
	s_and_saveexec_b32 s11, s12
	s_cbranch_execz .LBB57_255
.LBB57_274:
	v_cmp_ne_u32_e32 vcc_lo, 1, v121
	v_lshlrev_b64 v[46:47], 2, v[72:73]
	s_cbranch_vccnz .LBB57_276
; %bb.275:
	v_add_co_u32 v52, vcc_lo, v50, v46
	v_add_co_ci_u32_e64 v53, null, v51, v47, vcc_lo
	global_load_dword v52, v[52:53], off
	s_waitcnt vmcnt(0)
	v_mul_f32_e32 v52, s19, v52
	s_branch .LBB57_277
.LBB57_276:
	v_mov_b32_e32 v52, 0
.LBB57_277:
	v_add_f32_e32 v53, v19, v43
	v_add_f32_e32 v54, v18, v42
	;; [unrolled: 1-line block ×4, first 2 shown]
	v_add_co_u32 v46, vcc_lo, v48, v46
	v_min3_f32 v53, v54, v53, v101
	v_add_co_ci_u32_e64 v47, null, v49, v47, vcc_lo
	v_min_f32_e32 v54, v56, v55
	v_min3_f32 v52, v52, v54, v53
	global_store_dword v[46:47], v52, off
	s_or_b32 exec_lo, exec_lo, s11
	s_and_b32 s12, s5, s8
	s_and_saveexec_b32 s11, s12
	s_cbranch_execz .LBB57_256
.LBB57_278:
	v_cmp_ne_u32_e32 vcc_lo, 1, v121
	v_lshlrev_b64 v[46:47], 2, v[74:75]
	s_cbranch_vccnz .LBB57_280
; %bb.279:
	v_add_co_u32 v52, vcc_lo, v50, v46
	v_add_co_ci_u32_e64 v53, null, v51, v47, vcc_lo
	global_load_dword v52, v[52:53], off
	s_waitcnt vmcnt(0)
	v_mul_f32_e32 v52, s19, v52
	s_branch .LBB57_281
.LBB57_280:
	v_mov_b32_e32 v52, 0
.LBB57_281:
	v_add_f32_e32 v53, v15, v43
	v_add_f32_e32 v54, v14, v42
	;; [unrolled: 1-line block ×4, first 2 shown]
	v_add_co_u32 v46, vcc_lo, v48, v46
	v_min3_f32 v53, v54, v53, v100
	v_add_co_ci_u32_e64 v47, null, v49, v47, vcc_lo
	v_min_f32_e32 v54, v56, v55
	v_min3_f32 v52, v52, v54, v53
	global_store_dword v[46:47], v52, off
	s_or_b32 exec_lo, exec_lo, s11
	s_and_b32 s12, s6, s8
	s_and_saveexec_b32 s11, s12
	s_cbranch_execz .LBB57_257
.LBB57_282:
	v_cmp_ne_u32_e32 vcc_lo, 1, v121
	v_lshlrev_b64 v[46:47], 2, v[76:77]
	s_cbranch_vccnz .LBB57_284
; %bb.283:
	v_add_co_u32 v52, vcc_lo, v50, v46
	v_add_co_ci_u32_e64 v53, null, v51, v47, vcc_lo
	global_load_dword v52, v[52:53], off
	s_waitcnt vmcnt(0)
	v_mul_f32_e32 v52, s19, v52
	s_branch .LBB57_285
.LBB57_284:
	v_mov_b32_e32 v52, 0
.LBB57_285:
	v_add_f32_e32 v53, v11, v43
	v_add_f32_e32 v54, v10, v42
	;; [unrolled: 1-line block ×4, first 2 shown]
	v_add_co_u32 v46, vcc_lo, v48, v46
	v_min3_f32 v53, v54, v53, v99
	v_add_co_ci_u32_e64 v47, null, v49, v47, vcc_lo
	v_min_f32_e32 v54, v56, v55
	v_min3_f32 v52, v52, v54, v53
	global_store_dword v[46:47], v52, off
	s_or_b32 exec_lo, exec_lo, s11
	s_and_b32 s11, s7, s8
	s_and_saveexec_b32 s8, s11
	s_cbranch_execz .LBB57_290
.LBB57_286:
	v_cmp_ne_u32_e32 vcc_lo, 1, v121
	v_lshlrev_b64 v[46:47], 2, v[78:79]
	s_cbranch_vccnz .LBB57_288
; %bb.287:
	v_add_co_u32 v50, vcc_lo, v50, v46
	v_add_co_ci_u32_e64 v51, null, v51, v47, vcc_lo
	global_load_dword v50, v[50:51], off
	s_waitcnt vmcnt(0)
	v_mul_f32_e32 v50, s19, v50
	s_branch .LBB57_289
.LBB57_288:
	v_mov_b32_e32 v50, 0
.LBB57_289:
	v_add_f32_e32 v43, v3, v43
	v_add_f32_e32 v42, v2, v42
	;; [unrolled: 1-line block ×4, first 2 shown]
	v_min3_f32 v42, v42, v43, v98
	v_min_f32_e32 v43, v44, v45
	v_min3_f32 v44, v50, v43, v42
	v_add_co_u32 v42, vcc_lo, v48, v46
	v_add_co_ci_u32_e64 v43, null, v49, v47, vcc_lo
	global_store_dword v[42:43], v44, off
.LBB57_290:
	s_or_b32 exec_lo, exec_lo, s8
	v_add_nc_u32_e32 v46, 48, v132
	v_mad_i64_i32 v[42:43], null, v46, s15, 0
	v_mad_i64_i32 v[44:45], null, v46, s14, 0
	v_cmp_gt_i32_e64 s8, s13, v46
	v_lshlrev_b64 v[42:43], 2, v[42:43]
	s_and_b32 s12, s0, s8
	v_lshlrev_b64 v[44:45], 2, v[44:45]
	v_add_co_u32 v46, vcc_lo, s16, v42
	v_add_co_ci_u32_e64 v47, null, s17, v43, vcc_lo
	v_add_co_u32 v44, vcc_lo, s9, v44
	v_add_co_ci_u32_e64 v45, null, s10, v45, vcc_lo
	s_and_saveexec_b32 s11, s12
	s_cbranch_execnz .LBB57_298
; %bb.291:
	s_or_b32 exec_lo, exec_lo, s11
	s_and_b32 s12, s1, s8
	s_and_saveexec_b32 s11, s12
	s_cbranch_execnz .LBB57_302
.LBB57_292:
	s_or_b32 exec_lo, exec_lo, s11
	s_and_b32 s12, s2, s8
	s_and_saveexec_b32 s11, s12
	s_cbranch_execnz .LBB57_306
.LBB57_293:
	s_or_b32 exec_lo, exec_lo, s11
	s_and_b32 s12, s3, s8
	s_and_saveexec_b32 s11, s12
	s_cbranch_execnz .LBB57_310
.LBB57_294:
	s_or_b32 exec_lo, exec_lo, s11
	s_and_b32 s12, s4, s8
	s_and_saveexec_b32 s11, s12
	s_cbranch_execnz .LBB57_314
.LBB57_295:
	s_or_b32 exec_lo, exec_lo, s11
	s_and_b32 s12, s5, s8
	s_and_saveexec_b32 s11, s12
	s_cbranch_execnz .LBB57_318
.LBB57_296:
	s_or_b32 exec_lo, exec_lo, s11
	s_and_b32 s12, s6, s8
	s_and_saveexec_b32 s11, s12
	s_cbranch_execnz .LBB57_322
.LBB57_297:
	s_or_b32 exec_lo, exec_lo, s11
	s_and_b32 s11, s7, s8
	s_and_saveexec_b32 s8, s11
	s_cbranch_execnz .LBB57_326
	s_branch .LBB57_330
.LBB57_298:
	v_cmp_ne_u32_e32 vcc_lo, 1, v121
	v_lshlrev_b64 v[42:43], 2, v[0:1]
	s_cbranch_vccnz .LBB57_300
; %bb.299:
	v_add_co_u32 v48, vcc_lo, v46, v42
	v_add_co_ci_u32_e64 v49, null, v47, v43, vcc_lo
	global_load_dword v48, v[48:49], off
	s_waitcnt vmcnt(0)
	v_mul_f32_e32 v48, s19, v48
	s_branch .LBB57_301
.LBB57_300:
	v_mov_b32_e32 v48, 0
.LBB57_301:
	v_add_f32_e32 v49, v35, v39
	v_add_f32_e32 v50, v34, v38
	;; [unrolled: 1-line block ×4, first 2 shown]
	v_add_co_u32 v42, vcc_lo, v44, v42
	v_min3_f32 v49, v50, v49, v97
	v_add_co_ci_u32_e64 v43, null, v45, v43, vcc_lo
	v_min_f32_e32 v50, v52, v51
	v_min3_f32 v48, v48, v50, v49
	global_store_dword v[42:43], v48, off
	s_or_b32 exec_lo, exec_lo, s11
	s_and_b32 s12, s1, s8
	s_and_saveexec_b32 s11, s12
	s_cbranch_execz .LBB57_292
.LBB57_302:
	v_cmp_ne_u32_e32 vcc_lo, 1, v121
	v_lshlrev_b64 v[42:43], 2, v[66:67]
	s_cbranch_vccnz .LBB57_304
; %bb.303:
	v_add_co_u32 v48, vcc_lo, v46, v42
	v_add_co_ci_u32_e64 v49, null, v47, v43, vcc_lo
	global_load_dword v48, v[48:49], off
	s_waitcnt vmcnt(0)
	v_mul_f32_e32 v48, s19, v48
	s_branch .LBB57_305
.LBB57_304:
	v_mov_b32_e32 v48, 0
.LBB57_305:
	v_add_f32_e32 v49, v31, v39
	v_add_f32_e32 v50, v30, v38
	;; [unrolled: 1-line block ×4, first 2 shown]
	v_add_co_u32 v42, vcc_lo, v44, v42
	v_min3_f32 v49, v50, v49, v96
	v_add_co_ci_u32_e64 v43, null, v45, v43, vcc_lo
	v_min_f32_e32 v50, v52, v51
	v_min3_f32 v48, v48, v50, v49
	global_store_dword v[42:43], v48, off
	s_or_b32 exec_lo, exec_lo, s11
	s_and_b32 s12, s2, s8
	s_and_saveexec_b32 s11, s12
	s_cbranch_execz .LBB57_293
.LBB57_306:
	v_cmp_ne_u32_e32 vcc_lo, 1, v121
	v_lshlrev_b64 v[42:43], 2, v[68:69]
	s_cbranch_vccnz .LBB57_308
; %bb.307:
	v_add_co_u32 v48, vcc_lo, v46, v42
	v_add_co_ci_u32_e64 v49, null, v47, v43, vcc_lo
	global_load_dword v48, v[48:49], off
	s_waitcnt vmcnt(0)
	v_mul_f32_e32 v48, s19, v48
	s_branch .LBB57_309
.LBB57_308:
	v_mov_b32_e32 v48, 0
.LBB57_309:
	v_add_f32_e32 v49, v27, v39
	v_add_f32_e32 v50, v26, v38
	;; [unrolled: 1-line block ×4, first 2 shown]
	v_add_co_u32 v42, vcc_lo, v44, v42
	v_min3_f32 v49, v50, v49, v95
	v_add_co_ci_u32_e64 v43, null, v45, v43, vcc_lo
	v_min_f32_e32 v50, v52, v51
	v_min3_f32 v48, v48, v50, v49
	global_store_dword v[42:43], v48, off
	s_or_b32 exec_lo, exec_lo, s11
	s_and_b32 s12, s3, s8
	s_and_saveexec_b32 s11, s12
	s_cbranch_execz .LBB57_294
.LBB57_310:
	v_cmp_ne_u32_e32 vcc_lo, 1, v121
	v_lshlrev_b64 v[42:43], 2, v[70:71]
	s_cbranch_vccnz .LBB57_312
; %bb.311:
	v_add_co_u32 v48, vcc_lo, v46, v42
	v_add_co_ci_u32_e64 v49, null, v47, v43, vcc_lo
	global_load_dword v48, v[48:49], off
	s_waitcnt vmcnt(0)
	v_mul_f32_e32 v48, s19, v48
	s_branch .LBB57_313
.LBB57_312:
	v_mov_b32_e32 v48, 0
.LBB57_313:
	v_add_f32_e32 v49, v23, v39
	v_add_f32_e32 v50, v22, v38
	;; [unrolled: 1-line block ×4, first 2 shown]
	v_add_co_u32 v42, vcc_lo, v44, v42
	v_min3_f32 v49, v50, v49, v94
	v_add_co_ci_u32_e64 v43, null, v45, v43, vcc_lo
	v_min_f32_e32 v50, v52, v51
	v_min3_f32 v48, v48, v50, v49
	global_store_dword v[42:43], v48, off
	s_or_b32 exec_lo, exec_lo, s11
	s_and_b32 s12, s4, s8
	s_and_saveexec_b32 s11, s12
	s_cbranch_execz .LBB57_295
.LBB57_314:
	v_cmp_ne_u32_e32 vcc_lo, 1, v121
	v_lshlrev_b64 v[42:43], 2, v[72:73]
	s_cbranch_vccnz .LBB57_316
; %bb.315:
	v_add_co_u32 v48, vcc_lo, v46, v42
	v_add_co_ci_u32_e64 v49, null, v47, v43, vcc_lo
	global_load_dword v48, v[48:49], off
	s_waitcnt vmcnt(0)
	v_mul_f32_e32 v48, s19, v48
	s_branch .LBB57_317
.LBB57_316:
	v_mov_b32_e32 v48, 0
.LBB57_317:
	v_add_f32_e32 v49, v19, v39
	v_add_f32_e32 v50, v18, v38
	v_add_f32_e32 v51, v21, v41
	v_add_f32_e32 v52, v20, v40
	v_add_co_u32 v42, vcc_lo, v44, v42
	v_min3_f32 v49, v50, v49, v93
	v_add_co_ci_u32_e64 v43, null, v45, v43, vcc_lo
	v_min_f32_e32 v50, v52, v51
	v_min3_f32 v48, v48, v50, v49
	global_store_dword v[42:43], v48, off
	s_or_b32 exec_lo, exec_lo, s11
	s_and_b32 s12, s5, s8
	s_and_saveexec_b32 s11, s12
	s_cbranch_execz .LBB57_296
.LBB57_318:
	v_cmp_ne_u32_e32 vcc_lo, 1, v121
	v_lshlrev_b64 v[42:43], 2, v[74:75]
	s_cbranch_vccnz .LBB57_320
; %bb.319:
	v_add_co_u32 v48, vcc_lo, v46, v42
	v_add_co_ci_u32_e64 v49, null, v47, v43, vcc_lo
	global_load_dword v48, v[48:49], off
	s_waitcnt vmcnt(0)
	v_mul_f32_e32 v48, s19, v48
	s_branch .LBB57_321
.LBB57_320:
	v_mov_b32_e32 v48, 0
.LBB57_321:
	v_add_f32_e32 v49, v15, v39
	v_add_f32_e32 v50, v14, v38
	;; [unrolled: 1-line block ×4, first 2 shown]
	v_add_co_u32 v42, vcc_lo, v44, v42
	v_min3_f32 v49, v50, v49, v91
	v_add_co_ci_u32_e64 v43, null, v45, v43, vcc_lo
	v_min_f32_e32 v50, v52, v51
	v_min3_f32 v48, v48, v50, v49
	global_store_dword v[42:43], v48, off
	s_or_b32 exec_lo, exec_lo, s11
	s_and_b32 s12, s6, s8
	s_and_saveexec_b32 s11, s12
	s_cbranch_execz .LBB57_297
.LBB57_322:
	v_cmp_ne_u32_e32 vcc_lo, 1, v121
	v_lshlrev_b64 v[42:43], 2, v[76:77]
	s_cbranch_vccnz .LBB57_324
; %bb.323:
	v_add_co_u32 v48, vcc_lo, v46, v42
	v_add_co_ci_u32_e64 v49, null, v47, v43, vcc_lo
	global_load_dword v48, v[48:49], off
	s_waitcnt vmcnt(0)
	v_mul_f32_e32 v48, s19, v48
	s_branch .LBB57_325
.LBB57_324:
	v_mov_b32_e32 v48, 0
.LBB57_325:
	v_add_f32_e32 v49, v11, v39
	v_add_f32_e32 v50, v10, v38
	;; [unrolled: 1-line block ×4, first 2 shown]
	v_add_co_u32 v42, vcc_lo, v44, v42
	v_min3_f32 v49, v50, v49, v90
	v_add_co_ci_u32_e64 v43, null, v45, v43, vcc_lo
	v_min_f32_e32 v50, v52, v51
	v_min3_f32 v48, v48, v50, v49
	global_store_dword v[42:43], v48, off
	s_or_b32 exec_lo, exec_lo, s11
	s_and_b32 s11, s7, s8
	s_and_saveexec_b32 s8, s11
	s_cbranch_execz .LBB57_330
.LBB57_326:
	v_cmp_ne_u32_e32 vcc_lo, 1, v121
	v_lshlrev_b64 v[42:43], 2, v[78:79]
	s_cbranch_vccnz .LBB57_328
; %bb.327:
	v_add_co_u32 v46, vcc_lo, v46, v42
	v_add_co_ci_u32_e64 v47, null, v47, v43, vcc_lo
	global_load_dword v46, v[46:47], off
	s_waitcnt vmcnt(0)
	v_mul_f32_e32 v46, s19, v46
	s_branch .LBB57_329
.LBB57_328:
	v_mov_b32_e32 v46, 0
.LBB57_329:
	v_add_f32_e32 v39, v3, v39
	v_add_f32_e32 v38, v2, v38
	;; [unrolled: 1-line block ×4, first 2 shown]
	v_min3_f32 v38, v38, v39, v89
	v_min_f32_e32 v39, v40, v41
	v_min3_f32 v40, v46, v39, v38
	v_add_co_u32 v38, vcc_lo, v44, v42
	v_add_co_ci_u32_e64 v39, null, v45, v43, vcc_lo
	global_store_dword v[38:39], v40, off
.LBB57_330:
	s_or_b32 exec_lo, exec_lo, s8
	v_add_nc_u32_e32 v42, 56, v132
	v_mad_i64_i32 v[38:39], null, v42, s15, 0
	v_mad_i64_i32 v[40:41], null, v42, s14, 0
	v_cmp_gt_i32_e64 s8, s13, v42
	v_lshlrev_b64 v[38:39], 2, v[38:39]
	v_lshlrev_b64 v[42:43], 2, v[40:41]
	v_add_co_u32 v40, vcc_lo, s16, v38
	v_add_co_ci_u32_e64 v41, null, s17, v39, vcc_lo
	v_add_co_u32 v38, vcc_lo, s9, v42
	v_add_co_ci_u32_e64 v39, null, s10, v43, vcc_lo
	s_and_b32 s9, s0, s8
	s_and_saveexec_b32 s0, s9
	s_cbranch_execnz .LBB57_339
; %bb.331:
	s_or_b32 exec_lo, exec_lo, s0
	s_and_b32 s1, s1, s8
	s_and_saveexec_b32 s0, s1
	s_cbranch_execnz .LBB57_343
.LBB57_332:
	s_or_b32 exec_lo, exec_lo, s0
	s_and_b32 s1, s2, s8
	s_and_saveexec_b32 s0, s1
	s_cbranch_execnz .LBB57_347
.LBB57_333:
	s_or_b32 exec_lo, exec_lo, s0
	s_and_b32 s1, s3, s8
	s_and_saveexec_b32 s0, s1
	s_cbranch_execnz .LBB57_351
.LBB57_334:
	s_or_b32 exec_lo, exec_lo, s0
	s_and_b32 s1, s4, s8
	s_and_saveexec_b32 s0, s1
	s_cbranch_execnz .LBB57_355
.LBB57_335:
	s_or_b32 exec_lo, exec_lo, s0
	s_and_b32 s1, s5, s8
	s_and_saveexec_b32 s0, s1
	s_cbranch_execnz .LBB57_359
.LBB57_336:
	s_or_b32 exec_lo, exec_lo, s0
	s_and_b32 s1, s6, s8
	s_and_saveexec_b32 s0, s1
	s_cbranch_execnz .LBB57_363
.LBB57_337:
	s_or_b32 exec_lo, exec_lo, s0
	s_and_b32 s0, s7, s8
	s_and_saveexec_b32 s1, s0
	s_cbranch_execnz .LBB57_367
.LBB57_338:
	s_endpgm
.LBB57_339:
	v_cmp_ne_u32_e32 vcc_lo, 1, v121
	v_lshlrev_b64 v[0:1], 2, v[0:1]
	s_cbranch_vccnz .LBB57_341
; %bb.340:
	v_add_co_u32 v42, vcc_lo, v40, v0
	v_add_co_ci_u32_e64 v43, null, v41, v1, vcc_lo
	global_load_dword v42, v[42:43], off
	s_waitcnt vmcnt(0)
	v_mul_f32_e32 v42, s19, v42
	s_branch .LBB57_342
.LBB57_341:
	v_mov_b32_e32 v42, 0
.LBB57_342:
	v_add_f32_e32 v35, v35, v7
	v_add_f32_e32 v34, v34, v6
	;; [unrolled: 1-line block ×4, first 2 shown]
	v_add_co_u32 v0, vcc_lo, v38, v0
	v_min3_f32 v34, v34, v35, v88
	v_add_co_ci_u32_e64 v1, null, v39, v1, vcc_lo
	v_min_f32_e32 v35, v36, v37
	v_min3_f32 v34, v42, v35, v34
	global_store_dword v[0:1], v34, off
	s_or_b32 exec_lo, exec_lo, s0
	s_and_b32 s1, s1, s8
	s_and_saveexec_b32 s0, s1
	s_cbranch_execz .LBB57_332
.LBB57_343:
	v_cmp_ne_u32_e32 vcc_lo, 1, v121
	v_lshlrev_b64 v[0:1], 2, v[66:67]
	s_cbranch_vccnz .LBB57_345
; %bb.344:
	v_add_co_u32 v34, vcc_lo, v40, v0
	v_add_co_ci_u32_e64 v35, null, v41, v1, vcc_lo
	global_load_dword v34, v[34:35], off
	s_waitcnt vmcnt(0)
	v_mul_f32_e32 v34, s19, v34
	s_branch .LBB57_346
.LBB57_345:
	v_mov_b32_e32 v34, 0
.LBB57_346:
	v_add_f32_e32 v31, v31, v7
	v_add_f32_e32 v30, v30, v6
	;; [unrolled: 1-line block ×4, first 2 shown]
	v_add_co_u32 v0, vcc_lo, v38, v0
	v_min3_f32 v30, v30, v31, v87
	v_add_co_ci_u32_e64 v1, null, v39, v1, vcc_lo
	v_min_f32_e32 v31, v32, v33
	v_min3_f32 v30, v34, v31, v30
	global_store_dword v[0:1], v30, off
	s_or_b32 exec_lo, exec_lo, s0
	s_and_b32 s1, s2, s8
	s_and_saveexec_b32 s0, s1
	s_cbranch_execz .LBB57_333
.LBB57_347:
	v_cmp_ne_u32_e32 vcc_lo, 1, v121
	v_lshlrev_b64 v[0:1], 2, v[68:69]
	s_cbranch_vccnz .LBB57_349
; %bb.348:
	v_add_co_u32 v30, vcc_lo, v40, v0
	v_add_co_ci_u32_e64 v31, null, v41, v1, vcc_lo
	global_load_dword v30, v[30:31], off
	s_waitcnt vmcnt(0)
	v_mul_f32_e32 v30, s19, v30
	s_branch .LBB57_350
.LBB57_349:
	v_mov_b32_e32 v30, 0
.LBB57_350:
	v_add_f32_e32 v27, v27, v7
	v_add_f32_e32 v26, v26, v6
	;; [unrolled: 1-line block ×4, first 2 shown]
	v_add_co_u32 v0, vcc_lo, v38, v0
	v_min3_f32 v26, v26, v27, v86
	v_add_co_ci_u32_e64 v1, null, v39, v1, vcc_lo
	v_min_f32_e32 v27, v28, v29
	v_min3_f32 v26, v30, v27, v26
	global_store_dword v[0:1], v26, off
	s_or_b32 exec_lo, exec_lo, s0
	s_and_b32 s1, s3, s8
	s_and_saveexec_b32 s0, s1
	s_cbranch_execz .LBB57_334
.LBB57_351:
	v_cmp_ne_u32_e32 vcc_lo, 1, v121
	v_lshlrev_b64 v[0:1], 2, v[70:71]
	s_cbranch_vccnz .LBB57_353
; %bb.352:
	v_add_co_u32 v26, vcc_lo, v40, v0
	v_add_co_ci_u32_e64 v27, null, v41, v1, vcc_lo
	global_load_dword v26, v[26:27], off
	s_waitcnt vmcnt(0)
	v_mul_f32_e32 v26, s19, v26
	s_branch .LBB57_354
.LBB57_353:
	v_mov_b32_e32 v26, 0
.LBB57_354:
	v_add_f32_e32 v23, v23, v7
	v_add_f32_e32 v22, v22, v6
	;; [unrolled: 1-line block ×4, first 2 shown]
	v_add_co_u32 v0, vcc_lo, v38, v0
	v_min3_f32 v22, v22, v23, v85
	v_add_co_ci_u32_e64 v1, null, v39, v1, vcc_lo
	v_min_f32_e32 v23, v24, v25
	v_min3_f32 v22, v26, v23, v22
	global_store_dword v[0:1], v22, off
	s_or_b32 exec_lo, exec_lo, s0
	s_and_b32 s1, s4, s8
	s_and_saveexec_b32 s0, s1
	s_cbranch_execz .LBB57_335
.LBB57_355:
	v_cmp_ne_u32_e32 vcc_lo, 1, v121
	v_lshlrev_b64 v[0:1], 2, v[72:73]
	s_cbranch_vccnz .LBB57_357
; %bb.356:
	v_add_co_u32 v22, vcc_lo, v40, v0
	v_add_co_ci_u32_e64 v23, null, v41, v1, vcc_lo
	global_load_dword v22, v[22:23], off
	s_waitcnt vmcnt(0)
	v_mul_f32_e32 v22, s19, v22
	s_branch .LBB57_358
.LBB57_357:
	v_mov_b32_e32 v22, 0
.LBB57_358:
	v_add_f32_e32 v19, v19, v7
	v_add_f32_e32 v18, v18, v6
	;; [unrolled: 1-line block ×4, first 2 shown]
	v_add_co_u32 v0, vcc_lo, v38, v0
	v_min3_f32 v18, v18, v19, v84
	v_add_co_ci_u32_e64 v1, null, v39, v1, vcc_lo
	v_min_f32_e32 v19, v20, v21
	v_min3_f32 v18, v22, v19, v18
	global_store_dword v[0:1], v18, off
	s_or_b32 exec_lo, exec_lo, s0
	s_and_b32 s1, s5, s8
	s_and_saveexec_b32 s0, s1
	s_cbranch_execz .LBB57_336
.LBB57_359:
	v_cmp_ne_u32_e32 vcc_lo, 1, v121
	v_lshlrev_b64 v[0:1], 2, v[74:75]
	s_cbranch_vccnz .LBB57_361
; %bb.360:
	v_add_co_u32 v18, vcc_lo, v40, v0
	v_add_co_ci_u32_e64 v19, null, v41, v1, vcc_lo
	global_load_dword v18, v[18:19], off
	s_waitcnt vmcnt(0)
	v_mul_f32_e32 v18, s19, v18
	s_branch .LBB57_362
.LBB57_361:
	v_mov_b32_e32 v18, 0
.LBB57_362:
	v_add_f32_e32 v15, v15, v7
	v_add_f32_e32 v14, v14, v6
	;; [unrolled: 1-line block ×4, first 2 shown]
	v_add_co_u32 v0, vcc_lo, v38, v0
	v_min3_f32 v14, v14, v15, v83
	v_add_co_ci_u32_e64 v1, null, v39, v1, vcc_lo
	v_min_f32_e32 v15, v16, v17
	v_min3_f32 v14, v18, v15, v14
	global_store_dword v[0:1], v14, off
	s_or_b32 exec_lo, exec_lo, s0
	s_and_b32 s1, s6, s8
	s_and_saveexec_b32 s0, s1
	s_cbranch_execz .LBB57_337
.LBB57_363:
	v_cmp_ne_u32_e32 vcc_lo, 1, v121
	v_lshlrev_b64 v[0:1], 2, v[76:77]
	s_cbranch_vccnz .LBB57_365
; %bb.364:
	v_add_co_u32 v14, vcc_lo, v40, v0
	v_add_co_ci_u32_e64 v15, null, v41, v1, vcc_lo
	global_load_dword v14, v[14:15], off
	s_waitcnt vmcnt(0)
	v_mul_f32_e32 v14, s19, v14
	s_branch .LBB57_366
.LBB57_365:
	v_mov_b32_e32 v14, 0
.LBB57_366:
	v_add_f32_e32 v11, v11, v7
	v_add_f32_e32 v10, v10, v6
	;; [unrolled: 1-line block ×4, first 2 shown]
	v_add_co_u32 v0, vcc_lo, v38, v0
	v_min3_f32 v10, v10, v11, v82
	v_add_co_ci_u32_e64 v1, null, v39, v1, vcc_lo
	v_min_f32_e32 v11, v12, v13
	v_min3_f32 v10, v14, v11, v10
	global_store_dword v[0:1], v10, off
	s_or_b32 exec_lo, exec_lo, s0
	s_and_b32 s0, s7, s8
	s_and_saveexec_b32 s1, s0
	s_cbranch_execz .LBB57_338
.LBB57_367:
	v_cmp_ne_u32_e32 vcc_lo, 1, v121
	v_lshlrev_b64 v[0:1], 2, v[78:79]
	s_cbranch_vccnz .LBB57_369
; %bb.368:
	v_add_co_u32 v10, vcc_lo, v40, v0
	v_add_co_ci_u32_e64 v11, null, v41, v1, vcc_lo
	global_load_dword v10, v[10:11], off
	s_waitcnt vmcnt(0)
	v_mul_f32_e32 v10, s19, v10
	s_branch .LBB57_370
.LBB57_369:
	v_mov_b32_e32 v10, 0
.LBB57_370:
	v_add_f32_e32 v3, v3, v7
	v_add_f32_e32 v2, v2, v6
	;; [unrolled: 1-line block ×4, first 2 shown]
	v_add_co_u32 v0, vcc_lo, v38, v0
	v_min3_f32 v2, v2, v3, v92
	v_add_co_ci_u32_e64 v1, null, v39, v1, vcc_lo
	v_min_f32_e32 v3, v4, v5
	v_min3_f32 v2, v10, v3, v2
	global_store_dword v[0:1], v2, off
	s_endpgm
	.section	.rodata,"a",@progbits
	.p2align	6, 0x0
	.amdhsa_kernel _ZN12_GLOBAL__N_120geam_min_plus_kernelIf15HIP_vector_typeIfLj2EEfLi32ELi8ELi256ELi64ELi4ELi64ELi4ELi4ELi64ELc78ELc78ELb0ELb1ELb1EPKfS3_fEEviiiT16_PT17_ilS7_ilS5_S7_ilPT18_ili26rocblas_geam_ex_operation_
		.amdhsa_group_segment_fixed_size 10240
		.amdhsa_private_segment_fixed_size 0
		.amdhsa_kernarg_size 136
		.amdhsa_user_sgpr_count 6
		.amdhsa_user_sgpr_private_segment_buffer 1
		.amdhsa_user_sgpr_dispatch_ptr 0
		.amdhsa_user_sgpr_queue_ptr 0
		.amdhsa_user_sgpr_kernarg_segment_ptr 1
		.amdhsa_user_sgpr_dispatch_id 0
		.amdhsa_user_sgpr_flat_scratch_init 0
		.amdhsa_user_sgpr_private_segment_size 0
		.amdhsa_wavefront_size32 1
		.amdhsa_uses_dynamic_stack 0
		.amdhsa_system_sgpr_private_segment_wavefront_offset 0
		.amdhsa_system_sgpr_workgroup_id_x 1
		.amdhsa_system_sgpr_workgroup_id_y 0
		.amdhsa_system_sgpr_workgroup_id_z 1
		.amdhsa_system_sgpr_workgroup_info 0
		.amdhsa_system_vgpr_workitem_id 1
		.amdhsa_next_free_vgpr 158
		.amdhsa_next_free_sgpr 30
		.amdhsa_reserve_vcc 1
		.amdhsa_reserve_flat_scratch 0
		.amdhsa_float_round_mode_32 0
		.amdhsa_float_round_mode_16_64 0
		.amdhsa_float_denorm_mode_32 3
		.amdhsa_float_denorm_mode_16_64 3
		.amdhsa_dx10_clamp 1
		.amdhsa_ieee_mode 1
		.amdhsa_fp16_overflow 0
		.amdhsa_workgroup_processor_mode 1
		.amdhsa_memory_ordered 1
		.amdhsa_forward_progress 1
		.amdhsa_shared_vgpr_count 0
		.amdhsa_exception_fp_ieee_invalid_op 0
		.amdhsa_exception_fp_denorm_src 0
		.amdhsa_exception_fp_ieee_div_zero 0
		.amdhsa_exception_fp_ieee_overflow 0
		.amdhsa_exception_fp_ieee_underflow 0
		.amdhsa_exception_fp_ieee_inexact 0
		.amdhsa_exception_int_div_zero 0
	.end_amdhsa_kernel
	.section	.text._ZN12_GLOBAL__N_120geam_min_plus_kernelIf15HIP_vector_typeIfLj2EEfLi32ELi8ELi256ELi64ELi4ELi64ELi4ELi4ELi64ELc78ELc78ELb0ELb1ELb1EPKfS3_fEEviiiT16_PT17_ilS7_ilS5_S7_ilPT18_ili26rocblas_geam_ex_operation_,"axG",@progbits,_ZN12_GLOBAL__N_120geam_min_plus_kernelIf15HIP_vector_typeIfLj2EEfLi32ELi8ELi256ELi64ELi4ELi64ELi4ELi4ELi64ELc78ELc78ELb0ELb1ELb1EPKfS3_fEEviiiT16_PT17_ilS7_ilS5_S7_ilPT18_ili26rocblas_geam_ex_operation_,comdat
.Lfunc_end57:
	.size	_ZN12_GLOBAL__N_120geam_min_plus_kernelIf15HIP_vector_typeIfLj2EEfLi32ELi8ELi256ELi64ELi4ELi64ELi4ELi4ELi64ELc78ELc78ELb0ELb1ELb1EPKfS3_fEEviiiT16_PT17_ilS7_ilS5_S7_ilPT18_ili26rocblas_geam_ex_operation_, .Lfunc_end57-_ZN12_GLOBAL__N_120geam_min_plus_kernelIf15HIP_vector_typeIfLj2EEfLi32ELi8ELi256ELi64ELi4ELi64ELi4ELi4ELi64ELc78ELc78ELb0ELb1ELb1EPKfS3_fEEviiiT16_PT17_ilS7_ilS5_S7_ilPT18_ili26rocblas_geam_ex_operation_
                                        ; -- End function
	.set _ZN12_GLOBAL__N_120geam_min_plus_kernelIf15HIP_vector_typeIfLj2EEfLi32ELi8ELi256ELi64ELi4ELi64ELi4ELi4ELi64ELc78ELc78ELb0ELb1ELb1EPKfS3_fEEviiiT16_PT17_ilS7_ilS5_S7_ilPT18_ili26rocblas_geam_ex_operation_.num_vgpr, 158
	.set _ZN12_GLOBAL__N_120geam_min_plus_kernelIf15HIP_vector_typeIfLj2EEfLi32ELi8ELi256ELi64ELi4ELi64ELi4ELi4ELi64ELc78ELc78ELb0ELb1ELb1EPKfS3_fEEviiiT16_PT17_ilS7_ilS5_S7_ilPT18_ili26rocblas_geam_ex_operation_.num_agpr, 0
	.set _ZN12_GLOBAL__N_120geam_min_plus_kernelIf15HIP_vector_typeIfLj2EEfLi32ELi8ELi256ELi64ELi4ELi64ELi4ELi4ELi64ELc78ELc78ELb0ELb1ELb1EPKfS3_fEEviiiT16_PT17_ilS7_ilS5_S7_ilPT18_ili26rocblas_geam_ex_operation_.numbered_sgpr, 30
	.set _ZN12_GLOBAL__N_120geam_min_plus_kernelIf15HIP_vector_typeIfLj2EEfLi32ELi8ELi256ELi64ELi4ELi64ELi4ELi4ELi64ELc78ELc78ELb0ELb1ELb1EPKfS3_fEEviiiT16_PT17_ilS7_ilS5_S7_ilPT18_ili26rocblas_geam_ex_operation_.num_named_barrier, 0
	.set _ZN12_GLOBAL__N_120geam_min_plus_kernelIf15HIP_vector_typeIfLj2EEfLi32ELi8ELi256ELi64ELi4ELi64ELi4ELi4ELi64ELc78ELc78ELb0ELb1ELb1EPKfS3_fEEviiiT16_PT17_ilS7_ilS5_S7_ilPT18_ili26rocblas_geam_ex_operation_.private_seg_size, 0
	.set _ZN12_GLOBAL__N_120geam_min_plus_kernelIf15HIP_vector_typeIfLj2EEfLi32ELi8ELi256ELi64ELi4ELi64ELi4ELi4ELi64ELc78ELc78ELb0ELb1ELb1EPKfS3_fEEviiiT16_PT17_ilS7_ilS5_S7_ilPT18_ili26rocblas_geam_ex_operation_.uses_vcc, 1
	.set _ZN12_GLOBAL__N_120geam_min_plus_kernelIf15HIP_vector_typeIfLj2EEfLi32ELi8ELi256ELi64ELi4ELi64ELi4ELi4ELi64ELc78ELc78ELb0ELb1ELb1EPKfS3_fEEviiiT16_PT17_ilS7_ilS5_S7_ilPT18_ili26rocblas_geam_ex_operation_.uses_flat_scratch, 0
	.set _ZN12_GLOBAL__N_120geam_min_plus_kernelIf15HIP_vector_typeIfLj2EEfLi32ELi8ELi256ELi64ELi4ELi64ELi4ELi4ELi64ELc78ELc78ELb0ELb1ELb1EPKfS3_fEEviiiT16_PT17_ilS7_ilS5_S7_ilPT18_ili26rocblas_geam_ex_operation_.has_dyn_sized_stack, 0
	.set _ZN12_GLOBAL__N_120geam_min_plus_kernelIf15HIP_vector_typeIfLj2EEfLi32ELi8ELi256ELi64ELi4ELi64ELi4ELi4ELi64ELc78ELc78ELb0ELb1ELb1EPKfS3_fEEviiiT16_PT17_ilS7_ilS5_S7_ilPT18_ili26rocblas_geam_ex_operation_.has_recursion, 0
	.set _ZN12_GLOBAL__N_120geam_min_plus_kernelIf15HIP_vector_typeIfLj2EEfLi32ELi8ELi256ELi64ELi4ELi64ELi4ELi4ELi64ELc78ELc78ELb0ELb1ELb1EPKfS3_fEEviiiT16_PT17_ilS7_ilS5_S7_ilPT18_ili26rocblas_geam_ex_operation_.has_indirect_call, 0
	.section	.AMDGPU.csdata,"",@progbits
; Kernel info:
; codeLenInByte = 19528
; TotalNumSgprs: 32
; NumVgprs: 158
; ScratchSize: 0
; MemoryBound: 0
; FloatMode: 240
; IeeeMode: 1
; LDSByteSize: 10240 bytes/workgroup (compile time only)
; SGPRBlocks: 0
; VGPRBlocks: 19
; NumSGPRsForWavesPerEU: 32
; NumVGPRsForWavesPerEU: 158
; Occupancy: 6
; WaveLimiterHint : 0
; COMPUTE_PGM_RSRC2:SCRATCH_EN: 0
; COMPUTE_PGM_RSRC2:USER_SGPR: 6
; COMPUTE_PGM_RSRC2:TRAP_HANDLER: 0
; COMPUTE_PGM_RSRC2:TGID_X_EN: 1
; COMPUTE_PGM_RSRC2:TGID_Y_EN: 0
; COMPUTE_PGM_RSRC2:TGID_Z_EN: 1
; COMPUTE_PGM_RSRC2:TIDIG_COMP_CNT: 1
	.section	.text._ZN12_GLOBAL__N_120geam_min_plus_kernelIf15HIP_vector_typeIfLj2EEfLi32ELi8ELi256ELi64ELi4ELi64ELi4ELi4ELi64ELc78ELc78ELb1ELb1ELb1EfKffEEviiiT16_PT17_ilS6_ilS4_S6_ilPT18_ili26rocblas_geam_ex_operation_,"axG",@progbits,_ZN12_GLOBAL__N_120geam_min_plus_kernelIf15HIP_vector_typeIfLj2EEfLi32ELi8ELi256ELi64ELi4ELi64ELi4ELi4ELi64ELc78ELc78ELb1ELb1ELb1EfKffEEviiiT16_PT17_ilS6_ilS4_S6_ilPT18_ili26rocblas_geam_ex_operation_,comdat
	.globl	_ZN12_GLOBAL__N_120geam_min_plus_kernelIf15HIP_vector_typeIfLj2EEfLi32ELi8ELi256ELi64ELi4ELi64ELi4ELi4ELi64ELc78ELc78ELb1ELb1ELb1EfKffEEviiiT16_PT17_ilS6_ilS4_S6_ilPT18_ili26rocblas_geam_ex_operation_ ; -- Begin function _ZN12_GLOBAL__N_120geam_min_plus_kernelIf15HIP_vector_typeIfLj2EEfLi32ELi8ELi256ELi64ELi4ELi64ELi4ELi4ELi64ELc78ELc78ELb1ELb1ELb1EfKffEEviiiT16_PT17_ilS6_ilS4_S6_ilPT18_ili26rocblas_geam_ex_operation_
	.p2align	8
	.type	_ZN12_GLOBAL__N_120geam_min_plus_kernelIf15HIP_vector_typeIfLj2EEfLi32ELi8ELi256ELi64ELi4ELi64ELi4ELi4ELi64ELc78ELc78ELb1ELb1ELb1EfKffEEviiiT16_PT17_ilS6_ilS4_S6_ilPT18_ili26rocblas_geam_ex_operation_,@function
_ZN12_GLOBAL__N_120geam_min_plus_kernelIf15HIP_vector_typeIfLj2EEfLi32ELi8ELi256ELi64ELi4ELi64ELi4ELi4ELi64ELc78ELc78ELb1ELb1ELb1EfKffEEviiiT16_PT17_ilS6_ilS4_S6_ilPT18_ili26rocblas_geam_ex_operation_: ; @_ZN12_GLOBAL__N_120geam_min_plus_kernelIf15HIP_vector_typeIfLj2EEfLi32ELi8ELi256ELi64ELi4ELi64ELi4ELi4ELi64ELc78ELc78ELb1ELb1ELb1EfKffEEviiiT16_PT17_ilS6_ilS4_S6_ilPT18_ili26rocblas_geam_ex_operation_
; %bb.0:
	s_clause 0x1
	s_load_dwordx4 s[12:15], s[4:5], 0x0
	s_load_dwordx4 s[0:3], s[4:5], 0x20
	s_waitcnt lgkmcnt(0)
	v_cmp_eq_f32_e64 s8, s15, 0
	s_and_b32 vcc_lo, exec_lo, s8
	s_cbranch_vccnz .LBB58_53
; %bb.1:
	s_load_dwordx2 s[10:11], s[4:5], 0x10
	s_mul_i32 s1, s1, s7
	s_mul_hi_u32 s9, s0, s7
	s_mul_i32 s0, s0, s7
	s_add_i32 s1, s9, s1
	s_lshl_b64 s[0:1], s[0:1], 2
	s_waitcnt lgkmcnt(0)
	s_add_u32 s18, s10, s0
	s_addc_u32 s19, s11, s1
	s_andn2_b32 vcc_lo, exec_lo, s8
	s_mov_b32 s0, -1
	s_cbranch_vccnz .LBB58_3
.LBB58_2:
	s_mov_b32 s0, 0
.LBB58_3:
	s_mov_b64 s[16:17], 0
	s_andn2_b32 vcc_lo, exec_lo, s0
	s_mov_b64 s[20:21], 0
	s_cbranch_vccnz .LBB58_5
; %bb.4:
	s_load_dwordx2 s[0:1], s[4:5], 0x38
	s_waitcnt lgkmcnt(0)
	s_mul_i32 s1, s1, s7
	s_mul_hi_u32 s8, s0, s7
	s_mul_i32 s0, s0, s7
	s_add_i32 s1, s8, s1
	s_lshl_b64 s[0:1], s[0:1], 2
	s_add_u32 s20, s2, s0
	s_addc_u32 s21, s3, s1
.LBB58_5:
	s_clause 0x1
	s_load_dword s15, s[4:5], 0x40
	s_load_dwordx4 s[8:11], s[4:5], 0x58
	s_waitcnt lgkmcnt(0)
	v_cmp_eq_f32_e64 s0, s15, 0
	v_cmp_neq_f32_e64 s24, s15, 0
	s_and_b32 vcc_lo, exec_lo, s0
	s_cbranch_vccnz .LBB58_7
; %bb.6:
	s_load_dwordx2 s[0:1], s[4:5], 0x48
	s_mul_i32 s2, s9, s7
	s_mul_hi_u32 s3, s8, s7
	s_add_i32 s3, s3, s2
	s_mul_i32 s2, s8, s7
	s_lshl_b64 s[2:3], s[2:3], 2
	s_waitcnt lgkmcnt(0)
	s_add_u32 s16, s0, s2
	s_addc_u32 s17, s1, s3
.LBB58_7:
	s_add_i32 s0, s12, -1
	s_load_dword s22, s[4:5], 0x18
	s_ashr_i32 s1, s0, 31
	v_lshl_add_u32 v7, v1, 5, v0
	s_lshr_b32 s1, s1, 24
	s_add_i32 s0, s0, s1
	v_lshrrev_b32_e32 v70, 6, v7
	s_ashr_i32 s0, s0, 8
	s_add_i32 s1, s0, 1
	s_not_b32 s0, s0
	v_cvt_f32_u32_e32 v2, s1
	v_rcp_iflag_f32_e32 v2, v2
	s_waitcnt lgkmcnt(0)
	v_mad_i64_i32 v[3:4], null, s22, v70, 0
	v_mul_f32_e32 v2, 0x4f7ffffe, v2
	v_lshlrev_b64 v[3:4], 2, v[3:4]
	v_cvt_u32_f32_e32 v2, v2
	v_add_co_u32 v8, vcc_lo, s18, v3
	v_add_co_ci_u32_e64 v9, null, s19, v4, vcc_lo
	v_readfirstlane_b32 s2, v2
	v_and_b32_e32 v2, 63, v7
	v_mov_b32_e32 v3, 0x7f7fffff
	v_mov_b32_e32 v4, 0x7f7fffff
	s_mul_i32 s0, s0, s2
	s_mul_hi_u32 s0, s2, s0
	s_add_i32 s2, s2, s0
	s_mul_hi_u32 s0, s6, s2
	s_mul_i32 s2, s0, s1
	s_add_i32 s3, s0, 1
	s_sub_i32 s2, s6, s2
	s_sub_i32 s8, s2, s1
	s_cmp_ge_u32 s2, s1
	s_cselect_b32 s0, s3, s0
	s_cselect_b32 s2, s8, s2
	s_add_i32 s3, s0, 1
	s_cmp_ge_u32 s2, s1
	s_cselect_b32 s8, s3, s0
	v_cmp_le_i32_e64 s3, s14, v70
	s_mul_i32 s0, s8, s1
	s_sub_i32 s0, s6, s0
	s_lshl_b32 s25, s0, 8
	v_or_b32_e32 v66, s25, v2
	v_cmp_le_i32_e32 vcc_lo, s12, v66
	v_ashrrev_i32_e32 v67, 31, v66
	s_nor_b32 s0, vcc_lo, s3
	s_and_saveexec_b32 s1, s0
	s_cbranch_execz .LBB58_9
; %bb.8:
	v_lshlrev_b64 v[4:5], 2, v[66:67]
	v_add_co_u32 v4, s0, v8, v4
	v_add_co_ci_u32_e64 v5, null, v9, v5, s0
	global_load_dword v4, v[4:5], off
.LBB58_9:
	s_or_b32 exec_lo, exec_lo, s1
	v_or_b32_e32 v5, 64, v66
	v_cmp_le_i32_e64 s0, s12, v5
	s_nor_b32 s1, s0, s3
	s_and_saveexec_b32 s2, s1
	s_cbranch_execz .LBB58_11
; %bb.10:
	v_lshlrev_b64 v[5:6], 2, v[66:67]
	v_add_co_u32 v5, s1, v8, v5
	v_add_co_ci_u32_e64 v6, null, v9, v6, s1
	global_load_dword v3, v[5:6], off offset:256
.LBB58_11:
	s_or_b32 exec_lo, exec_lo, s2
	v_or_b32_e32 v5, 0x80, v66
	v_mov_b32_e32 v6, 0x7f7fffff
	s_ashr_i32 s23, s22, 31
	v_cmp_le_i32_e64 s1, s12, v5
	v_mov_b32_e32 v5, 0x7f7fffff
	s_nor_b32 s2, s1, s3
	s_and_saveexec_b32 s6, s2
	s_cbranch_execz .LBB58_13
; %bb.12:
	v_lshlrev_b64 v[10:11], 2, v[66:67]
	v_add_co_u32 v10, s2, v8, v10
	v_add_co_ci_u32_e64 v11, null, v9, v11, s2
	global_load_dword v6, v[10:11], off offset:512
.LBB58_13:
	s_or_b32 exec_lo, exec_lo, s6
	v_or_b32_e32 v10, 0xc0, v66
	v_cmp_le_i32_e64 s2, s12, v10
	s_nor_b32 s3, s2, s3
	s_and_saveexec_b32 s6, s3
	s_cbranch_execz .LBB58_15
; %bb.14:
	v_lshlrev_b64 v[10:11], 2, v[66:67]
	v_add_co_u32 v8, s3, v8, v10
	v_add_co_ci_u32_e64 v9, null, v9, v11, s3
	global_load_dword v5, v[8:9], off offset:768
.LBB58_15:
	s_or_b32 exec_lo, exec_lo, s6
	s_load_dword s9, s[4:5], 0x30
	v_lshrrev_b32_e32 v7, 2, v7
	s_lshl_b32 s26, s8, 6
	v_and_b32_e32 v73, 3, v0
	v_mov_b32_e32 v123, 0x7f7fffff
	v_mov_b32_e32 v8, 0x7f7fffff
	v_add_nc_u32_e32 v69, s26, v7
	v_cmp_gt_i32_e64 s6, s14, v73
	v_lshlrev_b32_e32 v68, 2, v73
	v_cmp_gt_i32_e64 s8, s13, v69
	v_cmp_le_i32_e64 s3, s13, v69
	s_and_b32 s6, s6, s8
	s_and_saveexec_b32 s8, s6
	s_cbranch_execz .LBB58_17
; %bb.16:
	s_waitcnt lgkmcnt(0)
	v_mad_i64_i32 v[8:9], null, v69, s9, 0
	v_lshlrev_b64 v[8:9], 2, v[8:9]
	v_add_co_u32 v8, s6, s20, v8
	v_add_co_ci_u32_e64 v9, null, s21, v9, s6
	v_add_co_u32 v8, s6, v8, v68
	v_add_co_ci_u32_e64 v9, null, 0, v9, s6
	global_load_dword v8, v[8:9], off
.LBB58_17:
	s_or_b32 exec_lo, exec_lo, s8
	v_add_nc_u32_e32 v11, 4, v70
	v_mad_i64_i32 v[9:10], null, s22, v11, 0
	v_cmp_le_i32_e64 s6, s14, v11
	v_lshlrev_b64 v[9:10], 2, v[9:10]
	v_add_co_u32 v9, s8, s18, v9
	v_add_co_ci_u32_e64 v10, null, s19, v10, s8
	s_nor_b32 s8, vcc_lo, s6
	s_and_saveexec_b32 s27, s8
	s_cbranch_execz .LBB58_19
; %bb.18:
	v_lshlrev_b64 v[11:12], 2, v[66:67]
	v_add_co_u32 v11, s8, v9, v11
	v_add_co_ci_u32_e64 v12, null, v10, v12, s8
	global_load_dword v123, v[11:12], off
.LBB58_19:
	s_or_b32 exec_lo, exec_lo, s27
	v_mov_b32_e32 v133, 0x7f7fffff
	v_mov_b32_e32 v141, 0x7f7fffff
	s_nor_b32 s8, s0, s6
	s_and_saveexec_b32 s27, s8
	s_cbranch_execz .LBB58_21
; %bb.20:
	v_lshlrev_b64 v[11:12], 2, v[66:67]
	v_add_co_u32 v11, s8, v9, v11
	v_add_co_ci_u32_e64 v12, null, v10, v12, s8
	global_load_dword v141, v[11:12], off offset:256
.LBB58_21:
	s_or_b32 exec_lo, exec_lo, s27
	s_nor_b32 s8, s1, s6
	s_and_saveexec_b32 s27, s8
	s_cbranch_execz .LBB58_23
; %bb.22:
	v_lshlrev_b64 v[11:12], 2, v[66:67]
	v_add_co_u32 v11, s8, v9, v11
	v_add_co_ci_u32_e64 v12, null, v10, v12, s8
	global_load_dword v133, v[11:12], off offset:512
.LBB58_23:
	s_or_b32 exec_lo, exec_lo, s27
	v_mov_b32_e32 v143, 0x7f7fffff
	v_mov_b32_e32 v142, 0x7f7fffff
	s_nor_b32 s6, s2, s6
	s_and_saveexec_b32 s8, s6
	s_cbranch_execz .LBB58_25
; %bb.24:
	v_lshlrev_b64 v[11:12], 2, v[66:67]
	v_add_co_u32 v9, s6, v9, v11
	v_add_co_ci_u32_e64 v10, null, v10, v12, s6
	global_load_dword v142, v[9:10], off offset:768
.LBB58_25:
	s_or_b32 exec_lo, exec_lo, s8
	v_or_b32_e32 v9, 4, v73
	s_xor_b32 s27, s3, -1
	v_cmp_gt_i32_e64 s6, s14, v9
	s_and_b32 s3, s6, s27
	s_and_saveexec_b32 s6, s3
	s_cbranch_execz .LBB58_27
; %bb.26:
	s_waitcnt lgkmcnt(0)
	v_mad_i64_i32 v[9:10], null, v69, s9, 0
	v_lshlrev_b64 v[9:10], 2, v[9:10]
	v_add_co_u32 v9, s3, s20, v9
	v_add_co_ci_u32_e64 v10, null, s21, v10, s3
	v_add_co_u32 v9, s3, v9, v68
	v_add_co_ci_u32_e64 v10, null, 0, v10, s3
	global_load_dword v143, v[9:10], off offset:16
.LBB58_27:
	s_or_b32 exec_lo, exec_lo, s6
	v_lshlrev_b32_e32 v2, 4, v2
	v_lshl_or_b32 v144, v7, 4, v68
	v_lshlrev_b32_e32 v72, 4, v0
	v_lshlrev_b32_e32 v71, 4, v1
	s_cmp_lt_i32 s14, 9
	v_lshl_add_u32 v74, v70, 2, v2
	s_waitcnt vmcnt(0)
	ds_write2st64_b32 v74, v4, v3 offset1:4
	ds_write2st64_b32 v74, v6, v5 offset0:8 offset1:12
	ds_write_b32 v144, v8 offset:8192
	s_waitcnt lgkmcnt(0)
	s_barrier
	buffer_gl0_inv
	ds_read_b128 v[34:37], v72
	ds_read_b128 v[30:33], v72 offset:512
	ds_read_b128 v[26:29], v72 offset:1024
	;; [unrolled: 1-line block ×15, first 2 shown]
	ds_write2st64_b32 v74, v123, v141 offset0:16 offset1:20
	ds_write2st64_b32 v74, v133, v142 offset0:24 offset1:28
	ds_write_b32 v144, v143 offset:9216
	s_waitcnt lgkmcnt(0)
	s_barrier
	buffer_gl0_inv
	v_add_f32_e32 v75, v35, v63
	v_add_f32_e32 v76, v34, v62
	;; [unrolled: 1-line block ×6, first 2 shown]
	v_min3_f32 v75, v76, v75, 0x7f7fffff
	v_add_f32_e32 v76, v31, v63
	v_add_f32_e32 v81, v10, v62
	v_min3_f32 v76, v77, v76, 0x7f7fffff
	v_add_f32_e32 v77, v27, v63
	v_min3_f32 v77, v78, v77, 0x7f7fffff
	;; [unrolled: 2-line block ×5, first 2 shown]
	v_add_f32_e32 v79, v7, v63
	v_add_f32_e32 v81, v6, v62
	;; [unrolled: 1-line block ×4, first 2 shown]
	v_min3_f32 v118, v81, v79, 0x7f7fffff
	v_add_f32_e32 v79, v6, v38
	v_min3_f32 v119, v62, v63, 0x7f7fffff
	v_add_f32_e32 v62, v35, v59
	v_add_f32_e32 v63, v34, v58
	v_min3_f32 v116, v63, v62, 0x7f7fffff
	v_add_f32_e32 v62, v31, v59
	v_add_f32_e32 v63, v30, v58
	v_min3_f32 v115, v63, v62, 0x7f7fffff
	v_add_f32_e32 v62, v27, v59
	v_add_f32_e32 v63, v26, v58
	v_min3_f32 v114, v63, v62, 0x7f7fffff
	v_add_f32_e32 v62, v19, v59
	v_add_f32_e32 v63, v18, v58
	v_min3_f32 v113, v63, v62, 0x7f7fffff
	v_add_f32_e32 v62, v15, v59
	v_add_f32_e32 v63, v14, v58
	v_min3_f32 v112, v63, v62, 0x7f7fffff
	v_add_f32_e32 v62, v11, v59
	v_add_f32_e32 v63, v10, v58
	v_min3_f32 v111, v63, v62, 0x7f7fffff
	v_add_f32_e32 v62, v7, v59
	v_add_f32_e32 v63, v6, v58
	v_add_f32_e32 v59, v3, v59
	v_add_f32_e32 v58, v2, v58
	v_min3_f32 v110, v63, v62, 0x7f7fffff
	v_min3_f32 v109, v58, v59, 0x7f7fffff
	v_add_f32_e32 v58, v35, v55
	v_add_f32_e32 v59, v34, v54
	v_min3_f32 v108, v59, v58, 0x7f7fffff
	v_add_f32_e32 v58, v31, v55
	v_add_f32_e32 v59, v30, v54
	v_min3_f32 v107, v59, v58, 0x7f7fffff
	v_add_f32_e32 v58, v27, v55
	v_add_f32_e32 v59, v26, v54
	v_min3_f32 v106, v59, v58, 0x7f7fffff
	v_add_f32_e32 v58, v19, v55
	v_add_f32_e32 v59, v18, v54
	v_min3_f32 v105, v59, v58, 0x7f7fffff
	v_add_f32_e32 v58, v15, v55
	v_add_f32_e32 v59, v14, v54
	v_min3_f32 v104, v59, v58, 0x7f7fffff
	v_add_f32_e32 v58, v11, v55
	v_add_f32_e32 v59, v10, v54
	v_min3_f32 v103, v59, v58, 0x7f7fffff
	v_add_f32_e32 v58, v7, v55
	v_add_f32_e32 v59, v6, v54
	v_add_f32_e32 v55, v3, v55
	v_add_f32_e32 v54, v2, v54
	v_min3_f32 v102, v59, v58, 0x7f7fffff
	v_min3_f32 v101, v54, v55, 0x7f7fffff
	v_add_f32_e32 v54, v35, v51
	v_add_f32_e32 v55, v34, v50
	v_min3_f32 v100, v55, v54, 0x7f7fffff
	v_add_f32_e32 v54, v31, v51
	v_add_f32_e32 v55, v30, v50
	v_min3_f32 v99, v55, v54, 0x7f7fffff
	v_add_f32_e32 v54, v27, v51
	v_add_f32_e32 v55, v26, v50
	v_min3_f32 v98, v55, v54, 0x7f7fffff
	v_add_f32_e32 v54, v19, v51
	v_add_f32_e32 v55, v18, v50
	v_min3_f32 v97, v55, v54, 0x7f7fffff
	v_add_f32_e32 v54, v15, v51
	v_add_f32_e32 v55, v14, v50
	v_min3_f32 v96, v55, v54, 0x7f7fffff
	v_add_f32_e32 v54, v11, v51
	v_add_f32_e32 v55, v10, v50
	v_min3_f32 v95, v55, v54, 0x7f7fffff
	v_add_f32_e32 v54, v7, v51
	;; [unrolled: 24-line block ×4, first 2 shown]
	v_add_f32_e32 v47, v6, v42
	v_add_f32_e32 v43, v3, v43
	v_add_f32_e32 v42, v2, v42
	v_add_f32_e32 v6, v6, v22
	v_min3_f32 v58, v47, v46, 0x7f7fffff
	v_min3_f32 v55, v42, v43, 0x7f7fffff
	v_add_f32_e32 v42, v35, v39
	v_add_f32_e32 v43, v34, v38
	;; [unrolled: 1-line block ×4, first 2 shown]
	v_min3_f32 v54, v43, v42, 0x7f7fffff
	v_add_f32_e32 v42, v31, v39
	v_add_f32_e32 v43, v30, v38
	v_min3_f32 v34, v34, v35, 0x7f7fffff
	v_add_f32_e32 v31, v31, v23
	v_add_f32_e32 v30, v30, v22
	;; [unrolled: 3-line block ×9, first 2 shown]
	v_add_f32_e32 v38, v2, v38
	v_add_f32_e32 v2, v2, v22
	v_min3_f32 v14, v14, v15, 0x7f7fffff
	v_add_f32_e32 v11, v11, v23
	v_min3_f32 v43, v43, v42, 0x7f7fffff
	v_add_f32_e32 v42, v7, v39
	v_add_f32_e32 v39, v3, v39
	;; [unrolled: 1-line block ×5, first 2 shown]
	v_min3_f32 v42, v79, v42, 0x7f7fffff
	v_min3_f32 v38, v38, v39, 0x7f7fffff
	;; [unrolled: 1-line block ×4, first 2 shown]
	v_add_f32_e32 v3, v37, v65
	v_add_f32_e32 v7, v36, v64
	v_min3_f32 v10, v10, v11, 0x7f7fffff
	v_min3_f32 v81, v7, v3, v75
	v_add_f32_e32 v3, v33, v65
	v_add_f32_e32 v7, v32, v64
	v_min3_f32 v79, v7, v3, v76
	v_add_f32_e32 v3, v29, v65
	v_add_f32_e32 v7, v28, v64
	;; [unrolled: 3-line block ×55, first 2 shown]
	v_add_f32_e32 v4, v4, v24
	v_min3_f32 v89, v7, v3, v38
	v_add_f32_e32 v3, v37, v25
	v_add_f32_e32 v7, v36, v24
	v_min3_f32 v88, v7, v3, v34
	v_add_f32_e32 v3, v33, v25
	;; [unrolled: 3-line block ×8, first 2 shown]
	v_min3_f32 v92, v4, v3, v2
	s_cbranch_scc1 .LBB58_50
; %bb.28:
	v_mad_i64_i32 v[2:3], null, s9, v69, 0
	v_add_nc_u32_e32 v4, 8, v70
	v_add_nc_u32_e32 v6, 12, v70
	v_lshlrev_b64 v[66:67], 2, v[66:67]
	v_add_nc_u32_e32 v123, 0x2000, v144
	v_or_b32_e32 v133, 0x2000, v71
	v_mad_i64_i32 v[4:5], null, v4, s22, 0
	v_lshlrev_b64 v[2:3], 2, v[2:3]
	v_or_b32_e32 v141, 0x1000, v74
	v_add_nc_u32_e32 v142, 0x2400, v144
	v_lshl_or_b32 v143, v0, 4, 0x1000
	v_lshl_add_u32 v144, v1, 4, 0x2400
	s_lshl_b64 s[8:9], s[22:23], 5
	v_add_co_u32 v7, s3, v2, v68
	v_add_co_ci_u32_e64 v8, null, 0, v3, s3
	v_mad_i64_i32 v[2:3], null, v6, s22, 0
	v_add_co_u32 v6, s3, s20, v7
	v_lshlrev_b64 v[4:5], 2, v[4:5]
	v_add_co_ci_u32_e64 v7, null, s21, v8, s3
	v_add_co_u32 v68, s3, v6, 32
	v_lshlrev_b64 v[2:3], 2, v[2:3]
	v_add_co_ci_u32_e64 v69, null, 0, v7, s3
	v_add_co_u32 v145, s3, s18, v4
	v_add_co_ci_u32_e64 v146, null, s19, v5, s3
	v_add_co_u32 v147, s3, s18, v2
	v_add_co_ci_u32_e64 v148, null, s19, v3, s3
	s_add_i32 s18, s14, -8
	s_mov_b32 s19, 0
	s_branch .LBB58_30
.LBB58_29:                              ;   in Loop: Header=BB58_30 Depth=1
	s_or_b32 exec_lo, exec_lo, s3
	v_add_f32_e32 v154, v35, v63
	v_add_f32_e32 v155, v34, v62
	v_add_co_u32 v68, s3, v68, 32
	v_add_co_ci_u32_e64 v69, null, 0, v69, s3
	v_min3_f32 v81, v155, v154, v81
	v_add_f32_e32 v154, v31, v63
	v_add_f32_e32 v155, v30, v62
	v_add_co_u32 v145, s3, v145, s8
	v_add_co_ci_u32_e64 v146, null, s9, v146, s3
	v_min3_f32 v79, v155, v154, v79
	;; [unrolled: 5-line block ×3, first 2 shown]
	v_add_f32_e32 v154, v23, v63
	v_add_f32_e32 v155, v22, v62
	s_add_i32 s19, s19, 8
	s_cmp_ge_i32 s19, s18
	v_min3_f32 v75, v155, v154, v75
	v_add_f32_e32 v154, v15, v63
	v_add_f32_e32 v155, v14, v62
	v_min3_f32 v76, v155, v154, v76
	v_add_f32_e32 v154, v11, v63
	v_add_f32_e32 v155, v10, v62
	v_min3_f32 v78, v155, v154, v78
	v_add_f32_e32 v154, v7, v63
	v_add_f32_e32 v155, v6, v62
	v_add_f32_e32 v63, v3, v63
	v_add_f32_e32 v62, v2, v62
	v_min3_f32 v80, v155, v154, v80
	v_min3_f32 v62, v62, v63, v140
	v_add_f32_e32 v63, v35, v59
	v_add_f32_e32 v140, v34, v58
	v_min3_f32 v63, v140, v63, v139
	v_add_f32_e32 v139, v31, v59
	v_add_f32_e32 v140, v30, v58
	v_min3_f32 v138, v140, v139, v138
	v_add_f32_e32 v139, v27, v59
	v_add_f32_e32 v140, v26, v58
	v_min3_f32 v137, v140, v139, v137
	v_add_f32_e32 v139, v23, v59
	v_add_f32_e32 v140, v22, v58
	v_min3_f32 v136, v140, v139, v136
	v_add_f32_e32 v139, v15, v59
	v_add_f32_e32 v140, v14, v58
	v_min3_f32 v135, v140, v139, v135
	v_add_f32_e32 v139, v11, v59
	v_add_f32_e32 v140, v10, v58
	v_min3_f32 v134, v140, v139, v134
	v_add_f32_e32 v139, v7, v59
	v_add_f32_e32 v140, v6, v58
	v_add_f32_e32 v59, v3, v59
	v_add_f32_e32 v58, v2, v58
	v_min3_f32 v132, v140, v139, v132
	v_min3_f32 v58, v58, v59, v131
	v_add_f32_e32 v59, v35, v55
	v_add_f32_e32 v131, v34, v54
	v_min3_f32 v59, v131, v59, v130
	v_add_f32_e32 v130, v31, v55
	v_add_f32_e32 v131, v30, v54
	v_min3_f32 v129, v131, v130, v129
	v_add_f32_e32 v130, v27, v55
	v_add_f32_e32 v131, v26, v54
	v_min3_f32 v128, v131, v130, v128
	v_add_f32_e32 v130, v23, v55
	v_add_f32_e32 v131, v22, v54
	;; [unrolled: 24-line block ×5, first 2 shown]
	v_min3_f32 v102, v106, v105, v102
	v_add_f32_e32 v105, v15, v43
	v_add_f32_e32 v106, v14, v42
	v_min3_f32 v101, v106, v105, v101
	v_add_f32_e32 v105, v11, v43
	v_add_f32_e32 v106, v10, v42
	;; [unrolled: 3-line block ×3, first 2 shown]
	v_add_f32_e32 v43, v3, v43
	v_add_f32_e32 v42, v2, v42
	v_min3_f32 v99, v106, v105, v99
	v_min3_f32 v42, v42, v43, v98
	v_add_f32_e32 v43, v35, v39
	v_add_f32_e32 v98, v34, v38
	v_add_f32_e32 v35, v35, v19
	v_add_f32_e32 v34, v34, v18
	v_min3_f32 v43, v98, v43, v97
	v_add_f32_e32 v97, v31, v39
	v_add_f32_e32 v98, v30, v38
	v_add_f32_e32 v31, v31, v19
	v_add_f32_e32 v30, v30, v18
	v_min3_f32 v34, v34, v35, v88
	v_min3_f32 v96, v98, v97, v96
	v_add_f32_e32 v97, v27, v39
	v_add_f32_e32 v98, v26, v38
	v_add_f32_e32 v27, v27, v19
	v_add_f32_e32 v26, v26, v18
	v_min3_f32 v30, v30, v31, v87
	v_min3_f32 v95, v98, v97, v95
	v_add_f32_e32 v97, v23, v39
	v_add_f32_e32 v98, v22, v38
	v_add_f32_e32 v23, v23, v19
	v_add_f32_e32 v22, v22, v18
	v_min3_f32 v26, v26, v27, v86
	v_min3_f32 v94, v98, v97, v94
	v_add_f32_e32 v97, v15, v39
	v_add_f32_e32 v98, v14, v38
	v_add_f32_e32 v15, v15, v19
	v_add_f32_e32 v14, v14, v18
	v_min3_f32 v22, v22, v23, v85
	v_min3_f32 v93, v98, v97, v93
	v_add_f32_e32 v97, v11, v39
	v_add_f32_e32 v98, v10, v38
	v_add_f32_e32 v11, v11, v19
	v_add_f32_e32 v10, v10, v18
	v_min3_f32 v14, v14, v15, v84
	v_min3_f32 v91, v98, v97, v91
	v_add_f32_e32 v97, v7, v39
	v_add_f32_e32 v98, v6, v38
	;; [unrolled: 1-line block ×8, first 2 shown]
	v_min3_f32 v10, v10, v11, v83
	v_min3_f32 v38, v38, v39, v89
	v_min3_f32 v6, v6, v7, v82
	v_add_f32_e32 v7, v36, v64
	v_min3_f32 v2, v2, v3, v92
	v_add_f32_e32 v3, v37, v65
	v_min3_f32 v90, v98, v97, v90
	v_min3_f32 v81, v7, v3, v81
	v_add_f32_e32 v3, v33, v65
	v_add_f32_e32 v7, v32, v64
	v_min3_f32 v79, v7, v3, v79
	v_add_f32_e32 v3, v29, v65
	v_add_f32_e32 v7, v28, v64
	;; [unrolled: 3-line block ×55, first 2 shown]
	v_add_f32_e32 v4, v4, v20
	v_min3_f32 v131, v7, v3, v38
	v_add_f32_e32 v3, v37, v21
	v_add_f32_e32 v7, v36, v20
	v_min3_f32 v132, v7, v3, v34
	v_add_f32_e32 v3, v33, v21
	v_add_f32_e32 v7, v32, v20
	v_min3_f32 v134, v7, v3, v30
	v_add_f32_e32 v3, v29, v21
	v_add_f32_e32 v7, v28, v20
	v_min3_f32 v135, v7, v3, v26
	v_add_f32_e32 v3, v25, v21
	v_add_f32_e32 v7, v24, v20
	v_min3_f32 v136, v7, v3, v22
	v_add_f32_e32 v3, v17, v21
	v_add_f32_e32 v7, v16, v20
	v_min3_f32 v137, v7, v3, v14
	v_add_f32_e32 v3, v13, v21
	v_add_f32_e32 v7, v12, v20
	v_min3_f32 v138, v7, v3, v10
	v_add_f32_e32 v3, v9, v21
	v_add_f32_e32 v7, v8, v20
	v_min3_f32 v139, v7, v3, v6
	v_add_f32_e32 v3, v5, v21
	v_min3_f32 v140, v4, v3, v2
	ds_read_b128 v[30:33], v72
	ds_read_b128 v[26:29], v72 offset:512
	ds_read_b128 v[22:25], v72 offset:1024
	;; [unrolled: 1-line block ×7, first 2 shown]
	ds_read_b128 v[46:49], v133
	ds_read_b128 v[50:53], v133 offset:128
	ds_read_b128 v[54:57], v133 offset:256
	;; [unrolled: 1-line block ×7, first 2 shown]
	s_waitcnt vmcnt(0)
	ds_write2st64_b32 v141, v149, v151 offset1:4
	ds_write2st64_b32 v141, v150, v153 offset0:8 offset1:12
	ds_write_b32 v142, v152
	s_waitcnt lgkmcnt(0)
	s_barrier
	buffer_gl0_inv
	v_add_f32_e32 v154, v31, v47
	v_add_f32_e32 v155, v30, v46
	v_min3_f32 v81, v155, v154, v81
	v_add_f32_e32 v154, v27, v47
	v_add_f32_e32 v155, v26, v46
	v_min3_f32 v79, v155, v154, v79
	;; [unrolled: 3-line block ×6, first 2 shown]
	v_add_f32_e32 v154, v7, v47
	v_add_f32_e32 v155, v6, v46
	v_add_f32_e32 v47, v3, v47
	v_add_f32_e32 v46, v2, v46
	v_min3_f32 v80, v155, v154, v80
	v_min3_f32 v46, v46, v47, v82
	v_add_f32_e32 v47, v31, v51
	v_add_f32_e32 v82, v30, v50
	v_min3_f32 v47, v82, v47, v83
	v_add_f32_e32 v82, v27, v51
	v_add_f32_e32 v83, v26, v50
	;; [unrolled: 3-line block ×7, first 2 shown]
	v_add_f32_e32 v51, v3, v51
	v_add_f32_e32 v50, v2, v50
	v_min3_f32 v87, v88, v87, v89
	v_add_f32_e32 v88, v30, v54
	v_min3_f32 v50, v50, v51, v92
	v_add_f32_e32 v51, v31, v55
	v_add_f32_e32 v89, v26, v54
	v_add_f32_e32 v92, v22, v54
	v_min3_f32 v51, v88, v51, v97
	v_add_f32_e32 v88, v27, v55
	v_add_f32_e32 v97, v18, v54
	v_min3_f32 v88, v89, v88, v98
	v_add_f32_e32 v89, v23, v55
	v_add_f32_e32 v98, v14, v54
	;; [unrolled: 3-line block ×4, first 2 shown]
	v_add_f32_e32 v54, v2, v54
	v_min3_f32 v97, v98, v97, v113
	v_add_f32_e32 v98, v11, v55
	v_add_f32_e32 v113, v26, v58
	v_min3_f32 v98, v105, v98, v114
	v_add_f32_e32 v105, v7, v55
	v_add_f32_e32 v55, v3, v55
	;; [unrolled: 1-line block ×3, first 2 shown]
	v_min3_f32 v105, v106, v105, v121
	v_min3_f32 v54, v54, v55, v122
	v_add_f32_e32 v55, v31, v59
	v_add_f32_e32 v106, v30, v58
	v_min3_f32 v55, v106, v55, v124
	v_add_f32_e32 v106, v27, v59
	v_min3_f32 v106, v113, v106, v120
	;; [unrolled: 2-line block ×3, first 2 shown]
	v_add_f32_e32 v114, v19, v59
	v_add_f32_e32 v119, v18, v58
	v_min3_f32 v114, v119, v114, v118
	v_add_f32_e32 v118, v15, v59
	v_add_f32_e32 v119, v14, v58
	v_min3_f32 v117, v119, v118, v117
	;; [unrolled: 3-line block ×3, first 2 shown]
	v_add_f32_e32 v118, v7, v59
	v_add_f32_e32 v119, v6, v58
	;; [unrolled: 1-line block ×4, first 2 shown]
	v_min3_f32 v115, v119, v118, v115
	v_add_f32_e32 v118, v30, v62
	v_min3_f32 v58, v58, v59, v125
	v_add_f32_e32 v59, v31, v63
	v_add_f32_e32 v119, v26, v62
	v_min3_f32 v59, v118, v59, v126
	v_add_f32_e32 v118, v27, v63
	v_min3_f32 v112, v119, v118, v112
	v_add_f32_e32 v118, v23, v63
	v_add_f32_e32 v119, v22, v62
	v_min3_f32 v111, v119, v118, v111
	v_add_f32_e32 v118, v19, v63
	;; [unrolled: 3-line block ×5, first 2 shown]
	v_add_f32_e32 v119, v6, v62
	v_add_f32_e32 v63, v3, v63
	;; [unrolled: 1-line block ×3, first 2 shown]
	v_min3_f32 v107, v119, v118, v107
	v_add_f32_e32 v118, v30, v42
	v_min3_f32 v62, v62, v63, v127
	v_add_f32_e32 v63, v31, v43
	v_add_f32_e32 v119, v26, v42
	v_min3_f32 v63, v118, v63, v128
	v_add_f32_e32 v118, v27, v43
	v_min3_f32 v104, v119, v118, v104
	v_add_f32_e32 v118, v23, v43
	v_add_f32_e32 v119, v22, v42
	v_min3_f32 v103, v119, v118, v103
	v_add_f32_e32 v118, v19, v43
	;; [unrolled: 3-line block ×5, first 2 shown]
	v_add_f32_e32 v119, v6, v42
	v_add_f32_e32 v43, v3, v43
	;; [unrolled: 1-line block ×3, first 2 shown]
	v_min3_f32 v99, v119, v118, v99
	v_add_f32_e32 v118, v30, v38
	v_min3_f32 v42, v42, v43, v129
	v_add_f32_e32 v43, v31, v39
	v_add_f32_e32 v119, v26, v38
	;; [unrolled: 1-line block ×5, first 2 shown]
	v_min3_f32 v43, v118, v43, v130
	v_add_f32_e32 v118, v27, v39
	v_add_f32_e32 v27, v27, v35
	v_min3_f32 v30, v30, v31, v132
	v_min3_f32 v96, v119, v118, v96
	v_add_f32_e32 v118, v23, v39
	v_add_f32_e32 v119, v22, v38
	v_add_f32_e32 v23, v23, v35
	v_add_f32_e32 v22, v22, v34
	v_min3_f32 v26, v26, v27, v134
	v_min3_f32 v95, v119, v118, v95
	v_add_f32_e32 v118, v19, v39
	v_add_f32_e32 v119, v18, v38
	;; [unrolled: 6-line block ×5, first 2 shown]
	v_add_f32_e32 v39, v3, v39
	v_add_f32_e32 v38, v2, v38
	;; [unrolled: 1-line block ×6, first 2 shown]
	v_min3_f32 v10, v10, v11, v138
	v_min3_f32 v38, v38, v39, v131
	;; [unrolled: 1-line block ×3, first 2 shown]
	v_add_f32_e32 v7, v32, v48
	v_min3_f32 v2, v2, v3, v140
	v_add_f32_e32 v3, v33, v49
	v_min3_f32 v90, v119, v118, v90
	v_min3_f32 v81, v7, v3, v81
	v_add_f32_e32 v3, v29, v49
	v_add_f32_e32 v7, v28, v48
	v_min3_f32 v79, v7, v3, v79
	v_add_f32_e32 v3, v25, v49
	v_add_f32_e32 v7, v24, v48
	;; [unrolled: 3-line block ×55, first 2 shown]
	v_add_f32_e32 v4, v4, v36
	v_min3_f32 v89, v7, v3, v38
	v_add_f32_e32 v3, v33, v37
	v_add_f32_e32 v7, v32, v36
	v_min3_f32 v88, v7, v3, v30
	v_add_f32_e32 v3, v29, v37
	;; [unrolled: 3-line block ×8, first 2 shown]
	v_min3_f32 v92, v4, v3, v2
	s_cbranch_scc1 .LBB58_50
.LBB58_30:                              ; =>This Inner Loop Header: Depth=1
	v_add_nc_u32_e32 v150, s19, v70
	v_mov_b32_e32 v151, 0x7f7fffff
	v_mov_b32_e32 v152, 0x7f7fffff
	v_add_nc_u32_e32 v2, 8, v150
	v_cmp_le_i32_e64 s3, s14, v2
	s_nor_b32 s6, vcc_lo, s3
	s_and_saveexec_b32 s20, s6
	s_cbranch_execz .LBB58_32
; %bb.31:                               ;   in Loop: Header=BB58_30 Depth=1
	v_add_co_u32 v2, s6, v145, v66
	v_add_co_ci_u32_e64 v3, null, v146, v67, s6
	global_load_dword v152, v[2:3], off
.LBB58_32:                              ;   in Loop: Header=BB58_30 Depth=1
	s_or_b32 exec_lo, exec_lo, s20
	s_nor_b32 s6, s0, s3
	s_and_saveexec_b32 s20, s6
	s_cbranch_execz .LBB58_34
; %bb.33:                               ;   in Loop: Header=BB58_30 Depth=1
	v_add_co_u32 v2, s6, v145, v66
	v_add_co_ci_u32_e64 v3, null, v146, v67, s6
	global_load_dword v151, v[2:3], off offset:256
.LBB58_34:                              ;   in Loop: Header=BB58_30 Depth=1
	s_or_b32 exec_lo, exec_lo, s20
	v_mov_b32_e32 v153, 0x7f7fffff
	v_mov_b32_e32 v155, 0x7f7fffff
	s_nor_b32 s6, s1, s3
	s_and_saveexec_b32 s20, s6
	s_cbranch_execz .LBB58_36
; %bb.35:                               ;   in Loop: Header=BB58_30 Depth=1
	v_add_co_u32 v2, s6, v145, v66
	v_add_co_ci_u32_e64 v3, null, v146, v67, s6
	global_load_dword v155, v[2:3], off offset:512
.LBB58_36:                              ;   in Loop: Header=BB58_30 Depth=1
	s_or_b32 exec_lo, exec_lo, s20
	s_nor_b32 s3, s2, s3
	s_and_saveexec_b32 s6, s3
	s_cbranch_execz .LBB58_38
; %bb.37:                               ;   in Loop: Header=BB58_30 Depth=1
	v_add_co_u32 v2, s3, v145, v66
	v_add_co_ci_u32_e64 v3, null, v146, v67, s3
	global_load_dword v153, v[2:3], off offset:768
.LBB58_38:                              ;   in Loop: Header=BB58_30 Depth=1
	s_or_b32 exec_lo, exec_lo, s6
	v_add_nc_u32_e32 v154, s19, v73
	v_mov_b32_e32 v149, 0x7f7fffff
	v_mov_b32_e32 v156, 0x7f7fffff
	v_add_nc_u32_e32 v2, 8, v154
	v_cmp_gt_i32_e64 s3, s14, v2
	s_and_b32 s6, s3, s27
	s_and_saveexec_b32 s3, s6
	s_cbranch_execz .LBB58_40
; %bb.39:                               ;   in Loop: Header=BB58_30 Depth=1
	global_load_dword v156, v[68:69], off
.LBB58_40:                              ;   in Loop: Header=BB58_30 Depth=1
	s_or_b32 exec_lo, exec_lo, s3
	ds_read_b128 v[34:37], v143
	ds_read_b128 v[30:33], v143 offset:512
	ds_read_b128 v[26:29], v143 offset:1024
	;; [unrolled: 1-line block ×7, first 2 shown]
	ds_read_b128 v[62:65], v144
	ds_read_b128 v[58:61], v144 offset:128
	ds_read_b128 v[54:57], v144 offset:256
	;; [unrolled: 1-line block ×7, first 2 shown]
	v_add_nc_u32_e32 v150, 12, v150
	s_waitcnt vmcnt(0)
	ds_write2st64_b32 v74, v152, v151 offset1:4
	ds_write2st64_b32 v74, v155, v153 offset0:8 offset1:12
	ds_write_b32 v123, v156
	s_waitcnt lgkmcnt(0)
	s_barrier
	v_cmp_le_i32_e64 s3, s14, v150
	buffer_gl0_inv
	s_nor_b32 s6, vcc_lo, s3
	s_and_saveexec_b32 s20, s6
	s_cbranch_execz .LBB58_42
; %bb.41:                               ;   in Loop: Header=BB58_30 Depth=1
	v_add_co_u32 v149, s6, v147, v66
	v_add_co_ci_u32_e64 v150, null, v148, v67, s6
	global_load_dword v149, v[149:150], off
.LBB58_42:                              ;   in Loop: Header=BB58_30 Depth=1
	s_or_b32 exec_lo, exec_lo, s20
	v_mov_b32_e32 v150, 0x7f7fffff
	v_mov_b32_e32 v151, 0x7f7fffff
	s_nor_b32 s6, s0, s3
	s_and_saveexec_b32 s20, s6
	s_cbranch_execz .LBB58_44
; %bb.43:                               ;   in Loop: Header=BB58_30 Depth=1
	v_add_co_u32 v151, s6, v147, v66
	v_add_co_ci_u32_e64 v152, null, v148, v67, s6
	global_load_dword v151, v[151:152], off offset:256
.LBB58_44:                              ;   in Loop: Header=BB58_30 Depth=1
	s_or_b32 exec_lo, exec_lo, s20
	s_nor_b32 s6, s1, s3
	s_and_saveexec_b32 s20, s6
	s_cbranch_execz .LBB58_46
; %bb.45:                               ;   in Loop: Header=BB58_30 Depth=1
	v_add_co_u32 v152, s6, v147, v66
	v_add_co_ci_u32_e64 v153, null, v148, v67, s6
	global_load_dword v150, v[152:153], off offset:512
.LBB58_46:                              ;   in Loop: Header=BB58_30 Depth=1
	s_or_b32 exec_lo, exec_lo, s20
	v_mov_b32_e32 v152, 0x7f7fffff
	v_mov_b32_e32 v153, 0x7f7fffff
	s_nor_b32 s3, s2, s3
	s_and_saveexec_b32 s6, s3
	s_cbranch_execz .LBB58_48
; %bb.47:                               ;   in Loop: Header=BB58_30 Depth=1
	v_add_co_u32 v155, s3, v147, v66
	v_add_co_ci_u32_e64 v156, null, v148, v67, s3
	global_load_dword v153, v[155:156], off offset:768
.LBB58_48:                              ;   in Loop: Header=BB58_30 Depth=1
	s_or_b32 exec_lo, exec_lo, s6
	v_add_nc_u32_e32 v154, 12, v154
	v_cmp_gt_i32_e64 s3, s14, v154
	s_and_b32 s6, s3, s27
	s_and_saveexec_b32 s3, s6
	s_cbranch_execz .LBB58_29
; %bb.49:                               ;   in Loop: Header=BB58_30 Depth=1
	global_load_dword v152, v[68:69], off offset:16
	s_branch .LBB58_29
.LBB58_50:
	s_clause 0x2
	s_load_dwordx2 s[0:1], s[4:5], 0x70
	s_load_dword s14, s[4:5], 0x50
	s_load_dword s9, s[4:5], 0x68
	ds_read_b128 v[34:37], v72 offset:4096
	ds_read_b128 v[30:33], v72 offset:4608
	;; [unrolled: 1-line block ×12, first 2 shown]
	v_add_nc_u32_e32 v133, s26, v1
	ds_read_b128 v[46:49], v71 offset:9728
	ds_read_b128 v[42:45], v71 offset:9856
	;; [unrolled: 1-line block ×4, first 2 shown]
	v_add_nc_u32_e32 v0, s25, v0
	v_cndmask_b32_e64 v123, 0, 1, s24
	v_cmp_gt_i32_e64 s8, s13, v133
	v_ashrrev_i32_e32 v1, 31, v0
	s_waitcnt lgkmcnt(0)
	s_mul_i32 s1, s1, s7
	v_mad_i64_i32 v[66:67], null, v133, s14, 0
	v_mad_i64_i32 v[68:69], null, v133, s9, 0
	s_mul_hi_u32 s2, s0, s7
	s_mul_i32 s0, s0, s7
	s_add_i32 s1, s2, s1
	s_lshl_b64 s[0:1], s[0:1], 2
	v_lshlrev_b64 v[66:67], 2, v[66:67]
	v_lshlrev_b64 v[68:69], 2, v[68:69]
	s_add_u32 s10, s10, s0
	s_addc_u32 s11, s11, s1
	v_cmp_gt_i32_e64 s0, s12, v0
	v_add_co_u32 v143, vcc_lo, s16, v66
	v_add_co_ci_u32_e64 v144, null, s17, v67, vcc_lo
	v_add_co_u32 v141, vcc_lo, s10, v68
	v_add_co_ci_u32_e64 v142, null, s11, v69, vcc_lo
	s_and_b32 s2, s0, s8
	s_and_saveexec_b32 s1, s2
	s_cbranch_execz .LBB58_56
; %bb.51:
	v_lshlrev_b64 v[66:67], 2, v[0:1]
	s_andn2_b32 vcc_lo, exec_lo, s24
	s_cbranch_vccnz .LBB58_54
; %bb.52:
	v_add_co_u32 v68, vcc_lo, v143, v66
	v_add_co_ci_u32_e64 v69, null, v144, v67, vcc_lo
	global_load_dword v68, v[68:69], off
	s_waitcnt vmcnt(0)
	v_mul_f32_e32 v68, s15, v68
	s_branch .LBB58_55
.LBB58_53:
	s_mov_b64 s[18:19], 0
	s_andn2_b32 vcc_lo, exec_lo, s8
	s_mov_b32 s0, -1
	s_cbranch_vccz .LBB58_2
	s_branch .LBB58_3
.LBB58_54:
	v_mov_b32_e32 v68, 0
.LBB58_55:
	v_add_f32_e32 v69, v35, v63
	v_add_f32_e32 v70, v34, v62
	;; [unrolled: 1-line block ×4, first 2 shown]
	v_add_co_u32 v66, vcc_lo, v141, v66
	v_min3_f32 v69, v70, v69, v81
	v_add_co_ci_u32_e64 v67, null, v142, v67, vcc_lo
	v_min_f32_e32 v70, v72, v71
	v_min3_f32 v68, v68, v70, v69
	global_store_dword v[66:67], v68, off
.LBB58_56:
	s_or_b32 exec_lo, exec_lo, s1
	v_add_nc_u32_e32 v66, 32, v0
	v_cmp_gt_i32_e64 s1, s12, v66
	v_ashrrev_i32_e32 v67, 31, v66
	s_and_b32 s3, s1, s8
	s_and_saveexec_b32 s2, s3
	s_cbranch_execz .LBB58_61
; %bb.57:
	v_cmp_ne_u32_e32 vcc_lo, 1, v123
	v_lshlrev_b64 v[68:69], 2, v[66:67]
	s_cbranch_vccnz .LBB58_59
; %bb.58:
	v_add_co_u32 v70, vcc_lo, v143, v68
	v_add_co_ci_u32_e64 v71, null, v144, v69, vcc_lo
	global_load_dword v70, v[70:71], off
	s_waitcnt vmcnt(0)
	v_mul_f32_e32 v70, s15, v70
	s_branch .LBB58_60
.LBB58_59:
	v_mov_b32_e32 v70, 0
.LBB58_60:
	v_add_f32_e32 v71, v31, v63
	v_add_f32_e32 v72, v30, v62
	v_add_f32_e32 v73, v33, v65
	v_add_f32_e32 v74, v32, v64
	v_add_co_u32 v68, vcc_lo, v141, v68
	v_min3_f32 v71, v72, v71, v79
	v_add_co_ci_u32_e64 v69, null, v142, v69, vcc_lo
	v_min_f32_e32 v72, v74, v73
	v_min3_f32 v70, v70, v72, v71
	global_store_dword v[68:69], v70, off
.LBB58_61:
	s_or_b32 exec_lo, exec_lo, s2
	v_add_nc_u32_e32 v68, 64, v0
	v_cmp_gt_i32_e64 s2, s12, v68
	v_ashrrev_i32_e32 v69, 31, v68
	s_and_b32 s4, s2, s8
	s_and_saveexec_b32 s3, s4
	s_cbranch_execz .LBB58_66
; %bb.62:
	v_cmp_ne_u32_e32 vcc_lo, 1, v123
	v_lshlrev_b64 v[70:71], 2, v[68:69]
	s_cbranch_vccnz .LBB58_64
; %bb.63:
	v_add_co_u32 v72, vcc_lo, v143, v70
	v_add_co_ci_u32_e64 v73, null, v144, v71, vcc_lo
	global_load_dword v72, v[72:73], off
	s_waitcnt vmcnt(0)
	v_mul_f32_e32 v72, s15, v72
	s_branch .LBB58_65
.LBB58_64:
	v_mov_b32_e32 v72, 0
.LBB58_65:
	v_add_f32_e32 v73, v27, v63
	v_add_f32_e32 v74, v26, v62
	v_add_f32_e32 v79, v29, v65
	v_add_f32_e32 v81, v28, v64
	v_add_co_u32 v70, vcc_lo, v141, v70
	v_min3_f32 v73, v74, v73, v77
	v_add_co_ci_u32_e64 v71, null, v142, v71, vcc_lo
	v_min_f32_e32 v74, v81, v79
	v_min3_f32 v72, v72, v74, v73
	global_store_dword v[70:71], v72, off
.LBB58_66:
	;; [unrolled: 32-line block ×6, first 2 shown]
	s_or_b32 exec_lo, exec_lo, s7
	v_add_nc_u32_e32 v78, 0xe0, v0
	v_cmp_gt_i32_e64 s7, s12, v78
	v_ashrrev_i32_e32 v79, 31, v78
	s_and_b32 s12, s7, s8
	s_and_saveexec_b32 s8, s12
	s_cbranch_execz .LBB58_91
; %bb.87:
	v_cmp_ne_u32_e32 vcc_lo, 1, v123
	v_lshlrev_b64 v[80:81], 2, v[78:79]
	s_cbranch_vccnz .LBB58_89
; %bb.88:
	v_add_co_u32 v143, vcc_lo, v143, v80
	v_add_co_ci_u32_e64 v144, null, v144, v81, vcc_lo
	global_load_dword v143, v[143:144], off
	s_waitcnt vmcnt(0)
	v_mul_f32_e32 v143, s15, v143
	s_branch .LBB58_90
.LBB58_89:
	v_mov_b32_e32 v143, 0
.LBB58_90:
	v_add_f32_e32 v63, v3, v63
	v_add_f32_e32 v62, v2, v62
	;; [unrolled: 1-line block ×4, first 2 shown]
	v_min3_f32 v62, v62, v63, v140
	v_min_f32_e32 v63, v64, v65
	v_min3_f32 v64, v143, v63, v62
	v_add_co_u32 v62, vcc_lo, v141, v80
	v_add_co_ci_u32_e64 v63, null, v142, v81, vcc_lo
	global_store_dword v[62:63], v64, off
.LBB58_91:
	s_or_b32 exec_lo, exec_lo, s8
	v_add_nc_u32_e32 v80, 8, v133
	v_mad_i64_i32 v[62:63], null, v80, s14, 0
	v_mad_i64_i32 v[64:65], null, v80, s9, 0
	v_cmp_gt_i32_e64 s8, s13, v80
	v_lshlrev_b64 v[62:63], 2, v[62:63]
	s_and_b32 s18, s0, s8
	v_lshlrev_b64 v[64:65], 2, v[64:65]
	v_add_co_u32 v80, vcc_lo, s16, v62
	v_add_co_ci_u32_e64 v81, null, s17, v63, vcc_lo
	v_add_co_u32 v64, vcc_lo, s10, v64
	v_add_co_ci_u32_e64 v65, null, s11, v65, vcc_lo
	s_and_saveexec_b32 s12, s18
	s_cbranch_execnz .LBB58_99
; %bb.92:
	s_or_b32 exec_lo, exec_lo, s12
	s_and_b32 s18, s1, s8
	s_and_saveexec_b32 s12, s18
	s_cbranch_execnz .LBB58_103
.LBB58_93:
	s_or_b32 exec_lo, exec_lo, s12
	s_and_b32 s18, s2, s8
	s_and_saveexec_b32 s12, s18
	s_cbranch_execnz .LBB58_107
.LBB58_94:
	s_or_b32 exec_lo, exec_lo, s12
	s_and_b32 s18, s3, s8
	s_and_saveexec_b32 s12, s18
	s_cbranch_execnz .LBB58_111
.LBB58_95:
	s_or_b32 exec_lo, exec_lo, s12
	s_and_b32 s18, s4, s8
	s_and_saveexec_b32 s12, s18
	s_cbranch_execnz .LBB58_115
.LBB58_96:
	s_or_b32 exec_lo, exec_lo, s12
	s_and_b32 s18, s5, s8
	s_and_saveexec_b32 s12, s18
	s_cbranch_execnz .LBB58_119
.LBB58_97:
	s_or_b32 exec_lo, exec_lo, s12
	s_and_b32 s18, s6, s8
	s_and_saveexec_b32 s12, s18
	s_cbranch_execnz .LBB58_123
.LBB58_98:
	s_or_b32 exec_lo, exec_lo, s12
	s_and_b32 s12, s7, s8
	s_and_saveexec_b32 s8, s12
	s_cbranch_execnz .LBB58_127
	s_branch .LBB58_131
.LBB58_99:
	v_cmp_ne_u32_e32 vcc_lo, 1, v123
	v_lshlrev_b64 v[62:63], 2, v[0:1]
	s_cbranch_vccnz .LBB58_101
; %bb.100:
	v_add_co_u32 v140, vcc_lo, v80, v62
	v_add_co_ci_u32_e64 v141, null, v81, v63, vcc_lo
	global_load_dword v140, v[140:141], off
	s_waitcnt vmcnt(0)
	v_mul_f32_e32 v140, s15, v140
	s_branch .LBB58_102
.LBB58_101:
	v_mov_b32_e32 v140, 0
.LBB58_102:
	v_add_f32_e32 v141, v35, v59
	v_add_f32_e32 v142, v34, v58
	;; [unrolled: 1-line block ×4, first 2 shown]
	v_add_co_u32 v62, vcc_lo, v64, v62
	v_min3_f32 v139, v142, v141, v139
	v_add_co_ci_u32_e64 v63, null, v65, v63, vcc_lo
	v_min_f32_e32 v141, v144, v143
	v_min3_f32 v139, v140, v141, v139
	global_store_dword v[62:63], v139, off
	s_or_b32 exec_lo, exec_lo, s12
	s_and_b32 s18, s1, s8
	s_and_saveexec_b32 s12, s18
	s_cbranch_execz .LBB58_93
.LBB58_103:
	v_cmp_ne_u32_e32 vcc_lo, 1, v123
	v_lshlrev_b64 v[62:63], 2, v[66:67]
	s_cbranch_vccnz .LBB58_105
; %bb.104:
	v_add_co_u32 v139, vcc_lo, v80, v62
	v_add_co_ci_u32_e64 v140, null, v81, v63, vcc_lo
	global_load_dword v139, v[139:140], off
	s_waitcnt vmcnt(0)
	v_mul_f32_e32 v139, s15, v139
	s_branch .LBB58_106
.LBB58_105:
	v_mov_b32_e32 v139, 0
.LBB58_106:
	v_add_f32_e32 v140, v31, v59
	v_add_f32_e32 v141, v30, v58
	;; [unrolled: 1-line block ×4, first 2 shown]
	v_add_co_u32 v62, vcc_lo, v64, v62
	v_min3_f32 v138, v141, v140, v138
	v_add_co_ci_u32_e64 v63, null, v65, v63, vcc_lo
	v_min_f32_e32 v140, v143, v142
	v_min3_f32 v138, v139, v140, v138
	global_store_dword v[62:63], v138, off
	s_or_b32 exec_lo, exec_lo, s12
	s_and_b32 s18, s2, s8
	s_and_saveexec_b32 s12, s18
	s_cbranch_execz .LBB58_94
.LBB58_107:
	v_cmp_ne_u32_e32 vcc_lo, 1, v123
	v_lshlrev_b64 v[62:63], 2, v[68:69]
	s_cbranch_vccnz .LBB58_109
; %bb.108:
	v_add_co_u32 v138, vcc_lo, v80, v62
	v_add_co_ci_u32_e64 v139, null, v81, v63, vcc_lo
	global_load_dword v138, v[138:139], off
	s_waitcnt vmcnt(0)
	v_mul_f32_e32 v138, s15, v138
	s_branch .LBB58_110
.LBB58_109:
	v_mov_b32_e32 v138, 0
.LBB58_110:
	v_add_f32_e32 v139, v27, v59
	v_add_f32_e32 v140, v26, v58
	;; [unrolled: 1-line block ×4, first 2 shown]
	v_add_co_u32 v62, vcc_lo, v64, v62
	v_min3_f32 v137, v140, v139, v137
	v_add_co_ci_u32_e64 v63, null, v65, v63, vcc_lo
	v_min_f32_e32 v139, v142, v141
	v_min3_f32 v137, v138, v139, v137
	global_store_dword v[62:63], v137, off
	s_or_b32 exec_lo, exec_lo, s12
	s_and_b32 s18, s3, s8
	s_and_saveexec_b32 s12, s18
	s_cbranch_execz .LBB58_95
.LBB58_111:
	v_cmp_ne_u32_e32 vcc_lo, 1, v123
	v_lshlrev_b64 v[62:63], 2, v[70:71]
	s_cbranch_vccnz .LBB58_113
; %bb.112:
	v_add_co_u32 v137, vcc_lo, v80, v62
	v_add_co_ci_u32_e64 v138, null, v81, v63, vcc_lo
	global_load_dword v137, v[137:138], off
	s_waitcnt vmcnt(0)
	v_mul_f32_e32 v137, s15, v137
	s_branch .LBB58_114
.LBB58_113:
	v_mov_b32_e32 v137, 0
.LBB58_114:
	v_add_f32_e32 v138, v23, v59
	v_add_f32_e32 v139, v22, v58
	;; [unrolled: 1-line block ×4, first 2 shown]
	v_add_co_u32 v62, vcc_lo, v64, v62
	v_min3_f32 v136, v139, v138, v136
	v_add_co_ci_u32_e64 v63, null, v65, v63, vcc_lo
	v_min_f32_e32 v138, v141, v140
	v_min3_f32 v136, v137, v138, v136
	global_store_dword v[62:63], v136, off
	s_or_b32 exec_lo, exec_lo, s12
	s_and_b32 s18, s4, s8
	s_and_saveexec_b32 s12, s18
	s_cbranch_execz .LBB58_96
.LBB58_115:
	v_cmp_ne_u32_e32 vcc_lo, 1, v123
	v_lshlrev_b64 v[62:63], 2, v[72:73]
	s_cbranch_vccnz .LBB58_117
; %bb.116:
	v_add_co_u32 v136, vcc_lo, v80, v62
	v_add_co_ci_u32_e64 v137, null, v81, v63, vcc_lo
	global_load_dword v136, v[136:137], off
	s_waitcnt vmcnt(0)
	v_mul_f32_e32 v136, s15, v136
	s_branch .LBB58_118
.LBB58_117:
	v_mov_b32_e32 v136, 0
.LBB58_118:
	v_add_f32_e32 v137, v19, v59
	v_add_f32_e32 v138, v18, v58
	;; [unrolled: 1-line block ×4, first 2 shown]
	v_add_co_u32 v62, vcc_lo, v64, v62
	v_min3_f32 v135, v138, v137, v135
	v_add_co_ci_u32_e64 v63, null, v65, v63, vcc_lo
	v_min_f32_e32 v137, v140, v139
	v_min3_f32 v135, v136, v137, v135
	global_store_dword v[62:63], v135, off
	s_or_b32 exec_lo, exec_lo, s12
	s_and_b32 s18, s5, s8
	s_and_saveexec_b32 s12, s18
	s_cbranch_execz .LBB58_97
.LBB58_119:
	v_cmp_ne_u32_e32 vcc_lo, 1, v123
	v_lshlrev_b64 v[62:63], 2, v[74:75]
	s_cbranch_vccnz .LBB58_121
; %bb.120:
	v_add_co_u32 v135, vcc_lo, v80, v62
	v_add_co_ci_u32_e64 v136, null, v81, v63, vcc_lo
	global_load_dword v135, v[135:136], off
	s_waitcnt vmcnt(0)
	v_mul_f32_e32 v135, s15, v135
	s_branch .LBB58_122
.LBB58_121:
	v_mov_b32_e32 v135, 0
.LBB58_122:
	v_add_f32_e32 v136, v15, v59
	v_add_f32_e32 v137, v14, v58
	;; [unrolled: 1-line block ×4, first 2 shown]
	v_add_co_u32 v62, vcc_lo, v64, v62
	v_min3_f32 v134, v137, v136, v134
	v_add_co_ci_u32_e64 v63, null, v65, v63, vcc_lo
	v_min_f32_e32 v136, v139, v138
	v_min3_f32 v134, v135, v136, v134
	global_store_dword v[62:63], v134, off
	s_or_b32 exec_lo, exec_lo, s12
	s_and_b32 s18, s6, s8
	s_and_saveexec_b32 s12, s18
	s_cbranch_execz .LBB58_98
.LBB58_123:
	v_cmp_ne_u32_e32 vcc_lo, 1, v123
	v_lshlrev_b64 v[62:63], 2, v[76:77]
	s_cbranch_vccnz .LBB58_125
; %bb.124:
	v_add_co_u32 v134, vcc_lo, v80, v62
	v_add_co_ci_u32_e64 v135, null, v81, v63, vcc_lo
	global_load_dword v134, v[134:135], off
	s_waitcnt vmcnt(0)
	v_mul_f32_e32 v134, s15, v134
	s_branch .LBB58_126
.LBB58_125:
	v_mov_b32_e32 v134, 0
.LBB58_126:
	v_add_f32_e32 v135, v11, v59
	v_add_f32_e32 v136, v10, v58
	;; [unrolled: 1-line block ×4, first 2 shown]
	v_add_co_u32 v62, vcc_lo, v64, v62
	v_min3_f32 v132, v136, v135, v132
	v_add_co_ci_u32_e64 v63, null, v65, v63, vcc_lo
	v_min_f32_e32 v135, v138, v137
	v_min3_f32 v132, v134, v135, v132
	global_store_dword v[62:63], v132, off
	s_or_b32 exec_lo, exec_lo, s12
	s_and_b32 s12, s7, s8
	s_and_saveexec_b32 s8, s12
	s_cbranch_execz .LBB58_131
.LBB58_127:
	v_cmp_ne_u32_e32 vcc_lo, 1, v123
	v_lshlrev_b64 v[62:63], 2, v[78:79]
	s_cbranch_vccnz .LBB58_129
; %bb.128:
	v_add_co_u32 v80, vcc_lo, v80, v62
	v_add_co_ci_u32_e64 v81, null, v81, v63, vcc_lo
	global_load_dword v80, v[80:81], off
	s_waitcnt vmcnt(0)
	v_mul_f32_e32 v80, s15, v80
	s_branch .LBB58_130
.LBB58_129:
	v_mov_b32_e32 v80, 0
.LBB58_130:
	v_add_f32_e32 v59, v3, v59
	v_add_f32_e32 v58, v2, v58
	;; [unrolled: 1-line block ×4, first 2 shown]
	v_min3_f32 v58, v58, v59, v131
	v_min_f32_e32 v59, v60, v61
	v_min3_f32 v60, v80, v59, v58
	v_add_co_u32 v58, vcc_lo, v64, v62
	v_add_co_ci_u32_e64 v59, null, v65, v63, vcc_lo
	global_store_dword v[58:59], v60, off
.LBB58_131:
	s_or_b32 exec_lo, exec_lo, s8
	v_add_nc_u32_e32 v62, 16, v133
	v_mad_i64_i32 v[58:59], null, v62, s14, 0
	v_mad_i64_i32 v[60:61], null, v62, s9, 0
	v_cmp_gt_i32_e64 s8, s13, v62
	v_lshlrev_b64 v[58:59], 2, v[58:59]
	s_and_b32 s18, s0, s8
	v_lshlrev_b64 v[60:61], 2, v[60:61]
	v_add_co_u32 v62, vcc_lo, s16, v58
	v_add_co_ci_u32_e64 v63, null, s17, v59, vcc_lo
	v_add_co_u32 v60, vcc_lo, s10, v60
	v_add_co_ci_u32_e64 v61, null, s11, v61, vcc_lo
	s_and_saveexec_b32 s12, s18
	s_cbranch_execnz .LBB58_139
; %bb.132:
	s_or_b32 exec_lo, exec_lo, s12
	s_and_b32 s18, s1, s8
	s_and_saveexec_b32 s12, s18
	s_cbranch_execnz .LBB58_143
.LBB58_133:
	s_or_b32 exec_lo, exec_lo, s12
	s_and_b32 s18, s2, s8
	s_and_saveexec_b32 s12, s18
	s_cbranch_execnz .LBB58_147
.LBB58_134:
	s_or_b32 exec_lo, exec_lo, s12
	s_and_b32 s18, s3, s8
	s_and_saveexec_b32 s12, s18
	s_cbranch_execnz .LBB58_151
.LBB58_135:
	s_or_b32 exec_lo, exec_lo, s12
	s_and_b32 s18, s4, s8
	s_and_saveexec_b32 s12, s18
	s_cbranch_execnz .LBB58_155
.LBB58_136:
	s_or_b32 exec_lo, exec_lo, s12
	s_and_b32 s18, s5, s8
	s_and_saveexec_b32 s12, s18
	s_cbranch_execnz .LBB58_159
.LBB58_137:
	s_or_b32 exec_lo, exec_lo, s12
	s_and_b32 s18, s6, s8
	s_and_saveexec_b32 s12, s18
	s_cbranch_execnz .LBB58_163
.LBB58_138:
	s_or_b32 exec_lo, exec_lo, s12
	s_and_b32 s12, s7, s8
	s_and_saveexec_b32 s8, s12
	s_cbranch_execnz .LBB58_167
	s_branch .LBB58_171
.LBB58_139:
	v_cmp_ne_u32_e32 vcc_lo, 1, v123
	v_lshlrev_b64 v[58:59], 2, v[0:1]
	s_cbranch_vccnz .LBB58_141
; %bb.140:
	v_add_co_u32 v64, vcc_lo, v62, v58
	v_add_co_ci_u32_e64 v65, null, v63, v59, vcc_lo
	global_load_dword v64, v[64:65], off
	s_waitcnt vmcnt(0)
	v_mul_f32_e32 v64, s15, v64
	s_branch .LBB58_142
.LBB58_141:
	v_mov_b32_e32 v64, 0
.LBB58_142:
	v_add_f32_e32 v65, v35, v55
	v_add_f32_e32 v80, v34, v54
	;; [unrolled: 1-line block ×4, first 2 shown]
	v_add_co_u32 v58, vcc_lo, v60, v58
	v_min3_f32 v65, v80, v65, v130
	v_add_co_ci_u32_e64 v59, null, v61, v59, vcc_lo
	v_min_f32_e32 v80, v131, v81
	v_min3_f32 v64, v64, v80, v65
	global_store_dword v[58:59], v64, off
	s_or_b32 exec_lo, exec_lo, s12
	s_and_b32 s18, s1, s8
	s_and_saveexec_b32 s12, s18
	s_cbranch_execz .LBB58_133
.LBB58_143:
	v_cmp_ne_u32_e32 vcc_lo, 1, v123
	v_lshlrev_b64 v[58:59], 2, v[66:67]
	s_cbranch_vccnz .LBB58_145
; %bb.144:
	v_add_co_u32 v64, vcc_lo, v62, v58
	v_add_co_ci_u32_e64 v65, null, v63, v59, vcc_lo
	global_load_dword v64, v[64:65], off
	s_waitcnt vmcnt(0)
	v_mul_f32_e32 v64, s15, v64
	s_branch .LBB58_146
.LBB58_145:
	v_mov_b32_e32 v64, 0
.LBB58_146:
	v_add_f32_e32 v65, v31, v55
	v_add_f32_e32 v80, v30, v54
	;; [unrolled: 1-line block ×4, first 2 shown]
	v_add_co_u32 v58, vcc_lo, v60, v58
	v_min3_f32 v65, v80, v65, v129
	v_add_co_ci_u32_e64 v59, null, v61, v59, vcc_lo
	v_min_f32_e32 v80, v130, v81
	v_min3_f32 v64, v64, v80, v65
	global_store_dword v[58:59], v64, off
	s_or_b32 exec_lo, exec_lo, s12
	s_and_b32 s18, s2, s8
	s_and_saveexec_b32 s12, s18
	s_cbranch_execz .LBB58_134
.LBB58_147:
	v_cmp_ne_u32_e32 vcc_lo, 1, v123
	v_lshlrev_b64 v[58:59], 2, v[68:69]
	s_cbranch_vccnz .LBB58_149
; %bb.148:
	v_add_co_u32 v64, vcc_lo, v62, v58
	v_add_co_ci_u32_e64 v65, null, v63, v59, vcc_lo
	global_load_dword v64, v[64:65], off
	s_waitcnt vmcnt(0)
	v_mul_f32_e32 v64, s15, v64
	s_branch .LBB58_150
.LBB58_149:
	v_mov_b32_e32 v64, 0
.LBB58_150:
	v_add_f32_e32 v65, v27, v55
	v_add_f32_e32 v80, v26, v54
	;; [unrolled: 1-line block ×4, first 2 shown]
	v_add_co_u32 v58, vcc_lo, v60, v58
	v_min3_f32 v65, v80, v65, v128
	v_add_co_ci_u32_e64 v59, null, v61, v59, vcc_lo
	v_min_f32_e32 v80, v129, v81
	v_min3_f32 v64, v64, v80, v65
	global_store_dword v[58:59], v64, off
	s_or_b32 exec_lo, exec_lo, s12
	s_and_b32 s18, s3, s8
	s_and_saveexec_b32 s12, s18
	s_cbranch_execz .LBB58_135
.LBB58_151:
	v_cmp_ne_u32_e32 vcc_lo, 1, v123
	v_lshlrev_b64 v[58:59], 2, v[70:71]
	s_cbranch_vccnz .LBB58_153
; %bb.152:
	v_add_co_u32 v64, vcc_lo, v62, v58
	v_add_co_ci_u32_e64 v65, null, v63, v59, vcc_lo
	global_load_dword v64, v[64:65], off
	s_waitcnt vmcnt(0)
	v_mul_f32_e32 v64, s15, v64
	s_branch .LBB58_154
.LBB58_153:
	v_mov_b32_e32 v64, 0
.LBB58_154:
	v_add_f32_e32 v65, v23, v55
	v_add_f32_e32 v80, v22, v54
	;; [unrolled: 1-line block ×4, first 2 shown]
	v_add_co_u32 v58, vcc_lo, v60, v58
	v_min3_f32 v65, v80, v65, v127
	v_add_co_ci_u32_e64 v59, null, v61, v59, vcc_lo
	v_min_f32_e32 v80, v128, v81
	v_min3_f32 v64, v64, v80, v65
	global_store_dword v[58:59], v64, off
	s_or_b32 exec_lo, exec_lo, s12
	s_and_b32 s18, s4, s8
	s_and_saveexec_b32 s12, s18
	s_cbranch_execz .LBB58_136
.LBB58_155:
	v_cmp_ne_u32_e32 vcc_lo, 1, v123
	v_lshlrev_b64 v[58:59], 2, v[72:73]
	s_cbranch_vccnz .LBB58_157
; %bb.156:
	v_add_co_u32 v64, vcc_lo, v62, v58
	v_add_co_ci_u32_e64 v65, null, v63, v59, vcc_lo
	global_load_dword v64, v[64:65], off
	s_waitcnt vmcnt(0)
	v_mul_f32_e32 v64, s15, v64
	s_branch .LBB58_158
.LBB58_157:
	v_mov_b32_e32 v64, 0
.LBB58_158:
	v_add_f32_e32 v65, v19, v55
	v_add_f32_e32 v80, v18, v54
	;; [unrolled: 1-line block ×4, first 2 shown]
	v_add_co_u32 v58, vcc_lo, v60, v58
	v_min3_f32 v65, v80, v65, v126
	v_add_co_ci_u32_e64 v59, null, v61, v59, vcc_lo
	v_min_f32_e32 v80, v127, v81
	v_min3_f32 v64, v64, v80, v65
	global_store_dword v[58:59], v64, off
	s_or_b32 exec_lo, exec_lo, s12
	s_and_b32 s18, s5, s8
	s_and_saveexec_b32 s12, s18
	s_cbranch_execz .LBB58_137
.LBB58_159:
	v_cmp_ne_u32_e32 vcc_lo, 1, v123
	v_lshlrev_b64 v[58:59], 2, v[74:75]
	s_cbranch_vccnz .LBB58_161
; %bb.160:
	v_add_co_u32 v64, vcc_lo, v62, v58
	v_add_co_ci_u32_e64 v65, null, v63, v59, vcc_lo
	global_load_dword v64, v[64:65], off
	s_waitcnt vmcnt(0)
	v_mul_f32_e32 v64, s15, v64
	s_branch .LBB58_162
.LBB58_161:
	v_mov_b32_e32 v64, 0
.LBB58_162:
	v_add_f32_e32 v65, v15, v55
	v_add_f32_e32 v80, v14, v54
	;; [unrolled: 1-line block ×4, first 2 shown]
	v_add_co_u32 v58, vcc_lo, v60, v58
	v_min3_f32 v65, v80, v65, v125
	v_add_co_ci_u32_e64 v59, null, v61, v59, vcc_lo
	v_min_f32_e32 v80, v126, v81
	v_min3_f32 v64, v64, v80, v65
	global_store_dword v[58:59], v64, off
	s_or_b32 exec_lo, exec_lo, s12
	s_and_b32 s18, s6, s8
	s_and_saveexec_b32 s12, s18
	s_cbranch_execz .LBB58_138
.LBB58_163:
	v_cmp_ne_u32_e32 vcc_lo, 1, v123
	v_lshlrev_b64 v[58:59], 2, v[76:77]
	s_cbranch_vccnz .LBB58_165
; %bb.164:
	v_add_co_u32 v64, vcc_lo, v62, v58
	v_add_co_ci_u32_e64 v65, null, v63, v59, vcc_lo
	global_load_dword v64, v[64:65], off
	s_waitcnt vmcnt(0)
	v_mul_f32_e32 v64, s15, v64
	s_branch .LBB58_166
.LBB58_165:
	v_mov_b32_e32 v64, 0
.LBB58_166:
	v_add_f32_e32 v65, v11, v55
	v_add_f32_e32 v80, v10, v54
	v_add_f32_e32 v81, v13, v57
	v_add_f32_e32 v125, v12, v56
	v_add_co_u32 v58, vcc_lo, v60, v58
	v_min3_f32 v65, v80, v65, v124
	v_add_co_ci_u32_e64 v59, null, v61, v59, vcc_lo
	v_min_f32_e32 v80, v125, v81
	v_min3_f32 v64, v64, v80, v65
	global_store_dword v[58:59], v64, off
	s_or_b32 exec_lo, exec_lo, s12
	s_and_b32 s12, s7, s8
	s_and_saveexec_b32 s8, s12
	s_cbranch_execz .LBB58_171
.LBB58_167:
	v_cmp_ne_u32_e32 vcc_lo, 1, v123
	v_lshlrev_b64 v[58:59], 2, v[78:79]
	s_cbranch_vccnz .LBB58_169
; %bb.168:
	v_add_co_u32 v62, vcc_lo, v62, v58
	v_add_co_ci_u32_e64 v63, null, v63, v59, vcc_lo
	global_load_dword v62, v[62:63], off
	s_waitcnt vmcnt(0)
	v_mul_f32_e32 v62, s15, v62
	s_branch .LBB58_170
.LBB58_169:
	v_mov_b32_e32 v62, 0
.LBB58_170:
	v_add_f32_e32 v55, v3, v55
	v_add_f32_e32 v54, v2, v54
	;; [unrolled: 1-line block ×4, first 2 shown]
	v_min3_f32 v54, v54, v55, v122
	v_min_f32_e32 v55, v56, v57
	v_min3_f32 v56, v62, v55, v54
	v_add_co_u32 v54, vcc_lo, v60, v58
	v_add_co_ci_u32_e64 v55, null, v61, v59, vcc_lo
	global_store_dword v[54:55], v56, off
.LBB58_171:
	s_or_b32 exec_lo, exec_lo, s8
	v_add_nc_u32_e32 v58, 24, v133
	v_mad_i64_i32 v[54:55], null, v58, s14, 0
	v_mad_i64_i32 v[56:57], null, v58, s9, 0
	v_cmp_gt_i32_e64 s8, s13, v58
	v_lshlrev_b64 v[54:55], 2, v[54:55]
	s_and_b32 s18, s0, s8
	v_lshlrev_b64 v[56:57], 2, v[56:57]
	v_add_co_u32 v58, vcc_lo, s16, v54
	v_add_co_ci_u32_e64 v59, null, s17, v55, vcc_lo
	v_add_co_u32 v56, vcc_lo, s10, v56
	v_add_co_ci_u32_e64 v57, null, s11, v57, vcc_lo
	s_and_saveexec_b32 s12, s18
	s_cbranch_execnz .LBB58_179
; %bb.172:
	s_or_b32 exec_lo, exec_lo, s12
	s_and_b32 s18, s1, s8
	s_and_saveexec_b32 s12, s18
	s_cbranch_execnz .LBB58_183
.LBB58_173:
	s_or_b32 exec_lo, exec_lo, s12
	s_and_b32 s18, s2, s8
	s_and_saveexec_b32 s12, s18
	s_cbranch_execnz .LBB58_187
.LBB58_174:
	s_or_b32 exec_lo, exec_lo, s12
	s_and_b32 s18, s3, s8
	s_and_saveexec_b32 s12, s18
	s_cbranch_execnz .LBB58_191
.LBB58_175:
	s_or_b32 exec_lo, exec_lo, s12
	s_and_b32 s18, s4, s8
	s_and_saveexec_b32 s12, s18
	s_cbranch_execnz .LBB58_195
.LBB58_176:
	s_or_b32 exec_lo, exec_lo, s12
	s_and_b32 s18, s5, s8
	s_and_saveexec_b32 s12, s18
	s_cbranch_execnz .LBB58_199
.LBB58_177:
	s_or_b32 exec_lo, exec_lo, s12
	s_and_b32 s18, s6, s8
	s_and_saveexec_b32 s12, s18
	s_cbranch_execnz .LBB58_203
.LBB58_178:
	s_or_b32 exec_lo, exec_lo, s12
	s_and_b32 s12, s7, s8
	s_and_saveexec_b32 s8, s12
	s_cbranch_execnz .LBB58_207
	s_branch .LBB58_211
.LBB58_179:
	v_cmp_ne_u32_e32 vcc_lo, 1, v123
	v_lshlrev_b64 v[54:55], 2, v[0:1]
	s_cbranch_vccnz .LBB58_181
; %bb.180:
	v_add_co_u32 v60, vcc_lo, v58, v54
	v_add_co_ci_u32_e64 v61, null, v59, v55, vcc_lo
	global_load_dword v60, v[60:61], off
	s_waitcnt vmcnt(0)
	v_mul_f32_e32 v60, s15, v60
	s_branch .LBB58_182
.LBB58_181:
	v_mov_b32_e32 v60, 0
.LBB58_182:
	v_add_f32_e32 v61, v35, v51
	v_add_f32_e32 v62, v34, v50
	;; [unrolled: 1-line block ×4, first 2 shown]
	v_add_co_u32 v54, vcc_lo, v56, v54
	v_min3_f32 v61, v62, v61, v121
	v_add_co_ci_u32_e64 v55, null, v57, v55, vcc_lo
	v_min_f32_e32 v62, v64, v63
	v_min3_f32 v60, v60, v62, v61
	global_store_dword v[54:55], v60, off
	s_or_b32 exec_lo, exec_lo, s12
	s_and_b32 s18, s1, s8
	s_and_saveexec_b32 s12, s18
	s_cbranch_execz .LBB58_173
.LBB58_183:
	v_cmp_ne_u32_e32 vcc_lo, 1, v123
	v_lshlrev_b64 v[54:55], 2, v[66:67]
	s_cbranch_vccnz .LBB58_185
; %bb.184:
	v_add_co_u32 v60, vcc_lo, v58, v54
	v_add_co_ci_u32_e64 v61, null, v59, v55, vcc_lo
	global_load_dword v60, v[60:61], off
	s_waitcnt vmcnt(0)
	v_mul_f32_e32 v60, s15, v60
	s_branch .LBB58_186
.LBB58_185:
	v_mov_b32_e32 v60, 0
.LBB58_186:
	v_add_f32_e32 v61, v31, v51
	v_add_f32_e32 v62, v30, v50
	;; [unrolled: 1-line block ×4, first 2 shown]
	v_add_co_u32 v54, vcc_lo, v56, v54
	v_min3_f32 v61, v62, v61, v120
	v_add_co_ci_u32_e64 v55, null, v57, v55, vcc_lo
	v_min_f32_e32 v62, v64, v63
	v_min3_f32 v60, v60, v62, v61
	global_store_dword v[54:55], v60, off
	s_or_b32 exec_lo, exec_lo, s12
	s_and_b32 s18, s2, s8
	s_and_saveexec_b32 s12, s18
	s_cbranch_execz .LBB58_174
.LBB58_187:
	v_cmp_ne_u32_e32 vcc_lo, 1, v123
	v_lshlrev_b64 v[54:55], 2, v[68:69]
	s_cbranch_vccnz .LBB58_189
; %bb.188:
	v_add_co_u32 v60, vcc_lo, v58, v54
	v_add_co_ci_u32_e64 v61, null, v59, v55, vcc_lo
	global_load_dword v60, v[60:61], off
	s_waitcnt vmcnt(0)
	v_mul_f32_e32 v60, s15, v60
	s_branch .LBB58_190
.LBB58_189:
	v_mov_b32_e32 v60, 0
.LBB58_190:
	v_add_f32_e32 v61, v27, v51
	v_add_f32_e32 v62, v26, v50
	;; [unrolled: 1-line block ×4, first 2 shown]
	v_add_co_u32 v54, vcc_lo, v56, v54
	v_min3_f32 v61, v62, v61, v119
	v_add_co_ci_u32_e64 v55, null, v57, v55, vcc_lo
	v_min_f32_e32 v62, v64, v63
	v_min3_f32 v60, v60, v62, v61
	global_store_dword v[54:55], v60, off
	s_or_b32 exec_lo, exec_lo, s12
	s_and_b32 s18, s3, s8
	s_and_saveexec_b32 s12, s18
	s_cbranch_execz .LBB58_175
.LBB58_191:
	v_cmp_ne_u32_e32 vcc_lo, 1, v123
	v_lshlrev_b64 v[54:55], 2, v[70:71]
	s_cbranch_vccnz .LBB58_193
; %bb.192:
	v_add_co_u32 v60, vcc_lo, v58, v54
	v_add_co_ci_u32_e64 v61, null, v59, v55, vcc_lo
	global_load_dword v60, v[60:61], off
	s_waitcnt vmcnt(0)
	v_mul_f32_e32 v60, s15, v60
	s_branch .LBB58_194
.LBB58_193:
	v_mov_b32_e32 v60, 0
.LBB58_194:
	v_add_f32_e32 v61, v23, v51
	v_add_f32_e32 v62, v22, v50
	;; [unrolled: 1-line block ×4, first 2 shown]
	v_add_co_u32 v54, vcc_lo, v56, v54
	v_min3_f32 v61, v62, v61, v118
	v_add_co_ci_u32_e64 v55, null, v57, v55, vcc_lo
	v_min_f32_e32 v62, v64, v63
	v_min3_f32 v60, v60, v62, v61
	global_store_dword v[54:55], v60, off
	s_or_b32 exec_lo, exec_lo, s12
	s_and_b32 s18, s4, s8
	s_and_saveexec_b32 s12, s18
	s_cbranch_execz .LBB58_176
.LBB58_195:
	v_cmp_ne_u32_e32 vcc_lo, 1, v123
	v_lshlrev_b64 v[54:55], 2, v[72:73]
	s_cbranch_vccnz .LBB58_197
; %bb.196:
	v_add_co_u32 v60, vcc_lo, v58, v54
	v_add_co_ci_u32_e64 v61, null, v59, v55, vcc_lo
	global_load_dword v60, v[60:61], off
	s_waitcnt vmcnt(0)
	v_mul_f32_e32 v60, s15, v60
	s_branch .LBB58_198
.LBB58_197:
	v_mov_b32_e32 v60, 0
.LBB58_198:
	v_add_f32_e32 v61, v19, v51
	v_add_f32_e32 v62, v18, v50
	v_add_f32_e32 v63, v21, v53
	v_add_f32_e32 v64, v20, v52
	v_add_co_u32 v54, vcc_lo, v56, v54
	v_min3_f32 v61, v62, v61, v117
	v_add_co_ci_u32_e64 v55, null, v57, v55, vcc_lo
	v_min_f32_e32 v62, v64, v63
	v_min3_f32 v60, v60, v62, v61
	global_store_dword v[54:55], v60, off
	s_or_b32 exec_lo, exec_lo, s12
	s_and_b32 s18, s5, s8
	s_and_saveexec_b32 s12, s18
	s_cbranch_execz .LBB58_177
.LBB58_199:
	v_cmp_ne_u32_e32 vcc_lo, 1, v123
	v_lshlrev_b64 v[54:55], 2, v[74:75]
	s_cbranch_vccnz .LBB58_201
; %bb.200:
	v_add_co_u32 v60, vcc_lo, v58, v54
	v_add_co_ci_u32_e64 v61, null, v59, v55, vcc_lo
	global_load_dword v60, v[60:61], off
	s_waitcnt vmcnt(0)
	v_mul_f32_e32 v60, s15, v60
	s_branch .LBB58_202
.LBB58_201:
	v_mov_b32_e32 v60, 0
.LBB58_202:
	v_add_f32_e32 v61, v15, v51
	v_add_f32_e32 v62, v14, v50
	;; [unrolled: 1-line block ×4, first 2 shown]
	v_add_co_u32 v54, vcc_lo, v56, v54
	v_min3_f32 v61, v62, v61, v116
	v_add_co_ci_u32_e64 v55, null, v57, v55, vcc_lo
	v_min_f32_e32 v62, v64, v63
	v_min3_f32 v60, v60, v62, v61
	global_store_dword v[54:55], v60, off
	s_or_b32 exec_lo, exec_lo, s12
	s_and_b32 s18, s6, s8
	s_and_saveexec_b32 s12, s18
	s_cbranch_execz .LBB58_178
.LBB58_203:
	v_cmp_ne_u32_e32 vcc_lo, 1, v123
	v_lshlrev_b64 v[54:55], 2, v[76:77]
	s_cbranch_vccnz .LBB58_205
; %bb.204:
	v_add_co_u32 v60, vcc_lo, v58, v54
	v_add_co_ci_u32_e64 v61, null, v59, v55, vcc_lo
	global_load_dword v60, v[60:61], off
	s_waitcnt vmcnt(0)
	v_mul_f32_e32 v60, s15, v60
	s_branch .LBB58_206
.LBB58_205:
	v_mov_b32_e32 v60, 0
.LBB58_206:
	v_add_f32_e32 v61, v11, v51
	v_add_f32_e32 v62, v10, v50
	;; [unrolled: 1-line block ×4, first 2 shown]
	v_add_co_u32 v54, vcc_lo, v56, v54
	v_min3_f32 v61, v62, v61, v115
	v_add_co_ci_u32_e64 v55, null, v57, v55, vcc_lo
	v_min_f32_e32 v62, v64, v63
	v_min3_f32 v60, v60, v62, v61
	global_store_dword v[54:55], v60, off
	s_or_b32 exec_lo, exec_lo, s12
	s_and_b32 s12, s7, s8
	s_and_saveexec_b32 s8, s12
	s_cbranch_execz .LBB58_211
.LBB58_207:
	v_cmp_ne_u32_e32 vcc_lo, 1, v123
	v_lshlrev_b64 v[54:55], 2, v[78:79]
	s_cbranch_vccnz .LBB58_209
; %bb.208:
	v_add_co_u32 v58, vcc_lo, v58, v54
	v_add_co_ci_u32_e64 v59, null, v59, v55, vcc_lo
	global_load_dword v58, v[58:59], off
	s_waitcnt vmcnt(0)
	v_mul_f32_e32 v58, s15, v58
	s_branch .LBB58_210
.LBB58_209:
	v_mov_b32_e32 v58, 0
.LBB58_210:
	v_add_f32_e32 v51, v3, v51
	v_add_f32_e32 v50, v2, v50
	;; [unrolled: 1-line block ×4, first 2 shown]
	v_min3_f32 v50, v50, v51, v114
	v_min_f32_e32 v51, v52, v53
	v_min3_f32 v52, v58, v51, v50
	v_add_co_u32 v50, vcc_lo, v56, v54
	v_add_co_ci_u32_e64 v51, null, v57, v55, vcc_lo
	global_store_dword v[50:51], v52, off
.LBB58_211:
	s_or_b32 exec_lo, exec_lo, s8
	v_add_nc_u32_e32 v54, 32, v133
	v_mad_i64_i32 v[50:51], null, v54, s14, 0
	v_mad_i64_i32 v[52:53], null, v54, s9, 0
	v_cmp_gt_i32_e64 s8, s13, v54
	v_lshlrev_b64 v[50:51], 2, v[50:51]
	s_and_b32 s18, s0, s8
	v_lshlrev_b64 v[52:53], 2, v[52:53]
	v_add_co_u32 v54, vcc_lo, s16, v50
	v_add_co_ci_u32_e64 v55, null, s17, v51, vcc_lo
	v_add_co_u32 v52, vcc_lo, s10, v52
	v_add_co_ci_u32_e64 v53, null, s11, v53, vcc_lo
	s_and_saveexec_b32 s12, s18
	s_cbranch_execnz .LBB58_219
; %bb.212:
	s_or_b32 exec_lo, exec_lo, s12
	s_and_b32 s18, s1, s8
	s_and_saveexec_b32 s12, s18
	s_cbranch_execnz .LBB58_223
.LBB58_213:
	s_or_b32 exec_lo, exec_lo, s12
	s_and_b32 s18, s2, s8
	s_and_saveexec_b32 s12, s18
	s_cbranch_execnz .LBB58_227
.LBB58_214:
	s_or_b32 exec_lo, exec_lo, s12
	s_and_b32 s18, s3, s8
	s_and_saveexec_b32 s12, s18
	s_cbranch_execnz .LBB58_231
.LBB58_215:
	s_or_b32 exec_lo, exec_lo, s12
	s_and_b32 s18, s4, s8
	s_and_saveexec_b32 s12, s18
	s_cbranch_execnz .LBB58_235
.LBB58_216:
	s_or_b32 exec_lo, exec_lo, s12
	s_and_b32 s18, s5, s8
	s_and_saveexec_b32 s12, s18
	s_cbranch_execnz .LBB58_239
.LBB58_217:
	s_or_b32 exec_lo, exec_lo, s12
	s_and_b32 s18, s6, s8
	s_and_saveexec_b32 s12, s18
	s_cbranch_execnz .LBB58_243
.LBB58_218:
	s_or_b32 exec_lo, exec_lo, s12
	s_and_b32 s12, s7, s8
	s_and_saveexec_b32 s8, s12
	s_cbranch_execnz .LBB58_247
	s_branch .LBB58_251
.LBB58_219:
	v_cmp_ne_u32_e32 vcc_lo, 1, v123
	v_lshlrev_b64 v[50:51], 2, v[0:1]
	s_cbranch_vccnz .LBB58_221
; %bb.220:
	v_add_co_u32 v56, vcc_lo, v54, v50
	v_add_co_ci_u32_e64 v57, null, v55, v51, vcc_lo
	global_load_dword v56, v[56:57], off
	s_waitcnt vmcnt(0)
	v_mul_f32_e32 v56, s15, v56
	s_branch .LBB58_222
.LBB58_221:
	v_mov_b32_e32 v56, 0
.LBB58_222:
	v_add_f32_e32 v57, v35, v47
	v_add_f32_e32 v58, v34, v46
	;; [unrolled: 1-line block ×4, first 2 shown]
	v_add_co_u32 v50, vcc_lo, v52, v50
	v_min3_f32 v57, v58, v57, v113
	v_add_co_ci_u32_e64 v51, null, v53, v51, vcc_lo
	v_min_f32_e32 v58, v60, v59
	v_min3_f32 v56, v56, v58, v57
	global_store_dword v[50:51], v56, off
	s_or_b32 exec_lo, exec_lo, s12
	s_and_b32 s18, s1, s8
	s_and_saveexec_b32 s12, s18
	s_cbranch_execz .LBB58_213
.LBB58_223:
	v_cmp_ne_u32_e32 vcc_lo, 1, v123
	v_lshlrev_b64 v[50:51], 2, v[66:67]
	s_cbranch_vccnz .LBB58_225
; %bb.224:
	v_add_co_u32 v56, vcc_lo, v54, v50
	v_add_co_ci_u32_e64 v57, null, v55, v51, vcc_lo
	global_load_dword v56, v[56:57], off
	s_waitcnt vmcnt(0)
	v_mul_f32_e32 v56, s15, v56
	s_branch .LBB58_226
.LBB58_225:
	v_mov_b32_e32 v56, 0
.LBB58_226:
	v_add_f32_e32 v57, v31, v47
	v_add_f32_e32 v58, v30, v46
	;; [unrolled: 1-line block ×4, first 2 shown]
	v_add_co_u32 v50, vcc_lo, v52, v50
	v_min3_f32 v57, v58, v57, v112
	v_add_co_ci_u32_e64 v51, null, v53, v51, vcc_lo
	v_min_f32_e32 v58, v60, v59
	v_min3_f32 v56, v56, v58, v57
	global_store_dword v[50:51], v56, off
	s_or_b32 exec_lo, exec_lo, s12
	s_and_b32 s18, s2, s8
	s_and_saveexec_b32 s12, s18
	s_cbranch_execz .LBB58_214
.LBB58_227:
	v_cmp_ne_u32_e32 vcc_lo, 1, v123
	v_lshlrev_b64 v[50:51], 2, v[68:69]
	s_cbranch_vccnz .LBB58_229
; %bb.228:
	v_add_co_u32 v56, vcc_lo, v54, v50
	v_add_co_ci_u32_e64 v57, null, v55, v51, vcc_lo
	global_load_dword v56, v[56:57], off
	s_waitcnt vmcnt(0)
	v_mul_f32_e32 v56, s15, v56
	s_branch .LBB58_230
.LBB58_229:
	v_mov_b32_e32 v56, 0
.LBB58_230:
	v_add_f32_e32 v57, v27, v47
	v_add_f32_e32 v58, v26, v46
	;; [unrolled: 1-line block ×4, first 2 shown]
	v_add_co_u32 v50, vcc_lo, v52, v50
	v_min3_f32 v57, v58, v57, v111
	v_add_co_ci_u32_e64 v51, null, v53, v51, vcc_lo
	v_min_f32_e32 v58, v60, v59
	v_min3_f32 v56, v56, v58, v57
	global_store_dword v[50:51], v56, off
	s_or_b32 exec_lo, exec_lo, s12
	s_and_b32 s18, s3, s8
	s_and_saveexec_b32 s12, s18
	s_cbranch_execz .LBB58_215
.LBB58_231:
	v_cmp_ne_u32_e32 vcc_lo, 1, v123
	v_lshlrev_b64 v[50:51], 2, v[70:71]
	s_cbranch_vccnz .LBB58_233
; %bb.232:
	v_add_co_u32 v56, vcc_lo, v54, v50
	v_add_co_ci_u32_e64 v57, null, v55, v51, vcc_lo
	global_load_dword v56, v[56:57], off
	s_waitcnt vmcnt(0)
	v_mul_f32_e32 v56, s15, v56
	s_branch .LBB58_234
.LBB58_233:
	v_mov_b32_e32 v56, 0
.LBB58_234:
	v_add_f32_e32 v57, v23, v47
	v_add_f32_e32 v58, v22, v46
	;; [unrolled: 1-line block ×4, first 2 shown]
	v_add_co_u32 v50, vcc_lo, v52, v50
	v_min3_f32 v57, v58, v57, v110
	v_add_co_ci_u32_e64 v51, null, v53, v51, vcc_lo
	v_min_f32_e32 v58, v60, v59
	v_min3_f32 v56, v56, v58, v57
	global_store_dword v[50:51], v56, off
	s_or_b32 exec_lo, exec_lo, s12
	s_and_b32 s18, s4, s8
	s_and_saveexec_b32 s12, s18
	s_cbranch_execz .LBB58_216
.LBB58_235:
	v_cmp_ne_u32_e32 vcc_lo, 1, v123
	v_lshlrev_b64 v[50:51], 2, v[72:73]
	s_cbranch_vccnz .LBB58_237
; %bb.236:
	v_add_co_u32 v56, vcc_lo, v54, v50
	v_add_co_ci_u32_e64 v57, null, v55, v51, vcc_lo
	global_load_dword v56, v[56:57], off
	s_waitcnt vmcnt(0)
	v_mul_f32_e32 v56, s15, v56
	s_branch .LBB58_238
.LBB58_237:
	v_mov_b32_e32 v56, 0
.LBB58_238:
	v_add_f32_e32 v57, v19, v47
	v_add_f32_e32 v58, v18, v46
	;; [unrolled: 1-line block ×4, first 2 shown]
	v_add_co_u32 v50, vcc_lo, v52, v50
	v_min3_f32 v57, v58, v57, v109
	v_add_co_ci_u32_e64 v51, null, v53, v51, vcc_lo
	v_min_f32_e32 v58, v60, v59
	v_min3_f32 v56, v56, v58, v57
	global_store_dword v[50:51], v56, off
	s_or_b32 exec_lo, exec_lo, s12
	s_and_b32 s18, s5, s8
	s_and_saveexec_b32 s12, s18
	s_cbranch_execz .LBB58_217
.LBB58_239:
	v_cmp_ne_u32_e32 vcc_lo, 1, v123
	v_lshlrev_b64 v[50:51], 2, v[74:75]
	s_cbranch_vccnz .LBB58_241
; %bb.240:
	v_add_co_u32 v56, vcc_lo, v54, v50
	v_add_co_ci_u32_e64 v57, null, v55, v51, vcc_lo
	global_load_dword v56, v[56:57], off
	s_waitcnt vmcnt(0)
	v_mul_f32_e32 v56, s15, v56
	s_branch .LBB58_242
.LBB58_241:
	v_mov_b32_e32 v56, 0
.LBB58_242:
	v_add_f32_e32 v57, v15, v47
	v_add_f32_e32 v58, v14, v46
	;; [unrolled: 1-line block ×4, first 2 shown]
	v_add_co_u32 v50, vcc_lo, v52, v50
	v_min3_f32 v57, v58, v57, v108
	v_add_co_ci_u32_e64 v51, null, v53, v51, vcc_lo
	v_min_f32_e32 v58, v60, v59
	v_min3_f32 v56, v56, v58, v57
	global_store_dword v[50:51], v56, off
	s_or_b32 exec_lo, exec_lo, s12
	s_and_b32 s18, s6, s8
	s_and_saveexec_b32 s12, s18
	s_cbranch_execz .LBB58_218
.LBB58_243:
	v_cmp_ne_u32_e32 vcc_lo, 1, v123
	v_lshlrev_b64 v[50:51], 2, v[76:77]
	s_cbranch_vccnz .LBB58_245
; %bb.244:
	v_add_co_u32 v56, vcc_lo, v54, v50
	v_add_co_ci_u32_e64 v57, null, v55, v51, vcc_lo
	global_load_dword v56, v[56:57], off
	s_waitcnt vmcnt(0)
	v_mul_f32_e32 v56, s15, v56
	s_branch .LBB58_246
.LBB58_245:
	v_mov_b32_e32 v56, 0
.LBB58_246:
	v_add_f32_e32 v57, v11, v47
	v_add_f32_e32 v58, v10, v46
	;; [unrolled: 1-line block ×4, first 2 shown]
	v_add_co_u32 v50, vcc_lo, v52, v50
	v_min3_f32 v57, v58, v57, v107
	v_add_co_ci_u32_e64 v51, null, v53, v51, vcc_lo
	v_min_f32_e32 v58, v60, v59
	v_min3_f32 v56, v56, v58, v57
	global_store_dword v[50:51], v56, off
	s_or_b32 exec_lo, exec_lo, s12
	s_and_b32 s12, s7, s8
	s_and_saveexec_b32 s8, s12
	s_cbranch_execz .LBB58_251
.LBB58_247:
	v_cmp_ne_u32_e32 vcc_lo, 1, v123
	v_lshlrev_b64 v[50:51], 2, v[78:79]
	s_cbranch_vccnz .LBB58_249
; %bb.248:
	v_add_co_u32 v54, vcc_lo, v54, v50
	v_add_co_ci_u32_e64 v55, null, v55, v51, vcc_lo
	global_load_dword v54, v[54:55], off
	s_waitcnt vmcnt(0)
	v_mul_f32_e32 v54, s15, v54
	s_branch .LBB58_250
.LBB58_249:
	v_mov_b32_e32 v54, 0
.LBB58_250:
	v_add_f32_e32 v47, v3, v47
	v_add_f32_e32 v46, v2, v46
	;; [unrolled: 1-line block ×4, first 2 shown]
	v_min3_f32 v46, v46, v47, v106
	v_min_f32_e32 v47, v48, v49
	v_min3_f32 v48, v54, v47, v46
	v_add_co_u32 v46, vcc_lo, v52, v50
	v_add_co_ci_u32_e64 v47, null, v53, v51, vcc_lo
	global_store_dword v[46:47], v48, off
.LBB58_251:
	s_or_b32 exec_lo, exec_lo, s8
	v_add_nc_u32_e32 v50, 40, v133
	v_mad_i64_i32 v[46:47], null, v50, s14, 0
	v_mad_i64_i32 v[48:49], null, v50, s9, 0
	v_cmp_gt_i32_e64 s8, s13, v50
	v_lshlrev_b64 v[46:47], 2, v[46:47]
	s_and_b32 s18, s0, s8
	v_lshlrev_b64 v[48:49], 2, v[48:49]
	v_add_co_u32 v50, vcc_lo, s16, v46
	v_add_co_ci_u32_e64 v51, null, s17, v47, vcc_lo
	v_add_co_u32 v48, vcc_lo, s10, v48
	v_add_co_ci_u32_e64 v49, null, s11, v49, vcc_lo
	s_and_saveexec_b32 s12, s18
	s_cbranch_execnz .LBB58_259
; %bb.252:
	s_or_b32 exec_lo, exec_lo, s12
	s_and_b32 s18, s1, s8
	s_and_saveexec_b32 s12, s18
	s_cbranch_execnz .LBB58_263
.LBB58_253:
	s_or_b32 exec_lo, exec_lo, s12
	s_and_b32 s18, s2, s8
	s_and_saveexec_b32 s12, s18
	s_cbranch_execnz .LBB58_267
.LBB58_254:
	s_or_b32 exec_lo, exec_lo, s12
	s_and_b32 s18, s3, s8
	s_and_saveexec_b32 s12, s18
	s_cbranch_execnz .LBB58_271
.LBB58_255:
	s_or_b32 exec_lo, exec_lo, s12
	s_and_b32 s18, s4, s8
	s_and_saveexec_b32 s12, s18
	s_cbranch_execnz .LBB58_275
.LBB58_256:
	s_or_b32 exec_lo, exec_lo, s12
	s_and_b32 s18, s5, s8
	s_and_saveexec_b32 s12, s18
	s_cbranch_execnz .LBB58_279
.LBB58_257:
	s_or_b32 exec_lo, exec_lo, s12
	s_and_b32 s18, s6, s8
	s_and_saveexec_b32 s12, s18
	s_cbranch_execnz .LBB58_283
.LBB58_258:
	s_or_b32 exec_lo, exec_lo, s12
	s_and_b32 s12, s7, s8
	s_and_saveexec_b32 s8, s12
	s_cbranch_execnz .LBB58_287
	s_branch .LBB58_291
.LBB58_259:
	v_cmp_ne_u32_e32 vcc_lo, 1, v123
	v_lshlrev_b64 v[46:47], 2, v[0:1]
	s_cbranch_vccnz .LBB58_261
; %bb.260:
	v_add_co_u32 v52, vcc_lo, v50, v46
	v_add_co_ci_u32_e64 v53, null, v51, v47, vcc_lo
	global_load_dword v52, v[52:53], off
	s_waitcnt vmcnt(0)
	v_mul_f32_e32 v52, s15, v52
	s_branch .LBB58_262
.LBB58_261:
	v_mov_b32_e32 v52, 0
.LBB58_262:
	v_add_f32_e32 v53, v35, v43
	v_add_f32_e32 v54, v34, v42
	;; [unrolled: 1-line block ×4, first 2 shown]
	v_add_co_u32 v46, vcc_lo, v48, v46
	v_min3_f32 v53, v54, v53, v105
	v_add_co_ci_u32_e64 v47, null, v49, v47, vcc_lo
	v_min_f32_e32 v54, v56, v55
	v_min3_f32 v52, v52, v54, v53
	global_store_dword v[46:47], v52, off
	s_or_b32 exec_lo, exec_lo, s12
	s_and_b32 s18, s1, s8
	s_and_saveexec_b32 s12, s18
	s_cbranch_execz .LBB58_253
.LBB58_263:
	v_cmp_ne_u32_e32 vcc_lo, 1, v123
	v_lshlrev_b64 v[46:47], 2, v[66:67]
	s_cbranch_vccnz .LBB58_265
; %bb.264:
	v_add_co_u32 v52, vcc_lo, v50, v46
	v_add_co_ci_u32_e64 v53, null, v51, v47, vcc_lo
	global_load_dword v52, v[52:53], off
	s_waitcnt vmcnt(0)
	v_mul_f32_e32 v52, s15, v52
	s_branch .LBB58_266
.LBB58_265:
	v_mov_b32_e32 v52, 0
.LBB58_266:
	v_add_f32_e32 v53, v31, v43
	v_add_f32_e32 v54, v30, v42
	;; [unrolled: 1-line block ×4, first 2 shown]
	v_add_co_u32 v46, vcc_lo, v48, v46
	v_min3_f32 v53, v54, v53, v104
	v_add_co_ci_u32_e64 v47, null, v49, v47, vcc_lo
	v_min_f32_e32 v54, v56, v55
	v_min3_f32 v52, v52, v54, v53
	global_store_dword v[46:47], v52, off
	s_or_b32 exec_lo, exec_lo, s12
	s_and_b32 s18, s2, s8
	s_and_saveexec_b32 s12, s18
	s_cbranch_execz .LBB58_254
.LBB58_267:
	v_cmp_ne_u32_e32 vcc_lo, 1, v123
	v_lshlrev_b64 v[46:47], 2, v[68:69]
	s_cbranch_vccnz .LBB58_269
; %bb.268:
	v_add_co_u32 v52, vcc_lo, v50, v46
	v_add_co_ci_u32_e64 v53, null, v51, v47, vcc_lo
	global_load_dword v52, v[52:53], off
	s_waitcnt vmcnt(0)
	v_mul_f32_e32 v52, s15, v52
	s_branch .LBB58_270
.LBB58_269:
	v_mov_b32_e32 v52, 0
.LBB58_270:
	v_add_f32_e32 v53, v27, v43
	v_add_f32_e32 v54, v26, v42
	;; [unrolled: 1-line block ×4, first 2 shown]
	v_add_co_u32 v46, vcc_lo, v48, v46
	v_min3_f32 v53, v54, v53, v103
	v_add_co_ci_u32_e64 v47, null, v49, v47, vcc_lo
	v_min_f32_e32 v54, v56, v55
	v_min3_f32 v52, v52, v54, v53
	global_store_dword v[46:47], v52, off
	s_or_b32 exec_lo, exec_lo, s12
	s_and_b32 s18, s3, s8
	s_and_saveexec_b32 s12, s18
	s_cbranch_execz .LBB58_255
.LBB58_271:
	v_cmp_ne_u32_e32 vcc_lo, 1, v123
	v_lshlrev_b64 v[46:47], 2, v[70:71]
	s_cbranch_vccnz .LBB58_273
; %bb.272:
	v_add_co_u32 v52, vcc_lo, v50, v46
	v_add_co_ci_u32_e64 v53, null, v51, v47, vcc_lo
	global_load_dword v52, v[52:53], off
	s_waitcnt vmcnt(0)
	v_mul_f32_e32 v52, s15, v52
	s_branch .LBB58_274
.LBB58_273:
	v_mov_b32_e32 v52, 0
.LBB58_274:
	v_add_f32_e32 v53, v23, v43
	v_add_f32_e32 v54, v22, v42
	;; [unrolled: 1-line block ×4, first 2 shown]
	v_add_co_u32 v46, vcc_lo, v48, v46
	v_min3_f32 v53, v54, v53, v102
	v_add_co_ci_u32_e64 v47, null, v49, v47, vcc_lo
	v_min_f32_e32 v54, v56, v55
	v_min3_f32 v52, v52, v54, v53
	global_store_dword v[46:47], v52, off
	s_or_b32 exec_lo, exec_lo, s12
	s_and_b32 s18, s4, s8
	s_and_saveexec_b32 s12, s18
	s_cbranch_execz .LBB58_256
.LBB58_275:
	v_cmp_ne_u32_e32 vcc_lo, 1, v123
	v_lshlrev_b64 v[46:47], 2, v[72:73]
	s_cbranch_vccnz .LBB58_277
; %bb.276:
	v_add_co_u32 v52, vcc_lo, v50, v46
	v_add_co_ci_u32_e64 v53, null, v51, v47, vcc_lo
	global_load_dword v52, v[52:53], off
	s_waitcnt vmcnt(0)
	v_mul_f32_e32 v52, s15, v52
	s_branch .LBB58_278
.LBB58_277:
	v_mov_b32_e32 v52, 0
.LBB58_278:
	v_add_f32_e32 v53, v19, v43
	v_add_f32_e32 v54, v18, v42
	v_add_f32_e32 v55, v21, v45
	v_add_f32_e32 v56, v20, v44
	v_add_co_u32 v46, vcc_lo, v48, v46
	v_min3_f32 v53, v54, v53, v101
	v_add_co_ci_u32_e64 v47, null, v49, v47, vcc_lo
	v_min_f32_e32 v54, v56, v55
	v_min3_f32 v52, v52, v54, v53
	global_store_dword v[46:47], v52, off
	s_or_b32 exec_lo, exec_lo, s12
	s_and_b32 s18, s5, s8
	s_and_saveexec_b32 s12, s18
	s_cbranch_execz .LBB58_257
.LBB58_279:
	v_cmp_ne_u32_e32 vcc_lo, 1, v123
	v_lshlrev_b64 v[46:47], 2, v[74:75]
	s_cbranch_vccnz .LBB58_281
; %bb.280:
	v_add_co_u32 v52, vcc_lo, v50, v46
	v_add_co_ci_u32_e64 v53, null, v51, v47, vcc_lo
	global_load_dword v52, v[52:53], off
	s_waitcnt vmcnt(0)
	v_mul_f32_e32 v52, s15, v52
	s_branch .LBB58_282
.LBB58_281:
	v_mov_b32_e32 v52, 0
.LBB58_282:
	v_add_f32_e32 v53, v15, v43
	v_add_f32_e32 v54, v14, v42
	;; [unrolled: 1-line block ×4, first 2 shown]
	v_add_co_u32 v46, vcc_lo, v48, v46
	v_min3_f32 v53, v54, v53, v100
	v_add_co_ci_u32_e64 v47, null, v49, v47, vcc_lo
	v_min_f32_e32 v54, v56, v55
	v_min3_f32 v52, v52, v54, v53
	global_store_dword v[46:47], v52, off
	s_or_b32 exec_lo, exec_lo, s12
	s_and_b32 s18, s6, s8
	s_and_saveexec_b32 s12, s18
	s_cbranch_execz .LBB58_258
.LBB58_283:
	v_cmp_ne_u32_e32 vcc_lo, 1, v123
	v_lshlrev_b64 v[46:47], 2, v[76:77]
	s_cbranch_vccnz .LBB58_285
; %bb.284:
	v_add_co_u32 v52, vcc_lo, v50, v46
	v_add_co_ci_u32_e64 v53, null, v51, v47, vcc_lo
	global_load_dword v52, v[52:53], off
	s_waitcnt vmcnt(0)
	v_mul_f32_e32 v52, s15, v52
	s_branch .LBB58_286
.LBB58_285:
	v_mov_b32_e32 v52, 0
.LBB58_286:
	v_add_f32_e32 v53, v11, v43
	v_add_f32_e32 v54, v10, v42
	;; [unrolled: 1-line block ×4, first 2 shown]
	v_add_co_u32 v46, vcc_lo, v48, v46
	v_min3_f32 v53, v54, v53, v99
	v_add_co_ci_u32_e64 v47, null, v49, v47, vcc_lo
	v_min_f32_e32 v54, v56, v55
	v_min3_f32 v52, v52, v54, v53
	global_store_dword v[46:47], v52, off
	s_or_b32 exec_lo, exec_lo, s12
	s_and_b32 s12, s7, s8
	s_and_saveexec_b32 s8, s12
	s_cbranch_execz .LBB58_291
.LBB58_287:
	v_cmp_ne_u32_e32 vcc_lo, 1, v123
	v_lshlrev_b64 v[46:47], 2, v[78:79]
	s_cbranch_vccnz .LBB58_289
; %bb.288:
	v_add_co_u32 v50, vcc_lo, v50, v46
	v_add_co_ci_u32_e64 v51, null, v51, v47, vcc_lo
	global_load_dword v50, v[50:51], off
	s_waitcnt vmcnt(0)
	v_mul_f32_e32 v50, s15, v50
	s_branch .LBB58_290
.LBB58_289:
	v_mov_b32_e32 v50, 0
.LBB58_290:
	v_add_f32_e32 v43, v3, v43
	v_add_f32_e32 v42, v2, v42
	;; [unrolled: 1-line block ×4, first 2 shown]
	v_min3_f32 v42, v42, v43, v98
	v_min_f32_e32 v43, v44, v45
	v_min3_f32 v44, v50, v43, v42
	v_add_co_u32 v42, vcc_lo, v48, v46
	v_add_co_ci_u32_e64 v43, null, v49, v47, vcc_lo
	global_store_dword v[42:43], v44, off
.LBB58_291:
	s_or_b32 exec_lo, exec_lo, s8
	v_add_nc_u32_e32 v46, 48, v133
	v_mad_i64_i32 v[42:43], null, v46, s14, 0
	v_mad_i64_i32 v[44:45], null, v46, s9, 0
	v_cmp_gt_i32_e64 s8, s13, v46
	v_lshlrev_b64 v[42:43], 2, v[42:43]
	s_and_b32 s18, s0, s8
	v_lshlrev_b64 v[44:45], 2, v[44:45]
	v_add_co_u32 v46, vcc_lo, s16, v42
	v_add_co_ci_u32_e64 v47, null, s17, v43, vcc_lo
	v_add_co_u32 v44, vcc_lo, s10, v44
	v_add_co_ci_u32_e64 v45, null, s11, v45, vcc_lo
	s_and_saveexec_b32 s12, s18
	s_cbranch_execnz .LBB58_299
; %bb.292:
	s_or_b32 exec_lo, exec_lo, s12
	s_and_b32 s18, s1, s8
	s_and_saveexec_b32 s12, s18
	s_cbranch_execnz .LBB58_303
.LBB58_293:
	s_or_b32 exec_lo, exec_lo, s12
	s_and_b32 s18, s2, s8
	s_and_saveexec_b32 s12, s18
	s_cbranch_execnz .LBB58_307
.LBB58_294:
	s_or_b32 exec_lo, exec_lo, s12
	s_and_b32 s18, s3, s8
	s_and_saveexec_b32 s12, s18
	s_cbranch_execnz .LBB58_311
.LBB58_295:
	s_or_b32 exec_lo, exec_lo, s12
	s_and_b32 s18, s4, s8
	s_and_saveexec_b32 s12, s18
	s_cbranch_execnz .LBB58_315
.LBB58_296:
	s_or_b32 exec_lo, exec_lo, s12
	s_and_b32 s18, s5, s8
	s_and_saveexec_b32 s12, s18
	s_cbranch_execnz .LBB58_319
.LBB58_297:
	s_or_b32 exec_lo, exec_lo, s12
	s_and_b32 s18, s6, s8
	s_and_saveexec_b32 s12, s18
	s_cbranch_execnz .LBB58_323
.LBB58_298:
	s_or_b32 exec_lo, exec_lo, s12
	s_and_b32 s12, s7, s8
	s_and_saveexec_b32 s8, s12
	s_cbranch_execnz .LBB58_327
	s_branch .LBB58_331
.LBB58_299:
	v_cmp_ne_u32_e32 vcc_lo, 1, v123
	v_lshlrev_b64 v[42:43], 2, v[0:1]
	s_cbranch_vccnz .LBB58_301
; %bb.300:
	v_add_co_u32 v48, vcc_lo, v46, v42
	v_add_co_ci_u32_e64 v49, null, v47, v43, vcc_lo
	global_load_dword v48, v[48:49], off
	s_waitcnt vmcnt(0)
	v_mul_f32_e32 v48, s15, v48
	s_branch .LBB58_302
.LBB58_301:
	v_mov_b32_e32 v48, 0
.LBB58_302:
	v_add_f32_e32 v49, v35, v39
	v_add_f32_e32 v50, v34, v38
	;; [unrolled: 1-line block ×4, first 2 shown]
	v_add_co_u32 v42, vcc_lo, v44, v42
	v_min3_f32 v49, v50, v49, v97
	v_add_co_ci_u32_e64 v43, null, v45, v43, vcc_lo
	v_min_f32_e32 v50, v52, v51
	v_min3_f32 v48, v48, v50, v49
	global_store_dword v[42:43], v48, off
	s_or_b32 exec_lo, exec_lo, s12
	s_and_b32 s18, s1, s8
	s_and_saveexec_b32 s12, s18
	s_cbranch_execz .LBB58_293
.LBB58_303:
	v_cmp_ne_u32_e32 vcc_lo, 1, v123
	v_lshlrev_b64 v[42:43], 2, v[66:67]
	s_cbranch_vccnz .LBB58_305
; %bb.304:
	v_add_co_u32 v48, vcc_lo, v46, v42
	v_add_co_ci_u32_e64 v49, null, v47, v43, vcc_lo
	global_load_dword v48, v[48:49], off
	s_waitcnt vmcnt(0)
	v_mul_f32_e32 v48, s15, v48
	s_branch .LBB58_306
.LBB58_305:
	v_mov_b32_e32 v48, 0
.LBB58_306:
	v_add_f32_e32 v49, v31, v39
	v_add_f32_e32 v50, v30, v38
	;; [unrolled: 1-line block ×4, first 2 shown]
	v_add_co_u32 v42, vcc_lo, v44, v42
	v_min3_f32 v49, v50, v49, v96
	v_add_co_ci_u32_e64 v43, null, v45, v43, vcc_lo
	v_min_f32_e32 v50, v52, v51
	v_min3_f32 v48, v48, v50, v49
	global_store_dword v[42:43], v48, off
	s_or_b32 exec_lo, exec_lo, s12
	s_and_b32 s18, s2, s8
	s_and_saveexec_b32 s12, s18
	s_cbranch_execz .LBB58_294
.LBB58_307:
	v_cmp_ne_u32_e32 vcc_lo, 1, v123
	v_lshlrev_b64 v[42:43], 2, v[68:69]
	s_cbranch_vccnz .LBB58_309
; %bb.308:
	v_add_co_u32 v48, vcc_lo, v46, v42
	v_add_co_ci_u32_e64 v49, null, v47, v43, vcc_lo
	global_load_dword v48, v[48:49], off
	s_waitcnt vmcnt(0)
	v_mul_f32_e32 v48, s15, v48
	s_branch .LBB58_310
.LBB58_309:
	v_mov_b32_e32 v48, 0
.LBB58_310:
	v_add_f32_e32 v49, v27, v39
	v_add_f32_e32 v50, v26, v38
	;; [unrolled: 1-line block ×4, first 2 shown]
	v_add_co_u32 v42, vcc_lo, v44, v42
	v_min3_f32 v49, v50, v49, v95
	v_add_co_ci_u32_e64 v43, null, v45, v43, vcc_lo
	v_min_f32_e32 v50, v52, v51
	v_min3_f32 v48, v48, v50, v49
	global_store_dword v[42:43], v48, off
	s_or_b32 exec_lo, exec_lo, s12
	s_and_b32 s18, s3, s8
	s_and_saveexec_b32 s12, s18
	s_cbranch_execz .LBB58_295
.LBB58_311:
	v_cmp_ne_u32_e32 vcc_lo, 1, v123
	v_lshlrev_b64 v[42:43], 2, v[70:71]
	s_cbranch_vccnz .LBB58_313
; %bb.312:
	v_add_co_u32 v48, vcc_lo, v46, v42
	v_add_co_ci_u32_e64 v49, null, v47, v43, vcc_lo
	global_load_dword v48, v[48:49], off
	s_waitcnt vmcnt(0)
	v_mul_f32_e32 v48, s15, v48
	s_branch .LBB58_314
.LBB58_313:
	v_mov_b32_e32 v48, 0
.LBB58_314:
	v_add_f32_e32 v49, v23, v39
	v_add_f32_e32 v50, v22, v38
	;; [unrolled: 1-line block ×4, first 2 shown]
	v_add_co_u32 v42, vcc_lo, v44, v42
	v_min3_f32 v49, v50, v49, v94
	v_add_co_ci_u32_e64 v43, null, v45, v43, vcc_lo
	v_min_f32_e32 v50, v52, v51
	v_min3_f32 v48, v48, v50, v49
	global_store_dword v[42:43], v48, off
	s_or_b32 exec_lo, exec_lo, s12
	s_and_b32 s18, s4, s8
	s_and_saveexec_b32 s12, s18
	s_cbranch_execz .LBB58_296
.LBB58_315:
	v_cmp_ne_u32_e32 vcc_lo, 1, v123
	v_lshlrev_b64 v[42:43], 2, v[72:73]
	s_cbranch_vccnz .LBB58_317
; %bb.316:
	v_add_co_u32 v48, vcc_lo, v46, v42
	v_add_co_ci_u32_e64 v49, null, v47, v43, vcc_lo
	global_load_dword v48, v[48:49], off
	s_waitcnt vmcnt(0)
	v_mul_f32_e32 v48, s15, v48
	s_branch .LBB58_318
.LBB58_317:
	v_mov_b32_e32 v48, 0
.LBB58_318:
	v_add_f32_e32 v49, v19, v39
	v_add_f32_e32 v50, v18, v38
	v_add_f32_e32 v51, v21, v41
	v_add_f32_e32 v52, v20, v40
	v_add_co_u32 v42, vcc_lo, v44, v42
	v_min3_f32 v49, v50, v49, v93
	v_add_co_ci_u32_e64 v43, null, v45, v43, vcc_lo
	v_min_f32_e32 v50, v52, v51
	v_min3_f32 v48, v48, v50, v49
	global_store_dword v[42:43], v48, off
	s_or_b32 exec_lo, exec_lo, s12
	s_and_b32 s18, s5, s8
	s_and_saveexec_b32 s12, s18
	s_cbranch_execz .LBB58_297
.LBB58_319:
	v_cmp_ne_u32_e32 vcc_lo, 1, v123
	v_lshlrev_b64 v[42:43], 2, v[74:75]
	s_cbranch_vccnz .LBB58_321
; %bb.320:
	v_add_co_u32 v48, vcc_lo, v46, v42
	v_add_co_ci_u32_e64 v49, null, v47, v43, vcc_lo
	global_load_dword v48, v[48:49], off
	s_waitcnt vmcnt(0)
	v_mul_f32_e32 v48, s15, v48
	s_branch .LBB58_322
.LBB58_321:
	v_mov_b32_e32 v48, 0
.LBB58_322:
	v_add_f32_e32 v49, v15, v39
	v_add_f32_e32 v50, v14, v38
	v_add_f32_e32 v51, v17, v41
	v_add_f32_e32 v52, v16, v40
	v_add_co_u32 v42, vcc_lo, v44, v42
	v_min3_f32 v49, v50, v49, v91
	v_add_co_ci_u32_e64 v43, null, v45, v43, vcc_lo
	v_min_f32_e32 v50, v52, v51
	v_min3_f32 v48, v48, v50, v49
	global_store_dword v[42:43], v48, off
	s_or_b32 exec_lo, exec_lo, s12
	s_and_b32 s18, s6, s8
	s_and_saveexec_b32 s12, s18
	s_cbranch_execz .LBB58_298
.LBB58_323:
	v_cmp_ne_u32_e32 vcc_lo, 1, v123
	v_lshlrev_b64 v[42:43], 2, v[76:77]
	s_cbranch_vccnz .LBB58_325
; %bb.324:
	v_add_co_u32 v48, vcc_lo, v46, v42
	v_add_co_ci_u32_e64 v49, null, v47, v43, vcc_lo
	global_load_dword v48, v[48:49], off
	s_waitcnt vmcnt(0)
	v_mul_f32_e32 v48, s15, v48
	s_branch .LBB58_326
.LBB58_325:
	v_mov_b32_e32 v48, 0
.LBB58_326:
	v_add_f32_e32 v49, v11, v39
	v_add_f32_e32 v50, v10, v38
	;; [unrolled: 1-line block ×4, first 2 shown]
	v_add_co_u32 v42, vcc_lo, v44, v42
	v_min3_f32 v49, v50, v49, v90
	v_add_co_ci_u32_e64 v43, null, v45, v43, vcc_lo
	v_min_f32_e32 v50, v52, v51
	v_min3_f32 v48, v48, v50, v49
	global_store_dword v[42:43], v48, off
	s_or_b32 exec_lo, exec_lo, s12
	s_and_b32 s12, s7, s8
	s_and_saveexec_b32 s8, s12
	s_cbranch_execz .LBB58_331
.LBB58_327:
	v_cmp_ne_u32_e32 vcc_lo, 1, v123
	v_lshlrev_b64 v[42:43], 2, v[78:79]
	s_cbranch_vccnz .LBB58_329
; %bb.328:
	v_add_co_u32 v46, vcc_lo, v46, v42
	v_add_co_ci_u32_e64 v47, null, v47, v43, vcc_lo
	global_load_dword v46, v[46:47], off
	s_waitcnt vmcnt(0)
	v_mul_f32_e32 v46, s15, v46
	s_branch .LBB58_330
.LBB58_329:
	v_mov_b32_e32 v46, 0
.LBB58_330:
	v_add_f32_e32 v39, v3, v39
	v_add_f32_e32 v38, v2, v38
	;; [unrolled: 1-line block ×4, first 2 shown]
	v_min3_f32 v38, v38, v39, v89
	v_min_f32_e32 v39, v40, v41
	v_min3_f32 v40, v46, v39, v38
	v_add_co_u32 v38, vcc_lo, v44, v42
	v_add_co_ci_u32_e64 v39, null, v45, v43, vcc_lo
	global_store_dword v[38:39], v40, off
.LBB58_331:
	s_or_b32 exec_lo, exec_lo, s8
	v_add_nc_u32_e32 v42, 56, v133
	v_mad_i64_i32 v[38:39], null, v42, s14, 0
	v_mad_i64_i32 v[40:41], null, v42, s9, 0
	v_cmp_gt_i32_e64 s8, s13, v42
	v_lshlrev_b64 v[38:39], 2, v[38:39]
	s_and_b32 s9, s0, s8
	v_lshlrev_b64 v[42:43], 2, v[40:41]
	v_add_co_u32 v40, vcc_lo, s16, v38
	v_add_co_ci_u32_e64 v41, null, s17, v39, vcc_lo
	v_add_co_u32 v38, vcc_lo, s10, v42
	v_add_co_ci_u32_e64 v39, null, s11, v43, vcc_lo
	s_and_saveexec_b32 s0, s9
	s_cbranch_execnz .LBB58_340
; %bb.332:
	s_or_b32 exec_lo, exec_lo, s0
	s_and_b32 s1, s1, s8
	s_and_saveexec_b32 s0, s1
	s_cbranch_execnz .LBB58_344
.LBB58_333:
	s_or_b32 exec_lo, exec_lo, s0
	s_and_b32 s1, s2, s8
	s_and_saveexec_b32 s0, s1
	s_cbranch_execnz .LBB58_348
.LBB58_334:
	s_or_b32 exec_lo, exec_lo, s0
	s_and_b32 s1, s3, s8
	s_and_saveexec_b32 s0, s1
	s_cbranch_execnz .LBB58_352
.LBB58_335:
	s_or_b32 exec_lo, exec_lo, s0
	s_and_b32 s1, s4, s8
	s_and_saveexec_b32 s0, s1
	s_cbranch_execnz .LBB58_356
.LBB58_336:
	s_or_b32 exec_lo, exec_lo, s0
	s_and_b32 s1, s5, s8
	s_and_saveexec_b32 s0, s1
	s_cbranch_execnz .LBB58_360
.LBB58_337:
	s_or_b32 exec_lo, exec_lo, s0
	s_and_b32 s1, s6, s8
	s_and_saveexec_b32 s0, s1
	s_cbranch_execnz .LBB58_364
.LBB58_338:
	s_or_b32 exec_lo, exec_lo, s0
	s_and_b32 s0, s7, s8
	s_and_saveexec_b32 s1, s0
	s_cbranch_execnz .LBB58_368
.LBB58_339:
	s_endpgm
.LBB58_340:
	v_cmp_ne_u32_e32 vcc_lo, 1, v123
	v_lshlrev_b64 v[0:1], 2, v[0:1]
	s_cbranch_vccnz .LBB58_342
; %bb.341:
	v_add_co_u32 v42, vcc_lo, v40, v0
	v_add_co_ci_u32_e64 v43, null, v41, v1, vcc_lo
	global_load_dword v42, v[42:43], off
	s_waitcnt vmcnt(0)
	v_mul_f32_e32 v42, s15, v42
	s_branch .LBB58_343
.LBB58_342:
	v_mov_b32_e32 v42, 0
.LBB58_343:
	v_add_f32_e32 v35, v35, v7
	v_add_f32_e32 v34, v34, v6
	;; [unrolled: 1-line block ×4, first 2 shown]
	v_add_co_u32 v0, vcc_lo, v38, v0
	v_min3_f32 v34, v34, v35, v88
	v_add_co_ci_u32_e64 v1, null, v39, v1, vcc_lo
	v_min_f32_e32 v35, v36, v37
	v_min3_f32 v34, v42, v35, v34
	global_store_dword v[0:1], v34, off
	s_or_b32 exec_lo, exec_lo, s0
	s_and_b32 s1, s1, s8
	s_and_saveexec_b32 s0, s1
	s_cbranch_execz .LBB58_333
.LBB58_344:
	v_cmp_ne_u32_e32 vcc_lo, 1, v123
	v_lshlrev_b64 v[0:1], 2, v[66:67]
	s_cbranch_vccnz .LBB58_346
; %bb.345:
	v_add_co_u32 v34, vcc_lo, v40, v0
	v_add_co_ci_u32_e64 v35, null, v41, v1, vcc_lo
	global_load_dword v34, v[34:35], off
	s_waitcnt vmcnt(0)
	v_mul_f32_e32 v34, s15, v34
	s_branch .LBB58_347
.LBB58_346:
	v_mov_b32_e32 v34, 0
.LBB58_347:
	v_add_f32_e32 v31, v31, v7
	v_add_f32_e32 v30, v30, v6
	;; [unrolled: 1-line block ×4, first 2 shown]
	v_add_co_u32 v0, vcc_lo, v38, v0
	v_min3_f32 v30, v30, v31, v87
	v_add_co_ci_u32_e64 v1, null, v39, v1, vcc_lo
	v_min_f32_e32 v31, v32, v33
	v_min3_f32 v30, v34, v31, v30
	global_store_dword v[0:1], v30, off
	s_or_b32 exec_lo, exec_lo, s0
	s_and_b32 s1, s2, s8
	s_and_saveexec_b32 s0, s1
	s_cbranch_execz .LBB58_334
.LBB58_348:
	v_cmp_ne_u32_e32 vcc_lo, 1, v123
	v_lshlrev_b64 v[0:1], 2, v[68:69]
	s_cbranch_vccnz .LBB58_350
; %bb.349:
	v_add_co_u32 v30, vcc_lo, v40, v0
	v_add_co_ci_u32_e64 v31, null, v41, v1, vcc_lo
	global_load_dword v30, v[30:31], off
	s_waitcnt vmcnt(0)
	v_mul_f32_e32 v30, s15, v30
	s_branch .LBB58_351
.LBB58_350:
	v_mov_b32_e32 v30, 0
.LBB58_351:
	v_add_f32_e32 v27, v27, v7
	v_add_f32_e32 v26, v26, v6
	;; [unrolled: 1-line block ×4, first 2 shown]
	v_add_co_u32 v0, vcc_lo, v38, v0
	v_min3_f32 v26, v26, v27, v86
	v_add_co_ci_u32_e64 v1, null, v39, v1, vcc_lo
	v_min_f32_e32 v27, v28, v29
	v_min3_f32 v26, v30, v27, v26
	global_store_dword v[0:1], v26, off
	s_or_b32 exec_lo, exec_lo, s0
	s_and_b32 s1, s3, s8
	s_and_saveexec_b32 s0, s1
	s_cbranch_execz .LBB58_335
.LBB58_352:
	v_cmp_ne_u32_e32 vcc_lo, 1, v123
	v_lshlrev_b64 v[0:1], 2, v[70:71]
	s_cbranch_vccnz .LBB58_354
; %bb.353:
	v_add_co_u32 v26, vcc_lo, v40, v0
	v_add_co_ci_u32_e64 v27, null, v41, v1, vcc_lo
	global_load_dword v26, v[26:27], off
	s_waitcnt vmcnt(0)
	v_mul_f32_e32 v26, s15, v26
	s_branch .LBB58_355
.LBB58_354:
	v_mov_b32_e32 v26, 0
.LBB58_355:
	v_add_f32_e32 v23, v23, v7
	v_add_f32_e32 v22, v22, v6
	;; [unrolled: 1-line block ×4, first 2 shown]
	v_add_co_u32 v0, vcc_lo, v38, v0
	v_min3_f32 v22, v22, v23, v85
	v_add_co_ci_u32_e64 v1, null, v39, v1, vcc_lo
	v_min_f32_e32 v23, v24, v25
	v_min3_f32 v22, v26, v23, v22
	global_store_dword v[0:1], v22, off
	s_or_b32 exec_lo, exec_lo, s0
	s_and_b32 s1, s4, s8
	s_and_saveexec_b32 s0, s1
	s_cbranch_execz .LBB58_336
.LBB58_356:
	v_cmp_ne_u32_e32 vcc_lo, 1, v123
	v_lshlrev_b64 v[0:1], 2, v[72:73]
	s_cbranch_vccnz .LBB58_358
; %bb.357:
	v_add_co_u32 v22, vcc_lo, v40, v0
	v_add_co_ci_u32_e64 v23, null, v41, v1, vcc_lo
	global_load_dword v22, v[22:23], off
	s_waitcnt vmcnt(0)
	v_mul_f32_e32 v22, s15, v22
	s_branch .LBB58_359
.LBB58_358:
	v_mov_b32_e32 v22, 0
.LBB58_359:
	v_add_f32_e32 v19, v19, v7
	v_add_f32_e32 v18, v18, v6
	;; [unrolled: 1-line block ×4, first 2 shown]
	v_add_co_u32 v0, vcc_lo, v38, v0
	v_min3_f32 v18, v18, v19, v84
	v_add_co_ci_u32_e64 v1, null, v39, v1, vcc_lo
	v_min_f32_e32 v19, v20, v21
	v_min3_f32 v18, v22, v19, v18
	global_store_dword v[0:1], v18, off
	s_or_b32 exec_lo, exec_lo, s0
	s_and_b32 s1, s5, s8
	s_and_saveexec_b32 s0, s1
	s_cbranch_execz .LBB58_337
.LBB58_360:
	v_cmp_ne_u32_e32 vcc_lo, 1, v123
	v_lshlrev_b64 v[0:1], 2, v[74:75]
	s_cbranch_vccnz .LBB58_362
; %bb.361:
	v_add_co_u32 v18, vcc_lo, v40, v0
	v_add_co_ci_u32_e64 v19, null, v41, v1, vcc_lo
	global_load_dword v18, v[18:19], off
	s_waitcnt vmcnt(0)
	v_mul_f32_e32 v18, s15, v18
	s_branch .LBB58_363
.LBB58_362:
	v_mov_b32_e32 v18, 0
.LBB58_363:
	v_add_f32_e32 v15, v15, v7
	v_add_f32_e32 v14, v14, v6
	;; [unrolled: 1-line block ×4, first 2 shown]
	v_add_co_u32 v0, vcc_lo, v38, v0
	v_min3_f32 v14, v14, v15, v83
	v_add_co_ci_u32_e64 v1, null, v39, v1, vcc_lo
	v_min_f32_e32 v15, v16, v17
	v_min3_f32 v14, v18, v15, v14
	global_store_dword v[0:1], v14, off
	s_or_b32 exec_lo, exec_lo, s0
	s_and_b32 s1, s6, s8
	s_and_saveexec_b32 s0, s1
	s_cbranch_execz .LBB58_338
.LBB58_364:
	v_cmp_ne_u32_e32 vcc_lo, 1, v123
	v_lshlrev_b64 v[0:1], 2, v[76:77]
	s_cbranch_vccnz .LBB58_366
; %bb.365:
	v_add_co_u32 v14, vcc_lo, v40, v0
	v_add_co_ci_u32_e64 v15, null, v41, v1, vcc_lo
	global_load_dword v14, v[14:15], off
	s_waitcnt vmcnt(0)
	v_mul_f32_e32 v14, s15, v14
	s_branch .LBB58_367
.LBB58_366:
	v_mov_b32_e32 v14, 0
.LBB58_367:
	v_add_f32_e32 v11, v11, v7
	v_add_f32_e32 v10, v10, v6
	;; [unrolled: 1-line block ×4, first 2 shown]
	v_add_co_u32 v0, vcc_lo, v38, v0
	v_min3_f32 v10, v10, v11, v82
	v_add_co_ci_u32_e64 v1, null, v39, v1, vcc_lo
	v_min_f32_e32 v11, v12, v13
	v_min3_f32 v10, v14, v11, v10
	global_store_dword v[0:1], v10, off
	s_or_b32 exec_lo, exec_lo, s0
	s_and_b32 s0, s7, s8
	s_and_saveexec_b32 s1, s0
	s_cbranch_execz .LBB58_339
.LBB58_368:
	v_cmp_ne_u32_e32 vcc_lo, 1, v123
	v_lshlrev_b64 v[0:1], 2, v[78:79]
	s_cbranch_vccnz .LBB58_370
; %bb.369:
	v_add_co_u32 v10, vcc_lo, v40, v0
	v_add_co_ci_u32_e64 v11, null, v41, v1, vcc_lo
	global_load_dword v10, v[10:11], off
	s_waitcnt vmcnt(0)
	v_mul_f32_e32 v10, s15, v10
	s_branch .LBB58_371
.LBB58_370:
	v_mov_b32_e32 v10, 0
.LBB58_371:
	v_add_f32_e32 v3, v3, v7
	v_add_f32_e32 v2, v2, v6
	;; [unrolled: 1-line block ×4, first 2 shown]
	v_add_co_u32 v0, vcc_lo, v38, v0
	v_min3_f32 v2, v2, v3, v92
	v_add_co_ci_u32_e64 v1, null, v39, v1, vcc_lo
	v_min_f32_e32 v3, v4, v5
	v_min3_f32 v2, v10, v3, v2
	global_store_dword v[0:1], v2, off
	s_endpgm
	.section	.rodata,"a",@progbits
	.p2align	6, 0x0
	.amdhsa_kernel _ZN12_GLOBAL__N_120geam_min_plus_kernelIf15HIP_vector_typeIfLj2EEfLi32ELi8ELi256ELi64ELi4ELi64ELi4ELi4ELi64ELc78ELc78ELb1ELb1ELb1EfKffEEviiiT16_PT17_ilS6_ilS4_S6_ilPT18_ili26rocblas_geam_ex_operation_
		.amdhsa_group_segment_fixed_size 10240
		.amdhsa_private_segment_fixed_size 0
		.amdhsa_kernarg_size 128
		.amdhsa_user_sgpr_count 6
		.amdhsa_user_sgpr_private_segment_buffer 1
		.amdhsa_user_sgpr_dispatch_ptr 0
		.amdhsa_user_sgpr_queue_ptr 0
		.amdhsa_user_sgpr_kernarg_segment_ptr 1
		.amdhsa_user_sgpr_dispatch_id 0
		.amdhsa_user_sgpr_flat_scratch_init 0
		.amdhsa_user_sgpr_private_segment_size 0
		.amdhsa_wavefront_size32 1
		.amdhsa_uses_dynamic_stack 0
		.amdhsa_system_sgpr_private_segment_wavefront_offset 0
		.amdhsa_system_sgpr_workgroup_id_x 1
		.amdhsa_system_sgpr_workgroup_id_y 0
		.amdhsa_system_sgpr_workgroup_id_z 1
		.amdhsa_system_sgpr_workgroup_info 0
		.amdhsa_system_vgpr_workitem_id 1
		.amdhsa_next_free_vgpr 157
		.amdhsa_next_free_sgpr 28
		.amdhsa_reserve_vcc 1
		.amdhsa_reserve_flat_scratch 0
		.amdhsa_float_round_mode_32 0
		.amdhsa_float_round_mode_16_64 0
		.amdhsa_float_denorm_mode_32 3
		.amdhsa_float_denorm_mode_16_64 3
		.amdhsa_dx10_clamp 1
		.amdhsa_ieee_mode 1
		.amdhsa_fp16_overflow 0
		.amdhsa_workgroup_processor_mode 1
		.amdhsa_memory_ordered 1
		.amdhsa_forward_progress 1
		.amdhsa_shared_vgpr_count 0
		.amdhsa_exception_fp_ieee_invalid_op 0
		.amdhsa_exception_fp_denorm_src 0
		.amdhsa_exception_fp_ieee_div_zero 0
		.amdhsa_exception_fp_ieee_overflow 0
		.amdhsa_exception_fp_ieee_underflow 0
		.amdhsa_exception_fp_ieee_inexact 0
		.amdhsa_exception_int_div_zero 0
	.end_amdhsa_kernel
	.section	.text._ZN12_GLOBAL__N_120geam_min_plus_kernelIf15HIP_vector_typeIfLj2EEfLi32ELi8ELi256ELi64ELi4ELi64ELi4ELi4ELi64ELc78ELc78ELb1ELb1ELb1EfKffEEviiiT16_PT17_ilS6_ilS4_S6_ilPT18_ili26rocblas_geam_ex_operation_,"axG",@progbits,_ZN12_GLOBAL__N_120geam_min_plus_kernelIf15HIP_vector_typeIfLj2EEfLi32ELi8ELi256ELi64ELi4ELi64ELi4ELi4ELi64ELc78ELc78ELb1ELb1ELb1EfKffEEviiiT16_PT17_ilS6_ilS4_S6_ilPT18_ili26rocblas_geam_ex_operation_,comdat
.Lfunc_end58:
	.size	_ZN12_GLOBAL__N_120geam_min_plus_kernelIf15HIP_vector_typeIfLj2EEfLi32ELi8ELi256ELi64ELi4ELi64ELi4ELi4ELi64ELc78ELc78ELb1ELb1ELb1EfKffEEviiiT16_PT17_ilS6_ilS4_S6_ilPT18_ili26rocblas_geam_ex_operation_, .Lfunc_end58-_ZN12_GLOBAL__N_120geam_min_plus_kernelIf15HIP_vector_typeIfLj2EEfLi32ELi8ELi256ELi64ELi4ELi64ELi4ELi4ELi64ELc78ELc78ELb1ELb1ELb1EfKffEEviiiT16_PT17_ilS6_ilS4_S6_ilPT18_ili26rocblas_geam_ex_operation_
                                        ; -- End function
	.set _ZN12_GLOBAL__N_120geam_min_plus_kernelIf15HIP_vector_typeIfLj2EEfLi32ELi8ELi256ELi64ELi4ELi64ELi4ELi4ELi64ELc78ELc78ELb1ELb1ELb1EfKffEEviiiT16_PT17_ilS6_ilS4_S6_ilPT18_ili26rocblas_geam_ex_operation_.num_vgpr, 157
	.set _ZN12_GLOBAL__N_120geam_min_plus_kernelIf15HIP_vector_typeIfLj2EEfLi32ELi8ELi256ELi64ELi4ELi64ELi4ELi4ELi64ELc78ELc78ELb1ELb1ELb1EfKffEEviiiT16_PT17_ilS6_ilS4_S6_ilPT18_ili26rocblas_geam_ex_operation_.num_agpr, 0
	.set _ZN12_GLOBAL__N_120geam_min_plus_kernelIf15HIP_vector_typeIfLj2EEfLi32ELi8ELi256ELi64ELi4ELi64ELi4ELi4ELi64ELc78ELc78ELb1ELb1ELb1EfKffEEviiiT16_PT17_ilS6_ilS4_S6_ilPT18_ili26rocblas_geam_ex_operation_.numbered_sgpr, 28
	.set _ZN12_GLOBAL__N_120geam_min_plus_kernelIf15HIP_vector_typeIfLj2EEfLi32ELi8ELi256ELi64ELi4ELi64ELi4ELi4ELi64ELc78ELc78ELb1ELb1ELb1EfKffEEviiiT16_PT17_ilS6_ilS4_S6_ilPT18_ili26rocblas_geam_ex_operation_.num_named_barrier, 0
	.set _ZN12_GLOBAL__N_120geam_min_plus_kernelIf15HIP_vector_typeIfLj2EEfLi32ELi8ELi256ELi64ELi4ELi64ELi4ELi4ELi64ELc78ELc78ELb1ELb1ELb1EfKffEEviiiT16_PT17_ilS6_ilS4_S6_ilPT18_ili26rocblas_geam_ex_operation_.private_seg_size, 0
	.set _ZN12_GLOBAL__N_120geam_min_plus_kernelIf15HIP_vector_typeIfLj2EEfLi32ELi8ELi256ELi64ELi4ELi64ELi4ELi4ELi64ELc78ELc78ELb1ELb1ELb1EfKffEEviiiT16_PT17_ilS6_ilS4_S6_ilPT18_ili26rocblas_geam_ex_operation_.uses_vcc, 1
	.set _ZN12_GLOBAL__N_120geam_min_plus_kernelIf15HIP_vector_typeIfLj2EEfLi32ELi8ELi256ELi64ELi4ELi64ELi4ELi4ELi64ELc78ELc78ELb1ELb1ELb1EfKffEEviiiT16_PT17_ilS6_ilS4_S6_ilPT18_ili26rocblas_geam_ex_operation_.uses_flat_scratch, 0
	.set _ZN12_GLOBAL__N_120geam_min_plus_kernelIf15HIP_vector_typeIfLj2EEfLi32ELi8ELi256ELi64ELi4ELi64ELi4ELi4ELi64ELc78ELc78ELb1ELb1ELb1EfKffEEviiiT16_PT17_ilS6_ilS4_S6_ilPT18_ili26rocblas_geam_ex_operation_.has_dyn_sized_stack, 0
	.set _ZN12_GLOBAL__N_120geam_min_plus_kernelIf15HIP_vector_typeIfLj2EEfLi32ELi8ELi256ELi64ELi4ELi64ELi4ELi4ELi64ELc78ELc78ELb1ELb1ELb1EfKffEEviiiT16_PT17_ilS6_ilS4_S6_ilPT18_ili26rocblas_geam_ex_operation_.has_recursion, 0
	.set _ZN12_GLOBAL__N_120geam_min_plus_kernelIf15HIP_vector_typeIfLj2EEfLi32ELi8ELi256ELi64ELi4ELi64ELi4ELi4ELi64ELc78ELc78ELb1ELb1ELb1EfKffEEviiiT16_PT17_ilS6_ilS4_S6_ilPT18_ili26rocblas_geam_ex_operation_.has_indirect_call, 0
	.section	.AMDGPU.csdata,"",@progbits
; Kernel info:
; codeLenInByte = 19224
; TotalNumSgprs: 30
; NumVgprs: 157
; ScratchSize: 0
; MemoryBound: 0
; FloatMode: 240
; IeeeMode: 1
; LDSByteSize: 10240 bytes/workgroup (compile time only)
; SGPRBlocks: 0
; VGPRBlocks: 19
; NumSGPRsForWavesPerEU: 30
; NumVGPRsForWavesPerEU: 157
; Occupancy: 6
; WaveLimiterHint : 0
; COMPUTE_PGM_RSRC2:SCRATCH_EN: 0
; COMPUTE_PGM_RSRC2:USER_SGPR: 6
; COMPUTE_PGM_RSRC2:TRAP_HANDLER: 0
; COMPUTE_PGM_RSRC2:TGID_X_EN: 1
; COMPUTE_PGM_RSRC2:TGID_Y_EN: 0
; COMPUTE_PGM_RSRC2:TGID_Z_EN: 1
; COMPUTE_PGM_RSRC2:TIDIG_COMP_CNT: 1
	.section	.text._ZN12_GLOBAL__N_120geam_min_plus_kernelIf15HIP_vector_typeIfLj2EEfLi32ELi8ELi256ELi64ELi4ELi64ELi4ELi4ELi64ELc78ELc78ELb0ELb1ELb1EfKffEEviiiT16_PT17_ilS6_ilS4_S6_ilPT18_ili26rocblas_geam_ex_operation_,"axG",@progbits,_ZN12_GLOBAL__N_120geam_min_plus_kernelIf15HIP_vector_typeIfLj2EEfLi32ELi8ELi256ELi64ELi4ELi64ELi4ELi4ELi64ELc78ELc78ELb0ELb1ELb1EfKffEEviiiT16_PT17_ilS6_ilS4_S6_ilPT18_ili26rocblas_geam_ex_operation_,comdat
	.globl	_ZN12_GLOBAL__N_120geam_min_plus_kernelIf15HIP_vector_typeIfLj2EEfLi32ELi8ELi256ELi64ELi4ELi64ELi4ELi4ELi64ELc78ELc78ELb0ELb1ELb1EfKffEEviiiT16_PT17_ilS6_ilS4_S6_ilPT18_ili26rocblas_geam_ex_operation_ ; -- Begin function _ZN12_GLOBAL__N_120geam_min_plus_kernelIf15HIP_vector_typeIfLj2EEfLi32ELi8ELi256ELi64ELi4ELi64ELi4ELi4ELi64ELc78ELc78ELb0ELb1ELb1EfKffEEviiiT16_PT17_ilS6_ilS4_S6_ilPT18_ili26rocblas_geam_ex_operation_
	.p2align	8
	.type	_ZN12_GLOBAL__N_120geam_min_plus_kernelIf15HIP_vector_typeIfLj2EEfLi32ELi8ELi256ELi64ELi4ELi64ELi4ELi4ELi64ELc78ELc78ELb0ELb1ELb1EfKffEEviiiT16_PT17_ilS6_ilS4_S6_ilPT18_ili26rocblas_geam_ex_operation_,@function
_ZN12_GLOBAL__N_120geam_min_plus_kernelIf15HIP_vector_typeIfLj2EEfLi32ELi8ELi256ELi64ELi4ELi64ELi4ELi4ELi64ELc78ELc78ELb0ELb1ELb1EfKffEEviiiT16_PT17_ilS6_ilS4_S6_ilPT18_ili26rocblas_geam_ex_operation_: ; @_ZN12_GLOBAL__N_120geam_min_plus_kernelIf15HIP_vector_typeIfLj2EEfLi32ELi8ELi256ELi64ELi4ELi64ELi4ELi4ELi64ELc78ELc78ELb0ELb1ELb1EfKffEEviiiT16_PT17_ilS6_ilS4_S6_ilPT18_ili26rocblas_geam_ex_operation_
; %bb.0:
	s_clause 0x1
	s_load_dwordx4 s[12:15], s[4:5], 0x0
	s_load_dwordx4 s[0:3], s[4:5], 0x20
	s_waitcnt lgkmcnt(0)
	v_cmp_eq_f32_e64 s8, s15, 0
	s_and_b32 vcc_lo, exec_lo, s8
	s_cbranch_vccnz .LBB59_53
; %bb.1:
	s_load_dwordx2 s[10:11], s[4:5], 0x10
	s_mul_i32 s1, s1, s7
	s_mul_hi_u32 s9, s0, s7
	s_mul_i32 s0, s0, s7
	s_add_i32 s1, s9, s1
	s_lshl_b64 s[0:1], s[0:1], 2
	s_waitcnt lgkmcnt(0)
	s_add_u32 s18, s10, s0
	s_addc_u32 s19, s11, s1
	s_andn2_b32 vcc_lo, exec_lo, s8
	s_mov_b32 s0, -1
	s_cbranch_vccnz .LBB59_3
.LBB59_2:
	s_mov_b32 s0, 0
.LBB59_3:
	s_mov_b64 s[16:17], 0
	s_andn2_b32 vcc_lo, exec_lo, s0
	s_mov_b64 s[20:21], 0
	s_cbranch_vccnz .LBB59_5
; %bb.4:
	s_load_dwordx2 s[0:1], s[4:5], 0x38
	s_waitcnt lgkmcnt(0)
	s_mul_i32 s1, s1, s7
	s_mul_hi_u32 s8, s0, s7
	s_mul_i32 s0, s0, s7
	s_add_i32 s1, s8, s1
	s_lshl_b64 s[0:1], s[0:1], 2
	s_add_u32 s20, s2, s0
	s_addc_u32 s21, s3, s1
.LBB59_5:
	s_clause 0x1
	s_load_dword s22, s[4:5], 0x40
	s_load_dwordx4 s[8:11], s[4:5], 0x58
	s_waitcnt lgkmcnt(0)
	v_cmp_eq_f32_e64 s0, s22, 0
	v_cmp_neq_f32_e64 s23, s22, 0
	s_and_b32 vcc_lo, exec_lo, s0
	s_cbranch_vccnz .LBB59_7
; %bb.6:
	s_load_dwordx2 s[0:1], s[4:5], 0x48
	s_mul_i32 s2, s9, s7
	s_mul_hi_u32 s3, s8, s7
	s_add_i32 s3, s3, s2
	s_mul_i32 s2, s8, s7
	s_lshl_b64 s[2:3], s[2:3], 2
	s_waitcnt lgkmcnt(0)
	s_add_u32 s16, s0, s2
	s_addc_u32 s17, s1, s3
.LBB59_7:
	s_add_i32 s0, s12, -1
	s_load_dword s25, s[4:5], 0x18
	s_ashr_i32 s1, s0, 31
	v_lshl_add_u32 v7, v1, 5, v0
	s_lshr_b32 s1, s1, 24
	v_cmp_eq_f32_e64 s27, s15, 0
	s_add_i32 s0, s0, s1
	v_lshrrev_b32_e32 v70, 6, v7
	s_ashr_i32 s0, s0, 8
	s_add_i32 s1, s0, 1
	s_not_b32 s0, s0
	v_cvt_f32_u32_e32 v2, s1
	v_rcp_iflag_f32_e32 v2, v2
	v_mul_f32_e32 v2, 0x4f7ffffe, v2
	v_cvt_u32_f32_e32 v2, v2
	v_readfirstlane_b32 s2, v2
	v_and_b32_e32 v2, 63, v7
	s_mul_i32 s0, s0, s2
	s_mul_hi_u32 s0, s2, s0
	s_add_i32 s2, s2, s0
	s_mul_hi_u32 s0, s6, s2
	s_mul_i32 s2, s0, s1
	s_add_i32 s3, s0, 1
	s_sub_i32 s2, s6, s2
	s_sub_i32 s8, s2, s1
	s_cmp_ge_u32 s2, s1
	s_cselect_b32 s0, s3, s0
	s_cselect_b32 s2, s8, s2
	s_add_i32 s3, s0, 1
	s_cmp_ge_u32 s2, s1
	s_cselect_b32 s8, s3, s0
	s_add_i32 s26, s14, -1
	s_mul_i32 s0, s8, s1
	v_min_i32_e32 v3, s26, v70
	s_sub_i32 s0, s6, s0
	v_cmp_le_i32_e64 s3, s14, v70
	s_lshl_b32 s9, s0, 8
	s_waitcnt lgkmcnt(0)
	v_mad_i64_i32 v[3:4], null, s25, v3, 0
	v_or_b32_e32 v66, s9, v2
	v_cmp_le_i32_e32 vcc_lo, s12, v66
	v_lshlrev_b64 v[4:5], 2, v[3:4]
	v_ashrrev_i32_e32 v67, 31, v66
	s_or_b32 s1, vcc_lo, s3
	v_add_co_u32 v8, s0, s18, v4
	v_cndmask_b32_e64 v3, 0, 0x7f7fffff, s1
	v_add_co_ci_u32_e64 v9, null, s19, v5, s0
	s_nor_b32 s0, s27, s1
	s_and_saveexec_b32 s1, s0
	s_cbranch_execz .LBB59_9
; %bb.8:
	v_lshlrev_b64 v[3:4], 2, v[66:67]
	v_add_co_u32 v3, s0, v8, v3
	v_add_co_ci_u32_e64 v4, null, v9, v4, s0
	global_load_dword v3, v[3:4], off
	s_waitcnt vmcnt(0)
	v_mul_f32_e32 v3, s15, v3
.LBB59_9:
	s_or_b32 exec_lo, exec_lo, s1
	v_or_b32_e32 v4, 64, v66
	v_cmp_le_i32_e64 s0, s12, v4
	s_or_b32 s1, s0, s3
	v_cndmask_b32_e64 v4, 0, 0x7f7fffff, s1
	s_nor_b32 s1, s27, s1
	s_and_saveexec_b32 s2, s1
	s_cbranch_execz .LBB59_11
; %bb.10:
	v_lshlrev_b64 v[4:5], 2, v[66:67]
	v_add_co_u32 v4, s1, v8, v4
	v_add_co_ci_u32_e64 v5, null, v9, v5, s1
	global_load_dword v4, v[4:5], off offset:256
	s_waitcnt vmcnt(0)
	v_mul_f32_e32 v4, s15, v4
.LBB59_11:
	s_or_b32 exec_lo, exec_lo, s2
	v_or_b32_e32 v5, 0x80, v66
	v_cmp_le_i32_e64 s1, s12, v5
	s_or_b32 s2, s1, s3
	v_cndmask_b32_e64 v5, 0, 0x7f7fffff, s2
	s_nor_b32 s2, s27, s2
	s_and_saveexec_b32 s6, s2
	s_cbranch_execz .LBB59_13
; %bb.12:
	v_lshlrev_b64 v[5:6], 2, v[66:67]
	v_add_co_u32 v5, s2, v8, v5
	v_add_co_ci_u32_e64 v6, null, v9, v6, s2
	global_load_dword v5, v[5:6], off offset:512
	s_waitcnt vmcnt(0)
	v_mul_f32_e32 v5, s15, v5
.LBB59_13:
	;; [unrolled: 16-line block ×3, first 2 shown]
	s_or_b32 exec_lo, exec_lo, s6
	v_lshrrev_b32_e32 v7, 2, v7
	s_load_dword s28, s[4:5], 0x30
	s_lshl_b32 s24, s8, 6
	v_and_b32_e32 v73, 3, v0
	v_add_nc_u32_e32 v68, s24, v7
	v_cmp_le_i32_e64 s6, s14, v73
	v_cmp_le_i32_e64 s3, s13, v68
	s_or_b32 s6, s6, s3
	v_cndmask_b32_e64 v8, 0, 0x7f7fffff, s6
	s_nor_b32 s6, s27, s6
	s_and_saveexec_b32 s8, s6
	s_cbranch_execz .LBB59_17
; %bb.16:
	s_waitcnt lgkmcnt(0)
	v_mad_i64_i32 v[8:9], null, v68, s28, 0
	v_min_u32_e32 v10, s26, v73
	v_lshlrev_b32_e32 v10, 2, v10
	v_lshlrev_b64 v[8:9], 2, v[8:9]
	v_add_co_u32 v8, s6, s20, v8
	v_add_co_ci_u32_e64 v9, null, s21, v9, s6
	v_add_co_u32 v8, s6, v8, v10
	v_add_co_ci_u32_e64 v9, null, 0, v9, s6
	global_load_dword v8, v[8:9], off
	s_waitcnt vmcnt(0)
	v_mul_f32_e32 v8, s15, v8
.LBB59_17:
	s_or_b32 exec_lo, exec_lo, s8
	v_add_nc_u32_e32 v11, 4, v70
	v_min_i32_e32 v9, s26, v11
	v_cmp_le_i32_e64 s6, s14, v11
	v_mad_i64_i32 v[9:10], null, s25, v9, 0
	v_lshlrev_b64 v[9:10], 2, v[9:10]
	v_add_co_u32 v9, s8, s18, v9
	v_add_co_ci_u32_e64 v10, null, s19, v10, s8
	s_or_b32 s8, vcc_lo, s6
	v_cndmask_b32_e64 v69, 0, 0x7f7fffff, s8
	s_nor_b32 s8, s27, s8
	s_and_saveexec_b32 s29, s8
	s_cbranch_execz .LBB59_19
; %bb.18:
	v_lshlrev_b64 v[11:12], 2, v[66:67]
	v_add_co_u32 v11, s8, v9, v11
	v_add_co_ci_u32_e64 v12, null, v10, v12, s8
	global_load_dword v11, v[11:12], off
	s_waitcnt vmcnt(0)
	v_mul_f32_e32 v69, s15, v11
.LBB59_19:
	s_or_b32 exec_lo, exec_lo, s29
	s_or_b32 s8, s0, s6
	v_cndmask_b32_e64 v121, 0, 0x7f7fffff, s8
	s_nor_b32 s8, s27, s8
	s_and_saveexec_b32 s29, s8
	s_cbranch_execz .LBB59_21
; %bb.20:
	v_lshlrev_b64 v[11:12], 2, v[66:67]
	v_add_co_u32 v11, s8, v9, v11
	v_add_co_ci_u32_e64 v12, null, v10, v12, s8
	global_load_dword v11, v[11:12], off offset:256
	s_waitcnt vmcnt(0)
	v_mul_f32_e32 v121, s15, v11
.LBB59_21:
	s_or_b32 exec_lo, exec_lo, s29
	s_or_b32 s8, s1, s6
	v_cndmask_b32_e64 v132, 0, 0x7f7fffff, s8
	s_nor_b32 s8, s27, s8
	s_and_saveexec_b32 s29, s8
	s_cbranch_execz .LBB59_23
; %bb.22:
	v_lshlrev_b64 v[11:12], 2, v[66:67]
	v_add_co_u32 v11, s8, v9, v11
	v_add_co_ci_u32_e64 v12, null, v10, v12, s8
	global_load_dword v11, v[11:12], off offset:512
	s_waitcnt vmcnt(0)
	v_mul_f32_e32 v132, s15, v11
.LBB59_23:
	s_or_b32 exec_lo, exec_lo, s29
	s_or_b32 s6, s2, s6
	v_cndmask_b32_e64 v141, 0, 0x7f7fffff, s6
	s_nor_b32 s6, s27, s6
	s_and_saveexec_b32 s8, s6
	s_cbranch_execz .LBB59_25
; %bb.24:
	v_lshlrev_b64 v[11:12], 2, v[66:67]
	v_add_co_u32 v9, s6, v9, v11
	v_add_co_ci_u32_e64 v10, null, v10, v12, s6
	global_load_dword v9, v[9:10], off offset:768
	s_waitcnt vmcnt(0)
	v_mul_f32_e32 v141, s15, v9
.LBB59_25:
	s_or_b32 exec_lo, exec_lo, s8
	v_or_b32_e32 v9, 4, v73
	v_cmp_le_i32_e64 s6, s14, v9
	s_or_b32 s6, s6, s3
	v_cndmask_b32_e64 v144, 0, 0x7f7fffff, s6
	s_nor_b32 s6, s27, s6
	s_and_saveexec_b32 s8, s6
	s_cbranch_execz .LBB59_27
; %bb.26:
	s_waitcnt lgkmcnt(0)
	v_mad_i64_i32 v[10:11], null, v68, s28, 0
	v_min_u32_e32 v12, s26, v9
	v_lshlrev_b64 v[9:10], 2, v[10:11]
	v_lshlrev_b32_e32 v11, 2, v12
	v_add_co_u32 v9, s6, s20, v9
	v_add_co_ci_u32_e64 v10, null, s21, v10, s6
	v_add_co_u32 v9, s6, v9, v11
	v_add_co_ci_u32_e64 v10, null, 0, v10, s6
	global_load_dword v9, v[9:10], off
	s_waitcnt vmcnt(0)
	v_mul_f32_e32 v144, s15, v9
.LBB59_27:
	s_or_b32 exec_lo, exec_lo, s8
	v_lshlrev_b32_e32 v2, 4, v2
	v_lshlrev_b32_e32 v142, 2, v73
	;; [unrolled: 1-line block ×4, first 2 shown]
	s_cmp_lt_i32 s14, 9
	v_lshl_add_u32 v74, v70, 2, v2
	v_lshl_or_b32 v143, v7, 4, v142
	ds_write2st64_b32 v74, v3, v4 offset1:4
	ds_write2st64_b32 v74, v5, v6 offset0:8 offset1:12
	ds_write_b32 v143, v8 offset:8192
	s_waitcnt lgkmcnt(0)
	s_barrier
	buffer_gl0_inv
	ds_read_b128 v[34:37], v72
	ds_read_b128 v[30:33], v72 offset:512
	ds_read_b128 v[26:29], v72 offset:1024
	;; [unrolled: 1-line block ×15, first 2 shown]
	ds_write2st64_b32 v74, v69, v121 offset0:16 offset1:20
	ds_write2st64_b32 v74, v132, v141 offset0:24 offset1:28
	ds_write_b32 v143, v144 offset:9216
	s_waitcnt lgkmcnt(0)
	s_barrier
	buffer_gl0_inv
	v_add_f32_e32 v75, v35, v63
	v_add_f32_e32 v76, v34, v62
	;; [unrolled: 1-line block ×6, first 2 shown]
	v_min3_f32 v75, v76, v75, 0x7f7fffff
	v_add_f32_e32 v76, v31, v63
	v_add_f32_e32 v81, v10, v62
	v_min3_f32 v76, v77, v76, 0x7f7fffff
	v_add_f32_e32 v77, v27, v63
	v_min3_f32 v77, v78, v77, 0x7f7fffff
	;; [unrolled: 2-line block ×5, first 2 shown]
	v_add_f32_e32 v79, v7, v63
	v_add_f32_e32 v81, v6, v62
	;; [unrolled: 1-line block ×4, first 2 shown]
	v_min3_f32 v118, v81, v79, 0x7f7fffff
	v_add_f32_e32 v79, v6, v38
	v_min3_f32 v119, v62, v63, 0x7f7fffff
	v_add_f32_e32 v62, v35, v59
	v_add_f32_e32 v63, v34, v58
	v_min3_f32 v116, v63, v62, 0x7f7fffff
	v_add_f32_e32 v62, v31, v59
	;; [unrolled: 3-line block ×7, first 2 shown]
	v_add_f32_e32 v63, v6, v58
	v_add_f32_e32 v59, v3, v59
	v_add_f32_e32 v58, v2, v58
	v_min3_f32 v110, v63, v62, 0x7f7fffff
	v_min3_f32 v109, v58, v59, 0x7f7fffff
	v_add_f32_e32 v58, v35, v55
	v_add_f32_e32 v59, v34, v54
	v_min3_f32 v108, v59, v58, 0x7f7fffff
	v_add_f32_e32 v58, v31, v55
	v_add_f32_e32 v59, v30, v54
	v_min3_f32 v107, v59, v58, 0x7f7fffff
	v_add_f32_e32 v58, v27, v55
	v_add_f32_e32 v59, v26, v54
	v_min3_f32 v106, v59, v58, 0x7f7fffff
	v_add_f32_e32 v58, v19, v55
	v_add_f32_e32 v59, v18, v54
	v_min3_f32 v105, v59, v58, 0x7f7fffff
	v_add_f32_e32 v58, v15, v55
	v_add_f32_e32 v59, v14, v54
	v_min3_f32 v104, v59, v58, 0x7f7fffff
	v_add_f32_e32 v58, v11, v55
	v_add_f32_e32 v59, v10, v54
	v_min3_f32 v103, v59, v58, 0x7f7fffff
	v_add_f32_e32 v58, v7, v55
	v_add_f32_e32 v59, v6, v54
	v_add_f32_e32 v55, v3, v55
	v_add_f32_e32 v54, v2, v54
	v_min3_f32 v102, v59, v58, 0x7f7fffff
	v_min3_f32 v101, v54, v55, 0x7f7fffff
	v_add_f32_e32 v54, v35, v51
	v_add_f32_e32 v55, v34, v50
	v_min3_f32 v100, v55, v54, 0x7f7fffff
	v_add_f32_e32 v54, v31, v51
	v_add_f32_e32 v55, v30, v50
	v_min3_f32 v99, v55, v54, 0x7f7fffff
	v_add_f32_e32 v54, v27, v51
	v_add_f32_e32 v55, v26, v50
	v_min3_f32 v98, v55, v54, 0x7f7fffff
	v_add_f32_e32 v54, v19, v51
	v_add_f32_e32 v55, v18, v50
	v_min3_f32 v97, v55, v54, 0x7f7fffff
	v_add_f32_e32 v54, v15, v51
	v_add_f32_e32 v55, v14, v50
	v_min3_f32 v96, v55, v54, 0x7f7fffff
	v_add_f32_e32 v54, v11, v51
	v_add_f32_e32 v55, v10, v50
	v_min3_f32 v95, v55, v54, 0x7f7fffff
	v_add_f32_e32 v54, v7, v51
	;; [unrolled: 24-line block ×4, first 2 shown]
	v_add_f32_e32 v47, v6, v42
	v_add_f32_e32 v43, v3, v43
	;; [unrolled: 1-line block ×4, first 2 shown]
	v_min3_f32 v58, v47, v46, 0x7f7fffff
	v_min3_f32 v55, v42, v43, 0x7f7fffff
	v_add_f32_e32 v42, v35, v39
	v_add_f32_e32 v43, v34, v38
	;; [unrolled: 1-line block ×4, first 2 shown]
	v_min3_f32 v54, v43, v42, 0x7f7fffff
	v_add_f32_e32 v42, v31, v39
	v_add_f32_e32 v43, v30, v38
	v_min3_f32 v34, v34, v35, 0x7f7fffff
	v_add_f32_e32 v31, v31, v23
	v_add_f32_e32 v30, v30, v22
	;; [unrolled: 3-line block ×9, first 2 shown]
	v_add_f32_e32 v38, v2, v38
	v_add_f32_e32 v2, v2, v22
	v_min3_f32 v14, v14, v15, 0x7f7fffff
	v_add_f32_e32 v11, v11, v23
	v_min3_f32 v43, v43, v42, 0x7f7fffff
	v_add_f32_e32 v42, v7, v39
	v_add_f32_e32 v39, v3, v39
	;; [unrolled: 1-line block ×5, first 2 shown]
	v_min3_f32 v42, v79, v42, 0x7f7fffff
	v_min3_f32 v38, v38, v39, 0x7f7fffff
	;; [unrolled: 1-line block ×4, first 2 shown]
	v_add_f32_e32 v3, v37, v65
	v_add_f32_e32 v7, v36, v64
	v_min3_f32 v10, v10, v11, 0x7f7fffff
	v_min3_f32 v81, v7, v3, v75
	v_add_f32_e32 v3, v33, v65
	v_add_f32_e32 v7, v32, v64
	v_min3_f32 v79, v7, v3, v76
	v_add_f32_e32 v3, v29, v65
	v_add_f32_e32 v7, v28, v64
	;; [unrolled: 3-line block ×55, first 2 shown]
	v_add_f32_e32 v4, v4, v24
	v_min3_f32 v89, v7, v3, v38
	v_add_f32_e32 v3, v37, v25
	v_add_f32_e32 v7, v36, v24
	v_min3_f32 v88, v7, v3, v34
	v_add_f32_e32 v3, v33, v25
	;; [unrolled: 3-line block ×8, first 2 shown]
	v_min3_f32 v92, v4, v3, v2
	s_cbranch_scc1 .LBB59_50
; %bb.28:
	v_mad_i64_i32 v[2:3], null, s28, v68, 0
	v_lshlrev_b64 v[66:67], 2, v[66:67]
	v_add_nc_u32_e32 v121, 0x2000, v143
	v_or_b32_e32 v132, 0x2000, v71
	v_or_b32_e32 v141, 0x1000, v74
	v_add_nc_u32_e32 v143, 0x2400, v143
	v_lshl_or_b32 v144, v0, 4, 0x1000
	v_lshlrev_b64 v[2:3], 2, v[2:3]
	v_add_co_u32 v2, s6, v2, v142
	v_add_co_ci_u32_e64 v3, null, 0, v3, s6
	v_lshl_add_u32 v142, v1, 4, 0x2400
	v_add_co_u32 v2, s6, s20, v2
	v_add_co_ci_u32_e64 v3, null, s21, v3, s6
	s_add_i32 s20, s14, -8
	v_add_co_u32 v68, s6, v2, 32
	v_add_co_ci_u32_e64 v69, null, 0, v3, s6
	s_mov_b32 s21, 0
	s_branch .LBB59_30
.LBB59_29:                              ;   in Loop: Header=BB59_30 Depth=1
	s_or_b32 exec_lo, exec_lo, s6
	v_add_f32_e32 v150, v23, v63
	v_add_f32_e32 v151, v22, v62
	;; [unrolled: 1-line block ×6, first 2 shown]
	v_min3_f32 v81, v151, v150, v81
	v_add_f32_e32 v150, v7, v63
	v_min3_f32 v79, v153, v152, v79
	v_add_f32_e32 v151, v6, v62
	;; [unrolled: 2-line block ×3, first 2 shown]
	v_add_f32_e32 v153, v34, v62
	v_add_f32_e32 v154, v31, v63
	;; [unrolled: 1-line block ×7, first 2 shown]
	v_min3_f32 v75, v151, v150, v75
	v_min3_f32 v76, v153, v152, v76
	v_add_f32_e32 v150, v15, v59
	v_add_f32_e32 v151, v14, v58
	v_min3_f32 v62, v62, v63, v140
	v_add_f32_e32 v63, v23, v59
	v_add_f32_e32 v140, v22, v58
	;; [unrolled: 1-line block ×4, first 2 shown]
	v_min3_f32 v78, v155, v154, v78
	v_min3_f32 v80, v157, v156, v80
	v_add_f32_e32 v154, v7, v59
	v_add_f32_e32 v155, v6, v58
	;; [unrolled: 1-line block ×4, first 2 shown]
	v_min3_f32 v63, v140, v63, v139
	v_min3_f32 v138, v151, v150, v138
	;; [unrolled: 1-line block ×3, first 2 shown]
	v_add_f32_e32 v139, v31, v59
	v_add_f32_e32 v140, v30, v58
	;; [unrolled: 1-line block ×8, first 2 shown]
	v_min3_f32 v136, v155, v154, v136
	v_add_f32_e32 v154, v15, v55
	v_add_f32_e32 v155, v14, v54
	v_min3_f32 v134, v140, v139, v134
	v_min3_f32 v133, v151, v150, v133
	;; [unrolled: 1-line block ×4, first 2 shown]
	v_add_f32_e32 v130, v11, v55
	v_add_f32_e32 v131, v10, v54
	;; [unrolled: 1-line block ×6, first 2 shown]
	v_min3_f32 v129, v155, v154, v129
	v_add_f32_e32 v152, v31, v55
	v_add_f32_e32 v153, v30, v54
	;; [unrolled: 1-line block ×4, first 2 shown]
	v_min3_f32 v128, v131, v130, v128
	v_min3_f32 v127, v140, v139, v127
	;; [unrolled: 1-line block ×3, first 2 shown]
	v_add_f32_e32 v55, v3, v55
	v_add_f32_e32 v54, v2, v54
	;; [unrolled: 1-line block ×8, first 2 shown]
	v_min3_f32 v125, v153, v152, v125
	v_add_f32_e32 v152, v7, v51
	v_add_f32_e32 v153, v6, v50
	v_min3_f32 v54, v54, v55, v122
	v_min3_f32 v55, v131, v130, v123
	;; [unrolled: 1-line block ×4, first 2 shown]
	v_add_f32_e32 v122, v35, v51
	v_add_f32_e32 v123, v34, v50
	;; [unrolled: 1-line block ×10, first 2 shown]
	v_min3_f32 v117, v123, v122, v117
	v_min3_f32 v116, v131, v130, v116
	;; [unrolled: 1-line block ×3, first 2 shown]
	v_add_f32_e32 v114, v14, v46
	v_min3_f32 v51, v151, v150, v113
	v_add_f32_e32 v113, v15, v47
	v_add_f32_e32 v122, v11, v47
	v_add_f32_e32 v123, v10, v46
	v_add_f32_e32 v130, v7, v47
	v_add_f32_e32 v131, v6, v46
	v_min3_f32 v115, v140, v139, v115
	v_add_f32_e32 v139, v35, v47
	v_add_f32_e32 v140, v34, v46
	;; [unrolled: 1-line block ×4, first 2 shown]
	v_min3_f32 v112, v114, v113, v112
	v_min3_f32 v111, v123, v122, v111
	;; [unrolled: 1-line block ×3, first 2 shown]
	v_add_f32_e32 v113, v27, v47
	v_add_f32_e32 v114, v26, v46
	;; [unrolled: 1-line block ×8, first 2 shown]
	v_min3_f32 v109, v140, v139, v109
	v_add_f32_e32 v139, v11, v43
	v_add_f32_e32 v140, v10, v42
	v_min3_f32 v107, v114, v113, v107
	v_min3_f32 v46, v46, v47, v106
	;; [unrolled: 1-line block ×4, first 2 shown]
	v_add_f32_e32 v105, v7, v43
	v_add_f32_e32 v106, v6, v42
	;; [unrolled: 1-line block ×10, first 2 shown]
	v_min3_f32 v102, v106, v105, v102
	v_add_f32_e32 v105, v15, v39
	v_add_f32_e32 v106, v14, v38
	;; [unrolled: 1-line block ×3, first 2 shown]
	v_min3_f32 v42, v42, v43, v98
	v_add_f32_e32 v43, v23, v39
	v_add_f32_e32 v98, v22, v38
	;; [unrolled: 1-line block ×5, first 2 shown]
	v_min3_f32 v101, v114, v113, v101
	v_min3_f32 v100, v123, v122, v100
	v_add_f32_e32 v113, v11, v39
	v_add_f32_e32 v114, v10, v38
	v_add_f32_e32 v122, v7, v39
	v_add_f32_e32 v123, v6, v38
	v_min3_f32 v22, v22, v23, v88
	v_min3_f32 v14, v14, v15, v87
	v_add_f32_e32 v11, v11, v19
	v_add_f32_e32 v10, v10, v18
	;; [unrolled: 1-line block ×6, first 2 shown]
	v_min3_f32 v99, v131, v130, v99
	v_add_f32_e32 v130, v35, v39
	v_add_f32_e32 v131, v34, v38
	v_min3_f32 v43, v98, v43, v97
	v_min3_f32 v96, v106, v105, v96
	v_add_f32_e32 v97, v31, v39
	v_add_f32_e32 v98, v30, v38
	;; [unrolled: 1-line block ×10, first 2 shown]
	v_min3_f32 v10, v10, v11, v86
	v_min3_f32 v34, v6, v7, v85
	;; [unrolled: 1-line block ×3, first 2 shown]
	v_add_f32_e32 v3, v3, v19
	v_add_f32_e32 v2, v2, v18
	v_add_f32_e32 v6, v25, v65
	v_add_f32_e32 v7, v24, v64
	v_add_f32_e32 v11, v17, v65
	v_add_f32_e32 v15, v16, v64
	v_min3_f32 v30, v30, v31, v83
	v_min3_f32 v26, v26, v27, v82
	v_add_f32_e32 v18, v13, v65
	v_add_f32_e32 v19, v12, v64
	;; [unrolled: 1-line block ×4, first 2 shown]
	v_min3_f32 v35, v2, v3, v92
	v_min3_f32 v81, v7, v6, v81
	;; [unrolled: 1-line block ×3, first 2 shown]
	v_add_f32_e32 v2, v37, v65
	v_add_f32_e32 v3, v36, v64
	;; [unrolled: 1-line block ×6, first 2 shown]
	v_min3_f32 v77, v19, v18, v77
	v_min3_f32 v75, v31, v27, v75
	v_add_f32_e32 v18, v5, v65
	v_add_f32_e32 v19, v4, v64
	;; [unrolled: 1-line block ×4, first 2 shown]
	v_min3_f32 v76, v3, v2, v76
	v_min3_f32 v78, v7, v6, v78
	;; [unrolled: 1-line block ×3, first 2 shown]
	v_add_f32_e32 v2, v17, v61
	v_add_f32_e32 v3, v16, v60
	v_add_f32_e32 v6, v13, v61
	v_add_f32_e32 v7, v12, v60
	v_add_f32_e32 v11, v9, v61
	v_add_f32_e32 v15, v8, v60
	v_min3_f32 v135, v157, v156, v135
	v_min3_f32 v82, v19, v18, v62
	;; [unrolled: 1-line block ×3, first 2 shown]
	v_add_f32_e32 v18, v37, v61
	v_add_f32_e32 v19, v36, v60
	;; [unrolled: 1-line block ×4, first 2 shown]
	v_min3_f32 v84, v3, v2, v138
	v_min3_f32 v85, v7, v6, v137
	;; [unrolled: 1-line block ×3, first 2 shown]
	v_add_f32_e32 v2, v29, v61
	v_add_f32_e32 v3, v28, v60
	;; [unrolled: 1-line block ×6, first 2 shown]
	v_min3_f32 v91, v98, v97, v91
	v_min3_f32 v38, v38, v39, v89
	;; [unrolled: 1-line block ×4, first 2 shown]
	v_add_f32_e32 v18, v17, v57
	v_add_f32_e32 v19, v16, v56
	;; [unrolled: 1-line block ×4, first 2 shown]
	v_min3_f32 v89, v3, v2, v133
	v_min3_f32 v92, v7, v6, v58
	v_min3_f32 v97, v15, v11, v59
	v_add_f32_e32 v2, v9, v57
	v_add_f32_e32 v3, v8, v56
	;; [unrolled: 1-line block ×6, first 2 shown]
	v_min3_f32 v124, v155, v154, v124
	v_min3_f32 v95, v114, v113, v95
	;; [unrolled: 1-line block ×5, first 2 shown]
	v_add_f32_e32 v18, v29, v57
	v_add_f32_e32 v19, v28, v56
	;; [unrolled: 1-line block ×4, first 2 shown]
	v_min3_f32 v106, v3, v2, v127
	v_min3_f32 v113, v7, v6, v126
	;; [unrolled: 1-line block ×3, first 2 shown]
	v_add_f32_e32 v2, v25, v53
	v_add_f32_e32 v3, v24, v52
	;; [unrolled: 1-line block ×6, first 2 shown]
	v_min3_f32 v118, v153, v152, v118
	v_min3_f32 v94, v123, v122, v94
	;; [unrolled: 1-line block ×4, first 2 shown]
	v_add_f32_e32 v18, v9, v53
	v_add_f32_e32 v19, v8, v52
	;; [unrolled: 1-line block ×4, first 2 shown]
	v_min3_f32 v124, v3, v2, v55
	v_min3_f32 v120, v7, v6, v120
	;; [unrolled: 1-line block ×3, first 2 shown]
	v_add_f32_e32 v2, v33, v53
	v_add_f32_e32 v3, v32, v52
	;; [unrolled: 1-line block ×6, first 2 shown]
	v_min3_f32 v118, v19, v18, v118
	v_min3_f32 v117, v31, v27, v117
	v_add_f32_e32 v18, v25, v49
	v_add_f32_e32 v19, v24, v48
	v_add_f32_e32 v27, v17, v49
	v_add_f32_e32 v31, v16, v48
	v_min3_f32 v116, v3, v2, v116
	v_min3_f32 v115, v7, v6, v115
	v_min3_f32 v125, v15, v11, v50
	v_add_f32_e32 v2, v13, v49
	v_add_f32_e32 v3, v12, v48
	v_add_f32_e32 v6, v9, v49
	v_add_f32_e32 v7, v8, v48
	v_add_f32_e32 v11, v37, v49
	v_add_f32_e32 v15, v36, v48
	v_min3_f32 v108, v151, v150, v108
	v_min3_f32 v126, v19, v18, v51
	v_min3_f32 v112, v31, v27, v112
	v_add_f32_e32 v18, v33, v49
	v_add_f32_e32 v19, v32, v48
	v_add_f32_e32 v27, v29, v49
	v_add_f32_e32 v31, v28, v48
	v_min3_f32 v111, v3, v2, v111
	v_min3_f32 v110, v7, v6, v110
	v_min3_f32 v109, v15, v11, v109
	v_add_f32_e32 v2, v5, v49
	v_add_f32_e32 v3, v4, v48
	v_add_f32_e32 v6, v25, v45
	v_add_f32_e32 v7, v24, v44
	v_add_f32_e32 v11, v17, v45
	v_add_f32_e32 v15, v16, v44
	v_min3_f32 v103, v140, v139, v103
	;; [unrolled: 16-line block ×3, first 2 shown]
	v_min3_f32 v102, v31, v27, v102
	v_add_f32_e32 v18, v5, v45
	v_add_f32_e32 v19, v4, v44
	;; [unrolled: 1-line block ×4, first 2 shown]
	v_min3_f32 v101, v3, v2, v101
	v_min3_f32 v100, v7, v6, v100
	;; [unrolled: 1-line block ×3, first 2 shown]
	v_add_f32_e32 v2, v17, v41
	v_add_f32_e32 v3, v16, v40
	;; [unrolled: 1-line block ×6, first 2 shown]
	v_min3_f32 v93, v131, v130, v93
	v_min3_f32 v129, v19, v18, v42
	;; [unrolled: 1-line block ×3, first 2 shown]
	v_add_f32_e32 v18, v37, v41
	v_add_f32_e32 v19, v36, v40
	;; [unrolled: 1-line block ×4, first 2 shown]
	v_min3_f32 v96, v3, v2, v96
	v_min3_f32 v95, v7, v6, v95
	;; [unrolled: 1-line block ×3, first 2 shown]
	v_add_f32_e32 v2, v29, v41
	v_add_f32_e32 v3, v28, v40
	;; [unrolled: 1-line block ×10, first 2 shown]
	v_min3_f32 v93, v19, v18, v93
	v_min3_f32 v91, v31, v27, v91
	;; [unrolled: 1-line block ×7, first 2 shown]
	v_add_f32_e32 v18, v9, v21
	v_add_f32_e32 v19, v8, v20
	;; [unrolled: 1-line block ×8, first 2 shown]
	ds_read_b128 v[6:9], v72
	ds_read_b128 v[10:13], v132
	v_add_f32_e32 v21, v5, v21
	ds_read_b128 v[14:17], v72 offset:512
	v_add_f32_e32 v20, v4, v20
	ds_read_b128 v[2:5], v72 offset:1024
	v_min3_f32 v136, v19, v18, v34
	v_min3_f32 v137, v24, v22, v23
	;; [unrolled: 1-line block ×5, first 2 shown]
	ds_read_b128 v[18:21], v72 offset:1536
	ds_read_b128 v[22:25], v72 offset:2048
	;; [unrolled: 1-line block ×12, first 2 shown]
	v_add_co_u32 v68, s6, v68, 32
	v_add_co_ci_u32_e64 v69, null, 0, v69, s6
	s_add_i32 s21, s21, 8
	ds_write2st64_b32 v141, v145, v146 offset1:4
	ds_write2st64_b32 v141, v147, v148 offset0:8 offset1:12
	ds_write_b32 v143, v149
	s_cmp_ge_i32 s21, s20
	s_waitcnt lgkmcnt(0)
	v_add_f32_e32 v150, v7, v11
	v_add_f32_e32 v151, v6, v10
	;; [unrolled: 1-line block ×6, first 2 shown]
	v_min3_f32 v81, v151, v150, v81
	v_add_f32_e32 v150, v19, v11
	v_min3_f32 v79, v153, v152, v79
	v_add_f32_e32 v151, v18, v10
	;; [unrolled: 2-line block ×3, first 2 shown]
	v_add_f32_e32 v153, v22, v10
	v_add_f32_e32 v154, v27, v11
	v_add_f32_e32 v155, v26, v10
	v_add_f32_e32 v156, v31, v11
	v_add_f32_e32 v157, v30, v10
	v_add_f32_e32 v11, v35, v11
	v_add_f32_e32 v10, v34, v10
	v_min3_f32 v75, v151, v150, v75
	v_min3_f32 v76, v153, v152, v76
	v_min3_f32 v78, v155, v154, v78
	v_min3_f32 v80, v157, v156, v80
	v_min3_f32 v10, v10, v11, v82
	v_add_f32_e32 v11, v7, v39
	v_add_f32_e32 v82, v6, v38
	v_add_f32_e32 v150, v15, v39
	v_add_f32_e32 v151, v14, v38
	v_add_f32_e32 v152, v3, v39
	v_add_f32_e32 v153, v2, v38
	v_add_f32_e32 v154, v19, v39
	v_add_f32_e32 v155, v18, v38
	v_add_f32_e32 v156, v23, v39
	v_add_f32_e32 v157, v22, v38
	v_min3_f32 v11, v82, v11, v83
	v_min3_f32 v82, v151, v150, v84
	v_min3_f32 v83, v153, v152, v85
	v_min3_f32 v84, v155, v154, v86
	v_min3_f32 v85, v157, v156, v87
	v_add_f32_e32 v86, v27, v39
	v_add_f32_e32 v87, v26, v38
	v_add_f32_e32 v150, v31, v39
	;; [unrolled: 15-line block ×6, first 2 shown]
	v_add_f32_e32 v122, v2, v50
	v_add_f32_e32 v123, v19, v51
	;; [unrolled: 1-line block ×7, first 2 shown]
	v_min3_f32 v112, v119, v118, v112
	v_min3_f32 v111, v122, v120, v111
	;; [unrolled: 1-line block ×4, first 2 shown]
	v_add_f32_e32 v118, v31, v51
	v_add_f32_e32 v119, v30, v50
	;; [unrolled: 1-line block ×10, first 2 shown]
	v_min3_f32 v107, v119, v118, v107
	v_min3_f32 v50, v50, v51, v127
	v_min3_f32 v51, v122, v120, v128
	v_min3_f32 v104, v124, v123, v104
	v_min3_f32 v103, v126, v125, v103
	v_add_f32_e32 v118, v19, v55
	v_add_f32_e32 v119, v18, v54
	;; [unrolled: 1-line block ×10, first 2 shown]
	v_min3_f32 v102, v119, v118, v102
	v_min3_f32 v101, v122, v120, v101
	;; [unrolled: 1-line block ×3, first 2 shown]
	v_add_f32_e32 v118, v6, v58
	v_min3_f32 v54, v54, v55, v129
	v_add_f32_e32 v55, v7, v59
	v_add_f32_e32 v119, v15, v59
	;; [unrolled: 1-line block ×9, first 2 shown]
	v_min3_f32 v99, v126, v125, v99
	v_add_f32_e32 v124, v19, v59
	v_add_f32_e32 v125, v18, v58
	;; [unrolled: 1-line block ×4, first 2 shown]
	v_min3_f32 v55, v118, v55, v130
	v_min3_f32 v96, v120, v119, v96
	;; [unrolled: 1-line block ×3, first 2 shown]
	v_add_f32_e32 v118, v27, v59
	v_add_f32_e32 v119, v26, v58
	;; [unrolled: 1-line block ×6, first 2 shown]
	v_min3_f32 v6, v6, v7, v133
	v_min3_f32 v7, v14, v15, v134
	v_add_f32_e32 v3, v3, v63
	v_add_f32_e32 v2, v2, v62
	;; [unrolled: 1-line block ×10, first 2 shown]
	v_min3_f32 v58, v58, v59, v131
	v_min3_f32 v2, v2, v3, v135
	;; [unrolled: 1-line block ×6, first 2 shown]
	v_add_f32_e32 v19, v35, v63
	v_add_f32_e32 v22, v34, v62
	;; [unrolled: 1-line block ×10, first 2 shown]
	v_min3_f32 v19, v22, v19, v140
	v_min3_f32 v81, v26, v23, v81
	;; [unrolled: 1-line block ×5, first 2 shown]
	v_add_f32_e32 v22, v25, v13
	v_add_f32_e32 v23, v24, v12
	;; [unrolled: 1-line block ×10, first 2 shown]
	v_min3_f32 v76, v23, v22, v76
	v_min3_f32 v78, v27, v26, v78
	;; [unrolled: 1-line block ×3, first 2 shown]
	v_add_f32_e32 v10, v17, v41
	v_min3_f32 v139, v35, v34, v11
	v_add_f32_e32 v11, v16, v40
	v_add_f32_e32 v12, v5, v41
	;; [unrolled: 1-line block ×3, first 2 shown]
	v_min3_f32 v80, v31, v30, v80
	v_add_f32_e32 v22, v21, v41
	v_min3_f32 v138, v11, v10, v82
	v_add_f32_e32 v10, v33, v41
	;; [unrolled: 2-line block ×3, first 2 shown]
	v_add_f32_e32 v12, v37, v41
	v_add_f32_e32 v13, v36, v40
	;; [unrolled: 1-line block ×7, first 2 shown]
	v_min3_f32 v133, v11, v10, v87
	v_min3_f32 v131, v13, v12, v38
	v_add_f32_e32 v10, v21, v45
	v_add_f32_e32 v11, v20, v44
	v_add_f32_e32 v12, v25, v45
	v_add_f32_e32 v13, v24, v44
	v_min3_f32 v93, v127, v126, v93
	v_min3_f32 v136, v23, v22, v84
	v_min3_f32 v135, v27, v26, v85
	v_min3_f32 v134, v31, v30, v86
	v_add_f32_e32 v22, v9, v45
	v_add_f32_e32 v23, v8, v44
	v_add_f32_e32 v26, v17, v45
	v_add_f32_e32 v27, v16, v44
	v_add_f32_e32 v30, v5, v45
	v_add_f32_e32 v31, v4, v44
	v_min3_f32 v127, v11, v10, v92
	v_min3_f32 v126, v13, v12, v97
	v_add_f32_e32 v10, v9, v49
	v_add_f32_e32 v11, v8, v48
	v_add_f32_e32 v12, v17, v49
	v_add_f32_e32 v13, v16, v48
	v_min3_f32 v90, v122, v120, v90
	v_min3_f32 v130, v23, v22, v39
	v_min3_f32 v129, v27, v26, v88
	v_min3_f32 v128, v31, v30, v89
	v_add_f32_e32 v22, v29, v45
	v_add_f32_e32 v23, v28, v44
	v_add_f32_e32 v26, v33, v45
	v_add_f32_e32 v27, v32, v44
	v_add_f32_e32 v30, v37, v45
	v_add_f32_e32 v31, v36, v44
	;; [unrolled: 16-line block ×5, first 2 shown]
	v_min3_f32 v106, v11, v10, v50
	v_min3_f32 v105, v13, v12, v51
	v_add_f32_e32 v10, v25, v57
	v_add_f32_e32 v11, v24, v56
	;; [unrolled: 1-line block ×4, first 2 shown]
	v_min3_f32 v109, v23, v22, v109
	v_min3_f32 v108, v27, v26, v108
	;; [unrolled: 1-line block ×3, first 2 shown]
	v_add_f32_e32 v22, v17, v57
	v_add_f32_e32 v23, v16, v56
	;; [unrolled: 1-line block ×6, first 2 shown]
	v_min3_f32 v101, v11, v10, v101
	v_min3_f32 v100, v13, v12, v100
	v_add_f32_e32 v10, v17, v61
	v_add_f32_e32 v11, v16, v60
	v_add_f32_e32 v12, v5, v61
	v_add_f32_e32 v13, v4, v60
	v_min3_f32 v104, v23, v22, v104
	v_min3_f32 v103, v27, v26, v103
	;; [unrolled: 1-line block ×3, first 2 shown]
	v_add_f32_e32 v22, v33, v57
	v_add_f32_e32 v23, v32, v56
	;; [unrolled: 1-line block ×6, first 2 shown]
	v_min3_f32 v96, v11, v10, v96
	v_min3_f32 v95, v13, v12, v95
	v_add_f32_e32 v10, v33, v61
	v_add_f32_e32 v11, v32, v60
	;; [unrolled: 1-line block ×10, first 2 shown]
	v_min3_f32 v99, v23, v22, v99
	v_min3_f32 v98, v27, v26, v54
	;; [unrolled: 1-line block ×3, first 2 shown]
	v_add_f32_e32 v22, v21, v61
	v_add_f32_e32 v23, v20, v60
	;; [unrolled: 1-line block ×6, first 2 shown]
	v_min3_f32 v90, v11, v10, v90
	v_min3_f32 v89, v13, v12, v58
	;; [unrolled: 1-line block ×5, first 2 shown]
	v_add_f32_e32 v2, v21, v65
	v_add_f32_e32 v4, v20, v64
	v_add_f32_e32 v5, v25, v65
	v_add_f32_e32 v6, v24, v64
	v_add_f32_e32 v7, v29, v65
	v_add_f32_e32 v8, v28, v64
	v_add_f32_e32 v9, v33, v65
	v_add_f32_e32 v10, v32, v64
	v_add_f32_e32 v11, v37, v65
	v_add_f32_e32 v12, v36, v64
	v_min3_f32 v94, v23, v22, v94
	v_min3_f32 v93, v27, v26, v93
	v_min3_f32 v91, v31, v30, v91
	v_min3_f32 v85, v4, v2, v3
	v_min3_f32 v84, v6, v5, v14
	v_min3_f32 v83, v8, v7, v15
	v_min3_f32 v82, v10, v9, v18
	v_min3_f32 v92, v12, v11, v19
	s_barrier
	buffer_gl0_inv
	s_cbranch_scc1 .LBB59_50
.LBB59_30:                              ; =>This Inner Loop Header: Depth=1
	v_add_nc_u32_e32 v2, s21, v70
	v_add_nc_u32_e32 v5, 8, v2
	v_min_i32_e32 v3, s26, v5
	v_cmp_le_i32_e64 s6, s14, v5
	v_mad_i64_i32 v[3:4], null, v3, s25, 0
	v_lshlrev_b64 v[3:4], 2, v[3:4]
	v_add_co_u32 v3, s8, s18, v3
	v_add_co_ci_u32_e64 v4, null, s19, v4, s8
	s_or_b32 s8, vcc_lo, s6
	v_cndmask_b32_e64 v145, 0, 0x7f7fffff, s8
	s_nor_b32 s8, s27, s8
	s_and_saveexec_b32 s28, s8
	s_cbranch_execz .LBB59_32
; %bb.31:                               ;   in Loop: Header=BB59_30 Depth=1
	v_add_co_u32 v5, s8, v3, v66
	v_add_co_ci_u32_e64 v6, null, v4, v67, s8
	global_load_dword v5, v[5:6], off
	s_waitcnt vmcnt(0)
	v_mul_f32_e32 v145, s15, v5
.LBB59_32:                              ;   in Loop: Header=BB59_30 Depth=1
	s_or_b32 exec_lo, exec_lo, s28
	s_or_b32 s8, s0, s6
	v_cndmask_b32_e64 v146, 0, 0x7f7fffff, s8
	s_nor_b32 s8, s27, s8
	s_and_saveexec_b32 s28, s8
	s_cbranch_execz .LBB59_34
; %bb.33:                               ;   in Loop: Header=BB59_30 Depth=1
	v_add_co_u32 v5, s8, v3, v66
	v_add_co_ci_u32_e64 v6, null, v4, v67, s8
	global_load_dword v5, v[5:6], off offset:256
	s_waitcnt vmcnt(0)
	v_mul_f32_e32 v146, s15, v5
.LBB59_34:                              ;   in Loop: Header=BB59_30 Depth=1
	s_or_b32 exec_lo, exec_lo, s28
	s_or_b32 s8, s1, s6
	v_cndmask_b32_e64 v147, 0, 0x7f7fffff, s8
	s_nor_b32 s8, s27, s8
	s_and_saveexec_b32 s28, s8
	s_cbranch_execz .LBB59_36
; %bb.35:                               ;   in Loop: Header=BB59_30 Depth=1
	v_add_co_u32 v5, s8, v3, v66
	v_add_co_ci_u32_e64 v6, null, v4, v67, s8
	global_load_dword v5, v[5:6], off offset:512
	s_waitcnt vmcnt(0)
	v_mul_f32_e32 v147, s15, v5
.LBB59_36:                              ;   in Loop: Header=BB59_30 Depth=1
	;; [unrolled: 13-line block ×3, first 2 shown]
	s_or_b32 exec_lo, exec_lo, s8
	v_add_nc_u32_e32 v149, s21, v73
	v_add_nc_u32_e32 v3, 8, v149
	v_cmp_le_i32_e64 s6, s14, v3
	s_or_b32 s6, s6, s3
	v_cndmask_b32_e64 v150, 0, 0x7f7fffff, s6
	s_nor_b32 s8, s27, s6
	s_and_saveexec_b32 s6, s8
	s_cbranch_execz .LBB59_40
; %bb.39:                               ;   in Loop: Header=BB59_30 Depth=1
	global_load_dword v3, v[68:69], off
	s_waitcnt vmcnt(0)
	v_mul_f32_e32 v150, s15, v3
.LBB59_40:                              ;   in Loop: Header=BB59_30 Depth=1
	s_or_b32 exec_lo, exec_lo, s6
	v_add_nc_u32_e32 v153, 12, v2
	ds_read_b128 v[22:25], v144
	ds_read_b128 v[14:17], v144 offset:512
	ds_read_b128 v[10:13], v144 offset:1024
	;; [unrolled: 1-line block ×7, first 2 shown]
	ds_read_b128 v[62:65], v142
	ds_read_b128 v[58:61], v142 offset:128
	ds_read_b128 v[54:57], v142 offset:256
	;; [unrolled: 1-line block ×3, first 2 shown]
	v_min_i32_e32 v18, s26, v153
	v_cmp_le_i32_e64 s6, s14, v153
	v_mad_i64_i32 v[151:152], null, v18, s25, 0
	ds_read_b128 v[46:49], v142 offset:512
	ds_read_b128 v[42:45], v142 offset:640
	;; [unrolled: 1-line block ×4, first 2 shown]
	ds_write2st64_b32 v74, v145, v146 offset1:4
	ds_write2st64_b32 v74, v147, v148 offset0:8 offset1:12
	ds_write_b32 v121, v150
	s_or_b32 s28, vcc_lo, s6
	s_waitcnt lgkmcnt(0)
	v_cndmask_b32_e64 v145, 0, 0x7f7fffff, s28
	v_lshlrev_b64 v[151:152], 2, v[151:152]
	s_barrier
	buffer_gl0_inv
	v_add_co_u32 v150, s8, s18, v151
	v_add_co_ci_u32_e64 v151, null, s19, v152, s8
	s_nor_b32 s8, s27, s28
	s_and_saveexec_b32 s28, s8
	s_cbranch_execz .LBB59_42
; %bb.41:                               ;   in Loop: Header=BB59_30 Depth=1
	v_add_co_u32 v145, s8, v150, v66
	v_add_co_ci_u32_e64 v146, null, v151, v67, s8
	global_load_dword v145, v[145:146], off
	s_waitcnt vmcnt(0)
	v_mul_f32_e32 v145, s15, v145
.LBB59_42:                              ;   in Loop: Header=BB59_30 Depth=1
	s_or_b32 exec_lo, exec_lo, s28
	s_or_b32 s8, s0, s6
	v_cndmask_b32_e64 v146, 0, 0x7f7fffff, s8
	s_nor_b32 s8, s27, s8
	s_and_saveexec_b32 s28, s8
	s_cbranch_execz .LBB59_44
; %bb.43:                               ;   in Loop: Header=BB59_30 Depth=1
	v_add_co_u32 v146, s8, v150, v66
	v_add_co_ci_u32_e64 v147, null, v151, v67, s8
	global_load_dword v146, v[146:147], off offset:256
	s_waitcnt vmcnt(0)
	v_mul_f32_e32 v146, s15, v146
.LBB59_44:                              ;   in Loop: Header=BB59_30 Depth=1
	s_or_b32 exec_lo, exec_lo, s28
	s_or_b32 s8, s1, s6
	v_cndmask_b32_e64 v147, 0, 0x7f7fffff, s8
	s_nor_b32 s8, s27, s8
	s_and_saveexec_b32 s28, s8
	s_cbranch_execz .LBB59_46
; %bb.45:                               ;   in Loop: Header=BB59_30 Depth=1
	v_add_co_u32 v147, s8, v150, v66
	v_add_co_ci_u32_e64 v148, null, v151, v67, s8
	global_load_dword v147, v[147:148], off offset:512
	s_waitcnt vmcnt(0)
	v_mul_f32_e32 v147, s15, v147
.LBB59_46:                              ;   in Loop: Header=BB59_30 Depth=1
	;; [unrolled: 13-line block ×3, first 2 shown]
	s_or_b32 exec_lo, exec_lo, s8
	v_add_nc_u32_e32 v149, 12, v149
	v_cmp_le_i32_e64 s6, s14, v149
	s_or_b32 s6, s6, s3
	v_cndmask_b32_e64 v149, 0, 0x7f7fffff, s6
	s_nor_b32 s8, s27, s6
	s_and_saveexec_b32 s6, s8
	s_cbranch_execz .LBB59_29
; %bb.49:                               ;   in Loop: Header=BB59_30 Depth=1
	global_load_dword v149, v[68:69], off offset:16
	s_waitcnt vmcnt(0)
	v_mul_f32_e32 v149, s15, v149
	s_branch .LBB59_29
.LBB59_50:
	s_clause 0x2
	s_load_dwordx2 s[0:1], s[4:5], 0x70
	s_load_dword s15, s[4:5], 0x50
	s_load_dword s14, s[4:5], 0x68
	ds_read_b128 v[34:37], v72 offset:4096
	ds_read_b128 v[30:33], v72 offset:4608
	;; [unrolled: 1-line block ×12, first 2 shown]
	v_add_nc_u32_e32 v132, s24, v1
	ds_read_b128 v[46:49], v71 offset:9728
	ds_read_b128 v[42:45], v71 offset:9856
	ds_read_b128 v[38:41], v71 offset:9984
	ds_read_b128 v[6:9], v71 offset:10112
	v_add_nc_u32_e32 v0, s9, v0
	v_cndmask_b32_e64 v121, 0, 1, s23
	v_cmp_gt_i32_e64 s8, s13, v132
	v_ashrrev_i32_e32 v1, 31, v0
	s_waitcnt lgkmcnt(0)
	s_mul_i32 s1, s1, s7
	v_mad_i64_i32 v[66:67], null, v132, s15, 0
	v_mad_i64_i32 v[68:69], null, v132, s14, 0
	s_mul_hi_u32 s2, s0, s7
	s_mul_i32 s0, s0, s7
	s_add_i32 s1, s2, s1
	s_lshl_b64 s[0:1], s[0:1], 2
	v_lshlrev_b64 v[66:67], 2, v[66:67]
	v_lshlrev_b64 v[68:69], 2, v[68:69]
	s_add_u32 s10, s10, s0
	s_addc_u32 s11, s11, s1
	v_cmp_gt_i32_e64 s0, s12, v0
	v_add_co_u32 v143, vcc_lo, s16, v66
	v_add_co_ci_u32_e64 v144, null, s17, v67, vcc_lo
	v_add_co_u32 v141, vcc_lo, s10, v68
	v_add_co_ci_u32_e64 v142, null, s11, v69, vcc_lo
	s_and_b32 s2, s0, s8
	s_and_saveexec_b32 s1, s2
	s_cbranch_execz .LBB59_56
; %bb.51:
	v_lshlrev_b64 v[66:67], 2, v[0:1]
	s_andn2_b32 vcc_lo, exec_lo, s23
	s_cbranch_vccnz .LBB59_54
; %bb.52:
	v_add_co_u32 v68, vcc_lo, v143, v66
	v_add_co_ci_u32_e64 v69, null, v144, v67, vcc_lo
	global_load_dword v68, v[68:69], off
	s_waitcnt vmcnt(0)
	v_mul_f32_e32 v68, s22, v68
	s_branch .LBB59_55
.LBB59_53:
	s_mov_b64 s[18:19], 0
	s_andn2_b32 vcc_lo, exec_lo, s8
	s_mov_b32 s0, -1
	s_cbranch_vccz .LBB59_2
	s_branch .LBB59_3
.LBB59_54:
	v_mov_b32_e32 v68, 0
.LBB59_55:
	v_add_f32_e32 v69, v35, v63
	v_add_f32_e32 v70, v34, v62
	;; [unrolled: 1-line block ×4, first 2 shown]
	v_add_co_u32 v66, vcc_lo, v141, v66
	v_min3_f32 v69, v70, v69, v81
	v_add_co_ci_u32_e64 v67, null, v142, v67, vcc_lo
	v_min_f32_e32 v70, v72, v71
	v_min3_f32 v68, v68, v70, v69
	global_store_dword v[66:67], v68, off
.LBB59_56:
	s_or_b32 exec_lo, exec_lo, s1
	v_add_nc_u32_e32 v66, 32, v0
	v_cmp_gt_i32_e64 s1, s12, v66
	v_ashrrev_i32_e32 v67, 31, v66
	s_and_b32 s3, s1, s8
	s_and_saveexec_b32 s2, s3
	s_cbranch_execz .LBB59_61
; %bb.57:
	v_cmp_ne_u32_e32 vcc_lo, 1, v121
	v_lshlrev_b64 v[68:69], 2, v[66:67]
	s_cbranch_vccnz .LBB59_59
; %bb.58:
	v_add_co_u32 v70, vcc_lo, v143, v68
	v_add_co_ci_u32_e64 v71, null, v144, v69, vcc_lo
	global_load_dword v70, v[70:71], off
	s_waitcnt vmcnt(0)
	v_mul_f32_e32 v70, s22, v70
	s_branch .LBB59_60
.LBB59_59:
	v_mov_b32_e32 v70, 0
.LBB59_60:
	v_add_f32_e32 v71, v31, v63
	v_add_f32_e32 v72, v30, v62
	v_add_f32_e32 v73, v33, v65
	v_add_f32_e32 v74, v32, v64
	v_add_co_u32 v68, vcc_lo, v141, v68
	v_min3_f32 v71, v72, v71, v79
	v_add_co_ci_u32_e64 v69, null, v142, v69, vcc_lo
	v_min_f32_e32 v72, v74, v73
	v_min3_f32 v70, v70, v72, v71
	global_store_dword v[68:69], v70, off
.LBB59_61:
	s_or_b32 exec_lo, exec_lo, s2
	v_add_nc_u32_e32 v68, 64, v0
	v_cmp_gt_i32_e64 s2, s12, v68
	v_ashrrev_i32_e32 v69, 31, v68
	s_and_b32 s4, s2, s8
	s_and_saveexec_b32 s3, s4
	s_cbranch_execz .LBB59_66
; %bb.62:
	v_cmp_ne_u32_e32 vcc_lo, 1, v121
	v_lshlrev_b64 v[70:71], 2, v[68:69]
	s_cbranch_vccnz .LBB59_64
; %bb.63:
	v_add_co_u32 v72, vcc_lo, v143, v70
	v_add_co_ci_u32_e64 v73, null, v144, v71, vcc_lo
	global_load_dword v72, v[72:73], off
	s_waitcnt vmcnt(0)
	v_mul_f32_e32 v72, s22, v72
	s_branch .LBB59_65
.LBB59_64:
	v_mov_b32_e32 v72, 0
.LBB59_65:
	v_add_f32_e32 v73, v27, v63
	v_add_f32_e32 v74, v26, v62
	v_add_f32_e32 v79, v29, v65
	v_add_f32_e32 v81, v28, v64
	v_add_co_u32 v70, vcc_lo, v141, v70
	v_min3_f32 v73, v74, v73, v77
	v_add_co_ci_u32_e64 v71, null, v142, v71, vcc_lo
	v_min_f32_e32 v74, v81, v79
	v_min3_f32 v72, v72, v74, v73
	global_store_dword v[70:71], v72, off
.LBB59_66:
	;; [unrolled: 32-line block ×6, first 2 shown]
	s_or_b32 exec_lo, exec_lo, s7
	v_add_nc_u32_e32 v78, 0xe0, v0
	v_cmp_gt_i32_e64 s7, s12, v78
	v_ashrrev_i32_e32 v79, 31, v78
	s_and_b32 s9, s7, s8
	s_and_saveexec_b32 s8, s9
	s_cbranch_execz .LBB59_91
; %bb.87:
	v_cmp_ne_u32_e32 vcc_lo, 1, v121
	v_lshlrev_b64 v[80:81], 2, v[78:79]
	s_cbranch_vccnz .LBB59_89
; %bb.88:
	v_add_co_u32 v143, vcc_lo, v143, v80
	v_add_co_ci_u32_e64 v144, null, v144, v81, vcc_lo
	global_load_dword v143, v[143:144], off
	s_waitcnt vmcnt(0)
	v_mul_f32_e32 v143, s22, v143
	s_branch .LBB59_90
.LBB59_89:
	v_mov_b32_e32 v143, 0
.LBB59_90:
	v_add_f32_e32 v63, v3, v63
	v_add_f32_e32 v62, v2, v62
	v_add_f32_e32 v65, v5, v65
	v_add_f32_e32 v64, v4, v64
	v_min3_f32 v62, v62, v63, v140
	v_min_f32_e32 v63, v64, v65
	v_min3_f32 v64, v143, v63, v62
	v_add_co_u32 v62, vcc_lo, v141, v80
	v_add_co_ci_u32_e64 v63, null, v142, v81, vcc_lo
	global_store_dword v[62:63], v64, off
.LBB59_91:
	s_or_b32 exec_lo, exec_lo, s8
	v_add_nc_u32_e32 v80, 8, v132
	v_mad_i64_i32 v[62:63], null, v80, s15, 0
	v_mad_i64_i32 v[64:65], null, v80, s14, 0
	v_cmp_gt_i32_e64 s8, s13, v80
	v_lshlrev_b64 v[62:63], 2, v[62:63]
	s_and_b32 s12, s0, s8
	v_lshlrev_b64 v[64:65], 2, v[64:65]
	v_add_co_u32 v80, vcc_lo, s16, v62
	v_add_co_ci_u32_e64 v81, null, s17, v63, vcc_lo
	v_add_co_u32 v64, vcc_lo, s10, v64
	v_add_co_ci_u32_e64 v65, null, s11, v65, vcc_lo
	s_and_saveexec_b32 s9, s12
	s_cbranch_execnz .LBB59_99
; %bb.92:
	s_or_b32 exec_lo, exec_lo, s9
	s_and_b32 s12, s1, s8
	s_and_saveexec_b32 s9, s12
	s_cbranch_execnz .LBB59_103
.LBB59_93:
	s_or_b32 exec_lo, exec_lo, s9
	s_and_b32 s12, s2, s8
	s_and_saveexec_b32 s9, s12
	s_cbranch_execnz .LBB59_107
.LBB59_94:
	s_or_b32 exec_lo, exec_lo, s9
	s_and_b32 s12, s3, s8
	s_and_saveexec_b32 s9, s12
	s_cbranch_execnz .LBB59_111
.LBB59_95:
	s_or_b32 exec_lo, exec_lo, s9
	s_and_b32 s12, s4, s8
	s_and_saveexec_b32 s9, s12
	s_cbranch_execnz .LBB59_115
.LBB59_96:
	s_or_b32 exec_lo, exec_lo, s9
	s_and_b32 s12, s5, s8
	s_and_saveexec_b32 s9, s12
	s_cbranch_execnz .LBB59_119
.LBB59_97:
	s_or_b32 exec_lo, exec_lo, s9
	s_and_b32 s12, s6, s8
	s_and_saveexec_b32 s9, s12
	s_cbranch_execnz .LBB59_123
.LBB59_98:
	s_or_b32 exec_lo, exec_lo, s9
	s_and_b32 s9, s7, s8
	s_and_saveexec_b32 s8, s9
	s_cbranch_execnz .LBB59_127
	s_branch .LBB59_131
.LBB59_99:
	v_cmp_ne_u32_e32 vcc_lo, 1, v121
	v_lshlrev_b64 v[62:63], 2, v[0:1]
	s_cbranch_vccnz .LBB59_101
; %bb.100:
	v_add_co_u32 v140, vcc_lo, v80, v62
	v_add_co_ci_u32_e64 v141, null, v81, v63, vcc_lo
	global_load_dword v140, v[140:141], off
	s_waitcnt vmcnt(0)
	v_mul_f32_e32 v140, s22, v140
	s_branch .LBB59_102
.LBB59_101:
	v_mov_b32_e32 v140, 0
.LBB59_102:
	v_add_f32_e32 v141, v35, v59
	v_add_f32_e32 v142, v34, v58
	;; [unrolled: 1-line block ×4, first 2 shown]
	v_add_co_u32 v62, vcc_lo, v64, v62
	v_min3_f32 v139, v142, v141, v139
	v_add_co_ci_u32_e64 v63, null, v65, v63, vcc_lo
	v_min_f32_e32 v141, v144, v143
	v_min3_f32 v139, v140, v141, v139
	global_store_dword v[62:63], v139, off
	s_or_b32 exec_lo, exec_lo, s9
	s_and_b32 s12, s1, s8
	s_and_saveexec_b32 s9, s12
	s_cbranch_execz .LBB59_93
.LBB59_103:
	v_cmp_ne_u32_e32 vcc_lo, 1, v121
	v_lshlrev_b64 v[62:63], 2, v[66:67]
	s_cbranch_vccnz .LBB59_105
; %bb.104:
	v_add_co_u32 v139, vcc_lo, v80, v62
	v_add_co_ci_u32_e64 v140, null, v81, v63, vcc_lo
	global_load_dword v139, v[139:140], off
	s_waitcnt vmcnt(0)
	v_mul_f32_e32 v139, s22, v139
	s_branch .LBB59_106
.LBB59_105:
	v_mov_b32_e32 v139, 0
.LBB59_106:
	v_add_f32_e32 v140, v31, v59
	v_add_f32_e32 v141, v30, v58
	;; [unrolled: 1-line block ×4, first 2 shown]
	v_add_co_u32 v62, vcc_lo, v64, v62
	v_min3_f32 v138, v141, v140, v138
	v_add_co_ci_u32_e64 v63, null, v65, v63, vcc_lo
	v_min_f32_e32 v140, v143, v142
	v_min3_f32 v138, v139, v140, v138
	global_store_dword v[62:63], v138, off
	s_or_b32 exec_lo, exec_lo, s9
	s_and_b32 s12, s2, s8
	s_and_saveexec_b32 s9, s12
	s_cbranch_execz .LBB59_94
.LBB59_107:
	v_cmp_ne_u32_e32 vcc_lo, 1, v121
	v_lshlrev_b64 v[62:63], 2, v[68:69]
	s_cbranch_vccnz .LBB59_109
; %bb.108:
	v_add_co_u32 v138, vcc_lo, v80, v62
	v_add_co_ci_u32_e64 v139, null, v81, v63, vcc_lo
	global_load_dword v138, v[138:139], off
	s_waitcnt vmcnt(0)
	v_mul_f32_e32 v138, s22, v138
	s_branch .LBB59_110
.LBB59_109:
	v_mov_b32_e32 v138, 0
.LBB59_110:
	v_add_f32_e32 v139, v27, v59
	v_add_f32_e32 v140, v26, v58
	;; [unrolled: 1-line block ×4, first 2 shown]
	v_add_co_u32 v62, vcc_lo, v64, v62
	v_min3_f32 v137, v140, v139, v137
	v_add_co_ci_u32_e64 v63, null, v65, v63, vcc_lo
	v_min_f32_e32 v139, v142, v141
	v_min3_f32 v137, v138, v139, v137
	global_store_dword v[62:63], v137, off
	s_or_b32 exec_lo, exec_lo, s9
	s_and_b32 s12, s3, s8
	s_and_saveexec_b32 s9, s12
	s_cbranch_execz .LBB59_95
.LBB59_111:
	v_cmp_ne_u32_e32 vcc_lo, 1, v121
	v_lshlrev_b64 v[62:63], 2, v[70:71]
	s_cbranch_vccnz .LBB59_113
; %bb.112:
	v_add_co_u32 v137, vcc_lo, v80, v62
	v_add_co_ci_u32_e64 v138, null, v81, v63, vcc_lo
	global_load_dword v137, v[137:138], off
	s_waitcnt vmcnt(0)
	v_mul_f32_e32 v137, s22, v137
	s_branch .LBB59_114
.LBB59_113:
	v_mov_b32_e32 v137, 0
.LBB59_114:
	v_add_f32_e32 v138, v23, v59
	v_add_f32_e32 v139, v22, v58
	;; [unrolled: 1-line block ×4, first 2 shown]
	v_add_co_u32 v62, vcc_lo, v64, v62
	v_min3_f32 v136, v139, v138, v136
	v_add_co_ci_u32_e64 v63, null, v65, v63, vcc_lo
	v_min_f32_e32 v138, v141, v140
	v_min3_f32 v136, v137, v138, v136
	global_store_dword v[62:63], v136, off
	s_or_b32 exec_lo, exec_lo, s9
	s_and_b32 s12, s4, s8
	s_and_saveexec_b32 s9, s12
	s_cbranch_execz .LBB59_96
.LBB59_115:
	v_cmp_ne_u32_e32 vcc_lo, 1, v121
	v_lshlrev_b64 v[62:63], 2, v[72:73]
	s_cbranch_vccnz .LBB59_117
; %bb.116:
	v_add_co_u32 v136, vcc_lo, v80, v62
	v_add_co_ci_u32_e64 v137, null, v81, v63, vcc_lo
	global_load_dword v136, v[136:137], off
	s_waitcnt vmcnt(0)
	v_mul_f32_e32 v136, s22, v136
	s_branch .LBB59_118
.LBB59_117:
	v_mov_b32_e32 v136, 0
.LBB59_118:
	v_add_f32_e32 v137, v19, v59
	v_add_f32_e32 v138, v18, v58
	;; [unrolled: 1-line block ×4, first 2 shown]
	v_add_co_u32 v62, vcc_lo, v64, v62
	v_min3_f32 v135, v138, v137, v135
	v_add_co_ci_u32_e64 v63, null, v65, v63, vcc_lo
	v_min_f32_e32 v137, v140, v139
	v_min3_f32 v135, v136, v137, v135
	global_store_dword v[62:63], v135, off
	s_or_b32 exec_lo, exec_lo, s9
	s_and_b32 s12, s5, s8
	s_and_saveexec_b32 s9, s12
	s_cbranch_execz .LBB59_97
.LBB59_119:
	v_cmp_ne_u32_e32 vcc_lo, 1, v121
	v_lshlrev_b64 v[62:63], 2, v[74:75]
	s_cbranch_vccnz .LBB59_121
; %bb.120:
	v_add_co_u32 v135, vcc_lo, v80, v62
	v_add_co_ci_u32_e64 v136, null, v81, v63, vcc_lo
	global_load_dword v135, v[135:136], off
	s_waitcnt vmcnt(0)
	v_mul_f32_e32 v135, s22, v135
	s_branch .LBB59_122
.LBB59_121:
	v_mov_b32_e32 v135, 0
.LBB59_122:
	v_add_f32_e32 v136, v15, v59
	v_add_f32_e32 v137, v14, v58
	;; [unrolled: 1-line block ×4, first 2 shown]
	v_add_co_u32 v62, vcc_lo, v64, v62
	v_min3_f32 v134, v137, v136, v134
	v_add_co_ci_u32_e64 v63, null, v65, v63, vcc_lo
	v_min_f32_e32 v136, v139, v138
	v_min3_f32 v134, v135, v136, v134
	global_store_dword v[62:63], v134, off
	s_or_b32 exec_lo, exec_lo, s9
	s_and_b32 s12, s6, s8
	s_and_saveexec_b32 s9, s12
	s_cbranch_execz .LBB59_98
.LBB59_123:
	v_cmp_ne_u32_e32 vcc_lo, 1, v121
	v_lshlrev_b64 v[62:63], 2, v[76:77]
	s_cbranch_vccnz .LBB59_125
; %bb.124:
	v_add_co_u32 v134, vcc_lo, v80, v62
	v_add_co_ci_u32_e64 v135, null, v81, v63, vcc_lo
	global_load_dword v134, v[134:135], off
	s_waitcnt vmcnt(0)
	v_mul_f32_e32 v134, s22, v134
	s_branch .LBB59_126
.LBB59_125:
	v_mov_b32_e32 v134, 0
.LBB59_126:
	v_add_f32_e32 v135, v11, v59
	v_add_f32_e32 v136, v10, v58
	;; [unrolled: 1-line block ×4, first 2 shown]
	v_add_co_u32 v62, vcc_lo, v64, v62
	v_min3_f32 v133, v136, v135, v133
	v_add_co_ci_u32_e64 v63, null, v65, v63, vcc_lo
	v_min_f32_e32 v135, v138, v137
	v_min3_f32 v133, v134, v135, v133
	global_store_dword v[62:63], v133, off
	s_or_b32 exec_lo, exec_lo, s9
	s_and_b32 s9, s7, s8
	s_and_saveexec_b32 s8, s9
	s_cbranch_execz .LBB59_131
.LBB59_127:
	v_cmp_ne_u32_e32 vcc_lo, 1, v121
	v_lshlrev_b64 v[62:63], 2, v[78:79]
	s_cbranch_vccnz .LBB59_129
; %bb.128:
	v_add_co_u32 v80, vcc_lo, v80, v62
	v_add_co_ci_u32_e64 v81, null, v81, v63, vcc_lo
	global_load_dword v80, v[80:81], off
	s_waitcnt vmcnt(0)
	v_mul_f32_e32 v80, s22, v80
	s_branch .LBB59_130
.LBB59_129:
	v_mov_b32_e32 v80, 0
.LBB59_130:
	v_add_f32_e32 v59, v3, v59
	v_add_f32_e32 v58, v2, v58
	;; [unrolled: 1-line block ×4, first 2 shown]
	v_min3_f32 v58, v58, v59, v131
	v_min_f32_e32 v59, v60, v61
	v_min3_f32 v60, v80, v59, v58
	v_add_co_u32 v58, vcc_lo, v64, v62
	v_add_co_ci_u32_e64 v59, null, v65, v63, vcc_lo
	global_store_dword v[58:59], v60, off
.LBB59_131:
	s_or_b32 exec_lo, exec_lo, s8
	v_add_nc_u32_e32 v62, 16, v132
	v_mad_i64_i32 v[58:59], null, v62, s15, 0
	v_mad_i64_i32 v[60:61], null, v62, s14, 0
	v_cmp_gt_i32_e64 s8, s13, v62
	v_lshlrev_b64 v[58:59], 2, v[58:59]
	s_and_b32 s12, s0, s8
	v_lshlrev_b64 v[60:61], 2, v[60:61]
	v_add_co_u32 v62, vcc_lo, s16, v58
	v_add_co_ci_u32_e64 v63, null, s17, v59, vcc_lo
	v_add_co_u32 v60, vcc_lo, s10, v60
	v_add_co_ci_u32_e64 v61, null, s11, v61, vcc_lo
	s_and_saveexec_b32 s9, s12
	s_cbranch_execnz .LBB59_139
; %bb.132:
	s_or_b32 exec_lo, exec_lo, s9
	s_and_b32 s12, s1, s8
	s_and_saveexec_b32 s9, s12
	s_cbranch_execnz .LBB59_143
.LBB59_133:
	s_or_b32 exec_lo, exec_lo, s9
	s_and_b32 s12, s2, s8
	s_and_saveexec_b32 s9, s12
	s_cbranch_execnz .LBB59_147
.LBB59_134:
	s_or_b32 exec_lo, exec_lo, s9
	s_and_b32 s12, s3, s8
	s_and_saveexec_b32 s9, s12
	s_cbranch_execnz .LBB59_151
.LBB59_135:
	s_or_b32 exec_lo, exec_lo, s9
	s_and_b32 s12, s4, s8
	s_and_saveexec_b32 s9, s12
	s_cbranch_execnz .LBB59_155
.LBB59_136:
	s_or_b32 exec_lo, exec_lo, s9
	s_and_b32 s12, s5, s8
	s_and_saveexec_b32 s9, s12
	s_cbranch_execnz .LBB59_159
.LBB59_137:
	s_or_b32 exec_lo, exec_lo, s9
	s_and_b32 s12, s6, s8
	s_and_saveexec_b32 s9, s12
	s_cbranch_execnz .LBB59_163
.LBB59_138:
	s_or_b32 exec_lo, exec_lo, s9
	s_and_b32 s9, s7, s8
	s_and_saveexec_b32 s8, s9
	s_cbranch_execnz .LBB59_167
	s_branch .LBB59_171
.LBB59_139:
	v_cmp_ne_u32_e32 vcc_lo, 1, v121
	v_lshlrev_b64 v[58:59], 2, v[0:1]
	s_cbranch_vccnz .LBB59_141
; %bb.140:
	v_add_co_u32 v64, vcc_lo, v62, v58
	v_add_co_ci_u32_e64 v65, null, v63, v59, vcc_lo
	global_load_dword v64, v[64:65], off
	s_waitcnt vmcnt(0)
	v_mul_f32_e32 v64, s22, v64
	s_branch .LBB59_142
.LBB59_141:
	v_mov_b32_e32 v64, 0
.LBB59_142:
	v_add_f32_e32 v65, v35, v55
	v_add_f32_e32 v80, v34, v54
	;; [unrolled: 1-line block ×4, first 2 shown]
	v_add_co_u32 v58, vcc_lo, v60, v58
	v_min3_f32 v65, v80, v65, v130
	v_add_co_ci_u32_e64 v59, null, v61, v59, vcc_lo
	v_min_f32_e32 v80, v131, v81
	v_min3_f32 v64, v64, v80, v65
	global_store_dword v[58:59], v64, off
	s_or_b32 exec_lo, exec_lo, s9
	s_and_b32 s12, s1, s8
	s_and_saveexec_b32 s9, s12
	s_cbranch_execz .LBB59_133
.LBB59_143:
	v_cmp_ne_u32_e32 vcc_lo, 1, v121
	v_lshlrev_b64 v[58:59], 2, v[66:67]
	s_cbranch_vccnz .LBB59_145
; %bb.144:
	v_add_co_u32 v64, vcc_lo, v62, v58
	v_add_co_ci_u32_e64 v65, null, v63, v59, vcc_lo
	global_load_dword v64, v[64:65], off
	s_waitcnt vmcnt(0)
	v_mul_f32_e32 v64, s22, v64
	s_branch .LBB59_146
.LBB59_145:
	v_mov_b32_e32 v64, 0
.LBB59_146:
	v_add_f32_e32 v65, v31, v55
	v_add_f32_e32 v80, v30, v54
	;; [unrolled: 1-line block ×4, first 2 shown]
	v_add_co_u32 v58, vcc_lo, v60, v58
	v_min3_f32 v65, v80, v65, v129
	v_add_co_ci_u32_e64 v59, null, v61, v59, vcc_lo
	v_min_f32_e32 v80, v130, v81
	v_min3_f32 v64, v64, v80, v65
	global_store_dword v[58:59], v64, off
	s_or_b32 exec_lo, exec_lo, s9
	s_and_b32 s12, s2, s8
	s_and_saveexec_b32 s9, s12
	s_cbranch_execz .LBB59_134
.LBB59_147:
	v_cmp_ne_u32_e32 vcc_lo, 1, v121
	v_lshlrev_b64 v[58:59], 2, v[68:69]
	s_cbranch_vccnz .LBB59_149
; %bb.148:
	v_add_co_u32 v64, vcc_lo, v62, v58
	v_add_co_ci_u32_e64 v65, null, v63, v59, vcc_lo
	global_load_dword v64, v[64:65], off
	s_waitcnt vmcnt(0)
	v_mul_f32_e32 v64, s22, v64
	s_branch .LBB59_150
.LBB59_149:
	v_mov_b32_e32 v64, 0
.LBB59_150:
	v_add_f32_e32 v65, v27, v55
	v_add_f32_e32 v80, v26, v54
	;; [unrolled: 1-line block ×4, first 2 shown]
	v_add_co_u32 v58, vcc_lo, v60, v58
	v_min3_f32 v65, v80, v65, v128
	v_add_co_ci_u32_e64 v59, null, v61, v59, vcc_lo
	v_min_f32_e32 v80, v129, v81
	v_min3_f32 v64, v64, v80, v65
	global_store_dword v[58:59], v64, off
	s_or_b32 exec_lo, exec_lo, s9
	s_and_b32 s12, s3, s8
	s_and_saveexec_b32 s9, s12
	s_cbranch_execz .LBB59_135
.LBB59_151:
	v_cmp_ne_u32_e32 vcc_lo, 1, v121
	v_lshlrev_b64 v[58:59], 2, v[70:71]
	s_cbranch_vccnz .LBB59_153
; %bb.152:
	v_add_co_u32 v64, vcc_lo, v62, v58
	v_add_co_ci_u32_e64 v65, null, v63, v59, vcc_lo
	global_load_dword v64, v[64:65], off
	s_waitcnt vmcnt(0)
	v_mul_f32_e32 v64, s22, v64
	s_branch .LBB59_154
.LBB59_153:
	v_mov_b32_e32 v64, 0
.LBB59_154:
	v_add_f32_e32 v65, v23, v55
	v_add_f32_e32 v80, v22, v54
	;; [unrolled: 1-line block ×4, first 2 shown]
	v_add_co_u32 v58, vcc_lo, v60, v58
	v_min3_f32 v65, v80, v65, v127
	v_add_co_ci_u32_e64 v59, null, v61, v59, vcc_lo
	v_min_f32_e32 v80, v128, v81
	v_min3_f32 v64, v64, v80, v65
	global_store_dword v[58:59], v64, off
	s_or_b32 exec_lo, exec_lo, s9
	s_and_b32 s12, s4, s8
	s_and_saveexec_b32 s9, s12
	s_cbranch_execz .LBB59_136
.LBB59_155:
	v_cmp_ne_u32_e32 vcc_lo, 1, v121
	v_lshlrev_b64 v[58:59], 2, v[72:73]
	s_cbranch_vccnz .LBB59_157
; %bb.156:
	v_add_co_u32 v64, vcc_lo, v62, v58
	v_add_co_ci_u32_e64 v65, null, v63, v59, vcc_lo
	global_load_dword v64, v[64:65], off
	s_waitcnt vmcnt(0)
	v_mul_f32_e32 v64, s22, v64
	s_branch .LBB59_158
.LBB59_157:
	v_mov_b32_e32 v64, 0
.LBB59_158:
	v_add_f32_e32 v65, v19, v55
	v_add_f32_e32 v80, v18, v54
	;; [unrolled: 1-line block ×4, first 2 shown]
	v_add_co_u32 v58, vcc_lo, v60, v58
	v_min3_f32 v65, v80, v65, v126
	v_add_co_ci_u32_e64 v59, null, v61, v59, vcc_lo
	v_min_f32_e32 v80, v127, v81
	v_min3_f32 v64, v64, v80, v65
	global_store_dword v[58:59], v64, off
	s_or_b32 exec_lo, exec_lo, s9
	s_and_b32 s12, s5, s8
	s_and_saveexec_b32 s9, s12
	s_cbranch_execz .LBB59_137
.LBB59_159:
	v_cmp_ne_u32_e32 vcc_lo, 1, v121
	v_lshlrev_b64 v[58:59], 2, v[74:75]
	s_cbranch_vccnz .LBB59_161
; %bb.160:
	v_add_co_u32 v64, vcc_lo, v62, v58
	v_add_co_ci_u32_e64 v65, null, v63, v59, vcc_lo
	global_load_dword v64, v[64:65], off
	s_waitcnt vmcnt(0)
	v_mul_f32_e32 v64, s22, v64
	s_branch .LBB59_162
.LBB59_161:
	v_mov_b32_e32 v64, 0
.LBB59_162:
	v_add_f32_e32 v65, v15, v55
	v_add_f32_e32 v80, v14, v54
	;; [unrolled: 1-line block ×4, first 2 shown]
	v_add_co_u32 v58, vcc_lo, v60, v58
	v_min3_f32 v65, v80, v65, v125
	v_add_co_ci_u32_e64 v59, null, v61, v59, vcc_lo
	v_min_f32_e32 v80, v126, v81
	v_min3_f32 v64, v64, v80, v65
	global_store_dword v[58:59], v64, off
	s_or_b32 exec_lo, exec_lo, s9
	s_and_b32 s12, s6, s8
	s_and_saveexec_b32 s9, s12
	s_cbranch_execz .LBB59_138
.LBB59_163:
	v_cmp_ne_u32_e32 vcc_lo, 1, v121
	v_lshlrev_b64 v[58:59], 2, v[76:77]
	s_cbranch_vccnz .LBB59_165
; %bb.164:
	v_add_co_u32 v64, vcc_lo, v62, v58
	v_add_co_ci_u32_e64 v65, null, v63, v59, vcc_lo
	global_load_dword v64, v[64:65], off
	s_waitcnt vmcnt(0)
	v_mul_f32_e32 v64, s22, v64
	s_branch .LBB59_166
.LBB59_165:
	v_mov_b32_e32 v64, 0
.LBB59_166:
	v_add_f32_e32 v65, v11, v55
	v_add_f32_e32 v80, v10, v54
	;; [unrolled: 1-line block ×4, first 2 shown]
	v_add_co_u32 v58, vcc_lo, v60, v58
	v_min3_f32 v65, v80, v65, v124
	v_add_co_ci_u32_e64 v59, null, v61, v59, vcc_lo
	v_min_f32_e32 v80, v125, v81
	v_min3_f32 v64, v64, v80, v65
	global_store_dword v[58:59], v64, off
	s_or_b32 exec_lo, exec_lo, s9
	s_and_b32 s9, s7, s8
	s_and_saveexec_b32 s8, s9
	s_cbranch_execz .LBB59_171
.LBB59_167:
	v_cmp_ne_u32_e32 vcc_lo, 1, v121
	v_lshlrev_b64 v[58:59], 2, v[78:79]
	s_cbranch_vccnz .LBB59_169
; %bb.168:
	v_add_co_u32 v62, vcc_lo, v62, v58
	v_add_co_ci_u32_e64 v63, null, v63, v59, vcc_lo
	global_load_dword v62, v[62:63], off
	s_waitcnt vmcnt(0)
	v_mul_f32_e32 v62, s22, v62
	s_branch .LBB59_170
.LBB59_169:
	v_mov_b32_e32 v62, 0
.LBB59_170:
	v_add_f32_e32 v55, v3, v55
	v_add_f32_e32 v54, v2, v54
	;; [unrolled: 1-line block ×4, first 2 shown]
	v_min3_f32 v54, v54, v55, v122
	v_min_f32_e32 v55, v56, v57
	v_min3_f32 v56, v62, v55, v54
	v_add_co_u32 v54, vcc_lo, v60, v58
	v_add_co_ci_u32_e64 v55, null, v61, v59, vcc_lo
	global_store_dword v[54:55], v56, off
.LBB59_171:
	s_or_b32 exec_lo, exec_lo, s8
	v_add_nc_u32_e32 v58, 24, v132
	v_mad_i64_i32 v[54:55], null, v58, s15, 0
	v_mad_i64_i32 v[56:57], null, v58, s14, 0
	v_cmp_gt_i32_e64 s8, s13, v58
	v_lshlrev_b64 v[54:55], 2, v[54:55]
	s_and_b32 s12, s0, s8
	v_lshlrev_b64 v[56:57], 2, v[56:57]
	v_add_co_u32 v58, vcc_lo, s16, v54
	v_add_co_ci_u32_e64 v59, null, s17, v55, vcc_lo
	v_add_co_u32 v56, vcc_lo, s10, v56
	v_add_co_ci_u32_e64 v57, null, s11, v57, vcc_lo
	s_and_saveexec_b32 s9, s12
	s_cbranch_execnz .LBB59_179
; %bb.172:
	s_or_b32 exec_lo, exec_lo, s9
	s_and_b32 s12, s1, s8
	s_and_saveexec_b32 s9, s12
	s_cbranch_execnz .LBB59_183
.LBB59_173:
	s_or_b32 exec_lo, exec_lo, s9
	s_and_b32 s12, s2, s8
	s_and_saveexec_b32 s9, s12
	s_cbranch_execnz .LBB59_187
.LBB59_174:
	s_or_b32 exec_lo, exec_lo, s9
	s_and_b32 s12, s3, s8
	s_and_saveexec_b32 s9, s12
	s_cbranch_execnz .LBB59_191
.LBB59_175:
	s_or_b32 exec_lo, exec_lo, s9
	s_and_b32 s12, s4, s8
	s_and_saveexec_b32 s9, s12
	s_cbranch_execnz .LBB59_195
.LBB59_176:
	s_or_b32 exec_lo, exec_lo, s9
	s_and_b32 s12, s5, s8
	s_and_saveexec_b32 s9, s12
	s_cbranch_execnz .LBB59_199
.LBB59_177:
	s_or_b32 exec_lo, exec_lo, s9
	s_and_b32 s12, s6, s8
	s_and_saveexec_b32 s9, s12
	s_cbranch_execnz .LBB59_203
.LBB59_178:
	s_or_b32 exec_lo, exec_lo, s9
	s_and_b32 s9, s7, s8
	s_and_saveexec_b32 s8, s9
	s_cbranch_execnz .LBB59_207
	s_branch .LBB59_211
.LBB59_179:
	v_cmp_ne_u32_e32 vcc_lo, 1, v121
	v_lshlrev_b64 v[54:55], 2, v[0:1]
	s_cbranch_vccnz .LBB59_181
; %bb.180:
	v_add_co_u32 v60, vcc_lo, v58, v54
	v_add_co_ci_u32_e64 v61, null, v59, v55, vcc_lo
	global_load_dword v60, v[60:61], off
	s_waitcnt vmcnt(0)
	v_mul_f32_e32 v60, s22, v60
	s_branch .LBB59_182
.LBB59_181:
	v_mov_b32_e32 v60, 0
.LBB59_182:
	v_add_f32_e32 v61, v35, v51
	v_add_f32_e32 v62, v34, v50
	;; [unrolled: 1-line block ×4, first 2 shown]
	v_add_co_u32 v54, vcc_lo, v56, v54
	v_min3_f32 v61, v62, v61, v123
	v_add_co_ci_u32_e64 v55, null, v57, v55, vcc_lo
	v_min_f32_e32 v62, v64, v63
	v_min3_f32 v60, v60, v62, v61
	global_store_dword v[54:55], v60, off
	s_or_b32 exec_lo, exec_lo, s9
	s_and_b32 s12, s1, s8
	s_and_saveexec_b32 s9, s12
	s_cbranch_execz .LBB59_173
.LBB59_183:
	v_cmp_ne_u32_e32 vcc_lo, 1, v121
	v_lshlrev_b64 v[54:55], 2, v[66:67]
	s_cbranch_vccnz .LBB59_185
; %bb.184:
	v_add_co_u32 v60, vcc_lo, v58, v54
	v_add_co_ci_u32_e64 v61, null, v59, v55, vcc_lo
	global_load_dword v60, v[60:61], off
	s_waitcnt vmcnt(0)
	v_mul_f32_e32 v60, s22, v60
	s_branch .LBB59_186
.LBB59_185:
	v_mov_b32_e32 v60, 0
.LBB59_186:
	v_add_f32_e32 v61, v31, v51
	v_add_f32_e32 v62, v30, v50
	;; [unrolled: 1-line block ×4, first 2 shown]
	v_add_co_u32 v54, vcc_lo, v56, v54
	v_min3_f32 v61, v62, v61, v120
	v_add_co_ci_u32_e64 v55, null, v57, v55, vcc_lo
	v_min_f32_e32 v62, v64, v63
	v_min3_f32 v60, v60, v62, v61
	global_store_dword v[54:55], v60, off
	s_or_b32 exec_lo, exec_lo, s9
	s_and_b32 s12, s2, s8
	s_and_saveexec_b32 s9, s12
	s_cbranch_execz .LBB59_174
.LBB59_187:
	v_cmp_ne_u32_e32 vcc_lo, 1, v121
	v_lshlrev_b64 v[54:55], 2, v[68:69]
	s_cbranch_vccnz .LBB59_189
; %bb.188:
	v_add_co_u32 v60, vcc_lo, v58, v54
	v_add_co_ci_u32_e64 v61, null, v59, v55, vcc_lo
	global_load_dword v60, v[60:61], off
	s_waitcnt vmcnt(0)
	v_mul_f32_e32 v60, s22, v60
	s_branch .LBB59_190
.LBB59_189:
	v_mov_b32_e32 v60, 0
.LBB59_190:
	v_add_f32_e32 v61, v27, v51
	v_add_f32_e32 v62, v26, v50
	;; [unrolled: 1-line block ×4, first 2 shown]
	v_add_co_u32 v54, vcc_lo, v56, v54
	v_min3_f32 v61, v62, v61, v119
	v_add_co_ci_u32_e64 v55, null, v57, v55, vcc_lo
	v_min_f32_e32 v62, v64, v63
	v_min3_f32 v60, v60, v62, v61
	global_store_dword v[54:55], v60, off
	s_or_b32 exec_lo, exec_lo, s9
	s_and_b32 s12, s3, s8
	s_and_saveexec_b32 s9, s12
	s_cbranch_execz .LBB59_175
.LBB59_191:
	v_cmp_ne_u32_e32 vcc_lo, 1, v121
	v_lshlrev_b64 v[54:55], 2, v[70:71]
	s_cbranch_vccnz .LBB59_193
; %bb.192:
	v_add_co_u32 v60, vcc_lo, v58, v54
	v_add_co_ci_u32_e64 v61, null, v59, v55, vcc_lo
	global_load_dword v60, v[60:61], off
	s_waitcnt vmcnt(0)
	v_mul_f32_e32 v60, s22, v60
	s_branch .LBB59_194
.LBB59_193:
	v_mov_b32_e32 v60, 0
.LBB59_194:
	v_add_f32_e32 v61, v23, v51
	v_add_f32_e32 v62, v22, v50
	;; [unrolled: 1-line block ×4, first 2 shown]
	v_add_co_u32 v54, vcc_lo, v56, v54
	v_min3_f32 v61, v62, v61, v118
	v_add_co_ci_u32_e64 v55, null, v57, v55, vcc_lo
	v_min_f32_e32 v62, v64, v63
	v_min3_f32 v60, v60, v62, v61
	global_store_dword v[54:55], v60, off
	s_or_b32 exec_lo, exec_lo, s9
	s_and_b32 s12, s4, s8
	s_and_saveexec_b32 s9, s12
	s_cbranch_execz .LBB59_176
.LBB59_195:
	v_cmp_ne_u32_e32 vcc_lo, 1, v121
	v_lshlrev_b64 v[54:55], 2, v[72:73]
	s_cbranch_vccnz .LBB59_197
; %bb.196:
	v_add_co_u32 v60, vcc_lo, v58, v54
	v_add_co_ci_u32_e64 v61, null, v59, v55, vcc_lo
	global_load_dword v60, v[60:61], off
	s_waitcnt vmcnt(0)
	v_mul_f32_e32 v60, s22, v60
	s_branch .LBB59_198
.LBB59_197:
	v_mov_b32_e32 v60, 0
.LBB59_198:
	v_add_f32_e32 v61, v19, v51
	v_add_f32_e32 v62, v18, v50
	;; [unrolled: 1-line block ×4, first 2 shown]
	v_add_co_u32 v54, vcc_lo, v56, v54
	v_min3_f32 v61, v62, v61, v117
	v_add_co_ci_u32_e64 v55, null, v57, v55, vcc_lo
	v_min_f32_e32 v62, v64, v63
	v_min3_f32 v60, v60, v62, v61
	global_store_dword v[54:55], v60, off
	s_or_b32 exec_lo, exec_lo, s9
	s_and_b32 s12, s5, s8
	s_and_saveexec_b32 s9, s12
	s_cbranch_execz .LBB59_177
.LBB59_199:
	v_cmp_ne_u32_e32 vcc_lo, 1, v121
	v_lshlrev_b64 v[54:55], 2, v[74:75]
	s_cbranch_vccnz .LBB59_201
; %bb.200:
	v_add_co_u32 v60, vcc_lo, v58, v54
	v_add_co_ci_u32_e64 v61, null, v59, v55, vcc_lo
	global_load_dword v60, v[60:61], off
	s_waitcnt vmcnt(0)
	v_mul_f32_e32 v60, s22, v60
	s_branch .LBB59_202
.LBB59_201:
	v_mov_b32_e32 v60, 0
.LBB59_202:
	v_add_f32_e32 v61, v15, v51
	v_add_f32_e32 v62, v14, v50
	;; [unrolled: 1-line block ×4, first 2 shown]
	v_add_co_u32 v54, vcc_lo, v56, v54
	v_min3_f32 v61, v62, v61, v116
	v_add_co_ci_u32_e64 v55, null, v57, v55, vcc_lo
	v_min_f32_e32 v62, v64, v63
	v_min3_f32 v60, v60, v62, v61
	global_store_dword v[54:55], v60, off
	s_or_b32 exec_lo, exec_lo, s9
	s_and_b32 s12, s6, s8
	s_and_saveexec_b32 s9, s12
	s_cbranch_execz .LBB59_178
.LBB59_203:
	v_cmp_ne_u32_e32 vcc_lo, 1, v121
	v_lshlrev_b64 v[54:55], 2, v[76:77]
	s_cbranch_vccnz .LBB59_205
; %bb.204:
	v_add_co_u32 v60, vcc_lo, v58, v54
	v_add_co_ci_u32_e64 v61, null, v59, v55, vcc_lo
	global_load_dword v60, v[60:61], off
	s_waitcnt vmcnt(0)
	v_mul_f32_e32 v60, s22, v60
	s_branch .LBB59_206
.LBB59_205:
	v_mov_b32_e32 v60, 0
.LBB59_206:
	v_add_f32_e32 v61, v11, v51
	v_add_f32_e32 v62, v10, v50
	;; [unrolled: 1-line block ×4, first 2 shown]
	v_add_co_u32 v54, vcc_lo, v56, v54
	v_min3_f32 v61, v62, v61, v115
	v_add_co_ci_u32_e64 v55, null, v57, v55, vcc_lo
	v_min_f32_e32 v62, v64, v63
	v_min3_f32 v60, v60, v62, v61
	global_store_dword v[54:55], v60, off
	s_or_b32 exec_lo, exec_lo, s9
	s_and_b32 s9, s7, s8
	s_and_saveexec_b32 s8, s9
	s_cbranch_execz .LBB59_211
.LBB59_207:
	v_cmp_ne_u32_e32 vcc_lo, 1, v121
	v_lshlrev_b64 v[54:55], 2, v[78:79]
	s_cbranch_vccnz .LBB59_209
; %bb.208:
	v_add_co_u32 v58, vcc_lo, v58, v54
	v_add_co_ci_u32_e64 v59, null, v59, v55, vcc_lo
	global_load_dword v58, v[58:59], off
	s_waitcnt vmcnt(0)
	v_mul_f32_e32 v58, s22, v58
	s_branch .LBB59_210
.LBB59_209:
	v_mov_b32_e32 v58, 0
.LBB59_210:
	v_add_f32_e32 v51, v3, v51
	v_add_f32_e32 v50, v2, v50
	;; [unrolled: 1-line block ×4, first 2 shown]
	v_min3_f32 v50, v50, v51, v114
	v_min_f32_e32 v51, v52, v53
	v_min3_f32 v52, v58, v51, v50
	v_add_co_u32 v50, vcc_lo, v56, v54
	v_add_co_ci_u32_e64 v51, null, v57, v55, vcc_lo
	global_store_dword v[50:51], v52, off
.LBB59_211:
	s_or_b32 exec_lo, exec_lo, s8
	v_add_nc_u32_e32 v54, 32, v132
	v_mad_i64_i32 v[50:51], null, v54, s15, 0
	v_mad_i64_i32 v[52:53], null, v54, s14, 0
	v_cmp_gt_i32_e64 s8, s13, v54
	v_lshlrev_b64 v[50:51], 2, v[50:51]
	s_and_b32 s12, s0, s8
	v_lshlrev_b64 v[52:53], 2, v[52:53]
	v_add_co_u32 v54, vcc_lo, s16, v50
	v_add_co_ci_u32_e64 v55, null, s17, v51, vcc_lo
	v_add_co_u32 v52, vcc_lo, s10, v52
	v_add_co_ci_u32_e64 v53, null, s11, v53, vcc_lo
	s_and_saveexec_b32 s9, s12
	s_cbranch_execnz .LBB59_219
; %bb.212:
	s_or_b32 exec_lo, exec_lo, s9
	s_and_b32 s12, s1, s8
	s_and_saveexec_b32 s9, s12
	s_cbranch_execnz .LBB59_223
.LBB59_213:
	s_or_b32 exec_lo, exec_lo, s9
	s_and_b32 s12, s2, s8
	s_and_saveexec_b32 s9, s12
	s_cbranch_execnz .LBB59_227
.LBB59_214:
	s_or_b32 exec_lo, exec_lo, s9
	s_and_b32 s12, s3, s8
	s_and_saveexec_b32 s9, s12
	s_cbranch_execnz .LBB59_231
.LBB59_215:
	s_or_b32 exec_lo, exec_lo, s9
	s_and_b32 s12, s4, s8
	s_and_saveexec_b32 s9, s12
	s_cbranch_execnz .LBB59_235
.LBB59_216:
	s_or_b32 exec_lo, exec_lo, s9
	s_and_b32 s12, s5, s8
	s_and_saveexec_b32 s9, s12
	s_cbranch_execnz .LBB59_239
.LBB59_217:
	s_or_b32 exec_lo, exec_lo, s9
	s_and_b32 s12, s6, s8
	s_and_saveexec_b32 s9, s12
	s_cbranch_execnz .LBB59_243
.LBB59_218:
	s_or_b32 exec_lo, exec_lo, s9
	s_and_b32 s9, s7, s8
	s_and_saveexec_b32 s8, s9
	s_cbranch_execnz .LBB59_247
	s_branch .LBB59_251
.LBB59_219:
	v_cmp_ne_u32_e32 vcc_lo, 1, v121
	v_lshlrev_b64 v[50:51], 2, v[0:1]
	s_cbranch_vccnz .LBB59_221
; %bb.220:
	v_add_co_u32 v56, vcc_lo, v54, v50
	v_add_co_ci_u32_e64 v57, null, v55, v51, vcc_lo
	global_load_dword v56, v[56:57], off
	s_waitcnt vmcnt(0)
	v_mul_f32_e32 v56, s22, v56
	s_branch .LBB59_222
.LBB59_221:
	v_mov_b32_e32 v56, 0
.LBB59_222:
	v_add_f32_e32 v57, v35, v47
	v_add_f32_e32 v58, v34, v46
	;; [unrolled: 1-line block ×4, first 2 shown]
	v_add_co_u32 v50, vcc_lo, v52, v50
	v_min3_f32 v57, v58, v57, v113
	v_add_co_ci_u32_e64 v51, null, v53, v51, vcc_lo
	v_min_f32_e32 v58, v60, v59
	v_min3_f32 v56, v56, v58, v57
	global_store_dword v[50:51], v56, off
	s_or_b32 exec_lo, exec_lo, s9
	s_and_b32 s12, s1, s8
	s_and_saveexec_b32 s9, s12
	s_cbranch_execz .LBB59_213
.LBB59_223:
	v_cmp_ne_u32_e32 vcc_lo, 1, v121
	v_lshlrev_b64 v[50:51], 2, v[66:67]
	s_cbranch_vccnz .LBB59_225
; %bb.224:
	v_add_co_u32 v56, vcc_lo, v54, v50
	v_add_co_ci_u32_e64 v57, null, v55, v51, vcc_lo
	global_load_dword v56, v[56:57], off
	s_waitcnt vmcnt(0)
	v_mul_f32_e32 v56, s22, v56
	s_branch .LBB59_226
.LBB59_225:
	v_mov_b32_e32 v56, 0
.LBB59_226:
	v_add_f32_e32 v57, v31, v47
	v_add_f32_e32 v58, v30, v46
	;; [unrolled: 1-line block ×4, first 2 shown]
	v_add_co_u32 v50, vcc_lo, v52, v50
	v_min3_f32 v57, v58, v57, v112
	v_add_co_ci_u32_e64 v51, null, v53, v51, vcc_lo
	v_min_f32_e32 v58, v60, v59
	v_min3_f32 v56, v56, v58, v57
	global_store_dword v[50:51], v56, off
	s_or_b32 exec_lo, exec_lo, s9
	s_and_b32 s12, s2, s8
	s_and_saveexec_b32 s9, s12
	s_cbranch_execz .LBB59_214
.LBB59_227:
	v_cmp_ne_u32_e32 vcc_lo, 1, v121
	v_lshlrev_b64 v[50:51], 2, v[68:69]
	s_cbranch_vccnz .LBB59_229
; %bb.228:
	v_add_co_u32 v56, vcc_lo, v54, v50
	v_add_co_ci_u32_e64 v57, null, v55, v51, vcc_lo
	global_load_dword v56, v[56:57], off
	s_waitcnt vmcnt(0)
	v_mul_f32_e32 v56, s22, v56
	s_branch .LBB59_230
.LBB59_229:
	v_mov_b32_e32 v56, 0
.LBB59_230:
	v_add_f32_e32 v57, v27, v47
	v_add_f32_e32 v58, v26, v46
	;; [unrolled: 1-line block ×4, first 2 shown]
	v_add_co_u32 v50, vcc_lo, v52, v50
	v_min3_f32 v57, v58, v57, v111
	v_add_co_ci_u32_e64 v51, null, v53, v51, vcc_lo
	v_min_f32_e32 v58, v60, v59
	v_min3_f32 v56, v56, v58, v57
	global_store_dword v[50:51], v56, off
	s_or_b32 exec_lo, exec_lo, s9
	s_and_b32 s12, s3, s8
	s_and_saveexec_b32 s9, s12
	s_cbranch_execz .LBB59_215
.LBB59_231:
	v_cmp_ne_u32_e32 vcc_lo, 1, v121
	v_lshlrev_b64 v[50:51], 2, v[70:71]
	s_cbranch_vccnz .LBB59_233
; %bb.232:
	v_add_co_u32 v56, vcc_lo, v54, v50
	v_add_co_ci_u32_e64 v57, null, v55, v51, vcc_lo
	global_load_dword v56, v[56:57], off
	s_waitcnt vmcnt(0)
	v_mul_f32_e32 v56, s22, v56
	s_branch .LBB59_234
.LBB59_233:
	v_mov_b32_e32 v56, 0
.LBB59_234:
	v_add_f32_e32 v57, v23, v47
	v_add_f32_e32 v58, v22, v46
	;; [unrolled: 1-line block ×4, first 2 shown]
	v_add_co_u32 v50, vcc_lo, v52, v50
	v_min3_f32 v57, v58, v57, v110
	v_add_co_ci_u32_e64 v51, null, v53, v51, vcc_lo
	v_min_f32_e32 v58, v60, v59
	v_min3_f32 v56, v56, v58, v57
	global_store_dword v[50:51], v56, off
	s_or_b32 exec_lo, exec_lo, s9
	s_and_b32 s12, s4, s8
	s_and_saveexec_b32 s9, s12
	s_cbranch_execz .LBB59_216
.LBB59_235:
	v_cmp_ne_u32_e32 vcc_lo, 1, v121
	v_lshlrev_b64 v[50:51], 2, v[72:73]
	s_cbranch_vccnz .LBB59_237
; %bb.236:
	v_add_co_u32 v56, vcc_lo, v54, v50
	v_add_co_ci_u32_e64 v57, null, v55, v51, vcc_lo
	global_load_dword v56, v[56:57], off
	s_waitcnt vmcnt(0)
	v_mul_f32_e32 v56, s22, v56
	s_branch .LBB59_238
.LBB59_237:
	v_mov_b32_e32 v56, 0
.LBB59_238:
	v_add_f32_e32 v57, v19, v47
	v_add_f32_e32 v58, v18, v46
	;; [unrolled: 1-line block ×4, first 2 shown]
	v_add_co_u32 v50, vcc_lo, v52, v50
	v_min3_f32 v57, v58, v57, v109
	v_add_co_ci_u32_e64 v51, null, v53, v51, vcc_lo
	v_min_f32_e32 v58, v60, v59
	v_min3_f32 v56, v56, v58, v57
	global_store_dword v[50:51], v56, off
	s_or_b32 exec_lo, exec_lo, s9
	s_and_b32 s12, s5, s8
	s_and_saveexec_b32 s9, s12
	s_cbranch_execz .LBB59_217
.LBB59_239:
	v_cmp_ne_u32_e32 vcc_lo, 1, v121
	v_lshlrev_b64 v[50:51], 2, v[74:75]
	s_cbranch_vccnz .LBB59_241
; %bb.240:
	v_add_co_u32 v56, vcc_lo, v54, v50
	v_add_co_ci_u32_e64 v57, null, v55, v51, vcc_lo
	global_load_dword v56, v[56:57], off
	s_waitcnt vmcnt(0)
	v_mul_f32_e32 v56, s22, v56
	s_branch .LBB59_242
.LBB59_241:
	v_mov_b32_e32 v56, 0
.LBB59_242:
	v_add_f32_e32 v57, v15, v47
	v_add_f32_e32 v58, v14, v46
	;; [unrolled: 1-line block ×4, first 2 shown]
	v_add_co_u32 v50, vcc_lo, v52, v50
	v_min3_f32 v57, v58, v57, v108
	v_add_co_ci_u32_e64 v51, null, v53, v51, vcc_lo
	v_min_f32_e32 v58, v60, v59
	v_min3_f32 v56, v56, v58, v57
	global_store_dword v[50:51], v56, off
	s_or_b32 exec_lo, exec_lo, s9
	s_and_b32 s12, s6, s8
	s_and_saveexec_b32 s9, s12
	s_cbranch_execz .LBB59_218
.LBB59_243:
	v_cmp_ne_u32_e32 vcc_lo, 1, v121
	v_lshlrev_b64 v[50:51], 2, v[76:77]
	s_cbranch_vccnz .LBB59_245
; %bb.244:
	v_add_co_u32 v56, vcc_lo, v54, v50
	v_add_co_ci_u32_e64 v57, null, v55, v51, vcc_lo
	global_load_dword v56, v[56:57], off
	s_waitcnt vmcnt(0)
	v_mul_f32_e32 v56, s22, v56
	s_branch .LBB59_246
.LBB59_245:
	v_mov_b32_e32 v56, 0
.LBB59_246:
	v_add_f32_e32 v57, v11, v47
	v_add_f32_e32 v58, v10, v46
	;; [unrolled: 1-line block ×4, first 2 shown]
	v_add_co_u32 v50, vcc_lo, v52, v50
	v_min3_f32 v57, v58, v57, v107
	v_add_co_ci_u32_e64 v51, null, v53, v51, vcc_lo
	v_min_f32_e32 v58, v60, v59
	v_min3_f32 v56, v56, v58, v57
	global_store_dword v[50:51], v56, off
	s_or_b32 exec_lo, exec_lo, s9
	s_and_b32 s9, s7, s8
	s_and_saveexec_b32 s8, s9
	s_cbranch_execz .LBB59_251
.LBB59_247:
	v_cmp_ne_u32_e32 vcc_lo, 1, v121
	v_lshlrev_b64 v[50:51], 2, v[78:79]
	s_cbranch_vccnz .LBB59_249
; %bb.248:
	v_add_co_u32 v54, vcc_lo, v54, v50
	v_add_co_ci_u32_e64 v55, null, v55, v51, vcc_lo
	global_load_dword v54, v[54:55], off
	s_waitcnt vmcnt(0)
	v_mul_f32_e32 v54, s22, v54
	s_branch .LBB59_250
.LBB59_249:
	v_mov_b32_e32 v54, 0
.LBB59_250:
	v_add_f32_e32 v47, v3, v47
	v_add_f32_e32 v46, v2, v46
	;; [unrolled: 1-line block ×4, first 2 shown]
	v_min3_f32 v46, v46, v47, v106
	v_min_f32_e32 v47, v48, v49
	v_min3_f32 v48, v54, v47, v46
	v_add_co_u32 v46, vcc_lo, v52, v50
	v_add_co_ci_u32_e64 v47, null, v53, v51, vcc_lo
	global_store_dword v[46:47], v48, off
.LBB59_251:
	s_or_b32 exec_lo, exec_lo, s8
	v_add_nc_u32_e32 v50, 40, v132
	v_mad_i64_i32 v[46:47], null, v50, s15, 0
	v_mad_i64_i32 v[48:49], null, v50, s14, 0
	v_cmp_gt_i32_e64 s8, s13, v50
	v_lshlrev_b64 v[46:47], 2, v[46:47]
	s_and_b32 s12, s0, s8
	v_lshlrev_b64 v[48:49], 2, v[48:49]
	v_add_co_u32 v50, vcc_lo, s16, v46
	v_add_co_ci_u32_e64 v51, null, s17, v47, vcc_lo
	v_add_co_u32 v48, vcc_lo, s10, v48
	v_add_co_ci_u32_e64 v49, null, s11, v49, vcc_lo
	s_and_saveexec_b32 s9, s12
	s_cbranch_execnz .LBB59_259
; %bb.252:
	s_or_b32 exec_lo, exec_lo, s9
	s_and_b32 s12, s1, s8
	s_and_saveexec_b32 s9, s12
	s_cbranch_execnz .LBB59_263
.LBB59_253:
	s_or_b32 exec_lo, exec_lo, s9
	s_and_b32 s12, s2, s8
	s_and_saveexec_b32 s9, s12
	s_cbranch_execnz .LBB59_267
.LBB59_254:
	s_or_b32 exec_lo, exec_lo, s9
	s_and_b32 s12, s3, s8
	s_and_saveexec_b32 s9, s12
	s_cbranch_execnz .LBB59_271
.LBB59_255:
	s_or_b32 exec_lo, exec_lo, s9
	s_and_b32 s12, s4, s8
	s_and_saveexec_b32 s9, s12
	s_cbranch_execnz .LBB59_275
.LBB59_256:
	s_or_b32 exec_lo, exec_lo, s9
	s_and_b32 s12, s5, s8
	s_and_saveexec_b32 s9, s12
	s_cbranch_execnz .LBB59_279
.LBB59_257:
	s_or_b32 exec_lo, exec_lo, s9
	s_and_b32 s12, s6, s8
	s_and_saveexec_b32 s9, s12
	s_cbranch_execnz .LBB59_283
.LBB59_258:
	s_or_b32 exec_lo, exec_lo, s9
	s_and_b32 s9, s7, s8
	s_and_saveexec_b32 s8, s9
	s_cbranch_execnz .LBB59_287
	s_branch .LBB59_291
.LBB59_259:
	v_cmp_ne_u32_e32 vcc_lo, 1, v121
	v_lshlrev_b64 v[46:47], 2, v[0:1]
	s_cbranch_vccnz .LBB59_261
; %bb.260:
	v_add_co_u32 v52, vcc_lo, v50, v46
	v_add_co_ci_u32_e64 v53, null, v51, v47, vcc_lo
	global_load_dword v52, v[52:53], off
	s_waitcnt vmcnt(0)
	v_mul_f32_e32 v52, s22, v52
	s_branch .LBB59_262
.LBB59_261:
	v_mov_b32_e32 v52, 0
.LBB59_262:
	v_add_f32_e32 v53, v35, v43
	v_add_f32_e32 v54, v34, v42
	;; [unrolled: 1-line block ×4, first 2 shown]
	v_add_co_u32 v46, vcc_lo, v48, v46
	v_min3_f32 v53, v54, v53, v105
	v_add_co_ci_u32_e64 v47, null, v49, v47, vcc_lo
	v_min_f32_e32 v54, v56, v55
	v_min3_f32 v52, v52, v54, v53
	global_store_dword v[46:47], v52, off
	s_or_b32 exec_lo, exec_lo, s9
	s_and_b32 s12, s1, s8
	s_and_saveexec_b32 s9, s12
	s_cbranch_execz .LBB59_253
.LBB59_263:
	v_cmp_ne_u32_e32 vcc_lo, 1, v121
	v_lshlrev_b64 v[46:47], 2, v[66:67]
	s_cbranch_vccnz .LBB59_265
; %bb.264:
	v_add_co_u32 v52, vcc_lo, v50, v46
	v_add_co_ci_u32_e64 v53, null, v51, v47, vcc_lo
	global_load_dword v52, v[52:53], off
	s_waitcnt vmcnt(0)
	v_mul_f32_e32 v52, s22, v52
	s_branch .LBB59_266
.LBB59_265:
	v_mov_b32_e32 v52, 0
.LBB59_266:
	v_add_f32_e32 v53, v31, v43
	v_add_f32_e32 v54, v30, v42
	;; [unrolled: 1-line block ×4, first 2 shown]
	v_add_co_u32 v46, vcc_lo, v48, v46
	v_min3_f32 v53, v54, v53, v104
	v_add_co_ci_u32_e64 v47, null, v49, v47, vcc_lo
	v_min_f32_e32 v54, v56, v55
	v_min3_f32 v52, v52, v54, v53
	global_store_dword v[46:47], v52, off
	s_or_b32 exec_lo, exec_lo, s9
	s_and_b32 s12, s2, s8
	s_and_saveexec_b32 s9, s12
	s_cbranch_execz .LBB59_254
.LBB59_267:
	v_cmp_ne_u32_e32 vcc_lo, 1, v121
	v_lshlrev_b64 v[46:47], 2, v[68:69]
	s_cbranch_vccnz .LBB59_269
; %bb.268:
	v_add_co_u32 v52, vcc_lo, v50, v46
	v_add_co_ci_u32_e64 v53, null, v51, v47, vcc_lo
	global_load_dword v52, v[52:53], off
	s_waitcnt vmcnt(0)
	v_mul_f32_e32 v52, s22, v52
	s_branch .LBB59_270
.LBB59_269:
	v_mov_b32_e32 v52, 0
.LBB59_270:
	v_add_f32_e32 v53, v27, v43
	v_add_f32_e32 v54, v26, v42
	;; [unrolled: 1-line block ×4, first 2 shown]
	v_add_co_u32 v46, vcc_lo, v48, v46
	v_min3_f32 v53, v54, v53, v103
	v_add_co_ci_u32_e64 v47, null, v49, v47, vcc_lo
	v_min_f32_e32 v54, v56, v55
	v_min3_f32 v52, v52, v54, v53
	global_store_dword v[46:47], v52, off
	s_or_b32 exec_lo, exec_lo, s9
	s_and_b32 s12, s3, s8
	s_and_saveexec_b32 s9, s12
	s_cbranch_execz .LBB59_255
.LBB59_271:
	v_cmp_ne_u32_e32 vcc_lo, 1, v121
	v_lshlrev_b64 v[46:47], 2, v[70:71]
	s_cbranch_vccnz .LBB59_273
; %bb.272:
	v_add_co_u32 v52, vcc_lo, v50, v46
	v_add_co_ci_u32_e64 v53, null, v51, v47, vcc_lo
	global_load_dword v52, v[52:53], off
	s_waitcnt vmcnt(0)
	v_mul_f32_e32 v52, s22, v52
	s_branch .LBB59_274
.LBB59_273:
	v_mov_b32_e32 v52, 0
.LBB59_274:
	v_add_f32_e32 v53, v23, v43
	v_add_f32_e32 v54, v22, v42
	;; [unrolled: 1-line block ×4, first 2 shown]
	v_add_co_u32 v46, vcc_lo, v48, v46
	v_min3_f32 v53, v54, v53, v102
	v_add_co_ci_u32_e64 v47, null, v49, v47, vcc_lo
	v_min_f32_e32 v54, v56, v55
	v_min3_f32 v52, v52, v54, v53
	global_store_dword v[46:47], v52, off
	s_or_b32 exec_lo, exec_lo, s9
	s_and_b32 s12, s4, s8
	s_and_saveexec_b32 s9, s12
	s_cbranch_execz .LBB59_256
.LBB59_275:
	v_cmp_ne_u32_e32 vcc_lo, 1, v121
	v_lshlrev_b64 v[46:47], 2, v[72:73]
	s_cbranch_vccnz .LBB59_277
; %bb.276:
	v_add_co_u32 v52, vcc_lo, v50, v46
	v_add_co_ci_u32_e64 v53, null, v51, v47, vcc_lo
	global_load_dword v52, v[52:53], off
	s_waitcnt vmcnt(0)
	v_mul_f32_e32 v52, s22, v52
	s_branch .LBB59_278
.LBB59_277:
	v_mov_b32_e32 v52, 0
.LBB59_278:
	v_add_f32_e32 v53, v19, v43
	v_add_f32_e32 v54, v18, v42
	;; [unrolled: 1-line block ×4, first 2 shown]
	v_add_co_u32 v46, vcc_lo, v48, v46
	v_min3_f32 v53, v54, v53, v101
	v_add_co_ci_u32_e64 v47, null, v49, v47, vcc_lo
	v_min_f32_e32 v54, v56, v55
	v_min3_f32 v52, v52, v54, v53
	global_store_dword v[46:47], v52, off
	s_or_b32 exec_lo, exec_lo, s9
	s_and_b32 s12, s5, s8
	s_and_saveexec_b32 s9, s12
	s_cbranch_execz .LBB59_257
.LBB59_279:
	v_cmp_ne_u32_e32 vcc_lo, 1, v121
	v_lshlrev_b64 v[46:47], 2, v[74:75]
	s_cbranch_vccnz .LBB59_281
; %bb.280:
	v_add_co_u32 v52, vcc_lo, v50, v46
	v_add_co_ci_u32_e64 v53, null, v51, v47, vcc_lo
	global_load_dword v52, v[52:53], off
	s_waitcnt vmcnt(0)
	v_mul_f32_e32 v52, s22, v52
	s_branch .LBB59_282
.LBB59_281:
	v_mov_b32_e32 v52, 0
.LBB59_282:
	v_add_f32_e32 v53, v15, v43
	v_add_f32_e32 v54, v14, v42
	;; [unrolled: 1-line block ×4, first 2 shown]
	v_add_co_u32 v46, vcc_lo, v48, v46
	v_min3_f32 v53, v54, v53, v100
	v_add_co_ci_u32_e64 v47, null, v49, v47, vcc_lo
	v_min_f32_e32 v54, v56, v55
	v_min3_f32 v52, v52, v54, v53
	global_store_dword v[46:47], v52, off
	s_or_b32 exec_lo, exec_lo, s9
	s_and_b32 s12, s6, s8
	s_and_saveexec_b32 s9, s12
	s_cbranch_execz .LBB59_258
.LBB59_283:
	v_cmp_ne_u32_e32 vcc_lo, 1, v121
	v_lshlrev_b64 v[46:47], 2, v[76:77]
	s_cbranch_vccnz .LBB59_285
; %bb.284:
	v_add_co_u32 v52, vcc_lo, v50, v46
	v_add_co_ci_u32_e64 v53, null, v51, v47, vcc_lo
	global_load_dword v52, v[52:53], off
	s_waitcnt vmcnt(0)
	v_mul_f32_e32 v52, s22, v52
	s_branch .LBB59_286
.LBB59_285:
	v_mov_b32_e32 v52, 0
.LBB59_286:
	v_add_f32_e32 v53, v11, v43
	v_add_f32_e32 v54, v10, v42
	;; [unrolled: 1-line block ×4, first 2 shown]
	v_add_co_u32 v46, vcc_lo, v48, v46
	v_min3_f32 v53, v54, v53, v99
	v_add_co_ci_u32_e64 v47, null, v49, v47, vcc_lo
	v_min_f32_e32 v54, v56, v55
	v_min3_f32 v52, v52, v54, v53
	global_store_dword v[46:47], v52, off
	s_or_b32 exec_lo, exec_lo, s9
	s_and_b32 s9, s7, s8
	s_and_saveexec_b32 s8, s9
	s_cbranch_execz .LBB59_291
.LBB59_287:
	v_cmp_ne_u32_e32 vcc_lo, 1, v121
	v_lshlrev_b64 v[46:47], 2, v[78:79]
	s_cbranch_vccnz .LBB59_289
; %bb.288:
	v_add_co_u32 v50, vcc_lo, v50, v46
	v_add_co_ci_u32_e64 v51, null, v51, v47, vcc_lo
	global_load_dword v50, v[50:51], off
	s_waitcnt vmcnt(0)
	v_mul_f32_e32 v50, s22, v50
	s_branch .LBB59_290
.LBB59_289:
	v_mov_b32_e32 v50, 0
.LBB59_290:
	v_add_f32_e32 v43, v3, v43
	v_add_f32_e32 v42, v2, v42
	;; [unrolled: 1-line block ×4, first 2 shown]
	v_min3_f32 v42, v42, v43, v98
	v_min_f32_e32 v43, v44, v45
	v_min3_f32 v44, v50, v43, v42
	v_add_co_u32 v42, vcc_lo, v48, v46
	v_add_co_ci_u32_e64 v43, null, v49, v47, vcc_lo
	global_store_dword v[42:43], v44, off
.LBB59_291:
	s_or_b32 exec_lo, exec_lo, s8
	v_add_nc_u32_e32 v46, 48, v132
	v_mad_i64_i32 v[42:43], null, v46, s15, 0
	v_mad_i64_i32 v[44:45], null, v46, s14, 0
	v_cmp_gt_i32_e64 s8, s13, v46
	v_lshlrev_b64 v[42:43], 2, v[42:43]
	s_and_b32 s12, s0, s8
	v_lshlrev_b64 v[44:45], 2, v[44:45]
	v_add_co_u32 v46, vcc_lo, s16, v42
	v_add_co_ci_u32_e64 v47, null, s17, v43, vcc_lo
	v_add_co_u32 v44, vcc_lo, s10, v44
	v_add_co_ci_u32_e64 v45, null, s11, v45, vcc_lo
	s_and_saveexec_b32 s9, s12
	s_cbranch_execnz .LBB59_299
; %bb.292:
	s_or_b32 exec_lo, exec_lo, s9
	s_and_b32 s12, s1, s8
	s_and_saveexec_b32 s9, s12
	s_cbranch_execnz .LBB59_303
.LBB59_293:
	s_or_b32 exec_lo, exec_lo, s9
	s_and_b32 s12, s2, s8
	s_and_saveexec_b32 s9, s12
	s_cbranch_execnz .LBB59_307
.LBB59_294:
	s_or_b32 exec_lo, exec_lo, s9
	s_and_b32 s12, s3, s8
	s_and_saveexec_b32 s9, s12
	s_cbranch_execnz .LBB59_311
.LBB59_295:
	s_or_b32 exec_lo, exec_lo, s9
	s_and_b32 s12, s4, s8
	s_and_saveexec_b32 s9, s12
	s_cbranch_execnz .LBB59_315
.LBB59_296:
	s_or_b32 exec_lo, exec_lo, s9
	s_and_b32 s12, s5, s8
	s_and_saveexec_b32 s9, s12
	s_cbranch_execnz .LBB59_319
.LBB59_297:
	s_or_b32 exec_lo, exec_lo, s9
	s_and_b32 s12, s6, s8
	s_and_saveexec_b32 s9, s12
	s_cbranch_execnz .LBB59_323
.LBB59_298:
	s_or_b32 exec_lo, exec_lo, s9
	s_and_b32 s9, s7, s8
	s_and_saveexec_b32 s8, s9
	s_cbranch_execnz .LBB59_327
	s_branch .LBB59_331
.LBB59_299:
	v_cmp_ne_u32_e32 vcc_lo, 1, v121
	v_lshlrev_b64 v[42:43], 2, v[0:1]
	s_cbranch_vccnz .LBB59_301
; %bb.300:
	v_add_co_u32 v48, vcc_lo, v46, v42
	v_add_co_ci_u32_e64 v49, null, v47, v43, vcc_lo
	global_load_dword v48, v[48:49], off
	s_waitcnt vmcnt(0)
	v_mul_f32_e32 v48, s22, v48
	s_branch .LBB59_302
.LBB59_301:
	v_mov_b32_e32 v48, 0
.LBB59_302:
	v_add_f32_e32 v49, v35, v39
	v_add_f32_e32 v50, v34, v38
	;; [unrolled: 1-line block ×4, first 2 shown]
	v_add_co_u32 v42, vcc_lo, v44, v42
	v_min3_f32 v49, v50, v49, v97
	v_add_co_ci_u32_e64 v43, null, v45, v43, vcc_lo
	v_min_f32_e32 v50, v52, v51
	v_min3_f32 v48, v48, v50, v49
	global_store_dword v[42:43], v48, off
	s_or_b32 exec_lo, exec_lo, s9
	s_and_b32 s12, s1, s8
	s_and_saveexec_b32 s9, s12
	s_cbranch_execz .LBB59_293
.LBB59_303:
	v_cmp_ne_u32_e32 vcc_lo, 1, v121
	v_lshlrev_b64 v[42:43], 2, v[66:67]
	s_cbranch_vccnz .LBB59_305
; %bb.304:
	v_add_co_u32 v48, vcc_lo, v46, v42
	v_add_co_ci_u32_e64 v49, null, v47, v43, vcc_lo
	global_load_dword v48, v[48:49], off
	s_waitcnt vmcnt(0)
	v_mul_f32_e32 v48, s22, v48
	s_branch .LBB59_306
.LBB59_305:
	v_mov_b32_e32 v48, 0
.LBB59_306:
	v_add_f32_e32 v49, v31, v39
	v_add_f32_e32 v50, v30, v38
	;; [unrolled: 1-line block ×4, first 2 shown]
	v_add_co_u32 v42, vcc_lo, v44, v42
	v_min3_f32 v49, v50, v49, v96
	v_add_co_ci_u32_e64 v43, null, v45, v43, vcc_lo
	v_min_f32_e32 v50, v52, v51
	v_min3_f32 v48, v48, v50, v49
	global_store_dword v[42:43], v48, off
	s_or_b32 exec_lo, exec_lo, s9
	s_and_b32 s12, s2, s8
	s_and_saveexec_b32 s9, s12
	s_cbranch_execz .LBB59_294
.LBB59_307:
	v_cmp_ne_u32_e32 vcc_lo, 1, v121
	v_lshlrev_b64 v[42:43], 2, v[68:69]
	s_cbranch_vccnz .LBB59_309
; %bb.308:
	v_add_co_u32 v48, vcc_lo, v46, v42
	v_add_co_ci_u32_e64 v49, null, v47, v43, vcc_lo
	global_load_dword v48, v[48:49], off
	s_waitcnt vmcnt(0)
	v_mul_f32_e32 v48, s22, v48
	s_branch .LBB59_310
.LBB59_309:
	v_mov_b32_e32 v48, 0
.LBB59_310:
	v_add_f32_e32 v49, v27, v39
	v_add_f32_e32 v50, v26, v38
	;; [unrolled: 1-line block ×4, first 2 shown]
	v_add_co_u32 v42, vcc_lo, v44, v42
	v_min3_f32 v49, v50, v49, v95
	v_add_co_ci_u32_e64 v43, null, v45, v43, vcc_lo
	v_min_f32_e32 v50, v52, v51
	v_min3_f32 v48, v48, v50, v49
	global_store_dword v[42:43], v48, off
	s_or_b32 exec_lo, exec_lo, s9
	s_and_b32 s12, s3, s8
	s_and_saveexec_b32 s9, s12
	s_cbranch_execz .LBB59_295
.LBB59_311:
	v_cmp_ne_u32_e32 vcc_lo, 1, v121
	v_lshlrev_b64 v[42:43], 2, v[70:71]
	s_cbranch_vccnz .LBB59_313
; %bb.312:
	v_add_co_u32 v48, vcc_lo, v46, v42
	v_add_co_ci_u32_e64 v49, null, v47, v43, vcc_lo
	global_load_dword v48, v[48:49], off
	s_waitcnt vmcnt(0)
	v_mul_f32_e32 v48, s22, v48
	s_branch .LBB59_314
.LBB59_313:
	v_mov_b32_e32 v48, 0
.LBB59_314:
	v_add_f32_e32 v49, v23, v39
	v_add_f32_e32 v50, v22, v38
	;; [unrolled: 1-line block ×4, first 2 shown]
	v_add_co_u32 v42, vcc_lo, v44, v42
	v_min3_f32 v49, v50, v49, v94
	v_add_co_ci_u32_e64 v43, null, v45, v43, vcc_lo
	v_min_f32_e32 v50, v52, v51
	v_min3_f32 v48, v48, v50, v49
	global_store_dword v[42:43], v48, off
	s_or_b32 exec_lo, exec_lo, s9
	s_and_b32 s12, s4, s8
	s_and_saveexec_b32 s9, s12
	s_cbranch_execz .LBB59_296
.LBB59_315:
	v_cmp_ne_u32_e32 vcc_lo, 1, v121
	v_lshlrev_b64 v[42:43], 2, v[72:73]
	s_cbranch_vccnz .LBB59_317
; %bb.316:
	v_add_co_u32 v48, vcc_lo, v46, v42
	v_add_co_ci_u32_e64 v49, null, v47, v43, vcc_lo
	global_load_dword v48, v[48:49], off
	s_waitcnt vmcnt(0)
	v_mul_f32_e32 v48, s22, v48
	s_branch .LBB59_318
.LBB59_317:
	v_mov_b32_e32 v48, 0
.LBB59_318:
	v_add_f32_e32 v49, v19, v39
	v_add_f32_e32 v50, v18, v38
	;; [unrolled: 1-line block ×4, first 2 shown]
	v_add_co_u32 v42, vcc_lo, v44, v42
	v_min3_f32 v49, v50, v49, v93
	v_add_co_ci_u32_e64 v43, null, v45, v43, vcc_lo
	v_min_f32_e32 v50, v52, v51
	v_min3_f32 v48, v48, v50, v49
	global_store_dword v[42:43], v48, off
	s_or_b32 exec_lo, exec_lo, s9
	s_and_b32 s12, s5, s8
	s_and_saveexec_b32 s9, s12
	s_cbranch_execz .LBB59_297
.LBB59_319:
	v_cmp_ne_u32_e32 vcc_lo, 1, v121
	v_lshlrev_b64 v[42:43], 2, v[74:75]
	s_cbranch_vccnz .LBB59_321
; %bb.320:
	v_add_co_u32 v48, vcc_lo, v46, v42
	v_add_co_ci_u32_e64 v49, null, v47, v43, vcc_lo
	global_load_dword v48, v[48:49], off
	s_waitcnt vmcnt(0)
	v_mul_f32_e32 v48, s22, v48
	s_branch .LBB59_322
.LBB59_321:
	v_mov_b32_e32 v48, 0
.LBB59_322:
	v_add_f32_e32 v49, v15, v39
	v_add_f32_e32 v50, v14, v38
	;; [unrolled: 1-line block ×4, first 2 shown]
	v_add_co_u32 v42, vcc_lo, v44, v42
	v_min3_f32 v49, v50, v49, v91
	v_add_co_ci_u32_e64 v43, null, v45, v43, vcc_lo
	v_min_f32_e32 v50, v52, v51
	v_min3_f32 v48, v48, v50, v49
	global_store_dword v[42:43], v48, off
	s_or_b32 exec_lo, exec_lo, s9
	s_and_b32 s12, s6, s8
	s_and_saveexec_b32 s9, s12
	s_cbranch_execz .LBB59_298
.LBB59_323:
	v_cmp_ne_u32_e32 vcc_lo, 1, v121
	v_lshlrev_b64 v[42:43], 2, v[76:77]
	s_cbranch_vccnz .LBB59_325
; %bb.324:
	v_add_co_u32 v48, vcc_lo, v46, v42
	v_add_co_ci_u32_e64 v49, null, v47, v43, vcc_lo
	global_load_dword v48, v[48:49], off
	s_waitcnt vmcnt(0)
	v_mul_f32_e32 v48, s22, v48
	s_branch .LBB59_326
.LBB59_325:
	v_mov_b32_e32 v48, 0
.LBB59_326:
	v_add_f32_e32 v49, v11, v39
	v_add_f32_e32 v50, v10, v38
	;; [unrolled: 1-line block ×4, first 2 shown]
	v_add_co_u32 v42, vcc_lo, v44, v42
	v_min3_f32 v49, v50, v49, v90
	v_add_co_ci_u32_e64 v43, null, v45, v43, vcc_lo
	v_min_f32_e32 v50, v52, v51
	v_min3_f32 v48, v48, v50, v49
	global_store_dword v[42:43], v48, off
	s_or_b32 exec_lo, exec_lo, s9
	s_and_b32 s9, s7, s8
	s_and_saveexec_b32 s8, s9
	s_cbranch_execz .LBB59_331
.LBB59_327:
	v_cmp_ne_u32_e32 vcc_lo, 1, v121
	v_lshlrev_b64 v[42:43], 2, v[78:79]
	s_cbranch_vccnz .LBB59_329
; %bb.328:
	v_add_co_u32 v46, vcc_lo, v46, v42
	v_add_co_ci_u32_e64 v47, null, v47, v43, vcc_lo
	global_load_dword v46, v[46:47], off
	s_waitcnt vmcnt(0)
	v_mul_f32_e32 v46, s22, v46
	s_branch .LBB59_330
.LBB59_329:
	v_mov_b32_e32 v46, 0
.LBB59_330:
	v_add_f32_e32 v39, v3, v39
	v_add_f32_e32 v38, v2, v38
	;; [unrolled: 1-line block ×4, first 2 shown]
	v_min3_f32 v38, v38, v39, v89
	v_min_f32_e32 v39, v40, v41
	v_min3_f32 v40, v46, v39, v38
	v_add_co_u32 v38, vcc_lo, v44, v42
	v_add_co_ci_u32_e64 v39, null, v45, v43, vcc_lo
	global_store_dword v[38:39], v40, off
.LBB59_331:
	s_or_b32 exec_lo, exec_lo, s8
	v_add_nc_u32_e32 v42, 56, v132
	v_mad_i64_i32 v[38:39], null, v42, s15, 0
	v_mad_i64_i32 v[40:41], null, v42, s14, 0
	v_cmp_gt_i32_e64 s8, s13, v42
	v_lshlrev_b64 v[38:39], 2, v[38:39]
	s_and_b32 s9, s0, s8
	v_lshlrev_b64 v[42:43], 2, v[40:41]
	v_add_co_u32 v40, vcc_lo, s16, v38
	v_add_co_ci_u32_e64 v41, null, s17, v39, vcc_lo
	v_add_co_u32 v38, vcc_lo, s10, v42
	v_add_co_ci_u32_e64 v39, null, s11, v43, vcc_lo
	s_and_saveexec_b32 s0, s9
	s_cbranch_execnz .LBB59_340
; %bb.332:
	s_or_b32 exec_lo, exec_lo, s0
	s_and_b32 s1, s1, s8
	s_and_saveexec_b32 s0, s1
	s_cbranch_execnz .LBB59_344
.LBB59_333:
	s_or_b32 exec_lo, exec_lo, s0
	s_and_b32 s1, s2, s8
	s_and_saveexec_b32 s0, s1
	s_cbranch_execnz .LBB59_348
.LBB59_334:
	s_or_b32 exec_lo, exec_lo, s0
	s_and_b32 s1, s3, s8
	s_and_saveexec_b32 s0, s1
	s_cbranch_execnz .LBB59_352
.LBB59_335:
	s_or_b32 exec_lo, exec_lo, s0
	s_and_b32 s1, s4, s8
	s_and_saveexec_b32 s0, s1
	s_cbranch_execnz .LBB59_356
.LBB59_336:
	s_or_b32 exec_lo, exec_lo, s0
	s_and_b32 s1, s5, s8
	s_and_saveexec_b32 s0, s1
	s_cbranch_execnz .LBB59_360
.LBB59_337:
	s_or_b32 exec_lo, exec_lo, s0
	s_and_b32 s1, s6, s8
	s_and_saveexec_b32 s0, s1
	s_cbranch_execnz .LBB59_364
.LBB59_338:
	s_or_b32 exec_lo, exec_lo, s0
	s_and_b32 s0, s7, s8
	s_and_saveexec_b32 s1, s0
	s_cbranch_execnz .LBB59_368
.LBB59_339:
	s_endpgm
.LBB59_340:
	v_cmp_ne_u32_e32 vcc_lo, 1, v121
	v_lshlrev_b64 v[0:1], 2, v[0:1]
	s_cbranch_vccnz .LBB59_342
; %bb.341:
	v_add_co_u32 v42, vcc_lo, v40, v0
	v_add_co_ci_u32_e64 v43, null, v41, v1, vcc_lo
	global_load_dword v42, v[42:43], off
	s_waitcnt vmcnt(0)
	v_mul_f32_e32 v42, s22, v42
	s_branch .LBB59_343
.LBB59_342:
	v_mov_b32_e32 v42, 0
.LBB59_343:
	v_add_f32_e32 v35, v35, v7
	v_add_f32_e32 v34, v34, v6
	v_add_f32_e32 v37, v37, v9
	v_add_f32_e32 v36, v36, v8
	v_add_co_u32 v0, vcc_lo, v38, v0
	v_min3_f32 v34, v34, v35, v88
	v_add_co_ci_u32_e64 v1, null, v39, v1, vcc_lo
	v_min_f32_e32 v35, v36, v37
	v_min3_f32 v34, v42, v35, v34
	global_store_dword v[0:1], v34, off
	s_or_b32 exec_lo, exec_lo, s0
	s_and_b32 s1, s1, s8
	s_and_saveexec_b32 s0, s1
	s_cbranch_execz .LBB59_333
.LBB59_344:
	v_cmp_ne_u32_e32 vcc_lo, 1, v121
	v_lshlrev_b64 v[0:1], 2, v[66:67]
	s_cbranch_vccnz .LBB59_346
; %bb.345:
	v_add_co_u32 v34, vcc_lo, v40, v0
	v_add_co_ci_u32_e64 v35, null, v41, v1, vcc_lo
	global_load_dword v34, v[34:35], off
	s_waitcnt vmcnt(0)
	v_mul_f32_e32 v34, s22, v34
	s_branch .LBB59_347
.LBB59_346:
	v_mov_b32_e32 v34, 0
.LBB59_347:
	v_add_f32_e32 v31, v31, v7
	v_add_f32_e32 v30, v30, v6
	;; [unrolled: 1-line block ×4, first 2 shown]
	v_add_co_u32 v0, vcc_lo, v38, v0
	v_min3_f32 v30, v30, v31, v87
	v_add_co_ci_u32_e64 v1, null, v39, v1, vcc_lo
	v_min_f32_e32 v31, v32, v33
	v_min3_f32 v30, v34, v31, v30
	global_store_dword v[0:1], v30, off
	s_or_b32 exec_lo, exec_lo, s0
	s_and_b32 s1, s2, s8
	s_and_saveexec_b32 s0, s1
	s_cbranch_execz .LBB59_334
.LBB59_348:
	v_cmp_ne_u32_e32 vcc_lo, 1, v121
	v_lshlrev_b64 v[0:1], 2, v[68:69]
	s_cbranch_vccnz .LBB59_350
; %bb.349:
	v_add_co_u32 v30, vcc_lo, v40, v0
	v_add_co_ci_u32_e64 v31, null, v41, v1, vcc_lo
	global_load_dword v30, v[30:31], off
	s_waitcnt vmcnt(0)
	v_mul_f32_e32 v30, s22, v30
	s_branch .LBB59_351
.LBB59_350:
	v_mov_b32_e32 v30, 0
.LBB59_351:
	v_add_f32_e32 v27, v27, v7
	v_add_f32_e32 v26, v26, v6
	v_add_f32_e32 v29, v29, v9
	v_add_f32_e32 v28, v28, v8
	v_add_co_u32 v0, vcc_lo, v38, v0
	v_min3_f32 v26, v26, v27, v86
	v_add_co_ci_u32_e64 v1, null, v39, v1, vcc_lo
	v_min_f32_e32 v27, v28, v29
	v_min3_f32 v26, v30, v27, v26
	global_store_dword v[0:1], v26, off
	s_or_b32 exec_lo, exec_lo, s0
	s_and_b32 s1, s3, s8
	s_and_saveexec_b32 s0, s1
	s_cbranch_execz .LBB59_335
.LBB59_352:
	v_cmp_ne_u32_e32 vcc_lo, 1, v121
	v_lshlrev_b64 v[0:1], 2, v[70:71]
	s_cbranch_vccnz .LBB59_354
; %bb.353:
	v_add_co_u32 v26, vcc_lo, v40, v0
	v_add_co_ci_u32_e64 v27, null, v41, v1, vcc_lo
	global_load_dword v26, v[26:27], off
	s_waitcnt vmcnt(0)
	v_mul_f32_e32 v26, s22, v26
	s_branch .LBB59_355
.LBB59_354:
	v_mov_b32_e32 v26, 0
.LBB59_355:
	v_add_f32_e32 v23, v23, v7
	v_add_f32_e32 v22, v22, v6
	v_add_f32_e32 v25, v25, v9
	v_add_f32_e32 v24, v24, v8
	v_add_co_u32 v0, vcc_lo, v38, v0
	v_min3_f32 v22, v22, v23, v85
	v_add_co_ci_u32_e64 v1, null, v39, v1, vcc_lo
	v_min_f32_e32 v23, v24, v25
	v_min3_f32 v22, v26, v23, v22
	global_store_dword v[0:1], v22, off
	s_or_b32 exec_lo, exec_lo, s0
	s_and_b32 s1, s4, s8
	s_and_saveexec_b32 s0, s1
	s_cbranch_execz .LBB59_336
.LBB59_356:
	v_cmp_ne_u32_e32 vcc_lo, 1, v121
	v_lshlrev_b64 v[0:1], 2, v[72:73]
	s_cbranch_vccnz .LBB59_358
; %bb.357:
	v_add_co_u32 v22, vcc_lo, v40, v0
	v_add_co_ci_u32_e64 v23, null, v41, v1, vcc_lo
	global_load_dword v22, v[22:23], off
	s_waitcnt vmcnt(0)
	v_mul_f32_e32 v22, s22, v22
	s_branch .LBB59_359
.LBB59_358:
	v_mov_b32_e32 v22, 0
.LBB59_359:
	v_add_f32_e32 v19, v19, v7
	v_add_f32_e32 v18, v18, v6
	v_add_f32_e32 v21, v21, v9
	v_add_f32_e32 v20, v20, v8
	v_add_co_u32 v0, vcc_lo, v38, v0
	v_min3_f32 v18, v18, v19, v84
	v_add_co_ci_u32_e64 v1, null, v39, v1, vcc_lo
	v_min_f32_e32 v19, v20, v21
	v_min3_f32 v18, v22, v19, v18
	global_store_dword v[0:1], v18, off
	s_or_b32 exec_lo, exec_lo, s0
	s_and_b32 s1, s5, s8
	s_and_saveexec_b32 s0, s1
	s_cbranch_execz .LBB59_337
.LBB59_360:
	v_cmp_ne_u32_e32 vcc_lo, 1, v121
	v_lshlrev_b64 v[0:1], 2, v[74:75]
	s_cbranch_vccnz .LBB59_362
; %bb.361:
	v_add_co_u32 v18, vcc_lo, v40, v0
	v_add_co_ci_u32_e64 v19, null, v41, v1, vcc_lo
	global_load_dword v18, v[18:19], off
	s_waitcnt vmcnt(0)
	v_mul_f32_e32 v18, s22, v18
	s_branch .LBB59_363
.LBB59_362:
	v_mov_b32_e32 v18, 0
.LBB59_363:
	v_add_f32_e32 v15, v15, v7
	v_add_f32_e32 v14, v14, v6
	;; [unrolled: 1-line block ×4, first 2 shown]
	v_add_co_u32 v0, vcc_lo, v38, v0
	v_min3_f32 v14, v14, v15, v83
	v_add_co_ci_u32_e64 v1, null, v39, v1, vcc_lo
	v_min_f32_e32 v15, v16, v17
	v_min3_f32 v14, v18, v15, v14
	global_store_dword v[0:1], v14, off
	s_or_b32 exec_lo, exec_lo, s0
	s_and_b32 s1, s6, s8
	s_and_saveexec_b32 s0, s1
	s_cbranch_execz .LBB59_338
.LBB59_364:
	v_cmp_ne_u32_e32 vcc_lo, 1, v121
	v_lshlrev_b64 v[0:1], 2, v[76:77]
	s_cbranch_vccnz .LBB59_366
; %bb.365:
	v_add_co_u32 v14, vcc_lo, v40, v0
	v_add_co_ci_u32_e64 v15, null, v41, v1, vcc_lo
	global_load_dword v14, v[14:15], off
	s_waitcnt vmcnt(0)
	v_mul_f32_e32 v14, s22, v14
	s_branch .LBB59_367
.LBB59_366:
	v_mov_b32_e32 v14, 0
.LBB59_367:
	v_add_f32_e32 v11, v11, v7
	v_add_f32_e32 v10, v10, v6
	;; [unrolled: 1-line block ×4, first 2 shown]
	v_add_co_u32 v0, vcc_lo, v38, v0
	v_min3_f32 v10, v10, v11, v82
	v_add_co_ci_u32_e64 v1, null, v39, v1, vcc_lo
	v_min_f32_e32 v11, v12, v13
	v_min3_f32 v10, v14, v11, v10
	global_store_dword v[0:1], v10, off
	s_or_b32 exec_lo, exec_lo, s0
	s_and_b32 s0, s7, s8
	s_and_saveexec_b32 s1, s0
	s_cbranch_execz .LBB59_339
.LBB59_368:
	v_cmp_ne_u32_e32 vcc_lo, 1, v121
	v_lshlrev_b64 v[0:1], 2, v[78:79]
	s_cbranch_vccnz .LBB59_370
; %bb.369:
	v_add_co_u32 v10, vcc_lo, v40, v0
	v_add_co_ci_u32_e64 v11, null, v41, v1, vcc_lo
	global_load_dword v10, v[10:11], off
	s_waitcnt vmcnt(0)
	v_mul_f32_e32 v10, s22, v10
	s_branch .LBB59_371
.LBB59_370:
	v_mov_b32_e32 v10, 0
.LBB59_371:
	v_add_f32_e32 v3, v3, v7
	v_add_f32_e32 v2, v2, v6
	;; [unrolled: 1-line block ×4, first 2 shown]
	v_add_co_u32 v0, vcc_lo, v38, v0
	v_min3_f32 v2, v2, v3, v92
	v_add_co_ci_u32_e64 v1, null, v39, v1, vcc_lo
	v_min_f32_e32 v3, v4, v5
	v_min3_f32 v2, v10, v3, v2
	global_store_dword v[0:1], v2, off
	s_endpgm
	.section	.rodata,"a",@progbits
	.p2align	6, 0x0
	.amdhsa_kernel _ZN12_GLOBAL__N_120geam_min_plus_kernelIf15HIP_vector_typeIfLj2EEfLi32ELi8ELi256ELi64ELi4ELi64ELi4ELi4ELi64ELc78ELc78ELb0ELb1ELb1EfKffEEviiiT16_PT17_ilS6_ilS4_S6_ilPT18_ili26rocblas_geam_ex_operation_
		.amdhsa_group_segment_fixed_size 10240
		.amdhsa_private_segment_fixed_size 0
		.amdhsa_kernarg_size 128
		.amdhsa_user_sgpr_count 6
		.amdhsa_user_sgpr_private_segment_buffer 1
		.amdhsa_user_sgpr_dispatch_ptr 0
		.amdhsa_user_sgpr_queue_ptr 0
		.amdhsa_user_sgpr_kernarg_segment_ptr 1
		.amdhsa_user_sgpr_dispatch_id 0
		.amdhsa_user_sgpr_flat_scratch_init 0
		.amdhsa_user_sgpr_private_segment_size 0
		.amdhsa_wavefront_size32 1
		.amdhsa_uses_dynamic_stack 0
		.amdhsa_system_sgpr_private_segment_wavefront_offset 0
		.amdhsa_system_sgpr_workgroup_id_x 1
		.amdhsa_system_sgpr_workgroup_id_y 0
		.amdhsa_system_sgpr_workgroup_id_z 1
		.amdhsa_system_sgpr_workgroup_info 0
		.amdhsa_system_vgpr_workitem_id 1
		.amdhsa_next_free_vgpr 158
		.amdhsa_next_free_sgpr 30
		.amdhsa_reserve_vcc 1
		.amdhsa_reserve_flat_scratch 0
		.amdhsa_float_round_mode_32 0
		.amdhsa_float_round_mode_16_64 0
		.amdhsa_float_denorm_mode_32 3
		.amdhsa_float_denorm_mode_16_64 3
		.amdhsa_dx10_clamp 1
		.amdhsa_ieee_mode 1
		.amdhsa_fp16_overflow 0
		.amdhsa_workgroup_processor_mode 1
		.amdhsa_memory_ordered 1
		.amdhsa_forward_progress 1
		.amdhsa_shared_vgpr_count 0
		.amdhsa_exception_fp_ieee_invalid_op 0
		.amdhsa_exception_fp_denorm_src 0
		.amdhsa_exception_fp_ieee_div_zero 0
		.amdhsa_exception_fp_ieee_overflow 0
		.amdhsa_exception_fp_ieee_underflow 0
		.amdhsa_exception_fp_ieee_inexact 0
		.amdhsa_exception_int_div_zero 0
	.end_amdhsa_kernel
	.section	.text._ZN12_GLOBAL__N_120geam_min_plus_kernelIf15HIP_vector_typeIfLj2EEfLi32ELi8ELi256ELi64ELi4ELi64ELi4ELi4ELi64ELc78ELc78ELb0ELb1ELb1EfKffEEviiiT16_PT17_ilS6_ilS4_S6_ilPT18_ili26rocblas_geam_ex_operation_,"axG",@progbits,_ZN12_GLOBAL__N_120geam_min_plus_kernelIf15HIP_vector_typeIfLj2EEfLi32ELi8ELi256ELi64ELi4ELi64ELi4ELi4ELi64ELc78ELc78ELb0ELb1ELb1EfKffEEviiiT16_PT17_ilS6_ilS4_S6_ilPT18_ili26rocblas_geam_ex_operation_,comdat
.Lfunc_end59:
	.size	_ZN12_GLOBAL__N_120geam_min_plus_kernelIf15HIP_vector_typeIfLj2EEfLi32ELi8ELi256ELi64ELi4ELi64ELi4ELi4ELi64ELc78ELc78ELb0ELb1ELb1EfKffEEviiiT16_PT17_ilS6_ilS4_S6_ilPT18_ili26rocblas_geam_ex_operation_, .Lfunc_end59-_ZN12_GLOBAL__N_120geam_min_plus_kernelIf15HIP_vector_typeIfLj2EEfLi32ELi8ELi256ELi64ELi4ELi64ELi4ELi4ELi64ELc78ELc78ELb0ELb1ELb1EfKffEEviiiT16_PT17_ilS6_ilS4_S6_ilPT18_ili26rocblas_geam_ex_operation_
                                        ; -- End function
	.set _ZN12_GLOBAL__N_120geam_min_plus_kernelIf15HIP_vector_typeIfLj2EEfLi32ELi8ELi256ELi64ELi4ELi64ELi4ELi4ELi64ELc78ELc78ELb0ELb1ELb1EfKffEEviiiT16_PT17_ilS6_ilS4_S6_ilPT18_ili26rocblas_geam_ex_operation_.num_vgpr, 158
	.set _ZN12_GLOBAL__N_120geam_min_plus_kernelIf15HIP_vector_typeIfLj2EEfLi32ELi8ELi256ELi64ELi4ELi64ELi4ELi4ELi64ELc78ELc78ELb0ELb1ELb1EfKffEEviiiT16_PT17_ilS6_ilS4_S6_ilPT18_ili26rocblas_geam_ex_operation_.num_agpr, 0
	.set _ZN12_GLOBAL__N_120geam_min_plus_kernelIf15HIP_vector_typeIfLj2EEfLi32ELi8ELi256ELi64ELi4ELi64ELi4ELi4ELi64ELc78ELc78ELb0ELb1ELb1EfKffEEviiiT16_PT17_ilS6_ilS4_S6_ilPT18_ili26rocblas_geam_ex_operation_.numbered_sgpr, 30
	.set _ZN12_GLOBAL__N_120geam_min_plus_kernelIf15HIP_vector_typeIfLj2EEfLi32ELi8ELi256ELi64ELi4ELi64ELi4ELi4ELi64ELc78ELc78ELb0ELb1ELb1EfKffEEviiiT16_PT17_ilS6_ilS4_S6_ilPT18_ili26rocblas_geam_ex_operation_.num_named_barrier, 0
	.set _ZN12_GLOBAL__N_120geam_min_plus_kernelIf15HIP_vector_typeIfLj2EEfLi32ELi8ELi256ELi64ELi4ELi64ELi4ELi4ELi64ELc78ELc78ELb0ELb1ELb1EfKffEEviiiT16_PT17_ilS6_ilS4_S6_ilPT18_ili26rocblas_geam_ex_operation_.private_seg_size, 0
	.set _ZN12_GLOBAL__N_120geam_min_plus_kernelIf15HIP_vector_typeIfLj2EEfLi32ELi8ELi256ELi64ELi4ELi64ELi4ELi4ELi64ELc78ELc78ELb0ELb1ELb1EfKffEEviiiT16_PT17_ilS6_ilS4_S6_ilPT18_ili26rocblas_geam_ex_operation_.uses_vcc, 1
	.set _ZN12_GLOBAL__N_120geam_min_plus_kernelIf15HIP_vector_typeIfLj2EEfLi32ELi8ELi256ELi64ELi4ELi64ELi4ELi4ELi64ELc78ELc78ELb0ELb1ELb1EfKffEEviiiT16_PT17_ilS6_ilS4_S6_ilPT18_ili26rocblas_geam_ex_operation_.uses_flat_scratch, 0
	.set _ZN12_GLOBAL__N_120geam_min_plus_kernelIf15HIP_vector_typeIfLj2EEfLi32ELi8ELi256ELi64ELi4ELi64ELi4ELi4ELi64ELc78ELc78ELb0ELb1ELb1EfKffEEviiiT16_PT17_ilS6_ilS4_S6_ilPT18_ili26rocblas_geam_ex_operation_.has_dyn_sized_stack, 0
	.set _ZN12_GLOBAL__N_120geam_min_plus_kernelIf15HIP_vector_typeIfLj2EEfLi32ELi8ELi256ELi64ELi4ELi64ELi4ELi4ELi64ELc78ELc78ELb0ELb1ELb1EfKffEEviiiT16_PT17_ilS6_ilS4_S6_ilPT18_ili26rocblas_geam_ex_operation_.has_recursion, 0
	.set _ZN12_GLOBAL__N_120geam_min_plus_kernelIf15HIP_vector_typeIfLj2EEfLi32ELi8ELi256ELi64ELi4ELi64ELi4ELi4ELi64ELc78ELc78ELb0ELb1ELb1EfKffEEviiiT16_PT17_ilS6_ilS4_S6_ilPT18_ili26rocblas_geam_ex_operation_.has_indirect_call, 0
	.section	.AMDGPU.csdata,"",@progbits
; Kernel info:
; codeLenInByte = 19516
; TotalNumSgprs: 32
; NumVgprs: 158
; ScratchSize: 0
; MemoryBound: 0
; FloatMode: 240
; IeeeMode: 1
; LDSByteSize: 10240 bytes/workgroup (compile time only)
; SGPRBlocks: 0
; VGPRBlocks: 19
; NumSGPRsForWavesPerEU: 32
; NumVGPRsForWavesPerEU: 158
; Occupancy: 6
; WaveLimiterHint : 0
; COMPUTE_PGM_RSRC2:SCRATCH_EN: 0
; COMPUTE_PGM_RSRC2:USER_SGPR: 6
; COMPUTE_PGM_RSRC2:TRAP_HANDLER: 0
; COMPUTE_PGM_RSRC2:TGID_X_EN: 1
; COMPUTE_PGM_RSRC2:TGID_Y_EN: 0
; COMPUTE_PGM_RSRC2:TGID_Z_EN: 1
; COMPUTE_PGM_RSRC2:TIDIG_COMP_CNT: 1
	.section	.text._ZN12_GLOBAL__N_120geam_min_plus_kernelIf15HIP_vector_typeIfLj2EEfLi32ELi8ELi128ELi128ELi4ELi4ELi64ELi4ELi64ELc84ELc78ELb0ELb0ELb1EPKfS3_fEEviiiT16_PT17_ilS7_ilS5_S7_ilPT18_ili26rocblas_geam_ex_operation_,"axG",@progbits,_ZN12_GLOBAL__N_120geam_min_plus_kernelIf15HIP_vector_typeIfLj2EEfLi32ELi8ELi128ELi128ELi4ELi4ELi64ELi4ELi64ELc84ELc78ELb0ELb0ELb1EPKfS3_fEEviiiT16_PT17_ilS7_ilS5_S7_ilPT18_ili26rocblas_geam_ex_operation_,comdat
	.globl	_ZN12_GLOBAL__N_120geam_min_plus_kernelIf15HIP_vector_typeIfLj2EEfLi32ELi8ELi128ELi128ELi4ELi4ELi64ELi4ELi64ELc84ELc78ELb0ELb0ELb1EPKfS3_fEEviiiT16_PT17_ilS7_ilS5_S7_ilPT18_ili26rocblas_geam_ex_operation_ ; -- Begin function _ZN12_GLOBAL__N_120geam_min_plus_kernelIf15HIP_vector_typeIfLj2EEfLi32ELi8ELi128ELi128ELi4ELi4ELi64ELi4ELi64ELc84ELc78ELb0ELb0ELb1EPKfS3_fEEviiiT16_PT17_ilS7_ilS5_S7_ilPT18_ili26rocblas_geam_ex_operation_
	.p2align	8
	.type	_ZN12_GLOBAL__N_120geam_min_plus_kernelIf15HIP_vector_typeIfLj2EEfLi32ELi8ELi128ELi128ELi4ELi4ELi64ELi4ELi64ELc84ELc78ELb0ELb0ELb1EPKfS3_fEEviiiT16_PT17_ilS7_ilS5_S7_ilPT18_ili26rocblas_geam_ex_operation_,@function
_ZN12_GLOBAL__N_120geam_min_plus_kernelIf15HIP_vector_typeIfLj2EEfLi32ELi8ELi128ELi128ELi4ELi4ELi64ELi4ELi64ELc84ELc78ELb0ELb0ELb1EPKfS3_fEEviiiT16_PT17_ilS7_ilS5_S7_ilPT18_ili26rocblas_geam_ex_operation_: ; @_ZN12_GLOBAL__N_120geam_min_plus_kernelIf15HIP_vector_typeIfLj2EEfLi32ELi8ELi128ELi128ELi4ELi4ELi64ELi4ELi64ELc84ELc78ELb0ELb0ELb1EPKfS3_fEEviiiT16_PT17_ilS7_ilS5_S7_ilPT18_ili26rocblas_geam_ex_operation_
; %bb.0:
	s_clause 0x1
	s_load_dwordx4 s[0:3], s[4:5], 0x10
	s_load_dwordx4 s[8:11], s[4:5], 0x28
	s_mov_b32 s16, s7
	s_mov_b32 s17, 0
	s_lshl_b64 s[18:19], s[16:17], 2
	s_waitcnt lgkmcnt(0)
	s_add_u32 s0, s0, s18
	s_addc_u32 s1, s1, s19
	s_load_dword s17, s[0:1], 0x0
	s_clause 0x1
	s_load_dwordx4 s[12:15], s[4:5], 0x40
	s_load_dwordx2 s[20:21], s[4:5], 0x50
	s_waitcnt lgkmcnt(0)
	v_cmp_eq_f32_e64 s1, s17, 0
	s_add_u32 s22, s14, s18
	v_cmp_neq_f32_e64 s0, s17, 0
	s_addc_u32 s23, s15, s19
	s_mov_b64 s[18:19], 0
	s_and_b32 s1, exec_lo, s1
	s_mov_b64 s[14:15], 0
	s_mov_b32 vcc_lo, s1
	s_cbranch_vccnz .LBB60_2
; %bb.1:
	s_mul_i32 s7, s9, s16
	s_mul_hi_u32 s9, s8, s16
	s_mul_i32 s8, s8, s16
	s_add_i32 s9, s9, s7
	s_lshl_b64 s[8:9], s[8:9], 2
	s_add_u32 s14, s2, s8
	s_addc_u32 s15, s3, s9
.LBB60_2:
	s_load_dword s3, s[22:23], 0x0
	v_cndmask_b32_e64 v2, 0, 1, s0
	s_andn2_b32 vcc_lo, exec_lo, s0
	v_cmp_ne_u32_e64 s2, 1, v2
	s_cbranch_vccnz .LBB60_4
; %bb.3:
	s_mul_i32 s0, s13, s16
	s_mul_hi_u32 s7, s12, s16
	s_mul_i32 s8, s12, s16
	s_add_i32 s9, s7, s0
	s_lshl_b64 s[8:9], s[8:9], 2
	s_add_u32 s18, s10, s8
	s_addc_u32 s19, s11, s9
.LBB60_4:
	s_load_dwordx4 s[8:11], s[4:5], 0x60
	s_waitcnt lgkmcnt(0)
	v_cmp_eq_f32_e64 s0, s3, 0
	s_and_b32 s0, exec_lo, s0
	s_mov_b32 vcc_lo, s0
	s_cbranch_vccnz .LBB60_6
; %bb.5:
	s_mul_i32 s7, s9, s16
	s_mul_hi_u32 s9, s8, s16
	s_mul_i32 s8, s8, s16
	s_add_i32 s9, s9, s7
	s_lshl_b64 s[8:9], s[8:9], 2
	s_add_u32 s8, s20, s8
	s_addc_u32 s9, s21, s9
	s_branch .LBB60_7
.LBB60_6:
	s_mov_b64 s[8:9], 0
.LBB60_7:
	s_clause 0x1
	s_load_dword s7, s[4:5], 0x0
	s_load_dword s12, s[4:5], 0x20
	v_lshl_add_u32 v3, v1, 5, v0
	v_mov_b32_e32 v4, 0
	v_lshrrev_b32_e32 v3, 2, v3
	s_waitcnt lgkmcnt(0)
	s_add_i32 s7, s7, -1
	s_ashr_i32 s13, s7, 31
	s_lshr_b32 s13, s13, 25
	s_add_i32 s7, s7, s13
	s_ashr_i32 s7, s7, 7
	s_add_i32 s13, s7, 1
	s_not_b32 s7, s7
	v_cvt_f32_u32_e32 v2, s13
	v_rcp_iflag_f32_e32 v2, v2
	v_mul_f32_e32 v2, 0x4f7ffffe, v2
	v_cvt_u32_f32_e32 v2, v2
	v_readfirstlane_b32 s20, v2
	v_and_b32_e32 v2, 3, v0
	s_mul_i32 s7, s7, s20
	v_lshlrev_b32_e32 v84, 2, v2
	s_mul_hi_u32 s7, s20, s7
	s_add_i32 s20, s20, s7
	s_mul_hi_u32 s7, s6, s20
	s_mul_i32 s20, s7, s13
	s_add_i32 s21, s7, 1
	s_sub_i32 s20, s6, s20
	s_sub_i32 s22, s20, s13
	s_cmp_ge_u32 s20, s13
	s_cselect_b32 s7, s21, s7
	s_cselect_b32 s20, s22, s20
	s_add_i32 s21, s7, 1
	s_cmp_ge_u32 s20, s13
	s_mov_b32 s20, -1
	s_cselect_b32 s7, s21, s7
	s_and_b32 vcc_lo, exec_lo, s2
	s_mul_i32 s13, s7, s13
	s_sub_i32 s6, s6, s13
	v_add_co_u32 v5, s13, s14, v84
	s_lshl_b32 s6, s6, 7
	v_add_co_ci_u32_e64 v6, null, s15, 0, s13
	v_add_nc_u32_e32 v82, s6, v3
	s_cbranch_vccnz .LBB60_9
; %bb.8:
	v_mad_i64_i32 v[7:8], null, v82, s12, 0
	v_lshlrev_b64 v[7:8], 2, v[7:8]
	v_add_co_u32 v7, vcc_lo, v5, v7
	v_add_co_ci_u32_e64 v8, null, v6, v8, vcc_lo
	global_load_dword v4, v[7:8], off
	s_waitcnt vmcnt(0)
	v_mul_f32_e32 v4, s17, v4
.LBB60_9:
	s_load_dword s13, s[4:5], 0x38
	s_lshl_b32 s7, s7, 7
	s_mov_b32 vcc_lo, s1
                                        ; implicit-def: $vgpr7
	s_cbranch_vccz .LBB60_11
; %bb.10:
	v_mov_b32_e32 v7, 0
	s_mov_b32 s20, 0
.LBB60_11:
	v_add_nc_u32_e32 v137, s7, v3
	v_mov_b32_e32 v153, 0
	v_add_nc_u32_e32 v83, 64, v82
	v_mov_b32_e32 v8, 0
	v_mov_b32_e32 v9, 0
	v_add_nc_u32_e32 v152, 64, v137
	s_andn2_b32 vcc_lo, exec_lo, s20
	s_cbranch_vccnz .LBB60_13
; %bb.12:
	v_mad_i64_i32 v[7:8], null, v83, s12, 0
	s_waitcnt lgkmcnt(0)
	v_mad_i64_i32 v[9:10], null, v137, s13, 0
	v_mad_i64_i32 v[11:12], null, v152, s13, 0
	v_add_co_u32 v13, s20, s18, v84
	v_lshlrev_b64 v[7:8], 2, v[7:8]
	v_add_co_ci_u32_e64 v14, null, s19, 0, s20
	v_lshlrev_b64 v[9:10], 2, v[9:10]
	v_lshlrev_b64 v[11:12], 2, v[11:12]
	v_add_co_u32 v7, vcc_lo, v5, v7
	v_add_co_ci_u32_e64 v8, null, v6, v8, vcc_lo
	v_add_co_u32 v9, vcc_lo, v13, v9
	v_add_co_ci_u32_e64 v10, null, v14, v10, vcc_lo
	;; [unrolled: 2-line block ×3, first 2 shown]
	global_load_dword v7, v[7:8], off
	s_clause 0x1
	global_load_dword v8, v[9:10], off
	global_load_dword v10, v[11:12], off
	s_waitcnt vmcnt(2)
	v_mul_f32_e32 v7, s17, v7
	s_waitcnt vmcnt(1)
	v_mul_f32_e32 v9, s17, v8
	;; [unrolled: 2-line block ×3, first 2 shown]
.LBB60_13:
	s_and_b32 vcc_lo, exec_lo, s2
	s_cbranch_vccnz .LBB60_15
; %bb.14:
	v_mad_i64_i32 v[10:11], null, v82, s12, 0
	v_lshlrev_b64 v[10:11], 2, v[10:11]
	v_add_co_u32 v10, vcc_lo, v5, v10
	v_add_co_ci_u32_e64 v11, null, v6, v11, vcc_lo
	global_load_dword v10, v[10:11], off offset:16
	s_waitcnt vmcnt(0)
	v_mul_f32_e32 v153, s17, v10
.LBB60_15:
	v_mov_b32_e32 v155, 0
	s_mov_b32 vcc_lo, s1
	s_cbranch_vccz .LBB60_17
; %bb.16:
	v_mov_b32_e32 v156, 0
	v_mov_b32_e32 v157, 0
	s_cbranch_execz .LBB60_18
	s_branch .LBB60_19
.LBB60_17:
                                        ; implicit-def: $vgpr156
	v_mov_b32_e32 v157, 0
.LBB60_18:
	v_mad_i64_i32 v[10:11], null, v83, s12, 0
	s_waitcnt lgkmcnt(0)
	v_mad_i64_i32 v[12:13], null, v137, s13, 0
	v_mad_i64_i32 v[14:15], null, v152, s13, 0
	v_add_co_u32 v16, s20, s18, v84
	v_lshlrev_b64 v[10:11], 2, v[10:11]
	v_add_co_ci_u32_e64 v17, null, s19, 0, s20
	v_lshlrev_b64 v[12:13], 2, v[12:13]
	v_add_co_u32 v5, vcc_lo, v5, v10
	v_add_co_ci_u32_e64 v6, null, v6, v11, vcc_lo
	v_lshlrev_b64 v[10:11], 2, v[14:15]
	v_add_co_u32 v12, vcc_lo, v16, v12
	v_add_co_ci_u32_e64 v13, null, v17, v13, vcc_lo
	v_add_co_u32 v10, vcc_lo, v16, v10
	v_add_co_ci_u32_e64 v11, null, v17, v11, vcc_lo
	global_load_dword v5, v[5:6], off offset:16
	s_clause 0x1
	global_load_dword v6, v[12:13], off offset:16
	global_load_dword v10, v[10:11], off offset:16
	s_waitcnt vmcnt(2)
	v_mul_f32_e32 v156, s17, v5
	s_waitcnt vmcnt(1)
	v_mul_f32_e32 v157, s17, v6
	;; [unrolled: 2-line block ×3, first 2 shown]
.LBB60_19:
	v_lshlrev_b32_e32 v3, 4, v3
	v_lshlrev_b32_e32 v87, 4, v0
	;; [unrolled: 1-line block ×3, first 2 shown]
	s_load_dword s20, s[4:5], 0x8
	v_lshl_or_b32 v85, v2, 2, v3
	ds_write2st64_b32 v85, v4, v7 offset1:4
	ds_write2st64_b32 v85, v9, v8 offset0:16 offset1:20
	s_waitcnt lgkmcnt(0)
	s_barrier
	buffer_gl0_inv
	ds_read_b128 v[14:17], v87
	ds_read_b128 v[10:13], v87 offset:512
	ds_read_b128 v[6:9], v87 offset:1024
	;; [unrolled: 1-line block ×19, first 2 shown]
	ds_write2st64_b32 v85, v153, v156 offset0:8 offset1:12
	ds_write2st64_b32 v85, v157, v155 offset0:24 offset1:28
	s_waitcnt lgkmcnt(0)
	s_barrier
	buffer_gl0_inv
	v_add_f32_e32 v88, v15, v79
	v_add_f32_e32 v89, v14, v78
	s_cmp_lt_i32 s20, 9
	v_min3_f32 v115, v89, v88, 0x7f7fffff
	v_add_f32_e32 v88, v11, v79
	v_add_f32_e32 v89, v10, v78
	v_min3_f32 v116, v89, v88, 0x7f7fffff
	v_add_f32_e32 v88, v7, v79
	v_add_f32_e32 v89, v6, v78
	;; [unrolled: 1-line block ×5, first 2 shown]
	v_min3_f32 v117, v89, v88, 0x7f7fffff
	v_min3_f32 v118, v78, v79, 0x7f7fffff
	v_add_f32_e32 v78, v15, v75
	v_add_f32_e32 v79, v14, v74
	v_min3_f32 v114, v79, v78, 0x7f7fffff
	v_add_f32_e32 v78, v11, v75
	v_add_f32_e32 v79, v10, v74
	v_min3_f32 v113, v79, v78, 0x7f7fffff
	v_add_f32_e32 v78, v7, v75
	v_add_f32_e32 v79, v6, v74
	v_add_f32_e32 v75, v3, v75
	v_add_f32_e32 v74, v2, v74
	v_min3_f32 v112, v79, v78, 0x7f7fffff
	v_min3_f32 v111, v74, v75, 0x7f7fffff
	v_add_f32_e32 v74, v15, v71
	v_add_f32_e32 v75, v14, v70
	v_min3_f32 v110, v75, v74, 0x7f7fffff
	v_add_f32_e32 v74, v11, v71
	v_add_f32_e32 v75, v10, v70
	v_min3_f32 v109, v75, v74, 0x7f7fffff
	v_add_f32_e32 v74, v7, v71
	v_add_f32_e32 v75, v6, v70
	v_add_f32_e32 v71, v3, v71
	v_add_f32_e32 v70, v2, v70
	;; [unrolled: 12-line block ×13, first 2 shown]
	v_add_f32_e32 v6, v6, v18
	v_min3_f32 v34, v31, v30, 0x7f7fffff
	v_min3_f32 v31, v26, v27, 0x7f7fffff
	v_add_f32_e32 v26, v15, v23
	v_add_f32_e32 v27, v14, v22
	;; [unrolled: 1-line block ×4, first 2 shown]
	v_min3_f32 v30, v27, v26, 0x7f7fffff
	v_add_f32_e32 v26, v11, v23
	v_add_f32_e32 v27, v10, v22
	v_add_f32_e32 v22, v2, v22
	v_add_f32_e32 v2, v2, v18
	v_min3_f32 v14, v14, v15, 0x7f7fffff
	v_add_f32_e32 v11, v11, v19
	v_min3_f32 v27, v27, v26, 0x7f7fffff
	v_add_f32_e32 v26, v7, v23
	v_add_f32_e32 v23, v3, v23
	;; [unrolled: 1-line block ×5, first 2 shown]
	v_min3_f32 v26, v119, v26, 0x7f7fffff
	v_min3_f32 v22, v22, v23, 0x7f7fffff
	;; [unrolled: 1-line block ×4, first 2 shown]
	v_add_f32_e32 v3, v17, v81
	v_add_f32_e32 v7, v16, v80
	v_min3_f32 v10, v10, v11, 0x7f7fffff
	v_min3_f32 v154, v7, v3, v115
	v_add_f32_e32 v3, v13, v81
	v_add_f32_e32 v7, v12, v80
	v_min3_f32 v150, v7, v3, v116
	v_add_f32_e32 v3, v9, v81
	v_add_f32_e32 v7, v8, v80
	;; [unrolled: 3-line block ×59, first 2 shown]
	v_add_f32_e32 v4, v4, v20
	v_min3_f32 v91, v7, v3, v22
	v_add_f32_e32 v3, v17, v21
	v_add_f32_e32 v7, v16, v20
	v_min3_f32 v90, v7, v3, v14
	v_add_f32_e32 v3, v13, v21
	;; [unrolled: 3-line block ×4, first 2 shown]
	v_min3_f32 v99, v4, v3, v2
	s_cbranch_scc1 .LBB60_34
; %bb.20:
	v_mad_i64_i32 v[2:3], null, s13, v152, 0
	v_mad_i64_i32 v[4:5], null, s13, v137, 0
	;; [unrolled: 1-line block ×4, first 2 shown]
	v_lshlrev_b64 v[2:3], 2, v[2:3]
	v_add_nc_u32_e32 v153, 0x1000, v85
	v_lshlrev_b64 v[4:5], 2, v[4:5]
	v_or_b32_e32 v155, 0x1000, v86
	v_add_nc_u32_e32 v152, 0x800, v85
	v_add_nc_u32_e32 v137, 0x1800, v85
	v_add_co_u32 v159, vcc_lo, s18, v2
	v_add_co_ci_u32_e64 v160, null, s19, v3, vcc_lo
	v_lshlrev_b64 v[2:3], 2, v[6:7]
	v_add_co_u32 v161, vcc_lo, s18, v4
	v_add_co_ci_u32_e64 v162, null, s19, v5, vcc_lo
	v_lshlrev_b64 v[4:5], 2, v[8:9]
	v_add_co_u32 v163, vcc_lo, s14, v2
	v_add_co_ci_u32_e64 v164, null, s15, v3, vcc_lo
	v_lshl_add_u32 v156, v0, 4, 0x800
	v_add_co_u32 v165, vcc_lo, s14, v4
	v_lshl_add_u32 v157, v1, 4, 0x1800
	v_mov_b32_e32 v158, 0
	v_add_co_ci_u32_e64 v166, null, s15, v5, vcc_lo
	s_add_i32 s20, s20, -8
	s_mov_b32 s12, 0
	s_branch .LBB60_22
.LBB60_21:                              ;   in Loop: Header=BB60_22 Depth=1
	v_add_f32_e32 v169, v15, v79
	v_add_f32_e32 v170, v14, v78
	;; [unrolled: 1-line block ×10, first 2 shown]
	v_min3_f32 v154, v170, v169, v154
	v_min3_f32 v150, v172, v171, v150
	v_min3_f32 v78, v78, v79, v148
	v_add_f32_e32 v148, v11, v75
	v_min3_f32 v79, v176, v175, v149
	v_add_f32_e32 v149, v10, v74
	v_add_f32_e32 v169, v7, v75
	;; [unrolled: 1-line block ×7, first 2 shown]
	v_min3_f32 v151, v174, v173, v151
	v_add_f32_e32 v173, v11, v71
	v_add_f32_e32 v174, v10, v70
	v_min3_f32 v146, v149, v148, v146
	v_min3_f32 v74, v74, v75, v144
	;; [unrolled: 1-line block ×3, first 2 shown]
	v_add_f32_e32 v144, v7, v71
	v_add_f32_e32 v145, v6, v70
	;; [unrolled: 1-line block ×6, first 2 shown]
	v_min3_f32 v147, v170, v169, v147
	v_add_f32_e32 v169, v11, v67
	v_add_f32_e32 v170, v10, v66
	;; [unrolled: 1-line block ×4, first 2 shown]
	v_min3_f32 v142, v145, v144, v142
	v_min3_f32 v70, v70, v71, v140
	;; [unrolled: 1-line block ×3, first 2 shown]
	v_add_f32_e32 v67, v3, v67
	v_add_f32_e32 v66, v2, v66
	;; [unrolled: 1-line block ×10, first 2 shown]
	v_min3_f32 v66, v66, v67, v135
	v_min3_f32 v67, v141, v140, v136
	;; [unrolled: 1-line block ×3, first 2 shown]
	v_add_f32_e32 v135, v11, v59
	v_min3_f32 v62, v62, v63, v131
	v_add_f32_e32 v63, v15, v59
	v_add_f32_e32 v131, v14, v58
	;; [unrolled: 1-line block ×9, first 2 shown]
	v_min3_f32 v63, v131, v63, v132
	v_min3_f32 v129, v136, v135, v129
	v_min3_f32 v58, v58, v59, v127
	v_add_f32_e32 v127, v11, v55
	v_min3_f32 v59, v145, v144, v128
	v_add_f32_e32 v128, v10, v54
	v_add_f32_e32 v131, v7, v55
	;; [unrolled: 1-line block ×7, first 2 shown]
	v_min3_f32 v130, v141, v140, v130
	v_add_f32_e32 v140, v11, v51
	v_add_f32_e32 v141, v10, v50
	v_min3_f32 v125, v128, v127, v125
	v_min3_f32 v54, v54, v55, v123
	;; [unrolled: 1-line block ×3, first 2 shown]
	v_add_f32_e32 v123, v7, v51
	v_add_f32_e32 v124, v6, v50
	;; [unrolled: 1-line block ×6, first 2 shown]
	v_min3_f32 v126, v132, v131, v126
	v_add_f32_e32 v131, v11, v47
	v_add_f32_e32 v132, v10, v46
	;; [unrolled: 1-line block ×4, first 2 shown]
	v_min3_f32 v121, v124, v123, v121
	v_min3_f32 v50, v50, v51, v119
	;; [unrolled: 1-line block ×3, first 2 shown]
	v_add_f32_e32 v47, v3, v47
	v_add_f32_e32 v46, v2, v46
	;; [unrolled: 1-line block ×10, first 2 shown]
	v_min3_f32 v46, v46, v47, v115
	v_min3_f32 v47, v120, v119, v116
	;; [unrolled: 1-line block ×3, first 2 shown]
	v_add_f32_e32 v115, v11, v39
	v_min3_f32 v42, v42, v43, v111
	v_add_f32_e32 v43, v15, v39
	v_add_f32_e32 v111, v14, v38
	;; [unrolled: 1-line block ×9, first 2 shown]
	v_min3_f32 v43, v111, v43, v112
	v_min3_f32 v109, v116, v115, v109
	;; [unrolled: 1-line block ×3, first 2 shown]
	v_add_f32_e32 v107, v11, v35
	v_min3_f32 v39, v124, v123, v108
	v_add_f32_e32 v108, v10, v34
	v_add_f32_e32 v111, v7, v35
	;; [unrolled: 1-line block ×7, first 2 shown]
	v_min3_f32 v110, v120, v119, v110
	v_add_f32_e32 v119, v11, v31
	v_add_f32_e32 v120, v10, v30
	v_min3_f32 v105, v108, v107, v105
	v_min3_f32 v34, v34, v35, v103
	v_min3_f32 v35, v116, v115, v104
	v_add_f32_e32 v103, v7, v31
	v_add_f32_e32 v104, v6, v30
	;; [unrolled: 1-line block ×6, first 2 shown]
	v_min3_f32 v106, v112, v111, v106
	v_add_f32_e32 v111, v11, v27
	v_add_f32_e32 v112, v10, v26
	;; [unrolled: 1-line block ×4, first 2 shown]
	v_min3_f32 v101, v104, v103, v101
	v_min3_f32 v30, v30, v31, v98
	;; [unrolled: 1-line block ×3, first 2 shown]
	v_add_f32_e32 v27, v3, v27
	v_add_f32_e32 v26, v2, v26
	v_add_f32_e32 v98, v15, v23
	v_add_f32_e32 v100, v14, v22
	v_add_f32_e32 v103, v11, v23
	v_add_f32_e32 v104, v10, v22
	v_add_f32_e32 v107, v7, v23
	v_add_f32_e32 v108, v6, v22
	v_add_f32_e32 v23, v3, v23
	v_add_f32_e32 v22, v2, v22
	v_add_f32_e32 v15, v15, v19
	v_add_f32_e32 v14, v14, v18
	v_add_f32_e32 v11, v11, v19
	v_add_f32_e32 v10, v10, v18
	v_add_f32_e32 v7, v7, v19
	v_add_f32_e32 v6, v6, v18
	v_add_f32_e32 v3, v3, v19
	v_add_f32_e32 v2, v2, v18
	v_add_f32_e32 v18, v17, v81
	v_add_f32_e32 v19, v16, v80
	v_min3_f32 v22, v22, v23, v91
	v_min3_f32 v10, v10, v11, v88
	;; [unrolled: 1-line block ×3, first 2 shown]
	v_add_f32_e32 v2, v13, v81
	v_min3_f32 v88, v19, v18, v154
	v_add_f32_e32 v3, v12, v80
	v_add_f32_e32 v11, v5, v81
	;; [unrolled: 1-line block ×3, first 2 shown]
	v_min3_f32 v26, v26, v27, v94
	v_min3_f32 v14, v14, v15, v90
	;; [unrolled: 1-line block ×3, first 2 shown]
	v_add_f32_e32 v6, v9, v81
	v_add_f32_e32 v7, v8, v80
	;; [unrolled: 1-line block ×4, first 2 shown]
	v_min3_f32 v90, v3, v2, v150
	v_min3_f32 v94, v18, v11, v78
	v_add_f32_e32 v2, v9, v77
	v_add_f32_e32 v3, v8, v76
	;; [unrolled: 1-line block ×4, first 2 shown]
	v_min3_f32 v143, v174, v173, v143
	v_min3_f32 v138, v170, v169, v138
	;; [unrolled: 1-line block ×3, first 2 shown]
	v_add_f32_e32 v89, v12, v76
	v_min3_f32 v91, v7, v6, v151
	v_min3_f32 v95, v80, v19, v79
	v_add_f32_e32 v6, v5, v77
	v_add_f32_e32 v7, v4, v76
	;; [unrolled: 1-line block ×4, first 2 shown]
	v_min3_f32 v98, v3, v2, v147
	v_min3_f32 v100, v18, v11, v75
	v_add_f32_e32 v2, v5, v73
	v_add_f32_e32 v3, v4, v72
	;; [unrolled: 1-line block ×4, first 2 shown]
	v_min3_f32 v139, v172, v171, v139
	v_min3_f32 v134, v149, v148, v134
	;; [unrolled: 1-line block ×5, first 2 shown]
	v_add_f32_e32 v78, v8, v72
	v_min3_f32 v99, v7, v6, v74
	v_min3_f32 v103, v76, v19, v143
	v_add_f32_e32 v6, v17, v69
	v_add_f32_e32 v7, v16, v68
	;; [unrolled: 1-line block ×4, first 2 shown]
	v_min3_f32 v107, v3, v2, v70
	v_min3_f32 v111, v18, v11, v138
	v_add_f32_e32 v2, v17, v65
	v_add_f32_e32 v3, v16, v64
	;; [unrolled: 1-line block ×4, first 2 shown]
	v_min3_f32 v102, v120, v119, v102
	v_min3_f32 v97, v116, v115, v97
	v_add_f32_e32 v69, v5, v69
	v_add_f32_e32 v68, v4, v68
	v_min3_f32 v108, v7, v6, v71
	v_min3_f32 v112, v72, v19, v139
	v_add_f32_e32 v6, v13, v65
	v_add_f32_e32 v7, v12, v64
	;; [unrolled: 1-line block ×4, first 2 shown]
	v_min3_f32 v116, v3, v2, v67
	v_min3_f32 v120, v18, v11, v134
	v_add_f32_e32 v2, v13, v61
	v_add_f32_e32 v3, v12, v60
	;; [unrolled: 1-line block ×4, first 2 shown]
	v_min3_f32 v114, v128, v127, v114
	v_min3_f32 v115, v68, v69, v66
	v_add_f32_e32 v66, v16, v60
	v_min3_f32 v119, v7, v6, v133
	v_min3_f32 v123, v64, v19, v62
	v_add_f32_e32 v6, v9, v61
	v_add_f32_e32 v7, v8, v60
	;; [unrolled: 1-line block ×4, first 2 shown]
	v_min3_f32 v127, v3, v2, v129
	v_min3_f32 v129, v18, v11, v58
	v_add_f32_e32 v2, v9, v57
	v_add_f32_e32 v3, v8, v56
	;; [unrolled: 1-line block ×4, first 2 shown]
	v_min3_f32 v122, v141, v140, v122
	v_min3_f32 v117, v132, v131, v117
	v_add_f32_e32 v62, v12, v56
	v_min3_f32 v128, v7, v6, v130
	v_min3_f32 v130, v60, v19, v59
	v_add_f32_e32 v6, v5, v57
	v_add_f32_e32 v7, v4, v56
	;; [unrolled: 1-line block ×4, first 2 shown]
	v_min3_f32 v126, v3, v2, v126
	v_min3_f32 v132, v18, v11, v55
	v_add_f32_e32 v2, v5, v53
	v_add_f32_e32 v3, v4, v52
	;; [unrolled: 1-line block ×4, first 2 shown]
	v_min3_f32 v118, v136, v135, v118
	v_add_f32_e32 v58, v8, v52
	v_min3_f32 v131, v7, v6, v54
	v_min3_f32 v122, v56, v19, v122
	v_add_f32_e32 v6, v17, v49
	v_add_f32_e32 v7, v16, v48
	;; [unrolled: 1-line block ×4, first 2 shown]
	v_min3_f32 v133, v3, v2, v50
	v_min3_f32 v117, v18, v11, v117
	v_add_f32_e32 v2, v17, v45
	v_add_f32_e32 v3, v16, v44
	v_add_f32_e32 v11, v9, v45
	v_add_f32_e32 v18, v8, v44
	v_add_f32_e32 v49, v5, v49
	v_add_f32_e32 v48, v4, v48
	v_min3_f32 v134, v7, v6, v51
	v_min3_f32 v118, v52, v19, v118
	v_add_f32_e32 v6, v13, v45
	v_add_f32_e32 v7, v12, v44
	;; [unrolled: 1-line block ×4, first 2 shown]
	v_min3_f32 v136, v3, v2, v47
	v_min3_f32 v114, v18, v11, v114
	v_add_f32_e32 v2, v13, v41
	v_add_f32_e32 v3, v12, v40
	;; [unrolled: 1-line block ×4, first 2 shown]
	v_min3_f32 v135, v48, v49, v46
	v_add_f32_e32 v46, v16, v40
	v_min3_f32 v113, v7, v6, v113
	v_min3_f32 v138, v44, v19, v42
	v_add_f32_e32 v6, v9, v41
	v_add_f32_e32 v7, v8, v40
	;; [unrolled: 1-line block ×4, first 2 shown]
	v_min3_f32 v109, v3, v2, v109
	v_min3_f32 v140, v18, v11, v38
	v_add_f32_e32 v2, v9, v37
	v_add_f32_e32 v3, v8, v36
	;; [unrolled: 1-line block ×7, first 2 shown]
	v_min3_f32 v110, v7, v6, v110
	v_min3_f32 v141, v40, v19, v39
	v_add_f32_e32 v6, v5, v37
	v_add_f32_e32 v7, v4, v36
	;; [unrolled: 1-line block ×4, first 2 shown]
	v_min3_f32 v106, v3, v2, v106
	v_min3_f32 v143, v18, v11, v35
	v_add_f32_e32 v2, v5, v33
	v_add_f32_e32 v3, v4, v32
	;; [unrolled: 1-line block ×4, first 2 shown]
	v_min3_f32 v104, v78, v77, v142
	v_add_f32_e32 v65, v17, v61
	v_add_f32_e32 v45, v17, v41
	;; [unrolled: 1-line block ×3, first 2 shown]
	v_min3_f32 v142, v7, v6, v34
	v_min3_f32 v102, v36, v19, v102
	v_add_f32_e32 v6, v17, v29
	v_add_f32_e32 v7, v16, v28
	;; [unrolled: 1-line block ×4, first 2 shown]
	v_min3_f32 v144, v3, v2, v30
	v_min3_f32 v96, v18, v11, v96
	v_add_f32_e32 v2, v17, v25
	v_add_f32_e32 v3, v16, v24
	;; [unrolled: 1-line block ×6, first 2 shown]
	v_min3_f32 v145, v7, v6, v31
	v_min3_f32 v97, v32, v19, v97
	v_add_f32_e32 v6, v13, v25
	v_add_f32_e32 v7, v12, v24
	;; [unrolled: 1-line block ×4, first 2 shown]
	v_min3_f32 v93, v18, v11, v93
	v_min3_f32 v149, v16, v17, v14
	v_add_f32_e32 v11, v13, v21
	v_add_f32_e32 v12, v12, v20
	;; [unrolled: 1-line block ×10, first 2 shown]
	v_min3_f32 v147, v3, v2, v27
	v_min3_f32 v92, v7, v6, v92
	;; [unrolled: 1-line block ×3, first 2 shown]
	v_add_f32_e32 v18, v5, v21
	v_add_f32_e32 v19, v4, v20
	ds_read_b128 v[2:5], v87
	ds_read_b128 v[6:9], v155
	v_min3_f32 v150, v12, v11, v10
	ds_read_b128 v[10:13], v87 offset:512
	v_min3_f32 v151, v16, v14, v15
	ds_read_b128 v[14:17], v87 offset:1024
	v_min3_f32 v89, v89, v81, v146
	v_min3_f32 v124, v66, v65, v63
	;; [unrolled: 1-line block ×9, first 2 shown]
	ds_read_b128 v[18:21], v87 offset:1536
	ds_read_b128 v[22:25], v155 offset:128
	;; [unrolled: 1-line block ×16, first 2 shown]
	v_add_co_u32 v159, vcc_lo, v159, 32
	v_add_co_ci_u32_e64 v160, null, 0, v160, vcc_lo
	s_waitcnt lgkmcnt(18)
	v_add_f32_e32 v169, v3, v7
	v_add_f32_e32 v170, v2, v6
	s_waitcnt lgkmcnt(17)
	v_add_f32_e32 v171, v11, v7
	v_add_f32_e32 v172, v10, v6
	;; [unrolled: 3-line block ×3, first 2 shown]
	v_min3_f32 v88, v170, v169, v88
	s_waitcnt lgkmcnt(15)
	v_add_f32_e32 v7, v19, v7
	v_min3_f32 v90, v172, v171, v90
	v_add_f32_e32 v6, v18, v6
	v_min3_f32 v91, v174, v173, v91
	s_waitcnt lgkmcnt(14)
	v_add_f32_e32 v169, v3, v23
	v_add_f32_e32 v170, v2, v22
	;; [unrolled: 1-line block ×8, first 2 shown]
	v_min3_f32 v6, v6, v7, v94
	v_min3_f32 v7, v170, v169, v95
	;; [unrolled: 1-line block ×5, first 2 shown]
	s_waitcnt lgkmcnt(13)
	v_add_f32_e32 v23, v3, v27
	v_add_f32_e32 v95, v2, v26
	;; [unrolled: 1-line block ×8, first 2 shown]
	s_waitcnt lgkmcnt(12)
	v_add_f32_e32 v171, v3, v31
	v_add_f32_e32 v172, v2, v30
	v_min3_f32 v23, v95, v23, v100
	v_min3_f32 v95, v99, v98, v103
	;; [unrolled: 1-line block ×5, first 2 shown]
	v_add_f32_e32 v99, v11, v31
	v_add_f32_e32 v100, v10, v30
	;; [unrolled: 1-line block ×6, first 2 shown]
	s_waitcnt lgkmcnt(11)
	v_add_f32_e32 v107, v3, v35
	v_add_f32_e32 v108, v2, v34
	;; [unrolled: 1-line block ×4, first 2 shown]
	v_min3_f32 v99, v100, v99, v111
	v_min3_f32 v100, v104, v103, v112
	;; [unrolled: 1-line block ×5, first 2 shown]
	v_add_f32_e32 v104, v15, v35
	v_add_f32_e32 v107, v14, v34
	;; [unrolled: 1-line block ×4, first 2 shown]
	s_waitcnt lgkmcnt(10)
	v_add_f32_e32 v108, v3, v39
	v_add_f32_e32 v111, v2, v38
	;; [unrolled: 1-line block ×6, first 2 shown]
	v_min3_f32 v104, v107, v104, v120
	v_min3_f32 v34, v34, v35, v123
	;; [unrolled: 1-line block ×5, first 2 shown]
	v_add_f32_e32 v39, v19, v39
	v_add_f32_e32 v38, v18, v38
	s_waitcnt lgkmcnt(9)
	v_add_f32_e32 v111, v3, v43
	v_add_f32_e32 v112, v2, v42
	;; [unrolled: 1-line block ×8, first 2 shown]
	v_min3_f32 v38, v38, v39, v129
	v_min3_f32 v39, v112, v111, v130
	;; [unrolled: 1-line block ×5, first 2 shown]
	s_waitcnt lgkmcnt(8)
	v_add_f32_e32 v43, v3, v47
	v_add_f32_e32 v115, v2, v46
	;; [unrolled: 1-line block ×8, first 2 shown]
	s_waitcnt lgkmcnt(7)
	v_add_f32_e32 v124, v3, v51
	v_add_f32_e32 v125, v2, v50
	v_min3_f32 v43, v115, v43, v132
	v_min3_f32 v115, v119, v116, v122
	;; [unrolled: 1-line block ×5, first 2 shown]
	v_add_f32_e32 v119, v11, v51
	v_add_f32_e32 v120, v10, v50
	;; [unrolled: 1-line block ×6, first 2 shown]
	s_waitcnt lgkmcnt(6)
	v_add_f32_e32 v123, v3, v55
	v_add_f32_e32 v124, v2, v54
	;; [unrolled: 1-line block ×4, first 2 shown]
	v_min3_f32 v117, v120, v119, v117
	v_min3_f32 v118, v122, v121, v118
	v_min3_f32 v50, v50, v51, v135
	v_min3_f32 v51, v124, v123, v136
	v_add_f32_e32 v119, v15, v55
	v_add_f32_e32 v120, v14, v54
	v_add_f32_e32 v55, v19, v55
	v_add_f32_e32 v54, v18, v54
	s_waitcnt lgkmcnt(5)
	v_add_f32_e32 v121, v3, v59
	v_add_f32_e32 v122, v2, v58
	v_add_f32_e32 v123, v11, v59
	v_add_f32_e32 v124, v10, v58
	v_min3_f32 v113, v126, v125, v113
	v_add_f32_e32 v125, v15, v59
	v_add_f32_e32 v126, v14, v58
	v_min3_f32 v114, v120, v119, v114
	v_min3_f32 v54, v54, v55, v138
	;; [unrolled: 1-line block ×4, first 2 shown]
	v_add_f32_e32 v59, v19, v59
	v_add_f32_e32 v58, v18, v58
	s_waitcnt lgkmcnt(4)
	v_add_f32_e32 v119, v3, v63
	v_add_f32_e32 v120, v2, v62
	;; [unrolled: 1-line block ×8, first 2 shown]
	v_min3_f32 v58, v58, v59, v140
	v_min3_f32 v59, v120, v119, v141
	;; [unrolled: 1-line block ×3, first 2 shown]
	s_waitcnt lgkmcnt(3)
	v_add_f32_e32 v119, v2, v66
	v_min3_f32 v62, v62, v63, v142
	v_add_f32_e32 v63, v3, v67
	v_add_f32_e32 v120, v11, v67
	;; [unrolled: 1-line block ×3, first 2 shown]
	v_min3_f32 v110, v126, v125, v110
	v_min3_f32 v106, v124, v123, v106
	v_add_f32_e32 v122, v15, v67
	v_add_f32_e32 v123, v14, v66
	;; [unrolled: 1-line block ×4, first 2 shown]
	s_waitcnt lgkmcnt(2)
	v_add_f32_e32 v124, v3, v71
	v_add_f32_e32 v125, v2, v70
	v_min3_f32 v63, v119, v63, v143
	v_min3_f32 v102, v121, v120, v102
	v_add_f32_e32 v119, v11, v71
	v_add_f32_e32 v120, v10, v70
	v_min3_f32 v101, v123, v122, v101
	v_min3_f32 v66, v66, v67, v144
	;; [unrolled: 1-line block ×3, first 2 shown]
	v_add_f32_e32 v121, v15, v71
	v_add_f32_e32 v122, v14, v70
	s_waitcnt lgkmcnt(1)
	v_add_f32_e32 v123, v3, v75
	v_add_f32_e32 v124, v2, v74
	;; [unrolled: 1-line block ×4, first 2 shown]
	v_min3_f32 v96, v120, v119, v96
	v_add_f32_e32 v119, v15, v75
	v_add_f32_e32 v120, v14, v74
	;; [unrolled: 1-line block ×4, first 2 shown]
	s_waitcnt lgkmcnt(0)
	v_add_f32_e32 v3, v3, v79
	v_add_f32_e32 v2, v2, v78
	;; [unrolled: 1-line block ×8, first 2 shown]
	v_min3_f32 v74, v74, v75, v148
	v_min3_f32 v2, v2, v3, v149
	;; [unrolled: 1-line block ×4, first 2 shown]
	v_add_f32_e32 v11, v19, v79
	v_add_f32_e32 v14, v18, v78
	;; [unrolled: 1-line block ×10, first 2 shown]
	v_min3_f32 v11, v14, v11, v154
	v_min3_f32 v154, v18, v15, v88
	v_add_f32_e32 v14, v12, v24
	v_add_f32_e32 v15, v17, v25
	v_min3_f32 v148, v8, v9, v6
	v_add_f32_e32 v6, v5, v25
	v_add_f32_e32 v8, v4, v24
	;; [unrolled: 1-line block ×4, first 2 shown]
	v_min3_f32 v70, v70, v71, v146
	v_min3_f32 v71, v124, v123, v147
	;; [unrolled: 1-line block ×3, first 2 shown]
	v_add_f32_e32 v19, v21, v25
	v_add_f32_e32 v24, v20, v24
	v_add_f32_e32 v25, v5, v29
	v_add_f32_e32 v75, v4, v28
	v_min3_f32 v149, v8, v6, v7
	v_min3_f32 v146, v14, v9, v89
	v_min3_f32 v147, v18, v15, v94
	v_add_f32_e32 v6, v13, v29
	v_add_f32_e32 v7, v12, v28
	v_add_f32_e32 v8, v17, v29
	v_add_f32_e32 v9, v16, v28
	v_add_f32_e32 v14, v21, v29
	v_add_f32_e32 v15, v20, v28
	v_min3_f32 v144, v24, v19, v22
	v_min3_f32 v145, v75, v25, v23
	v_add_f32_e32 v18, v5, v33
	v_add_f32_e32 v19, v4, v32
	v_add_f32_e32 v22, v13, v33
	v_add_f32_e32 v23, v12, v32
	v_min3_f32 v143, v7, v6, v95
	v_min3_f32 v142, v9, v8, v98
	v_min3_f32 v140, v15, v14, v26
	v_add_f32_e32 v6, v17, v33
	v_add_f32_e32 v7, v16, v32
	v_add_f32_e32 v8, v21, v33
	v_add_f32_e32 v9, v20, v32
	v_add_f32_e32 v14, v5, v37
	v_add_f32_e32 v15, v4, v36
	v_min3_f32 v141, v19, v18, v27
	v_min3_f32 v138, v23, v22, v99
	;; [unrolled: 15-line block ×4, first 2 shown]
	v_min3_f32 v127, v23, v22, v38
	v_add_f32_e32 v18, v21, v45
	v_add_f32_e32 v19, v20, v44
	v_add_f32_e32 v22, v5, v49
	v_add_f32_e32 v23, v4, v48
	v_min3_f32 v128, v7, v6, v39
	v_min3_f32 v125, v9, v8, v111
	;; [unrolled: 1-line block ×3, first 2 shown]
	v_add_f32_e32 v6, v13, v49
	v_add_f32_e32 v7, v12, v48
	;; [unrolled: 1-line block ×6, first 2 shown]
	v_min3_f32 v97, v122, v121, v97
	v_min3_f32 v93, v120, v119, v93
	;; [unrolled: 1-line block ×4, first 2 shown]
	v_add_f32_e32 v18, v5, v53
	v_add_f32_e32 v19, v4, v52
	v_add_f32_e32 v22, v13, v53
	v_add_f32_e32 v23, v12, v52
	v_min3_f32 v122, v7, v6, v115
	v_min3_f32 v121, v9, v8, v116
	v_min3_f32 v119, v15, v14, v46
	v_add_f32_e32 v6, v17, v53
	v_add_f32_e32 v7, v16, v52
	v_add_f32_e32 v8, v21, v53
	v_add_f32_e32 v9, v20, v52
	v_add_f32_e32 v14, v5, v57
	v_add_f32_e32 v15, v4, v56
	v_min3_f32 v120, v19, v18, v47
	v_min3_f32 v117, v23, v22, v117
	v_add_f32_e32 v18, v13, v57
	v_add_f32_e32 v19, v12, v56
	v_add_f32_e32 v22, v17, v57
	v_add_f32_e32 v23, v16, v56
	v_min3_f32 v118, v7, v6, v118
	v_min3_f32 v115, v9, v8, v50
	v_min3_f32 v116, v15, v14, v51
	v_add_f32_e32 v6, v21, v57
	v_add_f32_e32 v7, v20, v56
	v_add_f32_e32 v8, v5, v61
	v_add_f32_e32 v9, v4, v60
	v_add_f32_e32 v14, v13, v61
	v_add_f32_e32 v15, v12, v60
	v_min3_f32 v113, v19, v18, v113
	v_min3_f32 v114, v23, v22, v114
	;; [unrolled: 15-line block ×4, first 2 shown]
	v_add_f32_e32 v18, v5, v73
	v_add_f32_e32 v19, v4, v72
	;; [unrolled: 1-line block ×4, first 2 shown]
	v_min3_f32 v102, v7, v6, v102
	v_min3_f32 v101, v9, v8, v101
	;; [unrolled: 1-line block ×3, first 2 shown]
	v_add_f32_e32 v6, v17, v73
	v_add_f32_e32 v7, v16, v72
	;; [unrolled: 1-line block ×6, first 2 shown]
	v_add_co_u32 v161, vcc_lo, v161, 32
	v_min3_f32 v100, v19, v18, v67
	v_min3_f32 v96, v23, v22, v96
	v_add_f32_e32 v18, v13, v77
	v_add_f32_e32 v19, v12, v76
	;; [unrolled: 1-line block ×4, first 2 shown]
	v_min3_f32 v97, v7, v6, v97
	v_min3_f32 v94, v9, v8, v70
	;; [unrolled: 1-line block ×3, first 2 shown]
	v_add_f32_e32 v6, v21, v77
	v_add_f32_e32 v7, v20, v76
	;; [unrolled: 1-line block ×10, first 2 shown]
	v_add_co_ci_u32_e64 v162, null, 0, v162, vcc_lo
	v_add_co_u32 v163, vcc_lo, v163, 32
	v_add_co_ci_u32_e64 v164, null, 0, v164, vcc_lo
	v_add_co_u32 v165, vcc_lo, v165, 32
	v_min3_f32 v151, v79, v78, v91
	v_min3_f32 v92, v19, v18, v92
	;; [unrolled: 1-line block ×8, first 2 shown]
	v_add_co_ci_u32_e64 v166, null, 0, v166, vcc_lo
	s_add_i32 s12, s12, 8
	ds_write2st64_b32 v152, v167, v83 offset1:4
	ds_write2st64_b32 v137, v82, v168 offset1:4
	s_cmp_ge_i32 s12, s20
	s_waitcnt lgkmcnt(0)
	s_barrier
	buffer_gl0_inv
	s_cbranch_scc1 .LBB60_34
.LBB60_22:                              ; =>This Inner Loop Header: Depth=1
	v_mov_b32_e32 v168, 0
	s_and_b32 vcc_lo, exec_lo, s2
	s_cbranch_vccnz .LBB60_24
; %bb.23:                               ;   in Loop: Header=BB60_22 Depth=1
	v_add_co_u32 v2, vcc_lo, v165, v84
	v_add_co_ci_u32_e64 v3, null, 0, v166, vcc_lo
	global_load_dword v2, v[2:3], off offset:32
	s_waitcnt vmcnt(0)
	v_mul_f32_e32 v168, s17, v2
.LBB60_24:                              ;   in Loop: Header=BB60_22 Depth=1
	s_mov_b32 s13, -1
	s_mov_b32 vcc_lo, s1
                                        ; implicit-def: $vgpr82_vgpr83
                                        ; implicit-def: $vgpr83
	s_cbranch_vccz .LBB60_26
; %bb.25:                               ;   in Loop: Header=BB60_22 Depth=1
	v_mov_b32_e32 v83, v158
	v_mov_b32_e32 v82, 0
	s_mov_b32 s13, 0
.LBB60_26:                              ;   in Loop: Header=BB60_22 Depth=1
	v_mov_b32_e32 v167, 0
	v_mov_b32_e32 v169, 0
	s_andn2_b32 vcc_lo, exec_lo, s13
	s_cbranch_vccnz .LBB60_28
; %bb.27:                               ;   in Loop: Header=BB60_22 Depth=1
	v_add_co_u32 v2, vcc_lo, v163, v84
	v_add_co_ci_u32_e64 v3, null, 0, v164, vcc_lo
	v_add_co_u32 v4, vcc_lo, v161, v84
	v_add_co_ci_u32_e64 v5, null, 0, v162, vcc_lo
	;; [unrolled: 2-line block ×3, first 2 shown]
	global_load_dword v2, v[2:3], off offset:32
	global_load_dword v3, v[4:5], off offset:32
	;; [unrolled: 1-line block ×3, first 2 shown]
	s_waitcnt vmcnt(2)
	v_mul_f32_e32 v83, s17, v2
	s_waitcnt vmcnt(1)
	v_mul_f32_e32 v82, s17, v3
	;; [unrolled: 2-line block ×3, first 2 shown]
.LBB60_28:                              ;   in Loop: Header=BB60_22 Depth=1
	ds_read_b128 v[14:17], v156
	ds_read_b128 v[10:13], v156 offset:512
	ds_read_b128 v[6:9], v156 offset:1024
	ds_read_b128 v[2:5], v156 offset:1536
	ds_read_b128 v[78:81], v157
	ds_read_b128 v[74:77], v157 offset:128
	ds_read_b128 v[70:73], v157 offset:256
	;; [unrolled: 1-line block ×15, first 2 shown]
	s_and_b32 vcc_lo, exec_lo, s2
	ds_write2st64_b32 v85, v168, v83 offset1:4
	ds_write2st64_b32 v153, v82, v169 offset1:4
	s_waitcnt lgkmcnt(0)
	s_barrier
	buffer_gl0_inv
	s_cbranch_vccnz .LBB60_30
; %bb.29:                               ;   in Loop: Header=BB60_22 Depth=1
	v_add_co_u32 v82, vcc_lo, v165, v84
	v_add_co_ci_u32_e64 v83, null, 0, v166, vcc_lo
	global_load_dword v82, v[82:83], off offset:48
	s_waitcnt vmcnt(0)
	v_mul_f32_e32 v167, s17, v82
.LBB60_30:                              ;   in Loop: Header=BB60_22 Depth=1
	s_mov_b32 s13, -1
	s_mov_b32 vcc_lo, s1
                                        ; implicit-def: $vgpr82_vgpr83
                                        ; implicit-def: $vgpr83
	s_cbranch_vccz .LBB60_32
; %bb.31:                               ;   in Loop: Header=BB60_22 Depth=1
	v_mov_b32_e32 v83, v158
	v_mov_b32_e32 v82, 0
	s_mov_b32 s13, 0
.LBB60_32:                              ;   in Loop: Header=BB60_22 Depth=1
	v_mov_b32_e32 v168, 0
	s_andn2_b32 vcc_lo, exec_lo, s13
	s_cbranch_vccnz .LBB60_21
; %bb.33:                               ;   in Loop: Header=BB60_22 Depth=1
	v_add_co_u32 v82, vcc_lo, v163, v84
	v_add_co_ci_u32_e64 v83, null, 0, v164, vcc_lo
	v_add_co_u32 v168, vcc_lo, v161, v84
	v_add_co_ci_u32_e64 v169, null, 0, v162, vcc_lo
	;; [unrolled: 2-line block ×3, first 2 shown]
	global_load_dword v82, v[82:83], off offset:48
	global_load_dword v168, v[168:169], off offset:48
	;; [unrolled: 1-line block ×3, first 2 shown]
	s_waitcnt vmcnt(2)
	v_mul_f32_e32 v83, s17, v82
	s_waitcnt vmcnt(1)
	v_mul_f32_e32 v82, s17, v168
	;; [unrolled: 2-line block ×3, first 2 shown]
	s_branch .LBB60_21
.LBB60_34:
	ds_read_b128 v[16:19], v87 offset:2048
	ds_read_b128 v[76:79], v86 offset:6144
	s_clause 0x2
	s_load_dword s2, s[4:5], 0x70
	s_load_dword s1, s[4:5], 0x58
	s_load_dwordx2 s[12:13], s[4:5], 0x78
	v_add_nc_u32_e32 v137, s7, v1
	v_add_nc_u32_e32 v84, s6, v0
	v_ashrrev_i32_e32 v85, 31, v84
	v_add_nc_u32_e32 v0, 32, v84
	v_lshlrev_b64 v[82:83], 2, v[84:85]
	v_ashrrev_i32_e32 v1, 31, v0
	s_waitcnt lgkmcnt(0)
	v_mad_i64_i32 v[2:3], null, v137, s2, 0
	v_mad_i64_i32 v[4:5], null, v137, s1, 0
	v_add_f32_e32 v6, v17, v77
	v_add_f32_e32 v7, v16, v76
	s_mul_i32 s5, s13, s16
	s_mul_hi_u32 s6, s12, s16
	s_mul_i32 s4, s12, s16
	v_add_f32_e32 v8, v19, v79
	s_add_i32 s5, s6, s5
	v_add_f32_e32 v9, v18, v78
	v_min3_f32 v6, v7, v6, v154
	v_lshlrev_b64 v[2:3], 2, v[2:3]
	s_lshl_b64 s[4:5], s[4:5], 2
	v_lshlrev_b64 v[4:5], 2, v[4:5]
	s_add_u32 s4, s10, s4
	v_min3_f32 v6, v9, v8, v6
	s_addc_u32 s5, s11, s5
	v_add_co_u32 v152, vcc_lo, s4, v2
	v_add_co_ci_u32_e64 v153, null, s5, v3, vcc_lo
	v_add_co_u32 v154, vcc_lo, s8, v4
	v_add_co_ci_u32_e64 v155, null, s9, v5, vcc_lo
	v_max_f32_e32 v2, v6, v6
	s_mov_b32 s6, -1
	s_mov_b32 vcc_lo, s0
	s_cbranch_vccz .LBB60_36
; %bb.35:
	v_add_co_u32 v3, vcc_lo, v152, v82
	v_min_f32_e32 v5, 0, v2
	v_add_co_ci_u32_e64 v4, null, v153, v83, vcc_lo
	s_mov_b32 s6, 0
	global_store_dword v[3:4], v5, off
.LBB60_36:
	ds_read_b128 v[12:15], v87 offset:2560
	ds_read_b128 v[8:11], v87 offset:3072
	v_lshlrev_b64 v[80:81], 2, v[0:1]
	v_mov_b32_e32 v85, 0
	s_andn2_b32 vcc_lo, exec_lo, s6
	s_cbranch_vccnz .LBB60_38
; %bb.37:
	v_add_co_u32 v0, vcc_lo, v154, v82
	v_add_co_ci_u32_e64 v1, null, v155, v83, vcc_lo
	global_load_dword v0, v[0:1], off
	s_waitcnt vmcnt(0)
	v_mul_f32_e32 v3, s3, v0
	v_add_co_u32 v0, vcc_lo, v152, v82
	v_add_co_ci_u32_e64 v1, null, v153, v83, vcc_lo
	v_min_f32_e32 v4, v3, v2
	v_add_co_u32 v2, vcc_lo, v154, v80
	v_add_co_ci_u32_e64 v3, null, v155, v81, vcc_lo
	global_store_dword v[0:1], v4, off
	global_load_dword v0, v[2:3], off
	s_waitcnt vmcnt(0)
	v_mul_f32_e32 v85, s3, v0
.LBB60_38:
	ds_read_b128 v[0:3], v87 offset:3584
	ds_read_b128 v[72:75], v86 offset:6272
	;; [unrolled: 1-line block ×14, first 2 shown]
	s_waitcnt lgkmcnt(15)
	v_add_f32_e32 v87, v13, v77
	v_add_f32_e32 v156, v12, v76
	s_waitcnt lgkmcnt(14)
	v_add_f32_e32 v157, v9, v77
	v_add_f32_e32 v158, v8, v76
	;; [unrolled: 1-line block ×4, first 2 shown]
	ds_read_b128 v[20:23], v86 offset:7936
	ds_read_b128 v[4:7], v86 offset:8064
	v_min3_f32 v87, v156, v87, v150
	v_min3_f32 v156, v158, v157, v151
	v_add_nc_u32_e32 v150, 64, v84
	v_min_f32_e32 v151, v160, v159
	v_add_f32_e32 v157, v11, v79
	v_add_f32_e32 v158, v10, v78
	v_add_nc_u32_e32 v86, 0x60, v84
	v_add_co_u32 v84, vcc_lo, v152, v80
	v_min3_f32 v159, v85, v151, v87
	v_add_co_ci_u32_e64 v85, null, v153, v81, vcc_lo
	v_ashrrev_i32_e32 v151, 31, v150
	v_min3_f32 v156, v158, v157, v156
	v_ashrrev_i32_e32 v87, 31, v86
	global_store_dword v[84:85], v159, off
	s_mov_b32 s6, -1
	v_lshlrev_b64 v[84:85], 2, v[150:151]
	v_max_f32_e32 v150, v156, v156
	s_mov_b32 vcc_lo, s0
	s_cbranch_vccz .LBB60_40
; %bb.39:
	v_add_co_u32 v156, vcc_lo, v152, v84
	v_min_f32_e32 v151, 0, v150
	v_add_co_ci_u32_e64 v157, null, v153, v85, vcc_lo
	s_mov_b32 s6, 0
	global_store_dword v[156:157], v151, off
.LBB60_40:
	v_lshlrev_b64 v[86:87], 2, v[86:87]
	v_mov_b32_e32 v151, 0
	s_andn2_b32 vcc_lo, exec_lo, s6
	s_cbranch_vccnz .LBB60_42
; %bb.41:
	v_add_co_u32 v156, vcc_lo, v154, v84
	v_add_co_ci_u32_e64 v157, null, v155, v85, vcc_lo
	global_load_dword v151, v[156:157], off
	v_add_co_u32 v156, vcc_lo, v152, v84
	v_add_co_ci_u32_e64 v157, null, v153, v85, vcc_lo
	s_waitcnt vmcnt(0)
	v_mul_f32_e32 v151, s3, v151
	v_min_f32_e32 v158, v151, v150
	v_add_co_u32 v150, vcc_lo, v154, v86
	v_add_co_ci_u32_e64 v151, null, v155, v87, vcc_lo
	global_store_dword v[156:157], v158, off
	global_load_dword v150, v[150:151], off
	s_waitcnt vmcnt(0)
	v_mul_f32_e32 v151, s3, v150
.LBB60_42:
	s_waitcnt lgkmcnt(15)
	v_add_f32_e32 v77, v1, v77
	v_add_f32_e32 v76, v0, v76
	;; [unrolled: 1-line block ×4, first 2 shown]
	s_waitcnt lgkmcnt(14)
	v_add_f32_e32 v150, v17, v73
	v_add_f32_e32 v154, v16, v72
	v_min3_f32 v76, v76, v77, v148
	v_add_f32_e32 v155, v18, v74
	v_min_f32_e32 v77, v78, v79
	v_add_nc_u32_e32 v78, 8, v137
	v_min3_f32 v150, v154, v150, v149
	v_add_f32_e32 v154, v19, v75
	v_add_co_u32 v148, vcc_lo, v152, v86
	v_min3_f32 v151, v151, v77, v76
	v_mad_i64_i32 v[76:77], null, v78, s2, 0
	v_mad_i64_i32 v[78:79], null, v78, s1, 0
	v_add_co_ci_u32_e64 v149, null, v153, v87, vcc_lo
	v_min3_f32 v150, v155, v154, v150
	s_mov_b32 s6, -1
	v_lshlrev_b64 v[76:77], 2, v[76:77]
	global_store_dword v[148:149], v151, off
	v_lshlrev_b64 v[78:79], 2, v[78:79]
	v_max_f32_e32 v148, v150, v150
	v_add_co_u32 v76, vcc_lo, s4, v76
	v_add_co_ci_u32_e64 v77, null, s5, v77, vcc_lo
	v_add_co_u32 v78, vcc_lo, s8, v78
	v_add_co_ci_u32_e64 v79, null, s9, v79, vcc_lo
	s_mov_b32 vcc_lo, s0
	s_cbranch_vccz .LBB60_44
; %bb.43:
	v_add_co_u32 v149, vcc_lo, v76, v82
	v_min_f32_e32 v151, 0, v148
	v_add_co_ci_u32_e64 v150, null, v77, v83, vcc_lo
	s_mov_b32 s6, 0
	global_store_dword v[149:150], v151, off
.LBB60_44:
	v_mov_b32_e32 v149, 0
	s_andn2_b32 vcc_lo, exec_lo, s6
	s_cbranch_vccnz .LBB60_46
; %bb.45:
	v_add_co_u32 v149, vcc_lo, v78, v82
	v_add_co_ci_u32_e64 v150, null, v79, v83, vcc_lo
	global_load_dword v149, v[149:150], off
	s_waitcnt vmcnt(0)
	v_mul_f32_e32 v151, s3, v149
	v_add_co_u32 v149, vcc_lo, v76, v82
	v_add_co_ci_u32_e64 v150, null, v77, v83, vcc_lo
	v_min_f32_e32 v148, v151, v148
	v_add_co_u32 v151, vcc_lo, v78, v80
	v_add_co_ci_u32_e64 v152, null, v79, v81, vcc_lo
	global_store_dword v[149:150], v148, off
	global_load_dword v148, v[151:152], off
	s_waitcnt vmcnt(0)
	v_mul_f32_e32 v149, s3, v148
.LBB60_46:
	v_add_f32_e32 v148, v13, v73
	v_add_f32_e32 v150, v12, v72
	;; [unrolled: 1-line block ×6, first 2 shown]
	v_min3_f32 v146, v150, v148, v146
	s_mov_b32 s6, -1
	v_min_f32_e32 v148, v152, v151
	v_add_f32_e32 v151, v11, v75
	v_min3_f32 v150, v154, v153, v147
	v_add_f32_e32 v152, v10, v74
	v_min3_f32 v148, v149, v148, v146
	v_add_co_u32 v146, vcc_lo, v76, v80
	v_add_co_ci_u32_e64 v147, null, v77, v81, vcc_lo
	v_min3_f32 v149, v152, v151, v150
	s_mov_b32 vcc_lo, s0
	global_store_dword v[146:147], v148, off
	v_max_f32_e32 v146, v149, v149
	s_cbranch_vccz .LBB60_48
; %bb.47:
	v_add_co_u32 v147, vcc_lo, v76, v84
	v_min_f32_e32 v149, 0, v146
	v_add_co_ci_u32_e64 v148, null, v77, v85, vcc_lo
	s_mov_b32 s6, 0
	global_store_dword v[147:148], v149, off
.LBB60_48:
	v_mov_b32_e32 v147, 0
	s_andn2_b32 vcc_lo, exec_lo, s6
	s_cbranch_vccnz .LBB60_50
; %bb.49:
	v_add_co_u32 v147, vcc_lo, v78, v84
	v_add_co_ci_u32_e64 v148, null, v79, v85, vcc_lo
	global_load_dword v147, v[147:148], off
	s_waitcnt vmcnt(0)
	v_mul_f32_e32 v149, s3, v147
	v_add_co_u32 v147, vcc_lo, v76, v84
	v_add_co_ci_u32_e64 v148, null, v77, v85, vcc_lo
	v_add_co_u32 v78, vcc_lo, v78, v86
	v_min_f32_e32 v146, v149, v146
	v_add_co_ci_u32_e64 v79, null, v79, v87, vcc_lo
	global_store_dword v[147:148], v146, off
	global_load_dword v78, v[78:79], off
	s_waitcnt vmcnt(0)
	v_mul_f32_e32 v147, s3, v78
.LBB60_50:
	v_add_f32_e32 v73, v1, v73
	v_add_f32_e32 v72, v0, v72
	;; [unrolled: 1-line block ×4, first 2 shown]
	s_waitcnt lgkmcnt(13)
	v_add_f32_e32 v78, v17, v69
	v_add_f32_e32 v79, v16, v68
	v_min3_f32 v72, v72, v73, v144
	v_add_f32_e32 v144, v18, v70
	v_min_f32_e32 v73, v74, v75
	v_add_nc_u32_e32 v74, 16, v137
	v_min3_f32 v78, v79, v78, v145
	v_add_f32_e32 v79, v19, v71
	v_add_co_u32 v76, vcc_lo, v76, v86
	v_min3_f32 v145, v147, v73, v72
	v_mad_i64_i32 v[72:73], null, v74, s2, 0
	v_mad_i64_i32 v[74:75], null, v74, s1, 0
	v_add_co_ci_u32_e64 v77, null, v77, v87, vcc_lo
	v_min3_f32 v78, v144, v79, v78
	s_mov_b32 s6, -1
	v_lshlrev_b64 v[72:73], 2, v[72:73]
	global_store_dword v[76:77], v145, off
	v_lshlrev_b64 v[74:75], 2, v[74:75]
	v_max_f32_e32 v76, v78, v78
	v_add_co_u32 v72, vcc_lo, s4, v72
	v_add_co_ci_u32_e64 v73, null, s5, v73, vcc_lo
	v_add_co_u32 v74, vcc_lo, s8, v74
	v_add_co_ci_u32_e64 v75, null, s9, v75, vcc_lo
	s_mov_b32 vcc_lo, s0
	s_cbranch_vccz .LBB60_52
; %bb.51:
	v_add_co_u32 v77, vcc_lo, v72, v82
	v_min_f32_e32 v79, 0, v76
	v_add_co_ci_u32_e64 v78, null, v73, v83, vcc_lo
	s_mov_b32 s6, 0
	global_store_dword v[77:78], v79, off
.LBB60_52:
	v_mov_b32_e32 v77, 0
	s_andn2_b32 vcc_lo, exec_lo, s6
	s_cbranch_vccnz .LBB60_54
; %bb.53:
	v_add_co_u32 v77, vcc_lo, v74, v82
	v_add_co_ci_u32_e64 v78, null, v75, v83, vcc_lo
	global_load_dword v77, v[77:78], off
	s_waitcnt vmcnt(0)
	v_mul_f32_e32 v79, s3, v77
	v_add_co_u32 v77, vcc_lo, v72, v82
	v_add_co_ci_u32_e64 v78, null, v73, v83, vcc_lo
	v_add_co_u32 v144, vcc_lo, v74, v80
	v_min_f32_e32 v76, v79, v76
	v_add_co_ci_u32_e64 v145, null, v75, v81, vcc_lo
	global_store_dword v[77:78], v76, off
	global_load_dword v76, v[144:145], off
	s_waitcnt vmcnt(0)
	v_mul_f32_e32 v77, s3, v76
.LBB60_54:
	v_add_f32_e32 v76, v13, v69
	v_add_f32_e32 v78, v12, v68
	;; [unrolled: 1-line block ×6, first 2 shown]
	v_min3_f32 v76, v78, v76, v143
	v_add_f32_e32 v143, v10, v70
	v_min_f32_e32 v78, v144, v79
	s_mov_b32 s6, -1
	v_min3_f32 v79, v146, v145, v142
	v_add_f32_e32 v142, v11, v71
	v_min3_f32 v78, v77, v78, v76
	v_add_co_u32 v76, vcc_lo, v72, v80
	v_add_co_ci_u32_e64 v77, null, v73, v81, vcc_lo
	v_min3_f32 v79, v143, v142, v79
	s_mov_b32 vcc_lo, s0
	global_store_dword v[76:77], v78, off
	v_max_f32_e32 v76, v79, v79
	s_cbranch_vccz .LBB60_56
; %bb.55:
	v_add_co_u32 v77, vcc_lo, v72, v84
	v_min_f32_e32 v79, 0, v76
	v_add_co_ci_u32_e64 v78, null, v73, v85, vcc_lo
	s_mov_b32 s6, 0
	global_store_dword v[77:78], v79, off
.LBB60_56:
	v_mov_b32_e32 v77, 0
	s_andn2_b32 vcc_lo, exec_lo, s6
	s_cbranch_vccnz .LBB60_58
; %bb.57:
	v_add_co_u32 v77, vcc_lo, v74, v84
	v_add_co_ci_u32_e64 v78, null, v75, v85, vcc_lo
	global_load_dword v77, v[77:78], off
	s_waitcnt vmcnt(0)
	v_mul_f32_e32 v79, s3, v77
	v_add_co_u32 v77, vcc_lo, v72, v84
	v_add_co_ci_u32_e64 v78, null, v73, v85, vcc_lo
	v_add_co_u32 v74, vcc_lo, v74, v86
	v_min_f32_e32 v76, v79, v76
	v_add_co_ci_u32_e64 v75, null, v75, v87, vcc_lo
	global_store_dword v[77:78], v76, off
	global_load_dword v74, v[74:75], off
	s_waitcnt vmcnt(0)
	v_mul_f32_e32 v77, s3, v74
.LBB60_58:
	v_add_f32_e32 v69, v1, v69
	v_add_f32_e32 v68, v0, v68
	;; [unrolled: 1-line block ×4, first 2 shown]
	s_waitcnt lgkmcnt(12)
	v_add_f32_e32 v74, v17, v65
	v_add_f32_e32 v75, v16, v64
	v_min3_f32 v68, v68, v69, v140
	v_add_f32_e32 v76, v18, v66
	v_min_f32_e32 v69, v70, v71
	v_add_nc_u32_e32 v70, 24, v137
	v_min3_f32 v74, v75, v74, v141
	v_add_f32_e32 v75, v19, v67
	v_add_co_u32 v72, vcc_lo, v72, v86
	v_min3_f32 v77, v77, v69, v68
	v_mad_i64_i32 v[68:69], null, v70, s2, 0
	v_mad_i64_i32 v[70:71], null, v70, s1, 0
	v_add_co_ci_u32_e64 v73, null, v73, v87, vcc_lo
	v_min3_f32 v74, v76, v75, v74
	s_mov_b32 s6, -1
	v_lshlrev_b64 v[68:69], 2, v[68:69]
	global_store_dword v[72:73], v77, off
	v_lshlrev_b64 v[70:71], 2, v[70:71]
	v_max_f32_e32 v72, v74, v74
	v_add_co_u32 v68, vcc_lo, s4, v68
	v_add_co_ci_u32_e64 v69, null, s5, v69, vcc_lo
	v_add_co_u32 v70, vcc_lo, s8, v70
	v_add_co_ci_u32_e64 v71, null, s9, v71, vcc_lo
	s_mov_b32 vcc_lo, s0
	s_cbranch_vccz .LBB60_60
; %bb.59:
	v_add_co_u32 v73, vcc_lo, v68, v82
	v_min_f32_e32 v75, 0, v72
	v_add_co_ci_u32_e64 v74, null, v69, v83, vcc_lo
	s_mov_b32 s6, 0
	global_store_dword v[73:74], v75, off
.LBB60_60:
	v_mov_b32_e32 v73, 0
	s_andn2_b32 vcc_lo, exec_lo, s6
	s_cbranch_vccnz .LBB60_62
; %bb.61:
	v_add_co_u32 v73, vcc_lo, v70, v82
	v_add_co_ci_u32_e64 v74, null, v71, v83, vcc_lo
	global_load_dword v73, v[73:74], off
	s_waitcnt vmcnt(0)
	v_mul_f32_e32 v75, s3, v73
	v_add_co_u32 v73, vcc_lo, v68, v82
	v_add_co_ci_u32_e64 v74, null, v69, v83, vcc_lo
	v_min_f32_e32 v72, v75, v72
	v_add_co_u32 v75, vcc_lo, v70, v80
	v_add_co_ci_u32_e64 v76, null, v71, v81, vcc_lo
	global_store_dword v[73:74], v72, off
	global_load_dword v72, v[75:76], off
	s_waitcnt vmcnt(0)
	v_mul_f32_e32 v73, s3, v72
.LBB60_62:
	v_add_f32_e32 v72, v13, v65
	v_add_f32_e32 v74, v12, v64
	;; [unrolled: 1-line block ×6, first 2 shown]
	v_min3_f32 v72, v74, v72, v138
	s_mov_b32 s6, -1
	v_min_f32_e32 v74, v76, v75
	v_add_f32_e32 v76, v11, v67
	v_min3_f32 v75, v78, v77, v139
	v_add_f32_e32 v77, v10, v66
	v_min3_f32 v74, v73, v74, v72
	v_add_co_u32 v72, vcc_lo, v68, v80
	v_add_co_ci_u32_e64 v73, null, v69, v81, vcc_lo
	v_min3_f32 v75, v77, v76, v75
	s_mov_b32 vcc_lo, s0
	global_store_dword v[72:73], v74, off
	v_max_f32_e32 v72, v75, v75
	s_cbranch_vccz .LBB60_64
; %bb.63:
	v_add_co_u32 v73, vcc_lo, v68, v84
	v_min_f32_e32 v75, 0, v72
	v_add_co_ci_u32_e64 v74, null, v69, v85, vcc_lo
	s_mov_b32 s6, 0
	global_store_dword v[73:74], v75, off
.LBB60_64:
	v_mov_b32_e32 v73, 0
	s_andn2_b32 vcc_lo, exec_lo, s6
	s_cbranch_vccnz .LBB60_66
; %bb.65:
	v_add_co_u32 v73, vcc_lo, v70, v84
	v_add_co_ci_u32_e64 v74, null, v71, v85, vcc_lo
	global_load_dword v73, v[73:74], off
	s_waitcnt vmcnt(0)
	v_mul_f32_e32 v75, s3, v73
	v_add_co_u32 v73, vcc_lo, v68, v84
	v_add_co_ci_u32_e64 v74, null, v69, v85, vcc_lo
	v_add_co_u32 v70, vcc_lo, v70, v86
	v_min_f32_e32 v72, v75, v72
	v_add_co_ci_u32_e64 v71, null, v71, v87, vcc_lo
	global_store_dword v[73:74], v72, off
	global_load_dword v70, v[70:71], off
	s_waitcnt vmcnt(0)
	v_mul_f32_e32 v73, s3, v70
.LBB60_66:
	v_add_f32_e32 v65, v1, v65
	v_add_f32_e32 v64, v0, v64
	;; [unrolled: 1-line block ×4, first 2 shown]
	s_waitcnt lgkmcnt(11)
	v_add_f32_e32 v70, v17, v61
	v_add_f32_e32 v71, v16, v60
	v_min3_f32 v64, v64, v65, v135
	v_add_f32_e32 v72, v18, v62
	v_min_f32_e32 v65, v66, v67
	v_add_nc_u32_e32 v66, 32, v137
	v_min3_f32 v70, v71, v70, v136
	v_add_f32_e32 v71, v19, v63
	v_add_co_u32 v68, vcc_lo, v68, v86
	v_min3_f32 v73, v73, v65, v64
	v_mad_i64_i32 v[64:65], null, v66, s2, 0
	v_mad_i64_i32 v[66:67], null, v66, s1, 0
	v_add_co_ci_u32_e64 v69, null, v69, v87, vcc_lo
	v_min3_f32 v70, v72, v71, v70
	s_mov_b32 s6, -1
	v_lshlrev_b64 v[64:65], 2, v[64:65]
	global_store_dword v[68:69], v73, off
	v_lshlrev_b64 v[66:67], 2, v[66:67]
	v_max_f32_e32 v68, v70, v70
	v_add_co_u32 v64, vcc_lo, s4, v64
	v_add_co_ci_u32_e64 v65, null, s5, v65, vcc_lo
	v_add_co_u32 v66, vcc_lo, s8, v66
	v_add_co_ci_u32_e64 v67, null, s9, v67, vcc_lo
	s_mov_b32 vcc_lo, s0
	s_cbranch_vccz .LBB60_68
; %bb.67:
	v_add_co_u32 v69, vcc_lo, v64, v82
	v_min_f32_e32 v71, 0, v68
	v_add_co_ci_u32_e64 v70, null, v65, v83, vcc_lo
	s_mov_b32 s6, 0
	global_store_dword v[69:70], v71, off
.LBB60_68:
	v_mov_b32_e32 v69, 0
	s_andn2_b32 vcc_lo, exec_lo, s6
	s_cbranch_vccnz .LBB60_70
; %bb.69:
	v_add_co_u32 v69, vcc_lo, v66, v82
	v_add_co_ci_u32_e64 v70, null, v67, v83, vcc_lo
	global_load_dword v69, v[69:70], off
	s_waitcnt vmcnt(0)
	v_mul_f32_e32 v71, s3, v69
	v_add_co_u32 v69, vcc_lo, v64, v82
	v_add_co_ci_u32_e64 v70, null, v65, v83, vcc_lo
	v_min_f32_e32 v68, v71, v68
	v_add_co_u32 v71, vcc_lo, v66, v80
	v_add_co_ci_u32_e64 v72, null, v67, v81, vcc_lo
	global_store_dword v[69:70], v68, off
	global_load_dword v68, v[71:72], off
	s_waitcnt vmcnt(0)
	v_mul_f32_e32 v69, s3, v68
.LBB60_70:
	v_add_f32_e32 v68, v13, v61
	v_add_f32_e32 v70, v12, v60
	;; [unrolled: 1-line block ×6, first 2 shown]
	v_min3_f32 v68, v70, v68, v133
	s_mov_b32 s6, -1
	v_min_f32_e32 v70, v72, v71
	v_add_f32_e32 v72, v11, v63
	v_min3_f32 v71, v74, v73, v134
	v_add_f32_e32 v73, v10, v62
	v_min3_f32 v70, v69, v70, v68
	v_add_co_u32 v68, vcc_lo, v64, v80
	v_add_co_ci_u32_e64 v69, null, v65, v81, vcc_lo
	v_min3_f32 v71, v73, v72, v71
	s_mov_b32 vcc_lo, s0
	global_store_dword v[68:69], v70, off
	v_max_f32_e32 v68, v71, v71
	s_cbranch_vccz .LBB60_72
; %bb.71:
	v_add_co_u32 v69, vcc_lo, v64, v84
	v_min_f32_e32 v71, 0, v68
	v_add_co_ci_u32_e64 v70, null, v65, v85, vcc_lo
	s_mov_b32 s6, 0
	global_store_dword v[69:70], v71, off
.LBB60_72:
	v_mov_b32_e32 v69, 0
	s_andn2_b32 vcc_lo, exec_lo, s6
	s_cbranch_vccnz .LBB60_74
; %bb.73:
	v_add_co_u32 v69, vcc_lo, v66, v84
	v_add_co_ci_u32_e64 v70, null, v67, v85, vcc_lo
	global_load_dword v69, v[69:70], off
	s_waitcnt vmcnt(0)
	v_mul_f32_e32 v71, s3, v69
	v_add_co_u32 v69, vcc_lo, v64, v84
	v_add_co_ci_u32_e64 v70, null, v65, v85, vcc_lo
	v_add_co_u32 v66, vcc_lo, v66, v86
	v_min_f32_e32 v68, v71, v68
	v_add_co_ci_u32_e64 v67, null, v67, v87, vcc_lo
	global_store_dword v[69:70], v68, off
	global_load_dword v66, v[66:67], off
	s_waitcnt vmcnt(0)
	v_mul_f32_e32 v69, s3, v66
.LBB60_74:
	v_add_f32_e32 v61, v1, v61
	v_add_f32_e32 v60, v0, v60
	;; [unrolled: 1-line block ×4, first 2 shown]
	s_waitcnt lgkmcnt(10)
	v_add_f32_e32 v66, v17, v57
	v_add_f32_e32 v67, v16, v56
	v_min3_f32 v60, v60, v61, v131
	v_add_f32_e32 v68, v18, v58
	v_min_f32_e32 v61, v62, v63
	v_add_nc_u32_e32 v62, 40, v137
	v_min3_f32 v66, v67, v66, v132
	v_add_f32_e32 v67, v19, v59
	v_add_co_u32 v64, vcc_lo, v64, v86
	v_min3_f32 v69, v69, v61, v60
	v_mad_i64_i32 v[60:61], null, v62, s2, 0
	v_mad_i64_i32 v[62:63], null, v62, s1, 0
	v_add_co_ci_u32_e64 v65, null, v65, v87, vcc_lo
	v_min3_f32 v66, v68, v67, v66
	s_mov_b32 s6, -1
	v_lshlrev_b64 v[60:61], 2, v[60:61]
	global_store_dword v[64:65], v69, off
	v_lshlrev_b64 v[62:63], 2, v[62:63]
	v_max_f32_e32 v64, v66, v66
	v_add_co_u32 v60, vcc_lo, s4, v60
	v_add_co_ci_u32_e64 v61, null, s5, v61, vcc_lo
	v_add_co_u32 v62, vcc_lo, s8, v62
	v_add_co_ci_u32_e64 v63, null, s9, v63, vcc_lo
	s_mov_b32 vcc_lo, s0
	s_cbranch_vccz .LBB60_76
; %bb.75:
	v_add_co_u32 v65, vcc_lo, v60, v82
	v_min_f32_e32 v67, 0, v64
	v_add_co_ci_u32_e64 v66, null, v61, v83, vcc_lo
	s_mov_b32 s6, 0
	global_store_dword v[65:66], v67, off
.LBB60_76:
	v_mov_b32_e32 v65, 0
	s_andn2_b32 vcc_lo, exec_lo, s6
	s_cbranch_vccnz .LBB60_78
; %bb.77:
	v_add_co_u32 v65, vcc_lo, v62, v82
	v_add_co_ci_u32_e64 v66, null, v63, v83, vcc_lo
	global_load_dword v65, v[65:66], off
	s_waitcnt vmcnt(0)
	v_mul_f32_e32 v67, s3, v65
	v_add_co_u32 v65, vcc_lo, v60, v82
	v_add_co_ci_u32_e64 v66, null, v61, v83, vcc_lo
	v_min_f32_e32 v64, v67, v64
	v_add_co_u32 v67, vcc_lo, v62, v80
	v_add_co_ci_u32_e64 v68, null, v63, v81, vcc_lo
	global_store_dword v[65:66], v64, off
	global_load_dword v64, v[67:68], off
	s_waitcnt vmcnt(0)
	v_mul_f32_e32 v65, s3, v64
.LBB60_78:
	v_add_f32_e32 v64, v13, v57
	v_add_f32_e32 v66, v12, v56
	;; [unrolled: 1-line block ×6, first 2 shown]
	v_min3_f32 v64, v66, v64, v129
	s_mov_b32 s6, -1
	v_min_f32_e32 v66, v68, v67
	v_add_f32_e32 v68, v11, v59
	v_min3_f32 v67, v70, v69, v130
	v_add_f32_e32 v69, v10, v58
	v_min3_f32 v66, v65, v66, v64
	v_add_co_u32 v64, vcc_lo, v60, v80
	v_add_co_ci_u32_e64 v65, null, v61, v81, vcc_lo
	v_min3_f32 v67, v69, v68, v67
	s_mov_b32 vcc_lo, s0
	global_store_dword v[64:65], v66, off
	v_max_f32_e32 v64, v67, v67
	s_cbranch_vccz .LBB60_80
; %bb.79:
	v_add_co_u32 v65, vcc_lo, v60, v84
	v_min_f32_e32 v67, 0, v64
	v_add_co_ci_u32_e64 v66, null, v61, v85, vcc_lo
	s_mov_b32 s6, 0
	global_store_dword v[65:66], v67, off
.LBB60_80:
	v_mov_b32_e32 v65, 0
	s_andn2_b32 vcc_lo, exec_lo, s6
	s_cbranch_vccnz .LBB60_82
; %bb.81:
	v_add_co_u32 v65, vcc_lo, v62, v84
	v_add_co_ci_u32_e64 v66, null, v63, v85, vcc_lo
	global_load_dword v65, v[65:66], off
	s_waitcnt vmcnt(0)
	v_mul_f32_e32 v67, s3, v65
	v_add_co_u32 v65, vcc_lo, v60, v84
	v_add_co_ci_u32_e64 v66, null, v61, v85, vcc_lo
	v_add_co_u32 v62, vcc_lo, v62, v86
	v_min_f32_e32 v64, v67, v64
	v_add_co_ci_u32_e64 v63, null, v63, v87, vcc_lo
	global_store_dword v[65:66], v64, off
	global_load_dword v62, v[62:63], off
	s_waitcnt vmcnt(0)
	v_mul_f32_e32 v65, s3, v62
.LBB60_82:
	v_add_f32_e32 v57, v1, v57
	v_add_f32_e32 v56, v0, v56
	;; [unrolled: 1-line block ×4, first 2 shown]
	s_waitcnt lgkmcnt(9)
	v_add_f32_e32 v62, v17, v53
	v_add_f32_e32 v63, v16, v52
	v_min3_f32 v56, v56, v57, v127
	v_add_f32_e32 v64, v18, v54
	v_min_f32_e32 v57, v58, v59
	v_add_nc_u32_e32 v58, 48, v137
	v_min3_f32 v62, v63, v62, v128
	v_add_f32_e32 v63, v19, v55
	v_add_co_u32 v60, vcc_lo, v60, v86
	v_min3_f32 v65, v65, v57, v56
	v_mad_i64_i32 v[56:57], null, v58, s2, 0
	v_mad_i64_i32 v[58:59], null, v58, s1, 0
	v_add_co_ci_u32_e64 v61, null, v61, v87, vcc_lo
	v_min3_f32 v62, v64, v63, v62
	s_mov_b32 s6, -1
	v_lshlrev_b64 v[56:57], 2, v[56:57]
	global_store_dword v[60:61], v65, off
	v_lshlrev_b64 v[58:59], 2, v[58:59]
	v_max_f32_e32 v60, v62, v62
	v_add_co_u32 v56, vcc_lo, s4, v56
	v_add_co_ci_u32_e64 v57, null, s5, v57, vcc_lo
	v_add_co_u32 v58, vcc_lo, s8, v58
	v_add_co_ci_u32_e64 v59, null, s9, v59, vcc_lo
	s_mov_b32 vcc_lo, s0
	s_cbranch_vccz .LBB60_84
; %bb.83:
	v_add_co_u32 v61, vcc_lo, v56, v82
	v_min_f32_e32 v63, 0, v60
	v_add_co_ci_u32_e64 v62, null, v57, v83, vcc_lo
	s_mov_b32 s6, 0
	global_store_dword v[61:62], v63, off
.LBB60_84:
	v_mov_b32_e32 v61, 0
	s_andn2_b32 vcc_lo, exec_lo, s6
	s_cbranch_vccnz .LBB60_86
; %bb.85:
	v_add_co_u32 v61, vcc_lo, v58, v82
	v_add_co_ci_u32_e64 v62, null, v59, v83, vcc_lo
	global_load_dword v61, v[61:62], off
	s_waitcnt vmcnt(0)
	v_mul_f32_e32 v63, s3, v61
	v_add_co_u32 v61, vcc_lo, v56, v82
	v_add_co_ci_u32_e64 v62, null, v57, v83, vcc_lo
	v_min_f32_e32 v60, v63, v60
	v_add_co_u32 v63, vcc_lo, v58, v80
	v_add_co_ci_u32_e64 v64, null, v59, v81, vcc_lo
	global_store_dword v[61:62], v60, off
	global_load_dword v60, v[63:64], off
	s_waitcnt vmcnt(0)
	v_mul_f32_e32 v61, s3, v60
.LBB60_86:
	v_add_f32_e32 v60, v13, v53
	v_add_f32_e32 v62, v12, v52
	;; [unrolled: 1-line block ×6, first 2 shown]
	v_min3_f32 v60, v62, v60, v125
	s_mov_b32 s6, -1
	v_min_f32_e32 v62, v64, v63
	v_add_f32_e32 v64, v11, v55
	v_min3_f32 v63, v66, v65, v126
	v_add_f32_e32 v65, v10, v54
	v_min3_f32 v62, v61, v62, v60
	v_add_co_u32 v60, vcc_lo, v56, v80
	v_add_co_ci_u32_e64 v61, null, v57, v81, vcc_lo
	v_min3_f32 v63, v65, v64, v63
	s_mov_b32 vcc_lo, s0
	global_store_dword v[60:61], v62, off
	v_max_f32_e32 v60, v63, v63
	s_cbranch_vccz .LBB60_88
; %bb.87:
	v_add_co_u32 v61, vcc_lo, v56, v84
	v_min_f32_e32 v63, 0, v60
	v_add_co_ci_u32_e64 v62, null, v57, v85, vcc_lo
	s_mov_b32 s6, 0
	global_store_dword v[61:62], v63, off
.LBB60_88:
	v_mov_b32_e32 v61, 0
	s_andn2_b32 vcc_lo, exec_lo, s6
	s_cbranch_vccnz .LBB60_90
; %bb.89:
	v_add_co_u32 v61, vcc_lo, v58, v84
	v_add_co_ci_u32_e64 v62, null, v59, v85, vcc_lo
	global_load_dword v61, v[61:62], off
	s_waitcnt vmcnt(0)
	v_mul_f32_e32 v63, s3, v61
	v_add_co_u32 v61, vcc_lo, v56, v84
	v_add_co_ci_u32_e64 v62, null, v57, v85, vcc_lo
	v_add_co_u32 v58, vcc_lo, v58, v86
	v_min_f32_e32 v60, v63, v60
	v_add_co_ci_u32_e64 v59, null, v59, v87, vcc_lo
	global_store_dword v[61:62], v60, off
	global_load_dword v58, v[58:59], off
	s_waitcnt vmcnt(0)
	v_mul_f32_e32 v61, s3, v58
.LBB60_90:
	v_add_f32_e32 v53, v1, v53
	v_add_f32_e32 v52, v0, v52
	;; [unrolled: 1-line block ×4, first 2 shown]
	s_waitcnt lgkmcnt(8)
	v_add_f32_e32 v58, v17, v49
	v_add_f32_e32 v59, v16, v48
	v_min3_f32 v52, v52, v53, v123
	v_add_f32_e32 v60, v18, v50
	v_min_f32_e32 v53, v54, v55
	v_add_nc_u32_e32 v54, 56, v137
	v_min3_f32 v58, v59, v58, v124
	v_add_f32_e32 v59, v19, v51
	v_add_co_u32 v56, vcc_lo, v56, v86
	v_min3_f32 v61, v61, v53, v52
	v_mad_i64_i32 v[52:53], null, v54, s2, 0
	v_mad_i64_i32 v[54:55], null, v54, s1, 0
	v_add_co_ci_u32_e64 v57, null, v57, v87, vcc_lo
	v_min3_f32 v58, v60, v59, v58
	s_mov_b32 s6, -1
	v_lshlrev_b64 v[52:53], 2, v[52:53]
	global_store_dword v[56:57], v61, off
	v_lshlrev_b64 v[54:55], 2, v[54:55]
	v_max_f32_e32 v56, v58, v58
	v_add_co_u32 v52, vcc_lo, s4, v52
	v_add_co_ci_u32_e64 v53, null, s5, v53, vcc_lo
	v_add_co_u32 v54, vcc_lo, s8, v54
	v_add_co_ci_u32_e64 v55, null, s9, v55, vcc_lo
	s_mov_b32 vcc_lo, s0
	s_cbranch_vccz .LBB60_92
; %bb.91:
	v_add_co_u32 v57, vcc_lo, v52, v82
	v_min_f32_e32 v59, 0, v56
	v_add_co_ci_u32_e64 v58, null, v53, v83, vcc_lo
	s_mov_b32 s6, 0
	global_store_dword v[57:58], v59, off
.LBB60_92:
	v_mov_b32_e32 v57, 0
	s_andn2_b32 vcc_lo, exec_lo, s6
	s_cbranch_vccnz .LBB60_94
; %bb.93:
	v_add_co_u32 v57, vcc_lo, v54, v82
	v_add_co_ci_u32_e64 v58, null, v55, v83, vcc_lo
	global_load_dword v57, v[57:58], off
	s_waitcnt vmcnt(0)
	v_mul_f32_e32 v59, s3, v57
	v_add_co_u32 v57, vcc_lo, v52, v82
	v_add_co_ci_u32_e64 v58, null, v53, v83, vcc_lo
	v_min_f32_e32 v56, v59, v56
	v_add_co_u32 v59, vcc_lo, v54, v80
	v_add_co_ci_u32_e64 v60, null, v55, v81, vcc_lo
	global_store_dword v[57:58], v56, off
	global_load_dword v56, v[59:60], off
	s_waitcnt vmcnt(0)
	v_mul_f32_e32 v57, s3, v56
.LBB60_94:
	v_add_f32_e32 v56, v13, v49
	v_add_f32_e32 v58, v12, v48
	v_add_f32_e32 v59, v15, v51
	v_add_f32_e32 v60, v14, v50
	v_add_f32_e32 v61, v9, v49
	v_add_f32_e32 v62, v8, v48
	v_min3_f32 v56, v58, v56, v122
	s_mov_b32 s6, -1
	v_min_f32_e32 v58, v60, v59
	v_add_f32_e32 v60, v11, v51
	v_min3_f32 v59, v62, v61, v121
	v_add_f32_e32 v61, v10, v50
	v_min3_f32 v58, v57, v58, v56
	v_add_co_u32 v56, vcc_lo, v52, v80
	v_add_co_ci_u32_e64 v57, null, v53, v81, vcc_lo
	v_min3_f32 v59, v61, v60, v59
	s_mov_b32 vcc_lo, s0
	global_store_dword v[56:57], v58, off
	v_max_f32_e32 v56, v59, v59
	s_cbranch_vccz .LBB60_96
; %bb.95:
	v_add_co_u32 v57, vcc_lo, v52, v84
	v_min_f32_e32 v59, 0, v56
	v_add_co_ci_u32_e64 v58, null, v53, v85, vcc_lo
	s_mov_b32 s6, 0
	global_store_dword v[57:58], v59, off
.LBB60_96:
	v_mov_b32_e32 v57, 0
	s_andn2_b32 vcc_lo, exec_lo, s6
	s_cbranch_vccnz .LBB60_98
; %bb.97:
	v_add_co_u32 v57, vcc_lo, v54, v84
	v_add_co_ci_u32_e64 v58, null, v55, v85, vcc_lo
	global_load_dword v57, v[57:58], off
	s_waitcnt vmcnt(0)
	v_mul_f32_e32 v59, s3, v57
	v_add_co_u32 v57, vcc_lo, v52, v84
	v_add_co_ci_u32_e64 v58, null, v53, v85, vcc_lo
	v_add_co_u32 v54, vcc_lo, v54, v86
	v_min_f32_e32 v56, v59, v56
	v_add_co_ci_u32_e64 v55, null, v55, v87, vcc_lo
	global_store_dword v[57:58], v56, off
	global_load_dword v54, v[54:55], off
	s_waitcnt vmcnt(0)
	v_mul_f32_e32 v57, s3, v54
.LBB60_98:
	v_add_f32_e32 v49, v1, v49
	v_add_f32_e32 v48, v0, v48
	;; [unrolled: 1-line block ×4, first 2 shown]
	s_waitcnt lgkmcnt(7)
	v_add_f32_e32 v54, v17, v45
	v_add_f32_e32 v55, v16, v44
	v_min3_f32 v48, v48, v49, v119
	v_add_f32_e32 v56, v18, v46
	v_min_f32_e32 v49, v50, v51
	v_add_nc_u32_e32 v50, 64, v137
	v_min3_f32 v54, v55, v54, v120
	v_add_f32_e32 v55, v19, v47
	v_add_co_u32 v52, vcc_lo, v52, v86
	v_min3_f32 v57, v57, v49, v48
	v_mad_i64_i32 v[48:49], null, v50, s2, 0
	v_mad_i64_i32 v[50:51], null, v50, s1, 0
	v_add_co_ci_u32_e64 v53, null, v53, v87, vcc_lo
	v_min3_f32 v54, v56, v55, v54
	s_mov_b32 s6, -1
	v_lshlrev_b64 v[48:49], 2, v[48:49]
	global_store_dword v[52:53], v57, off
	v_lshlrev_b64 v[50:51], 2, v[50:51]
	v_max_f32_e32 v52, v54, v54
	v_add_co_u32 v48, vcc_lo, s4, v48
	v_add_co_ci_u32_e64 v49, null, s5, v49, vcc_lo
	v_add_co_u32 v50, vcc_lo, s8, v50
	v_add_co_ci_u32_e64 v51, null, s9, v51, vcc_lo
	s_mov_b32 vcc_lo, s0
	s_cbranch_vccz .LBB60_100
; %bb.99:
	v_add_co_u32 v53, vcc_lo, v48, v82
	v_min_f32_e32 v55, 0, v52
	v_add_co_ci_u32_e64 v54, null, v49, v83, vcc_lo
	s_mov_b32 s6, 0
	global_store_dword v[53:54], v55, off
.LBB60_100:
	v_mov_b32_e32 v53, 0
	s_andn2_b32 vcc_lo, exec_lo, s6
	s_cbranch_vccnz .LBB60_102
; %bb.101:
	v_add_co_u32 v53, vcc_lo, v50, v82
	v_add_co_ci_u32_e64 v54, null, v51, v83, vcc_lo
	global_load_dword v53, v[53:54], off
	s_waitcnt vmcnt(0)
	v_mul_f32_e32 v55, s3, v53
	v_add_co_u32 v53, vcc_lo, v48, v82
	v_add_co_ci_u32_e64 v54, null, v49, v83, vcc_lo
	v_min_f32_e32 v52, v55, v52
	v_add_co_u32 v55, vcc_lo, v50, v80
	v_add_co_ci_u32_e64 v56, null, v51, v81, vcc_lo
	global_store_dword v[53:54], v52, off
	global_load_dword v52, v[55:56], off
	s_waitcnt vmcnt(0)
	v_mul_f32_e32 v53, s3, v52
.LBB60_102:
	v_add_f32_e32 v52, v13, v45
	v_add_f32_e32 v54, v12, v44
	;; [unrolled: 1-line block ×6, first 2 shown]
	v_min3_f32 v52, v54, v52, v117
	s_mov_b32 s6, -1
	v_min_f32_e32 v54, v56, v55
	v_add_f32_e32 v56, v11, v47
	v_min3_f32 v55, v58, v57, v118
	v_add_f32_e32 v57, v10, v46
	v_min3_f32 v54, v53, v54, v52
	v_add_co_u32 v52, vcc_lo, v48, v80
	v_add_co_ci_u32_e64 v53, null, v49, v81, vcc_lo
	v_min3_f32 v55, v57, v56, v55
	s_mov_b32 vcc_lo, s0
	global_store_dword v[52:53], v54, off
	v_max_f32_e32 v52, v55, v55
	s_cbranch_vccz .LBB60_104
; %bb.103:
	v_add_co_u32 v53, vcc_lo, v48, v84
	v_min_f32_e32 v55, 0, v52
	v_add_co_ci_u32_e64 v54, null, v49, v85, vcc_lo
	s_mov_b32 s6, 0
	global_store_dword v[53:54], v55, off
.LBB60_104:
	v_mov_b32_e32 v53, 0
	s_andn2_b32 vcc_lo, exec_lo, s6
	s_cbranch_vccnz .LBB60_106
; %bb.105:
	v_add_co_u32 v53, vcc_lo, v50, v84
	v_add_co_ci_u32_e64 v54, null, v51, v85, vcc_lo
	global_load_dword v53, v[53:54], off
	s_waitcnt vmcnt(0)
	v_mul_f32_e32 v55, s3, v53
	v_add_co_u32 v53, vcc_lo, v48, v84
	v_add_co_ci_u32_e64 v54, null, v49, v85, vcc_lo
	v_add_co_u32 v50, vcc_lo, v50, v86
	v_min_f32_e32 v52, v55, v52
	v_add_co_ci_u32_e64 v51, null, v51, v87, vcc_lo
	global_store_dword v[53:54], v52, off
	global_load_dword v50, v[50:51], off
	s_waitcnt vmcnt(0)
	v_mul_f32_e32 v53, s3, v50
.LBB60_106:
	v_add_f32_e32 v45, v1, v45
	v_add_f32_e32 v44, v0, v44
	;; [unrolled: 1-line block ×4, first 2 shown]
	s_waitcnt lgkmcnt(6)
	v_add_f32_e32 v50, v17, v41
	v_add_f32_e32 v51, v16, v40
	v_min3_f32 v44, v44, v45, v115
	v_add_f32_e32 v52, v18, v42
	v_min_f32_e32 v45, v46, v47
	v_add_nc_u32_e32 v46, 0x48, v137
	v_min3_f32 v50, v51, v50, v116
	v_add_f32_e32 v51, v19, v43
	v_add_co_u32 v48, vcc_lo, v48, v86
	v_min3_f32 v53, v53, v45, v44
	v_mad_i64_i32 v[44:45], null, v46, s2, 0
	v_mad_i64_i32 v[46:47], null, v46, s1, 0
	v_add_co_ci_u32_e64 v49, null, v49, v87, vcc_lo
	v_min3_f32 v50, v52, v51, v50
	s_mov_b32 s6, -1
	v_lshlrev_b64 v[44:45], 2, v[44:45]
	global_store_dword v[48:49], v53, off
	v_lshlrev_b64 v[46:47], 2, v[46:47]
	v_max_f32_e32 v48, v50, v50
	v_add_co_u32 v44, vcc_lo, s4, v44
	v_add_co_ci_u32_e64 v45, null, s5, v45, vcc_lo
	v_add_co_u32 v46, vcc_lo, s8, v46
	v_add_co_ci_u32_e64 v47, null, s9, v47, vcc_lo
	s_mov_b32 vcc_lo, s0
	s_cbranch_vccz .LBB60_108
; %bb.107:
	v_add_co_u32 v49, vcc_lo, v44, v82
	v_min_f32_e32 v51, 0, v48
	v_add_co_ci_u32_e64 v50, null, v45, v83, vcc_lo
	s_mov_b32 s6, 0
	global_store_dword v[49:50], v51, off
.LBB60_108:
	v_mov_b32_e32 v49, 0
	s_andn2_b32 vcc_lo, exec_lo, s6
	s_cbranch_vccnz .LBB60_110
; %bb.109:
	v_add_co_u32 v49, vcc_lo, v46, v82
	v_add_co_ci_u32_e64 v50, null, v47, v83, vcc_lo
	global_load_dword v49, v[49:50], off
	s_waitcnt vmcnt(0)
	v_mul_f32_e32 v51, s3, v49
	v_add_co_u32 v49, vcc_lo, v44, v82
	v_add_co_ci_u32_e64 v50, null, v45, v83, vcc_lo
	v_min_f32_e32 v48, v51, v48
	v_add_co_u32 v51, vcc_lo, v46, v80
	v_add_co_ci_u32_e64 v52, null, v47, v81, vcc_lo
	global_store_dword v[49:50], v48, off
	global_load_dword v48, v[51:52], off
	s_waitcnt vmcnt(0)
	v_mul_f32_e32 v49, s3, v48
.LBB60_110:
	v_add_f32_e32 v48, v13, v41
	v_add_f32_e32 v50, v12, v40
	;; [unrolled: 1-line block ×6, first 2 shown]
	v_min3_f32 v48, v50, v48, v113
	s_mov_b32 s6, -1
	v_min_f32_e32 v50, v52, v51
	v_add_f32_e32 v52, v11, v43
	v_min3_f32 v51, v54, v53, v114
	v_add_f32_e32 v53, v10, v42
	v_min3_f32 v50, v49, v50, v48
	v_add_co_u32 v48, vcc_lo, v44, v80
	v_add_co_ci_u32_e64 v49, null, v45, v81, vcc_lo
	v_min3_f32 v51, v53, v52, v51
	s_mov_b32 vcc_lo, s0
	global_store_dword v[48:49], v50, off
	v_max_f32_e32 v48, v51, v51
	s_cbranch_vccz .LBB60_112
; %bb.111:
	v_add_co_u32 v49, vcc_lo, v44, v84
	v_min_f32_e32 v51, 0, v48
	v_add_co_ci_u32_e64 v50, null, v45, v85, vcc_lo
	s_mov_b32 s6, 0
	global_store_dword v[49:50], v51, off
.LBB60_112:
	v_mov_b32_e32 v49, 0
	s_andn2_b32 vcc_lo, exec_lo, s6
	s_cbranch_vccnz .LBB60_114
; %bb.113:
	v_add_co_u32 v49, vcc_lo, v46, v84
	v_add_co_ci_u32_e64 v50, null, v47, v85, vcc_lo
	global_load_dword v49, v[49:50], off
	s_waitcnt vmcnt(0)
	v_mul_f32_e32 v51, s3, v49
	v_add_co_u32 v49, vcc_lo, v44, v84
	v_add_co_ci_u32_e64 v50, null, v45, v85, vcc_lo
	v_add_co_u32 v46, vcc_lo, v46, v86
	v_min_f32_e32 v48, v51, v48
	v_add_co_ci_u32_e64 v47, null, v47, v87, vcc_lo
	global_store_dword v[49:50], v48, off
	global_load_dword v46, v[46:47], off
	s_waitcnt vmcnt(0)
	v_mul_f32_e32 v49, s3, v46
.LBB60_114:
	v_add_f32_e32 v41, v1, v41
	v_add_f32_e32 v40, v0, v40
	;; [unrolled: 1-line block ×4, first 2 shown]
	s_waitcnt lgkmcnt(5)
	v_add_f32_e32 v46, v17, v37
	v_add_f32_e32 v47, v16, v36
	v_min3_f32 v40, v40, v41, v111
	v_add_f32_e32 v48, v18, v38
	v_min_f32_e32 v41, v42, v43
	v_add_nc_u32_e32 v42, 0x50, v137
	v_min3_f32 v46, v47, v46, v112
	v_add_f32_e32 v47, v19, v39
	v_add_co_u32 v44, vcc_lo, v44, v86
	v_min3_f32 v49, v49, v41, v40
	v_mad_i64_i32 v[40:41], null, v42, s2, 0
	v_mad_i64_i32 v[42:43], null, v42, s1, 0
	v_add_co_ci_u32_e64 v45, null, v45, v87, vcc_lo
	v_min3_f32 v46, v48, v47, v46
	s_mov_b32 s6, -1
	v_lshlrev_b64 v[40:41], 2, v[40:41]
	global_store_dword v[44:45], v49, off
	v_lshlrev_b64 v[42:43], 2, v[42:43]
	v_max_f32_e32 v44, v46, v46
	v_add_co_u32 v40, vcc_lo, s4, v40
	v_add_co_ci_u32_e64 v41, null, s5, v41, vcc_lo
	v_add_co_u32 v42, vcc_lo, s8, v42
	v_add_co_ci_u32_e64 v43, null, s9, v43, vcc_lo
	s_mov_b32 vcc_lo, s0
	s_cbranch_vccz .LBB60_116
; %bb.115:
	v_add_co_u32 v45, vcc_lo, v40, v82
	v_min_f32_e32 v47, 0, v44
	v_add_co_ci_u32_e64 v46, null, v41, v83, vcc_lo
	s_mov_b32 s6, 0
	global_store_dword v[45:46], v47, off
.LBB60_116:
	v_mov_b32_e32 v45, 0
	s_andn2_b32 vcc_lo, exec_lo, s6
	s_cbranch_vccnz .LBB60_118
; %bb.117:
	v_add_co_u32 v45, vcc_lo, v42, v82
	v_add_co_ci_u32_e64 v46, null, v43, v83, vcc_lo
	global_load_dword v45, v[45:46], off
	s_waitcnt vmcnt(0)
	v_mul_f32_e32 v47, s3, v45
	v_add_co_u32 v45, vcc_lo, v40, v82
	v_add_co_ci_u32_e64 v46, null, v41, v83, vcc_lo
	v_min_f32_e32 v44, v47, v44
	v_add_co_u32 v47, vcc_lo, v42, v80
	v_add_co_ci_u32_e64 v48, null, v43, v81, vcc_lo
	global_store_dword v[45:46], v44, off
	global_load_dword v44, v[47:48], off
	s_waitcnt vmcnt(0)
	v_mul_f32_e32 v45, s3, v44
.LBB60_118:
	v_add_f32_e32 v44, v13, v37
	v_add_f32_e32 v46, v12, v36
	;; [unrolled: 1-line block ×6, first 2 shown]
	v_min3_f32 v44, v46, v44, v109
	s_mov_b32 s6, -1
	v_min_f32_e32 v46, v48, v47
	v_add_f32_e32 v48, v11, v39
	v_min3_f32 v47, v50, v49, v110
	v_add_f32_e32 v49, v10, v38
	v_min3_f32 v46, v45, v46, v44
	v_add_co_u32 v44, vcc_lo, v40, v80
	v_add_co_ci_u32_e64 v45, null, v41, v81, vcc_lo
	v_min3_f32 v47, v49, v48, v47
	s_mov_b32 vcc_lo, s0
	global_store_dword v[44:45], v46, off
	v_max_f32_e32 v44, v47, v47
	s_cbranch_vccz .LBB60_120
; %bb.119:
	v_add_co_u32 v45, vcc_lo, v40, v84
	v_min_f32_e32 v47, 0, v44
	v_add_co_ci_u32_e64 v46, null, v41, v85, vcc_lo
	s_mov_b32 s6, 0
	global_store_dword v[45:46], v47, off
.LBB60_120:
	v_mov_b32_e32 v45, 0
	s_andn2_b32 vcc_lo, exec_lo, s6
	s_cbranch_vccnz .LBB60_122
; %bb.121:
	v_add_co_u32 v45, vcc_lo, v42, v84
	v_add_co_ci_u32_e64 v46, null, v43, v85, vcc_lo
	global_load_dword v45, v[45:46], off
	s_waitcnt vmcnt(0)
	v_mul_f32_e32 v47, s3, v45
	v_add_co_u32 v45, vcc_lo, v40, v84
	v_add_co_ci_u32_e64 v46, null, v41, v85, vcc_lo
	v_add_co_u32 v42, vcc_lo, v42, v86
	v_min_f32_e32 v44, v47, v44
	v_add_co_ci_u32_e64 v43, null, v43, v87, vcc_lo
	global_store_dword v[45:46], v44, off
	global_load_dword v42, v[42:43], off
	s_waitcnt vmcnt(0)
	v_mul_f32_e32 v45, s3, v42
.LBB60_122:
	v_add_f32_e32 v37, v1, v37
	v_add_f32_e32 v36, v0, v36
	;; [unrolled: 1-line block ×4, first 2 shown]
	s_waitcnt lgkmcnt(4)
	v_add_f32_e32 v42, v17, v33
	v_add_f32_e32 v43, v16, v32
	v_min3_f32 v36, v36, v37, v107
	v_add_f32_e32 v44, v18, v34
	v_min_f32_e32 v37, v38, v39
	v_add_nc_u32_e32 v38, 0x58, v137
	v_min3_f32 v42, v43, v42, v108
	v_add_f32_e32 v43, v19, v35
	v_add_co_u32 v40, vcc_lo, v40, v86
	v_min3_f32 v45, v45, v37, v36
	v_mad_i64_i32 v[36:37], null, v38, s2, 0
	v_mad_i64_i32 v[38:39], null, v38, s1, 0
	v_add_co_ci_u32_e64 v41, null, v41, v87, vcc_lo
	v_min3_f32 v42, v44, v43, v42
	s_mov_b32 s6, -1
	v_lshlrev_b64 v[36:37], 2, v[36:37]
	global_store_dword v[40:41], v45, off
	v_lshlrev_b64 v[38:39], 2, v[38:39]
	v_max_f32_e32 v40, v42, v42
	v_add_co_u32 v36, vcc_lo, s4, v36
	v_add_co_ci_u32_e64 v37, null, s5, v37, vcc_lo
	v_add_co_u32 v38, vcc_lo, s8, v38
	v_add_co_ci_u32_e64 v39, null, s9, v39, vcc_lo
	s_mov_b32 vcc_lo, s0
	s_cbranch_vccz .LBB60_124
; %bb.123:
	v_add_co_u32 v41, vcc_lo, v36, v82
	v_min_f32_e32 v43, 0, v40
	v_add_co_ci_u32_e64 v42, null, v37, v83, vcc_lo
	s_mov_b32 s6, 0
	global_store_dword v[41:42], v43, off
.LBB60_124:
	v_mov_b32_e32 v41, 0
	s_andn2_b32 vcc_lo, exec_lo, s6
	s_cbranch_vccnz .LBB60_126
; %bb.125:
	v_add_co_u32 v41, vcc_lo, v38, v82
	v_add_co_ci_u32_e64 v42, null, v39, v83, vcc_lo
	global_load_dword v41, v[41:42], off
	s_waitcnt vmcnt(0)
	v_mul_f32_e32 v43, s3, v41
	v_add_co_u32 v41, vcc_lo, v36, v82
	v_add_co_ci_u32_e64 v42, null, v37, v83, vcc_lo
	v_min_f32_e32 v40, v43, v40
	v_add_co_u32 v43, vcc_lo, v38, v80
	v_add_co_ci_u32_e64 v44, null, v39, v81, vcc_lo
	global_store_dword v[41:42], v40, off
	global_load_dword v40, v[43:44], off
	s_waitcnt vmcnt(0)
	v_mul_f32_e32 v41, s3, v40
.LBB60_126:
	v_add_f32_e32 v40, v13, v33
	v_add_f32_e32 v42, v12, v32
	;; [unrolled: 1-line block ×6, first 2 shown]
	v_min3_f32 v40, v42, v40, v105
	s_mov_b32 s6, -1
	v_min_f32_e32 v42, v44, v43
	v_add_f32_e32 v44, v11, v35
	v_min3_f32 v43, v46, v45, v106
	v_add_f32_e32 v45, v10, v34
	v_min3_f32 v42, v41, v42, v40
	v_add_co_u32 v40, vcc_lo, v36, v80
	v_add_co_ci_u32_e64 v41, null, v37, v81, vcc_lo
	v_min3_f32 v43, v45, v44, v43
	s_mov_b32 vcc_lo, s0
	global_store_dword v[40:41], v42, off
	v_max_f32_e32 v40, v43, v43
	s_cbranch_vccz .LBB60_128
; %bb.127:
	v_add_co_u32 v41, vcc_lo, v36, v84
	v_min_f32_e32 v43, 0, v40
	v_add_co_ci_u32_e64 v42, null, v37, v85, vcc_lo
	s_mov_b32 s6, 0
	global_store_dword v[41:42], v43, off
.LBB60_128:
	v_mov_b32_e32 v41, 0
	s_andn2_b32 vcc_lo, exec_lo, s6
	s_cbranch_vccnz .LBB60_130
; %bb.129:
	v_add_co_u32 v41, vcc_lo, v38, v84
	v_add_co_ci_u32_e64 v42, null, v39, v85, vcc_lo
	global_load_dword v41, v[41:42], off
	s_waitcnt vmcnt(0)
	v_mul_f32_e32 v43, s3, v41
	v_add_co_u32 v41, vcc_lo, v36, v84
	v_add_co_ci_u32_e64 v42, null, v37, v85, vcc_lo
	v_add_co_u32 v38, vcc_lo, v38, v86
	v_min_f32_e32 v40, v43, v40
	v_add_co_ci_u32_e64 v39, null, v39, v87, vcc_lo
	global_store_dword v[41:42], v40, off
	global_load_dword v38, v[38:39], off
	s_waitcnt vmcnt(0)
	v_mul_f32_e32 v41, s3, v38
.LBB60_130:
	v_add_f32_e32 v33, v1, v33
	v_add_f32_e32 v32, v0, v32
	;; [unrolled: 1-line block ×4, first 2 shown]
	s_waitcnt lgkmcnt(3)
	v_add_f32_e32 v38, v17, v29
	v_add_f32_e32 v39, v16, v28
	v_min3_f32 v32, v32, v33, v103
	v_add_f32_e32 v40, v18, v30
	v_min_f32_e32 v33, v34, v35
	v_add_nc_u32_e32 v34, 0x60, v137
	v_min3_f32 v38, v39, v38, v104
	v_add_f32_e32 v39, v19, v31
	v_add_co_u32 v36, vcc_lo, v36, v86
	v_min3_f32 v41, v41, v33, v32
	v_mad_i64_i32 v[32:33], null, v34, s2, 0
	v_mad_i64_i32 v[34:35], null, v34, s1, 0
	v_add_co_ci_u32_e64 v37, null, v37, v87, vcc_lo
	v_min3_f32 v38, v40, v39, v38
	s_mov_b32 s6, -1
	v_lshlrev_b64 v[32:33], 2, v[32:33]
	global_store_dword v[36:37], v41, off
	v_lshlrev_b64 v[34:35], 2, v[34:35]
	v_max_f32_e32 v36, v38, v38
	v_add_co_u32 v32, vcc_lo, s4, v32
	v_add_co_ci_u32_e64 v33, null, s5, v33, vcc_lo
	v_add_co_u32 v34, vcc_lo, s8, v34
	v_add_co_ci_u32_e64 v35, null, s9, v35, vcc_lo
	s_mov_b32 vcc_lo, s0
	s_cbranch_vccz .LBB60_132
; %bb.131:
	v_add_co_u32 v37, vcc_lo, v32, v82
	v_min_f32_e32 v39, 0, v36
	v_add_co_ci_u32_e64 v38, null, v33, v83, vcc_lo
	s_mov_b32 s6, 0
	global_store_dword v[37:38], v39, off
.LBB60_132:
	v_mov_b32_e32 v37, 0
	s_andn2_b32 vcc_lo, exec_lo, s6
	s_cbranch_vccnz .LBB60_134
; %bb.133:
	v_add_co_u32 v37, vcc_lo, v34, v82
	v_add_co_ci_u32_e64 v38, null, v35, v83, vcc_lo
	global_load_dword v37, v[37:38], off
	s_waitcnt vmcnt(0)
	v_mul_f32_e32 v39, s3, v37
	v_add_co_u32 v37, vcc_lo, v32, v82
	v_add_co_ci_u32_e64 v38, null, v33, v83, vcc_lo
	v_min_f32_e32 v36, v39, v36
	v_add_co_u32 v39, vcc_lo, v34, v80
	v_add_co_ci_u32_e64 v40, null, v35, v81, vcc_lo
	global_store_dword v[37:38], v36, off
	global_load_dword v36, v[39:40], off
	s_waitcnt vmcnt(0)
	v_mul_f32_e32 v37, s3, v36
.LBB60_134:
	v_add_f32_e32 v36, v13, v29
	v_add_f32_e32 v38, v12, v28
	;; [unrolled: 1-line block ×6, first 2 shown]
	v_min3_f32 v36, v38, v36, v102
	s_mov_b32 s6, -1
	v_min_f32_e32 v38, v40, v39
	v_add_f32_e32 v40, v11, v31
	v_min3_f32 v39, v42, v41, v101
	v_add_f32_e32 v41, v10, v30
	v_min3_f32 v38, v37, v38, v36
	v_add_co_u32 v36, vcc_lo, v32, v80
	v_add_co_ci_u32_e64 v37, null, v33, v81, vcc_lo
	v_min3_f32 v39, v41, v40, v39
	s_mov_b32 vcc_lo, s0
	global_store_dword v[36:37], v38, off
	v_max_f32_e32 v36, v39, v39
	s_cbranch_vccz .LBB60_136
; %bb.135:
	v_add_co_u32 v37, vcc_lo, v32, v84
	v_min_f32_e32 v39, 0, v36
	v_add_co_ci_u32_e64 v38, null, v33, v85, vcc_lo
	s_mov_b32 s6, 0
	global_store_dword v[37:38], v39, off
.LBB60_136:
	v_mov_b32_e32 v37, 0
	s_andn2_b32 vcc_lo, exec_lo, s6
	s_cbranch_vccnz .LBB60_138
; %bb.137:
	v_add_co_u32 v37, vcc_lo, v34, v84
	v_add_co_ci_u32_e64 v38, null, v35, v85, vcc_lo
	global_load_dword v37, v[37:38], off
	s_waitcnt vmcnt(0)
	v_mul_f32_e32 v39, s3, v37
	v_add_co_u32 v37, vcc_lo, v32, v84
	v_add_co_ci_u32_e64 v38, null, v33, v85, vcc_lo
	v_add_co_u32 v34, vcc_lo, v34, v86
	v_min_f32_e32 v36, v39, v36
	v_add_co_ci_u32_e64 v35, null, v35, v87, vcc_lo
	global_store_dword v[37:38], v36, off
	global_load_dword v34, v[34:35], off
	s_waitcnt vmcnt(0)
	v_mul_f32_e32 v37, s3, v34
.LBB60_138:
	v_add_f32_e32 v29, v1, v29
	v_add_f32_e32 v28, v0, v28
	;; [unrolled: 1-line block ×4, first 2 shown]
	s_waitcnt lgkmcnt(2)
	v_add_f32_e32 v34, v17, v25
	v_add_f32_e32 v35, v16, v24
	v_min3_f32 v28, v28, v29, v98
	v_add_f32_e32 v36, v18, v26
	v_min_f32_e32 v29, v30, v31
	v_add_nc_u32_e32 v30, 0x68, v137
	v_min3_f32 v34, v35, v34, v100
	v_add_f32_e32 v35, v19, v27
	v_add_co_u32 v32, vcc_lo, v32, v86
	v_min3_f32 v37, v37, v29, v28
	v_mad_i64_i32 v[28:29], null, v30, s2, 0
	v_mad_i64_i32 v[30:31], null, v30, s1, 0
	v_add_co_ci_u32_e64 v33, null, v33, v87, vcc_lo
	v_min3_f32 v34, v36, v35, v34
	s_mov_b32 s6, -1
	v_lshlrev_b64 v[28:29], 2, v[28:29]
	global_store_dword v[32:33], v37, off
	v_lshlrev_b64 v[30:31], 2, v[30:31]
	v_max_f32_e32 v32, v34, v34
	v_add_co_u32 v28, vcc_lo, s4, v28
	v_add_co_ci_u32_e64 v29, null, s5, v29, vcc_lo
	v_add_co_u32 v30, vcc_lo, s8, v30
	v_add_co_ci_u32_e64 v31, null, s9, v31, vcc_lo
	s_mov_b32 vcc_lo, s0
	s_cbranch_vccz .LBB60_140
; %bb.139:
	v_add_co_u32 v33, vcc_lo, v28, v82
	v_min_f32_e32 v35, 0, v32
	v_add_co_ci_u32_e64 v34, null, v29, v83, vcc_lo
	s_mov_b32 s6, 0
	global_store_dword v[33:34], v35, off
.LBB60_140:
	v_mov_b32_e32 v33, 0
	s_andn2_b32 vcc_lo, exec_lo, s6
	s_cbranch_vccnz .LBB60_142
; %bb.141:
	v_add_co_u32 v33, vcc_lo, v30, v82
	v_add_co_ci_u32_e64 v34, null, v31, v83, vcc_lo
	global_load_dword v33, v[33:34], off
	s_waitcnt vmcnt(0)
	v_mul_f32_e32 v35, s3, v33
	v_add_co_u32 v33, vcc_lo, v28, v82
	v_add_co_ci_u32_e64 v34, null, v29, v83, vcc_lo
	v_min_f32_e32 v32, v35, v32
	v_add_co_u32 v35, vcc_lo, v30, v80
	v_add_co_ci_u32_e64 v36, null, v31, v81, vcc_lo
	global_store_dword v[33:34], v32, off
	global_load_dword v32, v[35:36], off
	s_waitcnt vmcnt(0)
	v_mul_f32_e32 v33, s3, v32
.LBB60_142:
	v_add_f32_e32 v32, v13, v25
	v_add_f32_e32 v34, v12, v24
	;; [unrolled: 1-line block ×6, first 2 shown]
	v_min3_f32 v32, v34, v32, v96
	s_mov_b32 s6, -1
	v_min_f32_e32 v34, v36, v35
	v_add_f32_e32 v36, v11, v27
	v_min3_f32 v35, v38, v37, v97
	v_add_f32_e32 v37, v10, v26
	v_min3_f32 v34, v33, v34, v32
	v_add_co_u32 v32, vcc_lo, v28, v80
	v_add_co_ci_u32_e64 v33, null, v29, v81, vcc_lo
	v_min3_f32 v35, v37, v36, v35
	s_mov_b32 vcc_lo, s0
	global_store_dword v[32:33], v34, off
	v_max_f32_e32 v32, v35, v35
	s_cbranch_vccz .LBB60_144
; %bb.143:
	v_add_co_u32 v33, vcc_lo, v28, v84
	v_min_f32_e32 v35, 0, v32
	v_add_co_ci_u32_e64 v34, null, v29, v85, vcc_lo
	s_mov_b32 s6, 0
	global_store_dword v[33:34], v35, off
.LBB60_144:
	v_mov_b32_e32 v33, 0
	s_andn2_b32 vcc_lo, exec_lo, s6
	s_cbranch_vccnz .LBB60_146
; %bb.145:
	v_add_co_u32 v33, vcc_lo, v30, v84
	v_add_co_ci_u32_e64 v34, null, v31, v85, vcc_lo
	global_load_dword v33, v[33:34], off
	s_waitcnt vmcnt(0)
	v_mul_f32_e32 v35, s3, v33
	v_add_co_u32 v33, vcc_lo, v28, v84
	v_add_co_ci_u32_e64 v34, null, v29, v85, vcc_lo
	v_add_co_u32 v30, vcc_lo, v30, v86
	v_min_f32_e32 v32, v35, v32
	v_add_co_ci_u32_e64 v31, null, v31, v87, vcc_lo
	global_store_dword v[33:34], v32, off
	global_load_dword v30, v[30:31], off
	s_waitcnt vmcnt(0)
	v_mul_f32_e32 v33, s3, v30
.LBB60_146:
	v_add_f32_e32 v25, v1, v25
	v_add_f32_e32 v24, v0, v24
	;; [unrolled: 1-line block ×4, first 2 shown]
	s_waitcnt lgkmcnt(1)
	v_add_f32_e32 v30, v17, v21
	v_add_f32_e32 v31, v16, v20
	v_min3_f32 v24, v24, v25, v94
	v_add_f32_e32 v32, v18, v22
	v_min_f32_e32 v25, v26, v27
	v_add_nc_u32_e32 v26, 0x70, v137
	v_min3_f32 v30, v31, v30, v95
	v_add_f32_e32 v31, v19, v23
	v_add_co_u32 v28, vcc_lo, v28, v86
	v_min3_f32 v33, v33, v25, v24
	v_mad_i64_i32 v[24:25], null, v26, s2, 0
	v_mad_i64_i32 v[26:27], null, v26, s1, 0
	v_add_co_ci_u32_e64 v29, null, v29, v87, vcc_lo
	v_min3_f32 v30, v32, v31, v30
	s_mov_b32 s6, -1
	v_lshlrev_b64 v[24:25], 2, v[24:25]
	global_store_dword v[28:29], v33, off
	v_lshlrev_b64 v[26:27], 2, v[26:27]
	v_max_f32_e32 v28, v30, v30
	v_add_co_u32 v24, vcc_lo, s4, v24
	v_add_co_ci_u32_e64 v25, null, s5, v25, vcc_lo
	v_add_co_u32 v26, vcc_lo, s8, v26
	v_add_co_ci_u32_e64 v27, null, s9, v27, vcc_lo
	s_mov_b32 vcc_lo, s0
	s_cbranch_vccz .LBB60_148
; %bb.147:
	v_add_co_u32 v29, vcc_lo, v24, v82
	v_min_f32_e32 v31, 0, v28
	v_add_co_ci_u32_e64 v30, null, v25, v83, vcc_lo
	s_mov_b32 s6, 0
	global_store_dword v[29:30], v31, off
.LBB60_148:
	v_mov_b32_e32 v29, 0
	s_andn2_b32 vcc_lo, exec_lo, s6
	s_cbranch_vccnz .LBB60_150
; %bb.149:
	v_add_co_u32 v29, vcc_lo, v26, v82
	v_add_co_ci_u32_e64 v30, null, v27, v83, vcc_lo
	global_load_dword v29, v[29:30], off
	s_waitcnt vmcnt(0)
	v_mul_f32_e32 v31, s3, v29
	v_add_co_u32 v29, vcc_lo, v24, v82
	v_add_co_ci_u32_e64 v30, null, v25, v83, vcc_lo
	v_min_f32_e32 v28, v31, v28
	v_add_co_u32 v31, vcc_lo, v26, v80
	v_add_co_ci_u32_e64 v32, null, v27, v81, vcc_lo
	global_store_dword v[29:30], v28, off
	global_load_dword v28, v[31:32], off
	s_waitcnt vmcnt(0)
	v_mul_f32_e32 v29, s3, v28
.LBB60_150:
	v_add_f32_e32 v28, v13, v21
	v_add_f32_e32 v30, v12, v20
	;; [unrolled: 1-line block ×6, first 2 shown]
	v_min3_f32 v28, v30, v28, v92
	s_mov_b32 s6, -1
	v_min_f32_e32 v30, v32, v31
	v_add_f32_e32 v32, v11, v23
	v_min3_f32 v31, v34, v33, v93
	v_add_f32_e32 v33, v10, v22
	v_min3_f32 v30, v29, v30, v28
	v_add_co_u32 v28, vcc_lo, v24, v80
	v_add_co_ci_u32_e64 v29, null, v25, v81, vcc_lo
	v_min3_f32 v31, v33, v32, v31
	s_mov_b32 vcc_lo, s0
	global_store_dword v[28:29], v30, off
	v_max_f32_e32 v28, v31, v31
	s_cbranch_vccz .LBB60_152
; %bb.151:
	v_add_co_u32 v29, vcc_lo, v24, v84
	v_min_f32_e32 v31, 0, v28
	v_add_co_ci_u32_e64 v30, null, v25, v85, vcc_lo
	s_mov_b32 s6, 0
	global_store_dword v[29:30], v31, off
.LBB60_152:
	v_mov_b32_e32 v29, 0
	s_andn2_b32 vcc_lo, exec_lo, s6
	s_cbranch_vccnz .LBB60_154
; %bb.153:
	v_add_co_u32 v29, vcc_lo, v26, v84
	v_add_co_ci_u32_e64 v30, null, v27, v85, vcc_lo
	global_load_dword v29, v[29:30], off
	s_waitcnt vmcnt(0)
	v_mul_f32_e32 v31, s3, v29
	v_add_co_u32 v29, vcc_lo, v24, v84
	v_add_co_ci_u32_e64 v30, null, v25, v85, vcc_lo
	v_add_co_u32 v26, vcc_lo, v26, v86
	v_min_f32_e32 v28, v31, v28
	v_add_co_ci_u32_e64 v27, null, v27, v87, vcc_lo
	global_store_dword v[29:30], v28, off
	global_load_dword v26, v[26:27], off
	s_waitcnt vmcnt(0)
	v_mul_f32_e32 v29, s3, v26
.LBB60_154:
	v_add_f32_e32 v21, v1, v21
	v_add_f32_e32 v20, v0, v20
	;; [unrolled: 1-line block ×4, first 2 shown]
	s_waitcnt lgkmcnt(0)
	v_add_f32_e32 v17, v17, v5
	v_add_f32_e32 v16, v16, v4
	v_min3_f32 v20, v20, v21, v91
	v_add_f32_e32 v26, v19, v7
	v_min_f32_e32 v21, v22, v23
	v_add_nc_u32_e32 v23, 0x78, v137
	v_min3_f32 v22, v16, v17, v90
	v_add_f32_e32 v27, v18, v6
	v_min3_f32 v28, v29, v21, v20
	v_mad_i64_i32 v[16:17], null, v23, s2, 0
	v_mad_i64_i32 v[18:19], null, v23, s1, 0
	v_add_co_u32 v20, vcc_lo, v24, v86
	v_add_co_ci_u32_e64 v21, null, v25, v87, vcc_lo
	v_lshlrev_b64 v[16:17], 2, v[16:17]
	v_min3_f32 v22, v27, v26, v22
	v_lshlrev_b64 v[18:19], 2, v[18:19]
	global_store_dword v[20:21], v28, off
	s_mov_b32 s1, -1
	v_add_co_u32 v16, vcc_lo, s4, v16
	v_add_co_ci_u32_e64 v17, null, s5, v17, vcc_lo
	v_add_co_u32 v18, vcc_lo, s8, v18
	v_add_co_ci_u32_e64 v19, null, s9, v19, vcc_lo
	v_max_f32_e32 v20, v22, v22
	s_mov_b32 vcc_lo, s0
	s_cbranch_vccz .LBB60_156
; %bb.155:
	v_add_co_u32 v21, vcc_lo, v16, v82
	v_min_f32_e32 v23, 0, v20
	v_add_co_ci_u32_e64 v22, null, v17, v83, vcc_lo
	s_mov_b32 s1, 0
	global_store_dword v[21:22], v23, off
.LBB60_156:
	v_mov_b32_e32 v21, 0
	s_andn2_b32 vcc_lo, exec_lo, s1
	s_cbranch_vccnz .LBB60_158
; %bb.157:
	v_add_co_u32 v21, vcc_lo, v18, v82
	v_add_co_ci_u32_e64 v22, null, v19, v83, vcc_lo
	global_load_dword v21, v[21:22], off
	s_waitcnt vmcnt(0)
	v_mul_f32_e32 v23, s3, v21
	v_add_co_u32 v21, vcc_lo, v16, v82
	v_add_co_ci_u32_e64 v22, null, v17, v83, vcc_lo
	v_min_f32_e32 v20, v23, v20
	v_add_co_u32 v23, vcc_lo, v18, v80
	v_add_co_ci_u32_e64 v24, null, v19, v81, vcc_lo
	global_store_dword v[21:22], v20, off
	global_load_dword v20, v[23:24], off
	s_waitcnt vmcnt(0)
	v_mul_f32_e32 v21, s3, v20
.LBB60_158:
	v_add_f32_e32 v13, v13, v5
	v_add_f32_e32 v12, v12, v4
	;; [unrolled: 1-line block ×6, first 2 shown]
	v_min3_f32 v12, v12, v13, v88
	v_add_f32_e32 v11, v11, v7
	v_min_f32_e32 v13, v14, v15
	v_add_f32_e32 v10, v10, v6
	v_min3_f32 v14, v8, v9, v89
	v_add_co_u32 v8, vcc_lo, v16, v80
	v_min3_f32 v12, v21, v13, v12
	v_add_co_ci_u32_e64 v9, null, v17, v81, vcc_lo
	v_min3_f32 v10, v10, v11, v14
	s_mov_b32 s1, -1
	s_mov_b32 vcc_lo, s0
	global_store_dword v[8:9], v12, off
	v_max_f32_e32 v8, v10, v10
	s_cbranch_vccz .LBB60_160
; %bb.159:
	v_add_co_u32 v9, vcc_lo, v16, v84
	v_min_f32_e32 v11, 0, v8
	v_add_co_ci_u32_e64 v10, null, v17, v85, vcc_lo
	s_mov_b32 s1, 0
	global_store_dword v[9:10], v11, off
.LBB60_160:
	v_mov_b32_e32 v9, 0
	s_andn2_b32 vcc_lo, exec_lo, s1
	s_cbranch_vccnz .LBB60_162
; %bb.161:
	v_add_co_u32 v9, vcc_lo, v18, v84
	v_add_co_ci_u32_e64 v10, null, v19, v85, vcc_lo
	global_load_dword v9, v[9:10], off
	s_waitcnt vmcnt(0)
	v_mul_f32_e32 v11, s3, v9
	v_add_co_u32 v9, vcc_lo, v16, v84
	v_add_co_ci_u32_e64 v10, null, v17, v85, vcc_lo
	v_min_f32_e32 v8, v11, v8
	v_add_co_u32 v11, vcc_lo, v18, v86
	v_add_co_ci_u32_e64 v12, null, v19, v87, vcc_lo
	global_store_dword v[9:10], v8, off
	global_load_dword v8, v[11:12], off
	s_waitcnt vmcnt(0)
	v_mul_f32_e32 v9, s3, v8
.LBB60_162:
	v_add_f32_e32 v3, v3, v7
	v_add_f32_e32 v2, v2, v6
	;; [unrolled: 1-line block ×4, first 2 shown]
	v_min_f32_e32 v2, v2, v3
	v_min3_f32 v0, v0, v1, v99
	v_min3_f32 v2, v9, v2, v0
	v_add_co_u32 v0, vcc_lo, v16, v86
	v_add_co_ci_u32_e64 v1, null, v17, v87, vcc_lo
	global_store_dword v[0:1], v2, off
	s_endpgm
	.section	.rodata,"a",@progbits
	.p2align	6, 0x0
	.amdhsa_kernel _ZN12_GLOBAL__N_120geam_min_plus_kernelIf15HIP_vector_typeIfLj2EEfLi32ELi8ELi128ELi128ELi4ELi4ELi64ELi4ELi64ELc84ELc78ELb0ELb0ELb1EPKfS3_fEEviiiT16_PT17_ilS7_ilS5_S7_ilPT18_ili26rocblas_geam_ex_operation_
		.amdhsa_group_segment_fixed_size 8192
		.amdhsa_private_segment_fixed_size 0
		.amdhsa_kernarg_size 136
		.amdhsa_user_sgpr_count 6
		.amdhsa_user_sgpr_private_segment_buffer 1
		.amdhsa_user_sgpr_dispatch_ptr 0
		.amdhsa_user_sgpr_queue_ptr 0
		.amdhsa_user_sgpr_kernarg_segment_ptr 1
		.amdhsa_user_sgpr_dispatch_id 0
		.amdhsa_user_sgpr_flat_scratch_init 0
		.amdhsa_user_sgpr_private_segment_size 0
		.amdhsa_wavefront_size32 1
		.amdhsa_uses_dynamic_stack 0
		.amdhsa_system_sgpr_private_segment_wavefront_offset 0
		.amdhsa_system_sgpr_workgroup_id_x 1
		.amdhsa_system_sgpr_workgroup_id_y 0
		.amdhsa_system_sgpr_workgroup_id_z 1
		.amdhsa_system_sgpr_workgroup_info 0
		.amdhsa_system_vgpr_workitem_id 1
		.amdhsa_next_free_vgpr 177
		.amdhsa_next_free_sgpr 24
		.amdhsa_reserve_vcc 1
		.amdhsa_reserve_flat_scratch 0
		.amdhsa_float_round_mode_32 0
		.amdhsa_float_round_mode_16_64 0
		.amdhsa_float_denorm_mode_32 3
		.amdhsa_float_denorm_mode_16_64 3
		.amdhsa_dx10_clamp 1
		.amdhsa_ieee_mode 1
		.amdhsa_fp16_overflow 0
		.amdhsa_workgroup_processor_mode 1
		.amdhsa_memory_ordered 1
		.amdhsa_forward_progress 1
		.amdhsa_shared_vgpr_count 0
		.amdhsa_exception_fp_ieee_invalid_op 0
		.amdhsa_exception_fp_denorm_src 0
		.amdhsa_exception_fp_ieee_div_zero 0
		.amdhsa_exception_fp_ieee_overflow 0
		.amdhsa_exception_fp_ieee_underflow 0
		.amdhsa_exception_fp_ieee_inexact 0
		.amdhsa_exception_int_div_zero 0
	.end_amdhsa_kernel
	.section	.text._ZN12_GLOBAL__N_120geam_min_plus_kernelIf15HIP_vector_typeIfLj2EEfLi32ELi8ELi128ELi128ELi4ELi4ELi64ELi4ELi64ELc84ELc78ELb0ELb0ELb1EPKfS3_fEEviiiT16_PT17_ilS7_ilS5_S7_ilPT18_ili26rocblas_geam_ex_operation_,"axG",@progbits,_ZN12_GLOBAL__N_120geam_min_plus_kernelIf15HIP_vector_typeIfLj2EEfLi32ELi8ELi128ELi128ELi4ELi4ELi64ELi4ELi64ELc84ELc78ELb0ELb0ELb1EPKfS3_fEEviiiT16_PT17_ilS7_ilS5_S7_ilPT18_ili26rocblas_geam_ex_operation_,comdat
.Lfunc_end60:
	.size	_ZN12_GLOBAL__N_120geam_min_plus_kernelIf15HIP_vector_typeIfLj2EEfLi32ELi8ELi128ELi128ELi4ELi4ELi64ELi4ELi64ELc84ELc78ELb0ELb0ELb1EPKfS3_fEEviiiT16_PT17_ilS7_ilS5_S7_ilPT18_ili26rocblas_geam_ex_operation_, .Lfunc_end60-_ZN12_GLOBAL__N_120geam_min_plus_kernelIf15HIP_vector_typeIfLj2EEfLi32ELi8ELi128ELi128ELi4ELi4ELi64ELi4ELi64ELc84ELc78ELb0ELb0ELb1EPKfS3_fEEviiiT16_PT17_ilS7_ilS5_S7_ilPT18_ili26rocblas_geam_ex_operation_
                                        ; -- End function
	.set _ZN12_GLOBAL__N_120geam_min_plus_kernelIf15HIP_vector_typeIfLj2EEfLi32ELi8ELi128ELi128ELi4ELi4ELi64ELi4ELi64ELc84ELc78ELb0ELb0ELb1EPKfS3_fEEviiiT16_PT17_ilS7_ilS5_S7_ilPT18_ili26rocblas_geam_ex_operation_.num_vgpr, 177
	.set _ZN12_GLOBAL__N_120geam_min_plus_kernelIf15HIP_vector_typeIfLj2EEfLi32ELi8ELi128ELi128ELi4ELi4ELi64ELi4ELi64ELc84ELc78ELb0ELb0ELb1EPKfS3_fEEviiiT16_PT17_ilS7_ilS5_S7_ilPT18_ili26rocblas_geam_ex_operation_.num_agpr, 0
	.set _ZN12_GLOBAL__N_120geam_min_plus_kernelIf15HIP_vector_typeIfLj2EEfLi32ELi8ELi128ELi128ELi4ELi4ELi64ELi4ELi64ELc84ELc78ELb0ELb0ELb1EPKfS3_fEEviiiT16_PT17_ilS7_ilS5_S7_ilPT18_ili26rocblas_geam_ex_operation_.numbered_sgpr, 24
	.set _ZN12_GLOBAL__N_120geam_min_plus_kernelIf15HIP_vector_typeIfLj2EEfLi32ELi8ELi128ELi128ELi4ELi4ELi64ELi4ELi64ELc84ELc78ELb0ELb0ELb1EPKfS3_fEEviiiT16_PT17_ilS7_ilS5_S7_ilPT18_ili26rocblas_geam_ex_operation_.num_named_barrier, 0
	.set _ZN12_GLOBAL__N_120geam_min_plus_kernelIf15HIP_vector_typeIfLj2EEfLi32ELi8ELi128ELi128ELi4ELi4ELi64ELi4ELi64ELc84ELc78ELb0ELb0ELb1EPKfS3_fEEviiiT16_PT17_ilS7_ilS5_S7_ilPT18_ili26rocblas_geam_ex_operation_.private_seg_size, 0
	.set _ZN12_GLOBAL__N_120geam_min_plus_kernelIf15HIP_vector_typeIfLj2EEfLi32ELi8ELi128ELi128ELi4ELi4ELi64ELi4ELi64ELc84ELc78ELb0ELb0ELb1EPKfS3_fEEviiiT16_PT17_ilS7_ilS5_S7_ilPT18_ili26rocblas_geam_ex_operation_.uses_vcc, 1
	.set _ZN12_GLOBAL__N_120geam_min_plus_kernelIf15HIP_vector_typeIfLj2EEfLi32ELi8ELi128ELi128ELi4ELi4ELi64ELi4ELi64ELc84ELc78ELb0ELb0ELb1EPKfS3_fEEviiiT16_PT17_ilS7_ilS5_S7_ilPT18_ili26rocblas_geam_ex_operation_.uses_flat_scratch, 0
	.set _ZN12_GLOBAL__N_120geam_min_plus_kernelIf15HIP_vector_typeIfLj2EEfLi32ELi8ELi128ELi128ELi4ELi4ELi64ELi4ELi64ELc84ELc78ELb0ELb0ELb1EPKfS3_fEEviiiT16_PT17_ilS7_ilS5_S7_ilPT18_ili26rocblas_geam_ex_operation_.has_dyn_sized_stack, 0
	.set _ZN12_GLOBAL__N_120geam_min_plus_kernelIf15HIP_vector_typeIfLj2EEfLi32ELi8ELi128ELi128ELi4ELi4ELi64ELi4ELi64ELc84ELc78ELb0ELb0ELb1EPKfS3_fEEviiiT16_PT17_ilS7_ilS5_S7_ilPT18_ili26rocblas_geam_ex_operation_.has_recursion, 0
	.set _ZN12_GLOBAL__N_120geam_min_plus_kernelIf15HIP_vector_typeIfLj2EEfLi32ELi8ELi128ELi128ELi4ELi4ELi64ELi4ELi64ELc84ELc78ELb0ELb0ELb1EPKfS3_fEEviiiT16_PT17_ilS7_ilS5_S7_ilPT18_ili26rocblas_geam_ex_operation_.has_indirect_call, 0
	.section	.AMDGPU.csdata,"",@progbits
; Kernel info:
; codeLenInByte = 18048
; TotalNumSgprs: 26
; NumVgprs: 177
; ScratchSize: 0
; MemoryBound: 0
; FloatMode: 240
; IeeeMode: 1
; LDSByteSize: 8192 bytes/workgroup (compile time only)
; SGPRBlocks: 0
; VGPRBlocks: 22
; NumSGPRsForWavesPerEU: 26
; NumVGPRsForWavesPerEU: 177
; Occupancy: 5
; WaveLimiterHint : 0
; COMPUTE_PGM_RSRC2:SCRATCH_EN: 0
; COMPUTE_PGM_RSRC2:USER_SGPR: 6
; COMPUTE_PGM_RSRC2:TRAP_HANDLER: 0
; COMPUTE_PGM_RSRC2:TGID_X_EN: 1
; COMPUTE_PGM_RSRC2:TGID_Y_EN: 0
; COMPUTE_PGM_RSRC2:TGID_Z_EN: 1
; COMPUTE_PGM_RSRC2:TIDIG_COMP_CNT: 1
	.section	.text._ZN12_GLOBAL__N_120geam_min_plus_kernelIf15HIP_vector_typeIfLj2EEfLi32ELi8ELi128ELi128ELi4ELi4ELi64ELi4ELi64ELc84ELc78ELb1ELb0ELb1EfKffEEviiiT16_PT17_ilS6_ilS4_S6_ilPT18_ili26rocblas_geam_ex_operation_,"axG",@progbits,_ZN12_GLOBAL__N_120geam_min_plus_kernelIf15HIP_vector_typeIfLj2EEfLi32ELi8ELi128ELi128ELi4ELi4ELi64ELi4ELi64ELc84ELc78ELb1ELb0ELb1EfKffEEviiiT16_PT17_ilS6_ilS4_S6_ilPT18_ili26rocblas_geam_ex_operation_,comdat
	.globl	_ZN12_GLOBAL__N_120geam_min_plus_kernelIf15HIP_vector_typeIfLj2EEfLi32ELi8ELi128ELi128ELi4ELi4ELi64ELi4ELi64ELc84ELc78ELb1ELb0ELb1EfKffEEviiiT16_PT17_ilS6_ilS4_S6_ilPT18_ili26rocblas_geam_ex_operation_ ; -- Begin function _ZN12_GLOBAL__N_120geam_min_plus_kernelIf15HIP_vector_typeIfLj2EEfLi32ELi8ELi128ELi128ELi4ELi4ELi64ELi4ELi64ELc84ELc78ELb1ELb0ELb1EfKffEEviiiT16_PT17_ilS6_ilS4_S6_ilPT18_ili26rocblas_geam_ex_operation_
	.p2align	8
	.type	_ZN12_GLOBAL__N_120geam_min_plus_kernelIf15HIP_vector_typeIfLj2EEfLi32ELi8ELi128ELi128ELi4ELi4ELi64ELi4ELi64ELc84ELc78ELb1ELb0ELb1EfKffEEviiiT16_PT17_ilS6_ilS4_S6_ilPT18_ili26rocblas_geam_ex_operation_,@function
_ZN12_GLOBAL__N_120geam_min_plus_kernelIf15HIP_vector_typeIfLj2EEfLi32ELi8ELi128ELi128ELi4ELi4ELi64ELi4ELi64ELc84ELc78ELb1ELb0ELb1EfKffEEviiiT16_PT17_ilS6_ilS4_S6_ilPT18_ili26rocblas_geam_ex_operation_: ; @_ZN12_GLOBAL__N_120geam_min_plus_kernelIf15HIP_vector_typeIfLj2EEfLi32ELi8ELi128ELi128ELi4ELi4ELi64ELi4ELi64ELc84ELc78ELb1ELb0ELb1EfKffEEviiiT16_PT17_ilS6_ilS4_S6_ilPT18_ili26rocblas_geam_ex_operation_
; %bb.0:
	s_clause 0x1
	s_load_dwordx2 s[14:15], s[4:5], 0x8
	s_load_dwordx4 s[0:3], s[4:5], 0x20
	s_waitcnt lgkmcnt(0)
	v_cmp_eq_f32_e64 s8, s15, 0
	s_and_b32 vcc_lo, exec_lo, s8
	s_cbranch_vccnz .LBB61_139
; %bb.1:
	s_load_dwordx2 s[10:11], s[4:5], 0x10
	s_mul_i32 s1, s1, s7
	s_mul_hi_u32 s9, s0, s7
	s_mul_i32 s0, s0, s7
	s_add_i32 s1, s9, s1
	s_lshl_b64 s[0:1], s[0:1], 2
	s_waitcnt lgkmcnt(0)
	s_add_u32 s16, s10, s0
	s_addc_u32 s17, s11, s1
	s_andn2_b32 vcc_lo, exec_lo, s8
	s_mov_b32 s0, -1
	s_cbranch_vccnz .LBB61_3
.LBB61_2:
	s_mov_b32 s0, 0
.LBB61_3:
	s_mov_b64 s[12:13], 0
	s_andn2_b32 vcc_lo, exec_lo, s0
	s_mov_b64 s[18:19], 0
	s_cbranch_vccnz .LBB61_5
; %bb.4:
	s_load_dwordx2 s[0:1], s[4:5], 0x38
	s_waitcnt lgkmcnt(0)
	s_mul_i32 s1, s1, s7
	s_mul_hi_u32 s8, s0, s7
	s_mul_i32 s0, s0, s7
	s_add_i32 s1, s8, s1
	s_lshl_b64 s[0:1], s[0:1], 2
	s_add_u32 s18, s2, s0
	s_addc_u32 s19, s3, s1
.LBB61_5:
	s_clause 0x1
	s_load_dword s1, s[4:5], 0x40
	s_load_dwordx4 s[8:11], s[4:5], 0x58
	s_waitcnt lgkmcnt(0)
	v_cmp_eq_f32_e64 s0, s1, 0
	s_and_b32 s0, exec_lo, s0
	s_mov_b32 vcc_lo, s0
	s_cbranch_vccnz .LBB61_7
; %bb.6:
	s_load_dwordx2 s[2:3], s[4:5], 0x48
	s_mul_i32 s9, s9, s7
	s_mul_hi_u32 s12, s8, s7
	s_mul_i32 s8, s8, s7
	s_add_i32 s9, s12, s9
	s_lshl_b64 s[8:9], s[8:9], 2
	s_waitcnt lgkmcnt(0)
	s_add_u32 s12, s2, s8
	s_addc_u32 s13, s3, s9
.LBB61_7:
	s_clause 0x2
	s_load_dword s2, s[4:5], 0x0
	s_load_dword s9, s[4:5], 0x18
	;; [unrolled: 1-line block ×3, first 2 shown]
	v_and_b32_e32 v3, 3, v0
	v_lshlrev_b32_e32 v91, 4, v0
	v_lshlrev_b32_e32 v90, 4, v1
	;; [unrolled: 1-line block ×3, first 2 shown]
	s_waitcnt lgkmcnt(0)
	s_add_i32 s2, s2, -1
	s_ashr_i32 s3, s2, 31
	s_lshr_b32 s3, s3, 25
	s_add_i32 s2, s2, s3
	s_ashr_i32 s2, s2, 7
	s_add_i32 s3, s2, 1
	s_not_b32 s2, s2
	v_cvt_f32_u32_e32 v2, s3
	v_rcp_iflag_f32_e32 v2, v2
	v_mul_f32_e32 v2, 0x4f7ffffe, v2
	v_cvt_u32_f32_e32 v2, v2
	v_readfirstlane_b32 s15, v2
	v_lshl_add_u32 v2, v1, 5, v0
	s_mul_i32 s2, s2, s15
	v_lshrrev_b32_e32 v10, 2, v2
	s_mul_hi_u32 s2, s15, s2
	s_add_i32 s15, s15, s2
	v_lshl_or_b32 v93, v10, 4, v92
	s_mul_hi_u32 s2, s6, s15
	s_mul_i32 s15, s2, s3
	s_add_i32 s20, s2, 1
	s_sub_i32 s15, s6, s15
	s_sub_i32 s21, s15, s3
	s_cmp_ge_u32 s15, s3
	s_cselect_b32 s2, s20, s2
	s_cselect_b32 s15, s21, s15
	s_add_i32 s20, s2, 1
	s_cmp_ge_u32 s15, s3
	s_cselect_b32 s2, s20, s2
	s_mul_i32 s3, s2, s3
	s_lshl_b32 s2, s2, 7
	s_sub_i32 s3, s6, s3
	v_add_co_u32 v6, s6, s16, v92
	s_lshl_b32 s3, s3, 7
	v_add_co_ci_u32_e64 v7, null, s17, 0, s6
	v_add_nc_u32_e32 v4, s3, v10
	v_add_nc_u32_e32 v8, s2, v10
	v_add_co_u32 v13, s6, s18, v92
	v_add_co_ci_u32_e64 v14, null, s19, 0, s6
	v_mad_i64_i32 v[2:3], null, v4, s9, 0
	v_add_nc_u32_e32 v4, 64, v4
	s_cmp_lt_i32 s14, 9
	v_mad_i64_i32 v[4:5], null, v4, s9, 0
	v_lshlrev_b64 v[82:83], 2, v[2:3]
	v_lshlrev_b64 v[84:85], 2, v[4:5]
	v_add_co_u32 v2, vcc_lo, v6, v82
	v_add_co_ci_u32_e64 v3, null, v7, v83, vcc_lo
	v_add_co_u32 v4, vcc_lo, v6, v84
	v_add_co_ci_u32_e64 v5, null, v7, v85, vcc_lo
	v_mad_i64_i32 v[6:7], null, v8, s8, 0
	v_add_nc_u32_e32 v8, 64, v8
	s_clause 0x1
	global_load_dword v11, v[2:3], off
	global_load_dword v12, v[4:5], off
	v_mad_i64_i32 v[8:9], null, v8, s8, 0
	v_lshlrev_b64 v[86:87], 2, v[6:7]
	v_lshlrev_b64 v[88:89], 2, v[8:9]
	v_add_co_u32 v6, vcc_lo, v13, v86
	v_add_co_ci_u32_e64 v7, null, v14, v87, vcc_lo
	v_add_co_u32 v8, vcc_lo, v13, v88
	v_add_co_ci_u32_e64 v9, null, v14, v89, vcc_lo
	s_clause 0x1
	global_load_dword v15, v[6:7], off
	global_load_dword v13, v[8:9], off
	s_clause 0x1
	global_load_dword v105, v[2:3], off offset:16
	global_load_dword v106, v[4:5], off offset:16
	s_clause 0x1
	global_load_dword v107, v[6:7], off offset:16
	global_load_dword v108, v[8:9], off offset:16
	s_waitcnt vmcnt(6)
	ds_write2st64_b32 v93, v11, v12 offset1:4
	s_waitcnt vmcnt(4)
	ds_write2st64_b32 v93, v15, v13 offset0:16 offset1:20
	s_waitcnt vmcnt(0) lgkmcnt(0)
	s_barrier
	buffer_gl0_inv
	ds_read_b128 v[14:17], v91
	ds_read_b128 v[10:13], v91 offset:512
	ds_read_b128 v[6:9], v91 offset:1024
	;; [unrolled: 1-line block ×19, first 2 shown]
	ds_write2st64_b32 v93, v105, v106 offset0:8 offset1:12
	ds_write2st64_b32 v93, v107, v108 offset0:24 offset1:28
	s_waitcnt lgkmcnt(0)
	s_barrier
	buffer_gl0_inv
	v_add_f32_e32 v94, v15, v79
	v_add_f32_e32 v95, v14, v78
	v_min3_f32 v125, v95, v94, 0x7f7fffff
	v_add_f32_e32 v94, v11, v79
	v_add_f32_e32 v95, v10, v78
	v_min3_f32 v126, v95, v94, 0x7f7fffff
	v_add_f32_e32 v94, v7, v79
	v_add_f32_e32 v95, v6, v78
	;; [unrolled: 1-line block ×5, first 2 shown]
	v_min3_f32 v127, v95, v94, 0x7f7fffff
	v_min3_f32 v128, v78, v79, 0x7f7fffff
	v_add_f32_e32 v78, v15, v75
	v_add_f32_e32 v79, v14, v74
	v_min3_f32 v124, v79, v78, 0x7f7fffff
	v_add_f32_e32 v78, v11, v75
	v_add_f32_e32 v79, v10, v74
	v_min3_f32 v123, v79, v78, 0x7f7fffff
	v_add_f32_e32 v78, v7, v75
	v_add_f32_e32 v79, v6, v74
	v_add_f32_e32 v75, v3, v75
	v_add_f32_e32 v74, v2, v74
	v_min3_f32 v122, v79, v78, 0x7f7fffff
	v_min3_f32 v121, v74, v75, 0x7f7fffff
	v_add_f32_e32 v74, v15, v71
	v_add_f32_e32 v75, v14, v70
	v_min3_f32 v120, v75, v74, 0x7f7fffff
	v_add_f32_e32 v74, v11, v71
	v_add_f32_e32 v75, v10, v70
	v_min3_f32 v119, v75, v74, 0x7f7fffff
	v_add_f32_e32 v74, v7, v71
	v_add_f32_e32 v75, v6, v70
	v_add_f32_e32 v71, v3, v71
	v_add_f32_e32 v70, v2, v70
	;; [unrolled: 12-line block ×13, first 2 shown]
	v_add_f32_e32 v6, v6, v18
	v_min3_f32 v34, v31, v30, 0x7f7fffff
	v_min3_f32 v31, v26, v27, 0x7f7fffff
	v_add_f32_e32 v26, v15, v23
	v_add_f32_e32 v27, v14, v22
	;; [unrolled: 1-line block ×4, first 2 shown]
	v_min3_f32 v30, v27, v26, 0x7f7fffff
	v_add_f32_e32 v26, v11, v23
	v_add_f32_e32 v27, v10, v22
	;; [unrolled: 1-line block ×4, first 2 shown]
	v_min3_f32 v14, v14, v15, 0x7f7fffff
	v_add_f32_e32 v11, v11, v19
	v_min3_f32 v27, v27, v26, 0x7f7fffff
	v_add_f32_e32 v26, v7, v23
	v_add_f32_e32 v23, v3, v23
	;; [unrolled: 1-line block ×5, first 2 shown]
	v_min3_f32 v26, v129, v26, 0x7f7fffff
	v_min3_f32 v22, v22, v23, 0x7f7fffff
	;; [unrolled: 1-line block ×4, first 2 shown]
	v_add_f32_e32 v3, v17, v81
	v_add_f32_e32 v7, v16, v80
	v_min3_f32 v10, v10, v11, 0x7f7fffff
	v_min3_f32 v171, v7, v3, v125
	v_add_f32_e32 v3, v13, v81
	v_add_f32_e32 v7, v12, v80
	v_min3_f32 v168, v7, v3, v126
	v_add_f32_e32 v3, v9, v81
	v_add_f32_e32 v7, v8, v80
	;; [unrolled: 3-line block ×59, first 2 shown]
	v_add_f32_e32 v4, v4, v20
	v_min3_f32 v96, v7, v3, v22
	v_add_f32_e32 v3, v17, v21
	v_add_f32_e32 v7, v16, v20
	v_min3_f32 v97, v7, v3, v14
	v_add_f32_e32 v3, v13, v21
	;; [unrolled: 3-line block ×4, first 2 shown]
	v_min3_f32 v143, v4, v3, v2
	s_cbranch_scc1 .LBB61_10
; %bb.8:
	v_add_co_u32 v111, vcc_lo, s18, v86
	v_add_co_ci_u32_e64 v112, null, s19, v87, vcc_lo
	v_add_co_u32 v113, vcc_lo, s18, v88
	v_add_co_ci_u32_e64 v114, null, s19, v89, vcc_lo
	;; [unrolled: 2-line block ×3, first 2 shown]
	v_add_co_u32 v119, vcc_lo, s16, v84
	v_add_nc_u32_e32 v105, 0x1000, v93
	v_or_b32_e32 v106, 0x1000, v90
	v_add_nc_u32_e32 v107, 0x800, v93
	v_add_nc_u32_e32 v108, 0x1800, v93
	v_lshl_add_u32 v109, v0, 4, 0x800
	v_lshl_add_u32 v110, v1, 4, 0x1800
	v_add_co_ci_u32_e64 v120, null, s17, v85, vcc_lo
	s_add_i32 s6, s14, -8
	s_mov_b32 s8, 0
.LBB61_9:                               ; =>This Inner Loop Header: Depth=1
	v_add_co_u32 v82, vcc_lo, v115, v92
	v_add_co_ci_u32_e64 v83, null, 0, v117, vcc_lo
	v_add_co_u32 v84, vcc_lo, v119, v92
	v_add_co_ci_u32_e64 v85, null, 0, v120, vcc_lo
	;; [unrolled: 2-line block ×4, first 2 shown]
	global_load_dword v174, v[82:83], off offset:32
	global_load_dword v175, v[84:85], off offset:32
	;; [unrolled: 1-line block ×4, first 2 shown]
	ds_read_b128 v[14:17], v109
	ds_read_b128 v[10:13], v109 offset:512
	ds_read_b128 v[6:9], v109 offset:1024
	;; [unrolled: 1-line block ×3, first 2 shown]
	ds_read_b128 v[78:81], v110
	ds_read_b128 v[74:77], v110 offset:128
	ds_read_b128 v[70:73], v110 offset:256
	;; [unrolled: 1-line block ×15, first 2 shown]
	v_add_co_u32 v111, vcc_lo, v111, 32
	v_add_co_ci_u32_e64 v112, null, 0, v112, vcc_lo
	s_waitcnt lgkmcnt(15)
	v_add_f32_e32 v176, v15, v79
	v_add_f32_e32 v177, v14, v78
	v_add_co_u32 v113, vcc_lo, v113, 32
	v_add_co_ci_u32_e64 v114, null, 0, v114, vcc_lo
	v_min3_f32 v177, v177, v176, v171
	v_add_f32_e32 v171, v11, v79
	v_add_f32_e32 v176, v10, v78
	v_add_co_u32 v115, vcc_lo, v115, 32
	v_add_co_ci_u32_e64 v117, null, 0, v117, vcc_lo
	v_min3_f32 v178, v176, v171, v168
	v_add_f32_e32 v168, v7, v79
	v_add_f32_e32 v171, v6, v78
	v_add_f32_e32 v79, v3, v79
	v_add_f32_e32 v78, v2, v78
	v_add_co_u32 v119, vcc_lo, v119, 32
	v_min3_f32 v179, v171, v168, v169
	v_add_co_ci_u32_e64 v120, null, 0, v120, vcc_lo
	v_min3_f32 v180, v78, v79, v163
	s_waitcnt lgkmcnt(14)
	v_add_f32_e32 v78, v15, v75
	v_add_f32_e32 v79, v14, v74
	s_add_i32 s8, s8, 8
	s_waitcnt vmcnt(2)
	ds_write2st64_b32 v93, v174, v175 offset1:4
	s_waitcnt vmcnt(0)
	ds_write2st64_b32 v105, v172, v173 offset1:4
	v_min3_f32 v176, v79, v78, v170
	v_add_f32_e32 v78, v11, v75
	v_add_f32_e32 v79, v10, v74
	s_waitcnt lgkmcnt(0)
	s_barrier
	buffer_gl0_inv
	global_load_dword v172, v[82:83], off offset:48
	global_load_dword v84, v[84:85], off offset:48
	;; [unrolled: 1-line block ×4, first 2 shown]
	v_min3_f32 v171, v79, v78, v165
	v_add_f32_e32 v78, v7, v75
	v_add_f32_e32 v79, v6, v74
	;; [unrolled: 1-line block ×4, first 2 shown]
	s_cmp_ge_i32 s8, s6
	v_min3_f32 v170, v79, v78, v166
	v_min3_f32 v169, v74, v75, v160
	v_add_f32_e32 v74, v15, v71
	v_add_f32_e32 v75, v14, v70
	v_min3_f32 v168, v75, v74, v167
	v_add_f32_e32 v74, v11, v71
	v_add_f32_e32 v75, v10, v70
	v_min3_f32 v167, v75, v74, v161
	v_add_f32_e32 v74, v7, v71
	v_add_f32_e32 v75, v6, v70
	v_add_f32_e32 v71, v3, v71
	v_add_f32_e32 v70, v2, v70
	v_min3_f32 v166, v75, v74, v162
	v_min3_f32 v165, v70, v71, v156
	v_add_f32_e32 v70, v15, v67
	v_add_f32_e32 v71, v14, v66
	v_min3_f32 v163, v71, v70, v164
	v_add_f32_e32 v70, v11, v67
	v_add_f32_e32 v71, v10, v66
	v_min3_f32 v162, v71, v70, v157
	v_add_f32_e32 v70, v7, v67
	v_add_f32_e32 v71, v6, v66
	v_add_f32_e32 v67, v3, v67
	v_add_f32_e32 v66, v2, v66
	;; [unrolled: 12-line block ×12, first 2 shown]
	v_min3_f32 v34, v31, v30, v103
	v_min3_f32 v31, v26, v27, v100
	v_add_f32_e32 v26, v15, v23
	v_add_f32_e32 v27, v14, v22
	;; [unrolled: 1-line block ×4, first 2 shown]
	v_min3_f32 v30, v27, v26, v102
	v_add_f32_e32 v26, v11, v23
	v_add_f32_e32 v27, v10, v22
	v_min3_f32 v14, v14, v15, v97
	v_add_f32_e32 v11, v11, v19
	v_add_f32_e32 v10, v10, v18
	;; [unrolled: 3-line block ×3, first 2 shown]
	v_add_f32_e32 v23, v3, v23
	v_add_f32_e32 v22, v2, v22
	;; [unrolled: 1-line block ×6, first 2 shown]
	v_min3_f32 v22, v22, v23, v96
	v_min3_f32 v10, v10, v11, v94
	;; [unrolled: 1-line block ×3, first 2 shown]
	v_add_f32_e32 v7, v16, v80
	v_min3_f32 v2, v2, v3, v143
	v_add_f32_e32 v3, v17, v81
	v_min3_f32 v26, v98, v26, v99
	v_min3_f32 v97, v7, v3, v177
	v_add_f32_e32 v3, v13, v81
	v_add_f32_e32 v7, v12, v80
	v_min3_f32 v96, v7, v3, v178
	v_add_f32_e32 v3, v9, v81
	v_add_f32_e32 v7, v8, v80
	;; [unrolled: 3-line block ×59, first 2 shown]
	v_add_f32_e32 v4, v4, v20
	v_min3_f32 v182, v7, v3, v22
	v_add_f32_e32 v3, v17, v21
	v_add_f32_e32 v7, v16, v20
	v_min3_f32 v183, v7, v3, v14
	v_add_f32_e32 v3, v13, v21
	;; [unrolled: 3-line block ×4, first 2 shown]
	v_min3_f32 v186, v4, v3, v2
	ds_read_b128 v[18:21], v91
	ds_read_b128 v[10:13], v91 offset:512
	ds_read_b128 v[6:9], v91 offset:1024
	;; [unrolled: 1-line block ×3, first 2 shown]
	ds_read_b128 v[78:81], v106
	ds_read_b128 v[74:77], v106 offset:128
	ds_read_b128 v[70:73], v106 offset:256
	ds_read_b128 v[66:69], v106 offset:384
	ds_read_b128 v[62:65], v106 offset:512
	ds_read_b128 v[58:61], v106 offset:640
	ds_read_b128 v[54:57], v106 offset:768
	ds_read_b128 v[50:53], v106 offset:896
	ds_read_b128 v[46:49], v106 offset:1024
	ds_read_b128 v[42:45], v106 offset:1152
	ds_read_b128 v[38:41], v106 offset:1280
	ds_read_b128 v[34:37], v106 offset:1408
	ds_read_b128 v[30:33], v106 offset:1536
	ds_read_b128 v[26:29], v106 offset:1664
	ds_read_b128 v[22:25], v106 offset:1792
	ds_read_b128 v[14:17], v106 offset:1920
	s_waitcnt vmcnt(2)
	ds_write2st64_b32 v107, v172, v84 offset1:4
	s_waitcnt vmcnt(0)
	ds_write2st64_b32 v108, v82, v83 offset1:4
	s_waitcnt lgkmcnt(0)
	s_barrier
	buffer_gl0_inv
	v_add_f32_e32 v85, v19, v79
	v_add_f32_e32 v86, v18, v78
	v_min3_f32 v148, v86, v85, v97
	v_add_f32_e32 v85, v11, v79
	v_add_f32_e32 v86, v10, v78
	v_min3_f32 v151, v86, v85, v96
	v_add_f32_e32 v85, v7, v79
	v_add_f32_e32 v86, v6, v78
	v_add_f32_e32 v79, v3, v79
	v_add_f32_e32 v78, v2, v78
	v_min3_f32 v153, v86, v85, v95
	v_min3_f32 v158, v78, v79, v94
	v_add_f32_e32 v78, v19, v75
	v_add_f32_e32 v79, v18, v74
	v_min3_f32 v140, v79, v78, v98
	v_add_f32_e32 v78, v11, v75
	v_add_f32_e32 v79, v10, v74
	v_min3_f32 v139, v79, v78, v99
	v_add_f32_e32 v78, v7, v75
	v_add_f32_e32 v79, v6, v74
	v_add_f32_e32 v75, v3, v75
	v_add_f32_e32 v74, v2, v74
	v_min3_f32 v137, v79, v78, v100
	v_min3_f32 v135, v74, v75, v101
	v_add_f32_e32 v74, v19, v71
	v_add_f32_e32 v75, v18, v70
	v_min3_f32 v125, v75, v74, v116
	v_add_f32_e32 v74, v11, v71
	v_add_f32_e32 v75, v10, v70
	v_min3_f32 v124, v75, v74, v118
	v_add_f32_e32 v74, v7, v71
	v_add_f32_e32 v75, v6, v70
	v_add_f32_e32 v71, v3, v71
	v_add_f32_e32 v70, v2, v70
	v_min3_f32 v123, v75, v74, v121
	v_min3_f32 v122, v70, v71, v122
	v_add_f32_e32 v70, v19, v67
	v_add_f32_e32 v71, v18, v66
	v_min3_f32 v101, v71, v70, v131
	v_add_f32_e32 v70, v11, v67
	v_add_f32_e32 v71, v10, v66
	v_min3_f32 v100, v71, v70, v133
	v_add_f32_e32 v70, v7, v67
	v_add_f32_e32 v71, v6, v66
	v_add_f32_e32 v67, v3, v67
	v_add_f32_e32 v66, v2, v66
	v_min3_f32 v99, v71, v70, v136
	v_min3_f32 v98, v66, v67, v138
	v_add_f32_e32 v66, v19, v63
	v_add_f32_e32 v67, v18, v62
	v_min3_f32 v97, v67, v66, v143
	v_add_f32_e32 v66, v11, v63
	v_add_f32_e32 v67, v10, v62
	v_min3_f32 v95, v67, v66, v145
	v_add_f32_e32 v66, v7, v63
	v_add_f32_e32 v67, v6, v62
	;; [unrolled: 1-line block ×4, first 2 shown]
	v_min3_f32 v89, v67, v66, v150
	v_add_f32_e32 v67, v6, v50
	v_min3_f32 v87, v62, v63, v155
	v_add_f32_e32 v62, v19, v59
	v_add_f32_e32 v63, v18, v58
	v_min3_f32 v85, v63, v62, v154
	v_add_f32_e32 v62, v11, v59
	;; [unrolled: 3-line block ×3, first 2 shown]
	v_add_f32_e32 v63, v6, v58
	v_add_f32_e32 v59, v3, v59
	;; [unrolled: 1-line block ×3, first 2 shown]
	v_min3_f32 v78, v63, v62, v159
	v_add_f32_e32 v63, v10, v50
	v_min3_f32 v74, v58, v59, v160
	v_add_f32_e32 v58, v19, v55
	v_add_f32_e32 v59, v18, v54
	v_min3_f32 v66, v59, v58, v163
	v_add_f32_e32 v58, v11, v55
	;; [unrolled: 3-line block ×3, first 2 shown]
	v_add_f32_e32 v59, v6, v54
	v_add_f32_e32 v55, v3, v55
	;; [unrolled: 1-line block ×3, first 2 shown]
	v_min3_f32 v59, v59, v58, v167
	v_min3_f32 v58, v54, v55, v168
	v_add_f32_e32 v54, v19, v51
	v_add_f32_e32 v55, v18, v50
	;; [unrolled: 1-line block ×3, first 2 shown]
	v_min3_f32 v55, v55, v54, v171
	v_add_f32_e32 v54, v11, v51
	v_min3_f32 v54, v63, v54, v177
	v_add_f32_e32 v63, v7, v51
	v_add_f32_e32 v51, v3, v51
	v_min3_f32 v121, v67, v63, v102
	v_min3_f32 v118, v50, v51, v103
	v_add_f32_e32 v50, v19, v47
	v_add_f32_e32 v51, v18, v46
	v_min3_f32 v116, v51, v50, v104
	v_add_f32_e32 v50, v11, v47
	v_add_f32_e32 v51, v10, v46
	;; [unrolled: 3-line block ×3, first 2 shown]
	v_add_f32_e32 v47, v3, v47
	v_add_f32_e32 v46, v2, v46
	v_add_f32_e32 v126, v6, v22
	v_min3_f32 v103, v51, v50, v127
	v_min3_f32 v102, v46, v47, v128
	v_add_f32_e32 v46, v19, v43
	v_add_f32_e32 v47, v18, v42
	v_min3_f32 v96, v47, v46, v129
	v_add_f32_e32 v46, v11, v43
	v_add_f32_e32 v47, v10, v42
	v_min3_f32 v94, v47, v46, v130
	v_add_f32_e32 v46, v7, v43
	v_add_f32_e32 v47, v6, v42
	v_add_f32_e32 v43, v3, v43
	v_add_f32_e32 v42, v2, v42
	v_min3_f32 v88, v47, v46, v132
	v_min3_f32 v86, v42, v43, v134
	v_add_f32_e32 v42, v19, v39
	v_add_f32_e32 v43, v18, v38
	v_min3_f32 v75, v43, v42, v141
	v_add_f32_e32 v42, v11, v39
	v_add_f32_e32 v43, v10, v38
	v_min3_f32 v71, v43, v42, v142
	v_add_f32_e32 v42, v7, v39
	v_add_f32_e32 v43, v6, v38
	v_add_f32_e32 v39, v3, v39
	v_add_f32_e32 v38, v2, v38
	v_min3_f32 v70, v43, v42, v144
	v_min3_f32 v67, v38, v39, v146
	v_add_f32_e32 v38, v19, v35
	v_add_f32_e32 v39, v18, v34
	v_min3_f32 v63, v39, v38, v147
	v_add_f32_e32 v38, v11, v35
	v_add_f32_e32 v39, v10, v34
	v_min3_f32 v51, v39, v38, v149
	v_add_f32_e32 v38, v7, v35
	v_add_f32_e32 v39, v6, v34
	v_add_f32_e32 v35, v3, v35
	v_add_f32_e32 v34, v2, v34
	v_min3_f32 v50, v39, v38, v152
	v_min3_f32 v47, v34, v35, v157
	v_add_f32_e32 v34, v19, v31
	v_add_f32_e32 v35, v18, v30
	v_min3_f32 v46, v35, v34, v161
	v_add_f32_e32 v34, v11, v31
	v_add_f32_e32 v35, v10, v30
	v_min3_f32 v43, v35, v34, v162
	v_add_f32_e32 v34, v7, v31
	v_add_f32_e32 v35, v6, v30
	v_add_f32_e32 v31, v3, v31
	v_add_f32_e32 v30, v2, v30
	v_min3_f32 v42, v35, v34, v164
	v_min3_f32 v39, v30, v31, v166
	v_add_f32_e32 v30, v19, v27
	v_add_f32_e32 v31, v18, v26
	v_min3_f32 v38, v31, v30, v169
	v_add_f32_e32 v30, v11, v27
	v_add_f32_e32 v31, v10, v26
	v_min3_f32 v35, v31, v30, v170
	v_add_f32_e32 v30, v7, v27
	v_add_f32_e32 v31, v6, v26
	v_add_f32_e32 v27, v3, v27
	;; [unrolled: 1-line block ×4, first 2 shown]
	v_min3_f32 v34, v31, v30, v176
	v_min3_f32 v31, v26, v27, v178
	v_add_f32_e32 v26, v19, v23
	v_add_f32_e32 v27, v18, v22
	;; [unrolled: 1-line block ×4, first 2 shown]
	v_min3_f32 v30, v27, v26, v179
	v_add_f32_e32 v26, v11, v23
	v_add_f32_e32 v27, v10, v22
	;; [unrolled: 1-line block ×4, first 2 shown]
	v_min3_f32 v18, v18, v19, v183
	v_add_f32_e32 v11, v11, v15
	v_min3_f32 v27, v27, v26, v180
	v_add_f32_e32 v26, v7, v23
	v_add_f32_e32 v23, v3, v23
	;; [unrolled: 1-line block ×5, first 2 shown]
	v_min3_f32 v26, v126, v26, v181
	v_min3_f32 v22, v22, v23, v182
	;; [unrolled: 1-line block ×4, first 2 shown]
	v_add_f32_e32 v3, v21, v81
	v_add_f32_e32 v7, v20, v80
	v_min3_f32 v10, v10, v11, v184
	v_min3_f32 v171, v7, v3, v148
	v_add_f32_e32 v3, v13, v81
	v_add_f32_e32 v7, v12, v80
	v_min3_f32 v168, v7, v3, v151
	v_add_f32_e32 v3, v9, v81
	v_add_f32_e32 v7, v8, v80
	;; [unrolled: 3-line block ×59, first 2 shown]
	v_add_f32_e32 v4, v4, v16
	v_min3_f32 v96, v7, v3, v22
	v_add_f32_e32 v3, v21, v17
	v_add_f32_e32 v7, v20, v16
	v_min3_f32 v97, v7, v3, v18
	v_add_f32_e32 v3, v13, v17
	;; [unrolled: 3-line block ×4, first 2 shown]
	v_min3_f32 v143, v4, v3, v2
	s_cbranch_scc0 .LBB61_9
.LBB61_10:
	s_load_dwordx2 s[8:9], s[4:5], 0x70
	ds_read_b128 v[16:19], v91 offset:2048
	ds_read_b128 v[76:79], v90 offset:6144
	s_clause 0x1
	s_load_dword s6, s[4:5], 0x68
	s_load_dword s4, s[4:5], 0x50
	v_add_nc_u32_e32 v88, s2, v1
	v_add_nc_u32_e32 v84, s3, v0
	v_ashrrev_i32_e32 v85, 31, v84
	v_add_nc_u32_e32 v0, 32, v84
	v_lshlrev_b64 v[82:83], 2, v[84:85]
	v_ashrrev_i32_e32 v1, 31, v0
	s_waitcnt lgkmcnt(0)
	s_mul_i32 s3, s9, s7
	v_mad_i64_i32 v[2:3], null, v88, s6, 0
	v_mad_i64_i32 v[4:5], null, v88, s4, 0
	v_add_f32_e32 v6, v17, v77
	v_add_f32_e32 v7, v16, v76
	s_mul_hi_u32 s5, s8, s7
	s_mul_i32 s2, s8, s7
	v_add_f32_e32 v8, v19, v79
	s_add_i32 s3, s5, s3
	v_add_f32_e32 v9, v18, v78
	v_min3_f32 v6, v7, v6, v171
	v_lshlrev_b64 v[2:3], 2, v[2:3]
	s_lshl_b64 s[2:3], s[2:3], 2
	v_lshlrev_b64 v[4:5], 2, v[4:5]
	s_add_u32 s2, s10, s2
	v_min3_f32 v6, v9, v8, v6
	s_addc_u32 s3, s11, s3
	v_add_co_u32 v89, vcc_lo, s2, v2
	v_add_co_ci_u32_e64 v92, null, s3, v3, vcc_lo
	v_add_co_u32 v93, vcc_lo, s12, v4
	v_add_co_ci_u32_e64 v105, null, s13, v5, vcc_lo
	v_max_f32_e32 v2, v6, v6
	s_mov_b32 s5, -1
	s_mov_b32 vcc_lo, s0
	s_cbranch_vccz .LBB61_12
; %bb.11:
	v_add_co_u32 v3, vcc_lo, v89, v82
	v_min_f32_e32 v5, 0, v2
	v_add_co_ci_u32_e64 v4, null, v92, v83, vcc_lo
	s_mov_b32 s5, 0
	global_store_dword v[3:4], v5, off
.LBB61_12:
	ds_read_b128 v[12:15], v91 offset:2560
	ds_read_b128 v[8:11], v91 offset:3072
	v_lshlrev_b64 v[80:81], 2, v[0:1]
	v_mov_b32_e32 v85, 0
	s_andn2_b32 vcc_lo, exec_lo, s5
	s_cbranch_vccnz .LBB61_14
; %bb.13:
	v_add_co_u32 v0, vcc_lo, v93, v82
	v_add_co_ci_u32_e64 v1, null, v105, v83, vcc_lo
	global_load_dword v0, v[0:1], off
	s_waitcnt vmcnt(0)
	v_mul_f32_e32 v3, s1, v0
	v_add_co_u32 v0, vcc_lo, v89, v82
	v_add_co_ci_u32_e64 v1, null, v92, v83, vcc_lo
	v_min_f32_e32 v4, v3, v2
	v_add_co_u32 v2, vcc_lo, v93, v80
	v_add_co_ci_u32_e64 v3, null, v105, v81, vcc_lo
	global_store_dword v[0:1], v4, off
	global_load_dword v0, v[2:3], off
	s_waitcnt vmcnt(0)
	v_mul_f32_e32 v85, s1, v0
.LBB61_14:
	ds_read_b128 v[0:3], v91 offset:3584
	ds_read_b128 v[72:75], v90 offset:6272
	;; [unrolled: 1-line block ×14, first 2 shown]
	s_waitcnt lgkmcnt(15)
	v_add_f32_e32 v86, v13, v77
	v_add_f32_e32 v87, v12, v76
	s_waitcnt lgkmcnt(14)
	v_add_f32_e32 v91, v9, v77
	v_add_f32_e32 v106, v8, v76
	;; [unrolled: 1-line block ×4, first 2 shown]
	ds_read_b128 v[20:23], v90 offset:7936
	ds_read_b128 v[4:7], v90 offset:8064
	v_min3_f32 v87, v87, v86, v168
	v_min3_f32 v106, v106, v91, v169
	v_add_nc_u32_e32 v90, 64, v84
	v_min_f32_e32 v91, v108, v107
	v_add_f32_e32 v107, v11, v79
	v_add_f32_e32 v108, v10, v78
	v_add_nc_u32_e32 v86, 0x60, v84
	v_add_co_u32 v84, vcc_lo, v89, v80
	v_min3_f32 v109, v85, v91, v87
	v_add_co_ci_u32_e64 v85, null, v92, v81, vcc_lo
	v_ashrrev_i32_e32 v91, 31, v90
	v_min3_f32 v106, v108, v107, v106
	v_ashrrev_i32_e32 v87, 31, v86
	global_store_dword v[84:85], v109, off
	s_mov_b32 s5, -1
	v_lshlrev_b64 v[84:85], 2, v[90:91]
	v_max_f32_e32 v90, v106, v106
	s_mov_b32 vcc_lo, s0
	s_cbranch_vccz .LBB61_16
; %bb.15:
	v_add_co_u32 v106, vcc_lo, v89, v84
	v_min_f32_e32 v91, 0, v90
	v_add_co_ci_u32_e64 v107, null, v92, v85, vcc_lo
	s_mov_b32 s5, 0
	global_store_dword v[106:107], v91, off
.LBB61_16:
	v_lshlrev_b64 v[86:87], 2, v[86:87]
	v_mov_b32_e32 v91, 0
	s_andn2_b32 vcc_lo, exec_lo, s5
	s_cbranch_vccnz .LBB61_18
; %bb.17:
	v_add_co_u32 v106, vcc_lo, v93, v84
	v_add_co_ci_u32_e64 v107, null, v105, v85, vcc_lo
	global_load_dword v91, v[106:107], off
	v_add_co_u32 v106, vcc_lo, v89, v84
	v_add_co_ci_u32_e64 v107, null, v92, v85, vcc_lo
	s_waitcnt vmcnt(0)
	v_mul_f32_e32 v91, s1, v91
	v_min_f32_e32 v108, v91, v90
	v_add_co_u32 v90, vcc_lo, v93, v86
	v_add_co_ci_u32_e64 v91, null, v105, v87, vcc_lo
	global_store_dword v[106:107], v108, off
	global_load_dword v90, v[90:91], off
	s_waitcnt vmcnt(0)
	v_mul_f32_e32 v91, s1, v90
.LBB61_18:
	s_waitcnt lgkmcnt(15)
	v_add_f32_e32 v77, v1, v77
	v_add_f32_e32 v76, v0, v76
	;; [unrolled: 1-line block ×4, first 2 shown]
	s_waitcnt lgkmcnt(14)
	v_add_f32_e32 v90, v17, v73
	v_add_f32_e32 v93, v16, v72
	v_min3_f32 v76, v76, v77, v163
	v_add_f32_e32 v105, v19, v75
	v_min_f32_e32 v77, v78, v79
	v_add_nc_u32_e32 v78, 8, v88
	v_min3_f32 v93, v93, v90, v170
	v_add_f32_e32 v106, v18, v74
	v_add_co_u32 v89, vcc_lo, v89, v86
	v_min3_f32 v91, v91, v77, v76
	v_mad_i64_i32 v[76:77], null, v78, s6, 0
	v_mad_i64_i32 v[78:79], null, v78, s4, 0
	v_add_co_ci_u32_e64 v90, null, v92, v87, vcc_lo
	v_min3_f32 v92, v106, v105, v93
	s_mov_b32 s5, -1
	v_lshlrev_b64 v[76:77], 2, v[76:77]
	global_store_dword v[89:90], v91, off
	v_lshlrev_b64 v[78:79], 2, v[78:79]
	v_max_f32_e32 v89, v92, v92
	v_add_co_u32 v76, vcc_lo, s2, v76
	v_add_co_ci_u32_e64 v77, null, s3, v77, vcc_lo
	v_add_co_u32 v78, vcc_lo, s12, v78
	v_add_co_ci_u32_e64 v79, null, s13, v79, vcc_lo
	s_mov_b32 vcc_lo, s0
	s_cbranch_vccz .LBB61_20
; %bb.19:
	v_add_co_u32 v90, vcc_lo, v76, v82
	v_min_f32_e32 v92, 0, v89
	v_add_co_ci_u32_e64 v91, null, v77, v83, vcc_lo
	s_mov_b32 s5, 0
	global_store_dword v[90:91], v92, off
.LBB61_20:
	v_mov_b32_e32 v90, 0
	s_andn2_b32 vcc_lo, exec_lo, s5
	s_cbranch_vccnz .LBB61_22
; %bb.21:
	v_add_co_u32 v90, vcc_lo, v78, v82
	v_add_co_ci_u32_e64 v91, null, v79, v83, vcc_lo
	global_load_dword v90, v[90:91], off
	s_waitcnt vmcnt(0)
	v_mul_f32_e32 v92, s1, v90
	v_add_co_u32 v90, vcc_lo, v76, v82
	v_add_co_ci_u32_e64 v91, null, v77, v83, vcc_lo
	v_min_f32_e32 v89, v92, v89
	v_add_co_u32 v92, vcc_lo, v78, v80
	v_add_co_ci_u32_e64 v93, null, v79, v81, vcc_lo
	global_store_dword v[90:91], v89, off
	global_load_dword v89, v[92:93], off
	s_waitcnt vmcnt(0)
	v_mul_f32_e32 v90, s1, v89
.LBB61_22:
	v_add_f32_e32 v89, v13, v73
	v_add_f32_e32 v91, v12, v72
	;; [unrolled: 1-line block ×6, first 2 shown]
	v_min3_f32 v89, v91, v89, v165
	s_mov_b32 s5, -1
	v_min_f32_e32 v91, v93, v92
	v_add_f32_e32 v93, v11, v75
	v_min3_f32 v92, v106, v105, v166
	v_add_f32_e32 v105, v10, v74
	v_min3_f32 v91, v90, v91, v89
	v_add_co_u32 v89, vcc_lo, v76, v80
	v_add_co_ci_u32_e64 v90, null, v77, v81, vcc_lo
	v_min3_f32 v92, v105, v93, v92
	s_mov_b32 vcc_lo, s0
	global_store_dword v[89:90], v91, off
	v_max_f32_e32 v89, v92, v92
	s_cbranch_vccz .LBB61_24
; %bb.23:
	v_add_co_u32 v90, vcc_lo, v76, v84
	v_min_f32_e32 v92, 0, v89
	v_add_co_ci_u32_e64 v91, null, v77, v85, vcc_lo
	s_mov_b32 s5, 0
	global_store_dword v[90:91], v92, off
.LBB61_24:
	v_mov_b32_e32 v90, 0
	s_andn2_b32 vcc_lo, exec_lo, s5
	s_cbranch_vccnz .LBB61_26
; %bb.25:
	v_add_co_u32 v90, vcc_lo, v78, v84
	v_add_co_ci_u32_e64 v91, null, v79, v85, vcc_lo
	global_load_dword v90, v[90:91], off
	s_waitcnt vmcnt(0)
	v_mul_f32_e32 v92, s1, v90
	v_add_co_u32 v90, vcc_lo, v76, v84
	v_add_co_ci_u32_e64 v91, null, v77, v85, vcc_lo
	v_add_co_u32 v78, vcc_lo, v78, v86
	v_min_f32_e32 v89, v92, v89
	v_add_co_ci_u32_e64 v79, null, v79, v87, vcc_lo
	global_store_dword v[90:91], v89, off
	global_load_dword v78, v[78:79], off
	s_waitcnt vmcnt(0)
	v_mul_f32_e32 v90, s1, v78
.LBB61_26:
	v_add_f32_e32 v73, v1, v73
	v_add_f32_e32 v72, v0, v72
	;; [unrolled: 1-line block ×4, first 2 shown]
	s_waitcnt lgkmcnt(13)
	v_add_f32_e32 v78, v17, v69
	v_add_f32_e32 v79, v16, v68
	v_min3_f32 v72, v72, v73, v160
	v_add_f32_e32 v89, v18, v70
	v_min_f32_e32 v73, v74, v75
	v_add_nc_u32_e32 v74, 16, v88
	v_min3_f32 v78, v79, v78, v167
	v_add_f32_e32 v79, v19, v71
	v_add_co_u32 v76, vcc_lo, v76, v86
	v_min3_f32 v90, v90, v73, v72
	v_mad_i64_i32 v[72:73], null, v74, s6, 0
	v_mad_i64_i32 v[74:75], null, v74, s4, 0
	v_add_co_ci_u32_e64 v77, null, v77, v87, vcc_lo
	v_min3_f32 v78, v89, v79, v78
	s_mov_b32 s5, -1
	v_lshlrev_b64 v[72:73], 2, v[72:73]
	global_store_dword v[76:77], v90, off
	v_lshlrev_b64 v[74:75], 2, v[74:75]
	v_max_f32_e32 v76, v78, v78
	v_add_co_u32 v72, vcc_lo, s2, v72
	v_add_co_ci_u32_e64 v73, null, s3, v73, vcc_lo
	v_add_co_u32 v74, vcc_lo, s12, v74
	v_add_co_ci_u32_e64 v75, null, s13, v75, vcc_lo
	s_mov_b32 vcc_lo, s0
	s_cbranch_vccz .LBB61_28
; %bb.27:
	v_add_co_u32 v77, vcc_lo, v72, v82
	v_min_f32_e32 v79, 0, v76
	v_add_co_ci_u32_e64 v78, null, v73, v83, vcc_lo
	s_mov_b32 s5, 0
	global_store_dword v[77:78], v79, off
.LBB61_28:
	v_mov_b32_e32 v77, 0
	s_andn2_b32 vcc_lo, exec_lo, s5
	s_cbranch_vccnz .LBB61_30
; %bb.29:
	v_add_co_u32 v77, vcc_lo, v74, v82
	v_add_co_ci_u32_e64 v78, null, v75, v83, vcc_lo
	global_load_dword v77, v[77:78], off
	s_waitcnt vmcnt(0)
	v_mul_f32_e32 v79, s1, v77
	v_add_co_u32 v77, vcc_lo, v72, v82
	v_add_co_ci_u32_e64 v78, null, v73, v83, vcc_lo
	v_add_co_u32 v89, vcc_lo, v74, v80
	v_min_f32_e32 v76, v79, v76
	v_add_co_ci_u32_e64 v90, null, v75, v81, vcc_lo
	global_store_dword v[77:78], v76, off
	global_load_dword v76, v[89:90], off
	s_waitcnt vmcnt(0)
	v_mul_f32_e32 v77, s1, v76
.LBB61_30:
	v_add_f32_e32 v76, v13, v69
	v_add_f32_e32 v78, v12, v68
	;; [unrolled: 1-line block ×6, first 2 shown]
	v_min3_f32 v76, v78, v76, v161
	s_mov_b32 s5, -1
	v_min_f32_e32 v78, v89, v79
	v_add_f32_e32 v89, v11, v71
	v_min3_f32 v79, v91, v90, v162
	v_add_f32_e32 v90, v10, v70
	v_min3_f32 v78, v77, v78, v76
	v_add_co_u32 v76, vcc_lo, v72, v80
	v_add_co_ci_u32_e64 v77, null, v73, v81, vcc_lo
	v_min3_f32 v79, v90, v89, v79
	s_mov_b32 vcc_lo, s0
	global_store_dword v[76:77], v78, off
	v_max_f32_e32 v76, v79, v79
	s_cbranch_vccz .LBB61_32
; %bb.31:
	v_add_co_u32 v77, vcc_lo, v72, v84
	v_min_f32_e32 v79, 0, v76
	v_add_co_ci_u32_e64 v78, null, v73, v85, vcc_lo
	s_mov_b32 s5, 0
	global_store_dword v[77:78], v79, off
.LBB61_32:
	v_mov_b32_e32 v77, 0
	s_andn2_b32 vcc_lo, exec_lo, s5
	s_cbranch_vccnz .LBB61_34
; %bb.33:
	v_add_co_u32 v77, vcc_lo, v74, v84
	v_add_co_ci_u32_e64 v78, null, v75, v85, vcc_lo
	global_load_dword v77, v[77:78], off
	s_waitcnt vmcnt(0)
	v_mul_f32_e32 v79, s1, v77
	v_add_co_u32 v77, vcc_lo, v72, v84
	v_add_co_ci_u32_e64 v78, null, v73, v85, vcc_lo
	v_add_co_u32 v74, vcc_lo, v74, v86
	v_min_f32_e32 v76, v79, v76
	v_add_co_ci_u32_e64 v75, null, v75, v87, vcc_lo
	global_store_dword v[77:78], v76, off
	global_load_dword v74, v[74:75], off
	s_waitcnt vmcnt(0)
	v_mul_f32_e32 v77, s1, v74
.LBB61_34:
	v_add_f32_e32 v69, v1, v69
	v_add_f32_e32 v68, v0, v68
	;; [unrolled: 1-line block ×4, first 2 shown]
	s_waitcnt lgkmcnt(12)
	v_add_f32_e32 v74, v17, v65
	v_add_f32_e32 v75, v16, v64
	v_min3_f32 v68, v68, v69, v156
	v_add_f32_e32 v76, v18, v66
	v_min_f32_e32 v69, v70, v71
	v_add_nc_u32_e32 v70, 24, v88
	v_min3_f32 v74, v75, v74, v164
	v_add_f32_e32 v75, v19, v67
	v_add_co_u32 v72, vcc_lo, v72, v86
	v_min3_f32 v77, v77, v69, v68
	v_mad_i64_i32 v[68:69], null, v70, s6, 0
	v_mad_i64_i32 v[70:71], null, v70, s4, 0
	v_add_co_ci_u32_e64 v73, null, v73, v87, vcc_lo
	v_min3_f32 v74, v76, v75, v74
	s_mov_b32 s5, -1
	v_lshlrev_b64 v[68:69], 2, v[68:69]
	global_store_dword v[72:73], v77, off
	v_lshlrev_b64 v[70:71], 2, v[70:71]
	v_max_f32_e32 v72, v74, v74
	v_add_co_u32 v68, vcc_lo, s2, v68
	v_add_co_ci_u32_e64 v69, null, s3, v69, vcc_lo
	v_add_co_u32 v70, vcc_lo, s12, v70
	v_add_co_ci_u32_e64 v71, null, s13, v71, vcc_lo
	s_mov_b32 vcc_lo, s0
	s_cbranch_vccz .LBB61_36
; %bb.35:
	v_add_co_u32 v73, vcc_lo, v68, v82
	v_min_f32_e32 v75, 0, v72
	v_add_co_ci_u32_e64 v74, null, v69, v83, vcc_lo
	s_mov_b32 s5, 0
	global_store_dword v[73:74], v75, off
.LBB61_36:
	v_mov_b32_e32 v73, 0
	s_andn2_b32 vcc_lo, exec_lo, s5
	s_cbranch_vccnz .LBB61_38
; %bb.37:
	v_add_co_u32 v73, vcc_lo, v70, v82
	v_add_co_ci_u32_e64 v74, null, v71, v83, vcc_lo
	global_load_dword v73, v[73:74], off
	s_waitcnt vmcnt(0)
	v_mul_f32_e32 v75, s1, v73
	v_add_co_u32 v73, vcc_lo, v68, v82
	v_add_co_ci_u32_e64 v74, null, v69, v83, vcc_lo
	v_min_f32_e32 v72, v75, v72
	v_add_co_u32 v75, vcc_lo, v70, v80
	v_add_co_ci_u32_e64 v76, null, v71, v81, vcc_lo
	global_store_dword v[73:74], v72, off
	global_load_dword v72, v[75:76], off
	s_waitcnt vmcnt(0)
	v_mul_f32_e32 v73, s1, v72
.LBB61_38:
	v_add_f32_e32 v72, v13, v65
	v_add_f32_e32 v74, v12, v64
	;; [unrolled: 1-line block ×6, first 2 shown]
	v_min3_f32 v72, v74, v72, v157
	s_mov_b32 s5, -1
	v_min_f32_e32 v74, v76, v75
	v_add_f32_e32 v76, v11, v67
	v_min3_f32 v75, v78, v77, v158
	v_add_f32_e32 v77, v10, v66
	v_min3_f32 v74, v73, v74, v72
	v_add_co_u32 v72, vcc_lo, v68, v80
	v_add_co_ci_u32_e64 v73, null, v69, v81, vcc_lo
	v_min3_f32 v75, v77, v76, v75
	s_mov_b32 vcc_lo, s0
	global_store_dword v[72:73], v74, off
	v_max_f32_e32 v72, v75, v75
	s_cbranch_vccz .LBB61_40
; %bb.39:
	v_add_co_u32 v73, vcc_lo, v68, v84
	v_min_f32_e32 v75, 0, v72
	v_add_co_ci_u32_e64 v74, null, v69, v85, vcc_lo
	s_mov_b32 s5, 0
	global_store_dword v[73:74], v75, off
.LBB61_40:
	v_mov_b32_e32 v73, 0
	s_andn2_b32 vcc_lo, exec_lo, s5
	s_cbranch_vccnz .LBB61_42
; %bb.41:
	v_add_co_u32 v73, vcc_lo, v70, v84
	v_add_co_ci_u32_e64 v74, null, v71, v85, vcc_lo
	global_load_dword v73, v[73:74], off
	s_waitcnt vmcnt(0)
	v_mul_f32_e32 v75, s1, v73
	v_add_co_u32 v73, vcc_lo, v68, v84
	v_add_co_ci_u32_e64 v74, null, v69, v85, vcc_lo
	v_add_co_u32 v70, vcc_lo, v70, v86
	v_min_f32_e32 v72, v75, v72
	v_add_co_ci_u32_e64 v71, null, v71, v87, vcc_lo
	global_store_dword v[73:74], v72, off
	global_load_dword v70, v[70:71], off
	s_waitcnt vmcnt(0)
	v_mul_f32_e32 v73, s1, v70
.LBB61_42:
	v_add_f32_e32 v65, v1, v65
	v_add_f32_e32 v64, v0, v64
	;; [unrolled: 1-line block ×4, first 2 shown]
	s_waitcnt lgkmcnt(11)
	v_add_f32_e32 v70, v17, v61
	v_add_f32_e32 v71, v16, v60
	v_min3_f32 v64, v64, v65, v155
	v_add_f32_e32 v72, v18, v62
	v_min_f32_e32 v65, v66, v67
	v_add_nc_u32_e32 v66, 32, v88
	v_min3_f32 v70, v71, v70, v159
	v_add_f32_e32 v71, v19, v63
	v_add_co_u32 v68, vcc_lo, v68, v86
	v_min3_f32 v73, v73, v65, v64
	v_mad_i64_i32 v[64:65], null, v66, s6, 0
	v_mad_i64_i32 v[66:67], null, v66, s4, 0
	v_add_co_ci_u32_e64 v69, null, v69, v87, vcc_lo
	v_min3_f32 v70, v72, v71, v70
	s_mov_b32 s5, -1
	v_lshlrev_b64 v[64:65], 2, v[64:65]
	global_store_dword v[68:69], v73, off
	v_lshlrev_b64 v[66:67], 2, v[66:67]
	v_max_f32_e32 v68, v70, v70
	v_add_co_u32 v64, vcc_lo, s2, v64
	v_add_co_ci_u32_e64 v65, null, s3, v65, vcc_lo
	v_add_co_u32 v66, vcc_lo, s12, v66
	v_add_co_ci_u32_e64 v67, null, s13, v67, vcc_lo
	s_mov_b32 vcc_lo, s0
	s_cbranch_vccz .LBB61_44
; %bb.43:
	v_add_co_u32 v69, vcc_lo, v64, v82
	v_min_f32_e32 v71, 0, v68
	v_add_co_ci_u32_e64 v70, null, v65, v83, vcc_lo
	s_mov_b32 s5, 0
	global_store_dword v[69:70], v71, off
.LBB61_44:
	v_mov_b32_e32 v69, 0
	s_andn2_b32 vcc_lo, exec_lo, s5
	s_cbranch_vccnz .LBB61_46
; %bb.45:
	v_add_co_u32 v69, vcc_lo, v66, v82
	v_add_co_ci_u32_e64 v70, null, v67, v83, vcc_lo
	global_load_dword v69, v[69:70], off
	s_waitcnt vmcnt(0)
	v_mul_f32_e32 v71, s1, v69
	v_add_co_u32 v69, vcc_lo, v64, v82
	v_add_co_ci_u32_e64 v70, null, v65, v83, vcc_lo
	v_min_f32_e32 v68, v71, v68
	v_add_co_u32 v71, vcc_lo, v66, v80
	v_add_co_ci_u32_e64 v72, null, v67, v81, vcc_lo
	global_store_dword v[69:70], v68, off
	global_load_dword v68, v[71:72], off
	s_waitcnt vmcnt(0)
	v_mul_f32_e32 v69, s1, v68
.LBB61_46:
	v_add_f32_e32 v68, v13, v61
	v_add_f32_e32 v70, v12, v60
	;; [unrolled: 1-line block ×6, first 2 shown]
	v_min3_f32 v68, v70, v68, v153
	s_mov_b32 s5, -1
	v_min_f32_e32 v70, v72, v71
	v_add_f32_e32 v72, v11, v63
	v_min3_f32 v71, v74, v73, v154
	v_add_f32_e32 v73, v10, v62
	v_min3_f32 v70, v69, v70, v68
	v_add_co_u32 v68, vcc_lo, v64, v80
	v_add_co_ci_u32_e64 v69, null, v65, v81, vcc_lo
	v_min3_f32 v71, v73, v72, v71
	s_mov_b32 vcc_lo, s0
	global_store_dword v[68:69], v70, off
	v_max_f32_e32 v68, v71, v71
	s_cbranch_vccz .LBB61_48
; %bb.47:
	v_add_co_u32 v69, vcc_lo, v64, v84
	v_min_f32_e32 v71, 0, v68
	v_add_co_ci_u32_e64 v70, null, v65, v85, vcc_lo
	s_mov_b32 s5, 0
	global_store_dword v[69:70], v71, off
.LBB61_48:
	v_mov_b32_e32 v69, 0
	s_andn2_b32 vcc_lo, exec_lo, s5
	s_cbranch_vccnz .LBB61_50
; %bb.49:
	v_add_co_u32 v69, vcc_lo, v66, v84
	v_add_co_ci_u32_e64 v70, null, v67, v85, vcc_lo
	global_load_dword v69, v[69:70], off
	s_waitcnt vmcnt(0)
	v_mul_f32_e32 v71, s1, v69
	v_add_co_u32 v69, vcc_lo, v64, v84
	v_add_co_ci_u32_e64 v70, null, v65, v85, vcc_lo
	v_add_co_u32 v66, vcc_lo, v66, v86
	v_min_f32_e32 v68, v71, v68
	v_add_co_ci_u32_e64 v67, null, v67, v87, vcc_lo
	global_store_dword v[69:70], v68, off
	global_load_dword v66, v[66:67], off
	s_waitcnt vmcnt(0)
	v_mul_f32_e32 v69, s1, v66
.LBB61_50:
	v_add_f32_e32 v61, v1, v61
	v_add_f32_e32 v60, v0, v60
	;; [unrolled: 1-line block ×4, first 2 shown]
	s_waitcnt lgkmcnt(10)
	v_add_f32_e32 v66, v17, v57
	v_add_f32_e32 v67, v16, v56
	v_min3_f32 v60, v60, v61, v151
	v_add_f32_e32 v68, v18, v58
	v_min_f32_e32 v61, v62, v63
	v_add_nc_u32_e32 v62, 40, v88
	v_min3_f32 v66, v67, v66, v152
	v_add_f32_e32 v67, v19, v59
	v_add_co_u32 v64, vcc_lo, v64, v86
	v_min3_f32 v69, v69, v61, v60
	v_mad_i64_i32 v[60:61], null, v62, s6, 0
	v_mad_i64_i32 v[62:63], null, v62, s4, 0
	v_add_co_ci_u32_e64 v65, null, v65, v87, vcc_lo
	v_min3_f32 v66, v68, v67, v66
	s_mov_b32 s5, -1
	v_lshlrev_b64 v[60:61], 2, v[60:61]
	global_store_dword v[64:65], v69, off
	v_lshlrev_b64 v[62:63], 2, v[62:63]
	v_max_f32_e32 v64, v66, v66
	v_add_co_u32 v60, vcc_lo, s2, v60
	v_add_co_ci_u32_e64 v61, null, s3, v61, vcc_lo
	v_add_co_u32 v62, vcc_lo, s12, v62
	v_add_co_ci_u32_e64 v63, null, s13, v63, vcc_lo
	s_mov_b32 vcc_lo, s0
	s_cbranch_vccz .LBB61_52
; %bb.51:
	v_add_co_u32 v65, vcc_lo, v60, v82
	v_min_f32_e32 v67, 0, v64
	v_add_co_ci_u32_e64 v66, null, v61, v83, vcc_lo
	s_mov_b32 s5, 0
	global_store_dword v[65:66], v67, off
.LBB61_52:
	v_mov_b32_e32 v65, 0
	s_andn2_b32 vcc_lo, exec_lo, s5
	s_cbranch_vccnz .LBB61_54
; %bb.53:
	v_add_co_u32 v65, vcc_lo, v62, v82
	v_add_co_ci_u32_e64 v66, null, v63, v83, vcc_lo
	global_load_dword v65, v[65:66], off
	s_waitcnt vmcnt(0)
	v_mul_f32_e32 v67, s1, v65
	v_add_co_u32 v65, vcc_lo, v60, v82
	v_add_co_ci_u32_e64 v66, null, v61, v83, vcc_lo
	v_min_f32_e32 v64, v67, v64
	v_add_co_u32 v67, vcc_lo, v62, v80
	v_add_co_ci_u32_e64 v68, null, v63, v81, vcc_lo
	global_store_dword v[65:66], v64, off
	global_load_dword v64, v[67:68], off
	s_waitcnt vmcnt(0)
	v_mul_f32_e32 v65, s1, v64
.LBB61_54:
	v_add_f32_e32 v64, v13, v57
	v_add_f32_e32 v66, v12, v56
	;; [unrolled: 1-line block ×6, first 2 shown]
	v_min3_f32 v64, v66, v64, v148
	s_mov_b32 s5, -1
	v_min_f32_e32 v66, v68, v67
	v_add_f32_e32 v68, v11, v59
	v_min3_f32 v67, v70, v69, v149
	v_add_f32_e32 v69, v10, v58
	v_min3_f32 v66, v65, v66, v64
	v_add_co_u32 v64, vcc_lo, v60, v80
	v_add_co_ci_u32_e64 v65, null, v61, v81, vcc_lo
	v_min3_f32 v67, v69, v68, v67
	s_mov_b32 vcc_lo, s0
	global_store_dword v[64:65], v66, off
	v_max_f32_e32 v64, v67, v67
	s_cbranch_vccz .LBB61_56
; %bb.55:
	v_add_co_u32 v65, vcc_lo, v60, v84
	v_min_f32_e32 v67, 0, v64
	v_add_co_ci_u32_e64 v66, null, v61, v85, vcc_lo
	s_mov_b32 s5, 0
	global_store_dword v[65:66], v67, off
.LBB61_56:
	v_mov_b32_e32 v65, 0
	s_andn2_b32 vcc_lo, exec_lo, s5
	s_cbranch_vccnz .LBB61_58
; %bb.57:
	v_add_co_u32 v65, vcc_lo, v62, v84
	v_add_co_ci_u32_e64 v66, null, v63, v85, vcc_lo
	global_load_dword v65, v[65:66], off
	s_waitcnt vmcnt(0)
	v_mul_f32_e32 v67, s1, v65
	v_add_co_u32 v65, vcc_lo, v60, v84
	v_add_co_ci_u32_e64 v66, null, v61, v85, vcc_lo
	v_add_co_u32 v62, vcc_lo, v62, v86
	v_min_f32_e32 v64, v67, v64
	v_add_co_ci_u32_e64 v63, null, v63, v87, vcc_lo
	global_store_dword v[65:66], v64, off
	global_load_dword v62, v[62:63], off
	s_waitcnt vmcnt(0)
	v_mul_f32_e32 v65, s1, v62
.LBB61_58:
	v_add_f32_e32 v57, v1, v57
	v_add_f32_e32 v56, v0, v56
	;; [unrolled: 1-line block ×4, first 2 shown]
	s_waitcnt lgkmcnt(9)
	v_add_f32_e32 v62, v17, v53
	v_add_f32_e32 v63, v16, v52
	v_min3_f32 v56, v56, v57, v147
	v_add_f32_e32 v64, v18, v54
	v_min_f32_e32 v57, v58, v59
	v_add_nc_u32_e32 v58, 48, v88
	v_min3_f32 v62, v63, v62, v150
	v_add_f32_e32 v63, v19, v55
	v_add_co_u32 v60, vcc_lo, v60, v86
	v_min3_f32 v65, v65, v57, v56
	v_mad_i64_i32 v[56:57], null, v58, s6, 0
	v_mad_i64_i32 v[58:59], null, v58, s4, 0
	v_add_co_ci_u32_e64 v61, null, v61, v87, vcc_lo
	v_min3_f32 v62, v64, v63, v62
	s_mov_b32 s5, -1
	v_lshlrev_b64 v[56:57], 2, v[56:57]
	global_store_dword v[60:61], v65, off
	v_lshlrev_b64 v[58:59], 2, v[58:59]
	v_max_f32_e32 v60, v62, v62
	v_add_co_u32 v56, vcc_lo, s2, v56
	v_add_co_ci_u32_e64 v57, null, s3, v57, vcc_lo
	v_add_co_u32 v58, vcc_lo, s12, v58
	v_add_co_ci_u32_e64 v59, null, s13, v59, vcc_lo
	s_mov_b32 vcc_lo, s0
	s_cbranch_vccz .LBB61_60
; %bb.59:
	v_add_co_u32 v61, vcc_lo, v56, v82
	v_min_f32_e32 v63, 0, v60
	v_add_co_ci_u32_e64 v62, null, v57, v83, vcc_lo
	s_mov_b32 s5, 0
	global_store_dword v[61:62], v63, off
.LBB61_60:
	v_mov_b32_e32 v61, 0
	s_andn2_b32 vcc_lo, exec_lo, s5
	s_cbranch_vccnz .LBB61_62
; %bb.61:
	v_add_co_u32 v61, vcc_lo, v58, v82
	v_add_co_ci_u32_e64 v62, null, v59, v83, vcc_lo
	global_load_dword v61, v[61:62], off
	s_waitcnt vmcnt(0)
	v_mul_f32_e32 v63, s1, v61
	v_add_co_u32 v61, vcc_lo, v56, v82
	v_add_co_ci_u32_e64 v62, null, v57, v83, vcc_lo
	v_min_f32_e32 v60, v63, v60
	v_add_co_u32 v63, vcc_lo, v58, v80
	v_add_co_ci_u32_e64 v64, null, v59, v81, vcc_lo
	global_store_dword v[61:62], v60, off
	global_load_dword v60, v[63:64], off
	s_waitcnt vmcnt(0)
	v_mul_f32_e32 v61, s1, v60
.LBB61_62:
	v_add_f32_e32 v60, v13, v53
	v_add_f32_e32 v62, v12, v52
	;; [unrolled: 1-line block ×6, first 2 shown]
	v_min3_f32 v60, v62, v60, v144
	s_mov_b32 s5, -1
	v_min_f32_e32 v62, v64, v63
	v_add_f32_e32 v64, v11, v55
	v_min3_f32 v63, v66, v65, v146
	v_add_f32_e32 v65, v10, v54
	v_min3_f32 v62, v61, v62, v60
	v_add_co_u32 v60, vcc_lo, v56, v80
	v_add_co_ci_u32_e64 v61, null, v57, v81, vcc_lo
	v_min3_f32 v63, v65, v64, v63
	s_mov_b32 vcc_lo, s0
	global_store_dword v[60:61], v62, off
	v_max_f32_e32 v60, v63, v63
	s_cbranch_vccz .LBB61_64
; %bb.63:
	v_add_co_u32 v61, vcc_lo, v56, v84
	v_min_f32_e32 v63, 0, v60
	v_add_co_ci_u32_e64 v62, null, v57, v85, vcc_lo
	s_mov_b32 s5, 0
	global_store_dword v[61:62], v63, off
.LBB61_64:
	v_mov_b32_e32 v61, 0
	s_andn2_b32 vcc_lo, exec_lo, s5
	s_cbranch_vccnz .LBB61_66
; %bb.65:
	v_add_co_u32 v61, vcc_lo, v58, v84
	v_add_co_ci_u32_e64 v62, null, v59, v85, vcc_lo
	global_load_dword v61, v[61:62], off
	s_waitcnt vmcnt(0)
	v_mul_f32_e32 v63, s1, v61
	v_add_co_u32 v61, vcc_lo, v56, v84
	v_add_co_ci_u32_e64 v62, null, v57, v85, vcc_lo
	v_add_co_u32 v58, vcc_lo, v58, v86
	v_min_f32_e32 v60, v63, v60
	v_add_co_ci_u32_e64 v59, null, v59, v87, vcc_lo
	global_store_dword v[61:62], v60, off
	global_load_dword v58, v[58:59], off
	s_waitcnt vmcnt(0)
	v_mul_f32_e32 v61, s1, v58
.LBB61_66:
	v_add_f32_e32 v53, v1, v53
	v_add_f32_e32 v52, v0, v52
	;; [unrolled: 1-line block ×4, first 2 shown]
	s_waitcnt lgkmcnt(8)
	v_add_f32_e32 v58, v17, v49
	v_add_f32_e32 v59, v16, v48
	v_min3_f32 v52, v52, v53, v142
	v_add_f32_e32 v60, v18, v50
	v_min_f32_e32 v53, v54, v55
	v_add_nc_u32_e32 v54, 56, v88
	v_min3_f32 v58, v59, v58, v145
	v_add_f32_e32 v59, v19, v51
	v_add_co_u32 v56, vcc_lo, v56, v86
	v_min3_f32 v61, v61, v53, v52
	v_mad_i64_i32 v[52:53], null, v54, s6, 0
	v_mad_i64_i32 v[54:55], null, v54, s4, 0
	v_add_co_ci_u32_e64 v57, null, v57, v87, vcc_lo
	v_min3_f32 v58, v60, v59, v58
	s_mov_b32 s5, -1
	v_lshlrev_b64 v[52:53], 2, v[52:53]
	global_store_dword v[56:57], v61, off
	v_lshlrev_b64 v[54:55], 2, v[54:55]
	v_max_f32_e32 v56, v58, v58
	v_add_co_u32 v52, vcc_lo, s2, v52
	v_add_co_ci_u32_e64 v53, null, s3, v53, vcc_lo
	v_add_co_u32 v54, vcc_lo, s12, v54
	v_add_co_ci_u32_e64 v55, null, s13, v55, vcc_lo
	s_mov_b32 vcc_lo, s0
	s_cbranch_vccz .LBB61_68
; %bb.67:
	v_add_co_u32 v57, vcc_lo, v52, v82
	v_min_f32_e32 v59, 0, v56
	v_add_co_ci_u32_e64 v58, null, v53, v83, vcc_lo
	s_mov_b32 s5, 0
	global_store_dword v[57:58], v59, off
.LBB61_68:
	v_mov_b32_e32 v57, 0
	s_andn2_b32 vcc_lo, exec_lo, s5
	s_cbranch_vccnz .LBB61_70
; %bb.69:
	v_add_co_u32 v57, vcc_lo, v54, v82
	v_add_co_ci_u32_e64 v58, null, v55, v83, vcc_lo
	global_load_dword v57, v[57:58], off
	s_waitcnt vmcnt(0)
	v_mul_f32_e32 v59, s1, v57
	v_add_co_u32 v57, vcc_lo, v52, v82
	v_add_co_ci_u32_e64 v58, null, v53, v83, vcc_lo
	v_min_f32_e32 v56, v59, v56
	v_add_co_u32 v59, vcc_lo, v54, v80
	v_add_co_ci_u32_e64 v60, null, v55, v81, vcc_lo
	global_store_dword v[57:58], v56, off
	global_load_dword v56, v[59:60], off
	s_waitcnt vmcnt(0)
	v_mul_f32_e32 v57, s1, v56
.LBB61_70:
	v_add_f32_e32 v56, v13, v49
	v_add_f32_e32 v58, v12, v48
	;; [unrolled: 1-line block ×6, first 2 shown]
	v_min3_f32 v56, v58, v56, v139
	s_mov_b32 s5, -1
	v_min_f32_e32 v58, v60, v59
	v_add_f32_e32 v60, v11, v51
	v_min3_f32 v59, v62, v61, v141
	v_add_f32_e32 v61, v10, v50
	v_min3_f32 v58, v57, v58, v56
	v_add_co_u32 v56, vcc_lo, v52, v80
	v_add_co_ci_u32_e64 v57, null, v53, v81, vcc_lo
	v_min3_f32 v59, v61, v60, v59
	s_mov_b32 vcc_lo, s0
	global_store_dword v[56:57], v58, off
	v_max_f32_e32 v56, v59, v59
	s_cbranch_vccz .LBB61_72
; %bb.71:
	v_add_co_u32 v57, vcc_lo, v52, v84
	v_min_f32_e32 v59, 0, v56
	v_add_co_ci_u32_e64 v58, null, v53, v85, vcc_lo
	s_mov_b32 s5, 0
	global_store_dword v[57:58], v59, off
.LBB61_72:
	v_mov_b32_e32 v57, 0
	s_andn2_b32 vcc_lo, exec_lo, s5
	s_cbranch_vccnz .LBB61_74
; %bb.73:
	v_add_co_u32 v57, vcc_lo, v54, v84
	v_add_co_ci_u32_e64 v58, null, v55, v85, vcc_lo
	global_load_dword v57, v[57:58], off
	s_waitcnt vmcnt(0)
	v_mul_f32_e32 v59, s1, v57
	v_add_co_u32 v57, vcc_lo, v52, v84
	v_add_co_ci_u32_e64 v58, null, v53, v85, vcc_lo
	v_add_co_u32 v54, vcc_lo, v54, v86
	v_min_f32_e32 v56, v59, v56
	v_add_co_ci_u32_e64 v55, null, v55, v87, vcc_lo
	global_store_dword v[57:58], v56, off
	global_load_dword v54, v[54:55], off
	s_waitcnt vmcnt(0)
	v_mul_f32_e32 v57, s1, v54
.LBB61_74:
	v_add_f32_e32 v49, v1, v49
	v_add_f32_e32 v48, v0, v48
	;; [unrolled: 1-line block ×4, first 2 shown]
	s_waitcnt lgkmcnt(7)
	v_add_f32_e32 v54, v17, v45
	v_add_f32_e32 v55, v16, v44
	v_min3_f32 v48, v48, v49, v137
	v_add_f32_e32 v56, v18, v46
	v_min_f32_e32 v49, v50, v51
	v_add_nc_u32_e32 v50, 64, v88
	v_min3_f32 v54, v55, v54, v140
	v_add_f32_e32 v55, v19, v47
	v_add_co_u32 v52, vcc_lo, v52, v86
	v_min3_f32 v57, v57, v49, v48
	v_mad_i64_i32 v[48:49], null, v50, s6, 0
	v_mad_i64_i32 v[50:51], null, v50, s4, 0
	v_add_co_ci_u32_e64 v53, null, v53, v87, vcc_lo
	v_min3_f32 v54, v56, v55, v54
	s_mov_b32 s5, -1
	v_lshlrev_b64 v[48:49], 2, v[48:49]
	global_store_dword v[52:53], v57, off
	v_lshlrev_b64 v[50:51], 2, v[50:51]
	v_max_f32_e32 v52, v54, v54
	v_add_co_u32 v48, vcc_lo, s2, v48
	v_add_co_ci_u32_e64 v49, null, s3, v49, vcc_lo
	v_add_co_u32 v50, vcc_lo, s12, v50
	v_add_co_ci_u32_e64 v51, null, s13, v51, vcc_lo
	s_mov_b32 vcc_lo, s0
	s_cbranch_vccz .LBB61_76
; %bb.75:
	v_add_co_u32 v53, vcc_lo, v48, v82
	v_min_f32_e32 v55, 0, v52
	v_add_co_ci_u32_e64 v54, null, v49, v83, vcc_lo
	s_mov_b32 s5, 0
	global_store_dword v[53:54], v55, off
.LBB61_76:
	v_mov_b32_e32 v53, 0
	s_andn2_b32 vcc_lo, exec_lo, s5
	s_cbranch_vccnz .LBB61_78
; %bb.77:
	v_add_co_u32 v53, vcc_lo, v50, v82
	v_add_co_ci_u32_e64 v54, null, v51, v83, vcc_lo
	global_load_dword v53, v[53:54], off
	s_waitcnt vmcnt(0)
	v_mul_f32_e32 v55, s1, v53
	v_add_co_u32 v53, vcc_lo, v48, v82
	v_add_co_ci_u32_e64 v54, null, v49, v83, vcc_lo
	v_min_f32_e32 v52, v55, v52
	v_add_co_u32 v55, vcc_lo, v50, v80
	v_add_co_ci_u32_e64 v56, null, v51, v81, vcc_lo
	global_store_dword v[53:54], v52, off
	global_load_dword v52, v[55:56], off
	s_waitcnt vmcnt(0)
	v_mul_f32_e32 v53, s1, v52
.LBB61_78:
	v_add_f32_e32 v52, v13, v45
	v_add_f32_e32 v54, v12, v44
	;; [unrolled: 1-line block ×6, first 2 shown]
	v_min3_f32 v52, v54, v52, v135
	s_mov_b32 s5, -1
	v_min_f32_e32 v54, v56, v55
	v_add_f32_e32 v56, v11, v47
	v_min3_f32 v55, v58, v57, v136
	v_add_f32_e32 v57, v10, v46
	v_min3_f32 v54, v53, v54, v52
	v_add_co_u32 v52, vcc_lo, v48, v80
	v_add_co_ci_u32_e64 v53, null, v49, v81, vcc_lo
	v_min3_f32 v55, v57, v56, v55
	s_mov_b32 vcc_lo, s0
	global_store_dword v[52:53], v54, off
	v_max_f32_e32 v52, v55, v55
	s_cbranch_vccz .LBB61_80
; %bb.79:
	v_add_co_u32 v53, vcc_lo, v48, v84
	v_min_f32_e32 v55, 0, v52
	v_add_co_ci_u32_e64 v54, null, v49, v85, vcc_lo
	s_mov_b32 s5, 0
	global_store_dword v[53:54], v55, off
.LBB61_80:
	v_mov_b32_e32 v53, 0
	s_andn2_b32 vcc_lo, exec_lo, s5
	s_cbranch_vccnz .LBB61_82
; %bb.81:
	v_add_co_u32 v53, vcc_lo, v50, v84
	v_add_co_ci_u32_e64 v54, null, v51, v85, vcc_lo
	global_load_dword v53, v[53:54], off
	s_waitcnt vmcnt(0)
	v_mul_f32_e32 v55, s1, v53
	v_add_co_u32 v53, vcc_lo, v48, v84
	v_add_co_ci_u32_e64 v54, null, v49, v85, vcc_lo
	v_add_co_u32 v50, vcc_lo, v50, v86
	v_min_f32_e32 v52, v55, v52
	v_add_co_ci_u32_e64 v51, null, v51, v87, vcc_lo
	global_store_dword v[53:54], v52, off
	global_load_dword v50, v[50:51], off
	s_waitcnt vmcnt(0)
	v_mul_f32_e32 v53, s1, v50
.LBB61_82:
	v_add_f32_e32 v45, v1, v45
	v_add_f32_e32 v44, v0, v44
	;; [unrolled: 1-line block ×4, first 2 shown]
	s_waitcnt lgkmcnt(6)
	v_add_f32_e32 v50, v17, v41
	v_add_f32_e32 v51, v16, v40
	v_min3_f32 v44, v44, v45, v131
	v_add_f32_e32 v52, v18, v42
	v_min_f32_e32 v45, v46, v47
	v_add_nc_u32_e32 v46, 0x48, v88
	v_min3_f32 v50, v51, v50, v138
	v_add_f32_e32 v51, v19, v43
	v_add_co_u32 v48, vcc_lo, v48, v86
	v_min3_f32 v53, v53, v45, v44
	v_mad_i64_i32 v[44:45], null, v46, s6, 0
	v_mad_i64_i32 v[46:47], null, v46, s4, 0
	v_add_co_ci_u32_e64 v49, null, v49, v87, vcc_lo
	v_min3_f32 v50, v52, v51, v50
	s_mov_b32 s5, -1
	v_lshlrev_b64 v[44:45], 2, v[44:45]
	global_store_dword v[48:49], v53, off
	v_lshlrev_b64 v[46:47], 2, v[46:47]
	v_max_f32_e32 v48, v50, v50
	v_add_co_u32 v44, vcc_lo, s2, v44
	v_add_co_ci_u32_e64 v45, null, s3, v45, vcc_lo
	v_add_co_u32 v46, vcc_lo, s12, v46
	v_add_co_ci_u32_e64 v47, null, s13, v47, vcc_lo
	s_mov_b32 vcc_lo, s0
	s_cbranch_vccz .LBB61_84
; %bb.83:
	v_add_co_u32 v49, vcc_lo, v44, v82
	v_min_f32_e32 v51, 0, v48
	v_add_co_ci_u32_e64 v50, null, v45, v83, vcc_lo
	s_mov_b32 s5, 0
	global_store_dword v[49:50], v51, off
.LBB61_84:
	v_mov_b32_e32 v49, 0
	s_andn2_b32 vcc_lo, exec_lo, s5
	s_cbranch_vccnz .LBB61_86
; %bb.85:
	v_add_co_u32 v49, vcc_lo, v46, v82
	v_add_co_ci_u32_e64 v50, null, v47, v83, vcc_lo
	global_load_dword v49, v[49:50], off
	s_waitcnt vmcnt(0)
	v_mul_f32_e32 v51, s1, v49
	v_add_co_u32 v49, vcc_lo, v44, v82
	v_add_co_ci_u32_e64 v50, null, v45, v83, vcc_lo
	v_min_f32_e32 v48, v51, v48
	v_add_co_u32 v51, vcc_lo, v46, v80
	v_add_co_ci_u32_e64 v52, null, v47, v81, vcc_lo
	global_store_dword v[49:50], v48, off
	global_load_dword v48, v[51:52], off
	s_waitcnt vmcnt(0)
	v_mul_f32_e32 v49, s1, v48
.LBB61_86:
	v_add_f32_e32 v48, v13, v41
	v_add_f32_e32 v50, v12, v40
	;; [unrolled: 1-line block ×6, first 2 shown]
	v_min3_f32 v48, v50, v48, v132
	s_mov_b32 s5, -1
	v_min_f32_e32 v50, v52, v51
	v_add_f32_e32 v52, v11, v43
	v_min3_f32 v51, v54, v53, v134
	v_add_f32_e32 v53, v10, v42
	v_min3_f32 v50, v49, v50, v48
	v_add_co_u32 v48, vcc_lo, v44, v80
	v_add_co_ci_u32_e64 v49, null, v45, v81, vcc_lo
	v_min3_f32 v51, v53, v52, v51
	s_mov_b32 vcc_lo, s0
	global_store_dword v[48:49], v50, off
	v_max_f32_e32 v48, v51, v51
	s_cbranch_vccz .LBB61_88
; %bb.87:
	v_add_co_u32 v49, vcc_lo, v44, v84
	v_min_f32_e32 v51, 0, v48
	v_add_co_ci_u32_e64 v50, null, v45, v85, vcc_lo
	s_mov_b32 s5, 0
	global_store_dword v[49:50], v51, off
.LBB61_88:
	v_mov_b32_e32 v49, 0
	s_andn2_b32 vcc_lo, exec_lo, s5
	s_cbranch_vccnz .LBB61_90
; %bb.89:
	v_add_co_u32 v49, vcc_lo, v46, v84
	v_add_co_ci_u32_e64 v50, null, v47, v85, vcc_lo
	global_load_dword v49, v[49:50], off
	s_waitcnt vmcnt(0)
	v_mul_f32_e32 v51, s1, v49
	v_add_co_u32 v49, vcc_lo, v44, v84
	v_add_co_ci_u32_e64 v50, null, v45, v85, vcc_lo
	v_add_co_u32 v46, vcc_lo, v46, v86
	v_min_f32_e32 v48, v51, v48
	v_add_co_ci_u32_e64 v47, null, v47, v87, vcc_lo
	global_store_dword v[49:50], v48, off
	global_load_dword v46, v[46:47], off
	s_waitcnt vmcnt(0)
	v_mul_f32_e32 v49, s1, v46
.LBB61_90:
	v_add_f32_e32 v41, v1, v41
	v_add_f32_e32 v40, v0, v40
	;; [unrolled: 1-line block ×4, first 2 shown]
	s_waitcnt lgkmcnt(5)
	v_add_f32_e32 v46, v17, v37
	v_add_f32_e32 v47, v16, v36
	v_min3_f32 v40, v40, v41, v130
	v_add_f32_e32 v48, v18, v38
	v_min_f32_e32 v41, v42, v43
	v_add_nc_u32_e32 v42, 0x50, v88
	v_min3_f32 v46, v47, v46, v133
	v_add_f32_e32 v47, v19, v39
	v_add_co_u32 v44, vcc_lo, v44, v86
	v_min3_f32 v49, v49, v41, v40
	v_mad_i64_i32 v[40:41], null, v42, s6, 0
	v_mad_i64_i32 v[42:43], null, v42, s4, 0
	v_add_co_ci_u32_e64 v45, null, v45, v87, vcc_lo
	v_min3_f32 v46, v48, v47, v46
	s_mov_b32 s5, -1
	v_lshlrev_b64 v[40:41], 2, v[40:41]
	global_store_dword v[44:45], v49, off
	v_lshlrev_b64 v[42:43], 2, v[42:43]
	v_max_f32_e32 v44, v46, v46
	v_add_co_u32 v40, vcc_lo, s2, v40
	v_add_co_ci_u32_e64 v41, null, s3, v41, vcc_lo
	v_add_co_u32 v42, vcc_lo, s12, v42
	v_add_co_ci_u32_e64 v43, null, s13, v43, vcc_lo
	s_mov_b32 vcc_lo, s0
	s_cbranch_vccz .LBB61_92
; %bb.91:
	v_add_co_u32 v45, vcc_lo, v40, v82
	v_min_f32_e32 v47, 0, v44
	v_add_co_ci_u32_e64 v46, null, v41, v83, vcc_lo
	s_mov_b32 s5, 0
	global_store_dword v[45:46], v47, off
.LBB61_92:
	v_mov_b32_e32 v45, 0
	s_andn2_b32 vcc_lo, exec_lo, s5
	s_cbranch_vccnz .LBB61_94
; %bb.93:
	v_add_co_u32 v45, vcc_lo, v42, v82
	v_add_co_ci_u32_e64 v46, null, v43, v83, vcc_lo
	global_load_dword v45, v[45:46], off
	s_waitcnt vmcnt(0)
	v_mul_f32_e32 v47, s1, v45
	v_add_co_u32 v45, vcc_lo, v40, v82
	v_add_co_ci_u32_e64 v46, null, v41, v83, vcc_lo
	v_min_f32_e32 v44, v47, v44
	v_add_co_u32 v47, vcc_lo, v42, v80
	v_add_co_ci_u32_e64 v48, null, v43, v81, vcc_lo
	global_store_dword v[45:46], v44, off
	global_load_dword v44, v[47:48], off
	s_waitcnt vmcnt(0)
	v_mul_f32_e32 v45, s1, v44
.LBB61_94:
	v_add_f32_e32 v44, v13, v37
	v_add_f32_e32 v46, v12, v36
	v_add_f32_e32 v47, v15, v39
	v_add_f32_e32 v48, v14, v38
	v_add_f32_e32 v49, v9, v37
	v_add_f32_e32 v50, v8, v36
	v_min3_f32 v44, v46, v44, v128
	s_mov_b32 s5, -1
	v_min_f32_e32 v46, v48, v47
	v_add_f32_e32 v48, v11, v39
	v_min3_f32 v47, v50, v49, v129
	v_add_f32_e32 v49, v10, v38
	v_min3_f32 v46, v45, v46, v44
	v_add_co_u32 v44, vcc_lo, v40, v80
	v_add_co_ci_u32_e64 v45, null, v41, v81, vcc_lo
	v_min3_f32 v47, v49, v48, v47
	s_mov_b32 vcc_lo, s0
	global_store_dword v[44:45], v46, off
	v_max_f32_e32 v44, v47, v47
	s_cbranch_vccz .LBB61_96
; %bb.95:
	v_add_co_u32 v45, vcc_lo, v40, v84
	v_min_f32_e32 v47, 0, v44
	v_add_co_ci_u32_e64 v46, null, v41, v85, vcc_lo
	s_mov_b32 s5, 0
	global_store_dword v[45:46], v47, off
.LBB61_96:
	v_mov_b32_e32 v45, 0
	s_andn2_b32 vcc_lo, exec_lo, s5
	s_cbranch_vccnz .LBB61_98
; %bb.97:
	v_add_co_u32 v45, vcc_lo, v42, v84
	v_add_co_ci_u32_e64 v46, null, v43, v85, vcc_lo
	global_load_dword v45, v[45:46], off
	s_waitcnt vmcnt(0)
	v_mul_f32_e32 v47, s1, v45
	v_add_co_u32 v45, vcc_lo, v40, v84
	v_add_co_ci_u32_e64 v46, null, v41, v85, vcc_lo
	v_add_co_u32 v42, vcc_lo, v42, v86
	v_min_f32_e32 v44, v47, v44
	v_add_co_ci_u32_e64 v43, null, v43, v87, vcc_lo
	global_store_dword v[45:46], v44, off
	global_load_dword v42, v[42:43], off
	s_waitcnt vmcnt(0)
	v_mul_f32_e32 v45, s1, v42
.LBB61_98:
	v_add_f32_e32 v37, v1, v37
	v_add_f32_e32 v36, v0, v36
	;; [unrolled: 1-line block ×4, first 2 shown]
	s_waitcnt lgkmcnt(4)
	v_add_f32_e32 v42, v17, v33
	v_add_f32_e32 v43, v16, v32
	v_min3_f32 v36, v36, v37, v126
	v_add_f32_e32 v44, v18, v34
	v_min_f32_e32 v37, v38, v39
	v_add_nc_u32_e32 v38, 0x58, v88
	v_min3_f32 v42, v43, v42, v127
	v_add_f32_e32 v43, v19, v35
	v_add_co_u32 v40, vcc_lo, v40, v86
	v_min3_f32 v45, v45, v37, v36
	v_mad_i64_i32 v[36:37], null, v38, s6, 0
	v_mad_i64_i32 v[38:39], null, v38, s4, 0
	v_add_co_ci_u32_e64 v41, null, v41, v87, vcc_lo
	v_min3_f32 v42, v44, v43, v42
	s_mov_b32 s5, -1
	v_lshlrev_b64 v[36:37], 2, v[36:37]
	global_store_dword v[40:41], v45, off
	v_lshlrev_b64 v[38:39], 2, v[38:39]
	v_max_f32_e32 v40, v42, v42
	v_add_co_u32 v36, vcc_lo, s2, v36
	v_add_co_ci_u32_e64 v37, null, s3, v37, vcc_lo
	v_add_co_u32 v38, vcc_lo, s12, v38
	v_add_co_ci_u32_e64 v39, null, s13, v39, vcc_lo
	s_mov_b32 vcc_lo, s0
	s_cbranch_vccz .LBB61_100
; %bb.99:
	v_add_co_u32 v41, vcc_lo, v36, v82
	v_min_f32_e32 v43, 0, v40
	v_add_co_ci_u32_e64 v42, null, v37, v83, vcc_lo
	s_mov_b32 s5, 0
	global_store_dword v[41:42], v43, off
.LBB61_100:
	v_mov_b32_e32 v41, 0
	s_andn2_b32 vcc_lo, exec_lo, s5
	s_cbranch_vccnz .LBB61_102
; %bb.101:
	v_add_co_u32 v41, vcc_lo, v38, v82
	v_add_co_ci_u32_e64 v42, null, v39, v83, vcc_lo
	global_load_dword v41, v[41:42], off
	s_waitcnt vmcnt(0)
	v_mul_f32_e32 v43, s1, v41
	v_add_co_u32 v41, vcc_lo, v36, v82
	v_add_co_ci_u32_e64 v42, null, v37, v83, vcc_lo
	v_min_f32_e32 v40, v43, v40
	v_add_co_u32 v43, vcc_lo, v38, v80
	v_add_co_ci_u32_e64 v44, null, v39, v81, vcc_lo
	global_store_dword v[41:42], v40, off
	global_load_dword v40, v[43:44], off
	s_waitcnt vmcnt(0)
	v_mul_f32_e32 v41, s1, v40
.LBB61_102:
	v_add_f32_e32 v40, v13, v33
	v_add_f32_e32 v42, v12, v32
	;; [unrolled: 1-line block ×6, first 2 shown]
	v_min3_f32 v40, v42, v40, v123
	s_mov_b32 s5, -1
	v_min_f32_e32 v42, v44, v43
	v_add_f32_e32 v44, v11, v35
	v_min3_f32 v43, v46, v45, v125
	v_add_f32_e32 v45, v10, v34
	v_min3_f32 v42, v41, v42, v40
	v_add_co_u32 v40, vcc_lo, v36, v80
	v_add_co_ci_u32_e64 v41, null, v37, v81, vcc_lo
	v_min3_f32 v43, v45, v44, v43
	s_mov_b32 vcc_lo, s0
	global_store_dword v[40:41], v42, off
	v_max_f32_e32 v40, v43, v43
	s_cbranch_vccz .LBB61_104
; %bb.103:
	v_add_co_u32 v41, vcc_lo, v36, v84
	v_min_f32_e32 v43, 0, v40
	v_add_co_ci_u32_e64 v42, null, v37, v85, vcc_lo
	s_mov_b32 s5, 0
	global_store_dword v[41:42], v43, off
.LBB61_104:
	v_mov_b32_e32 v41, 0
	s_andn2_b32 vcc_lo, exec_lo, s5
	s_cbranch_vccnz .LBB61_106
; %bb.105:
	v_add_co_u32 v41, vcc_lo, v38, v84
	v_add_co_ci_u32_e64 v42, null, v39, v85, vcc_lo
	global_load_dword v41, v[41:42], off
	s_waitcnt vmcnt(0)
	v_mul_f32_e32 v43, s1, v41
	v_add_co_u32 v41, vcc_lo, v36, v84
	v_add_co_ci_u32_e64 v42, null, v37, v85, vcc_lo
	v_add_co_u32 v38, vcc_lo, v38, v86
	v_min_f32_e32 v40, v43, v40
	v_add_co_ci_u32_e64 v39, null, v39, v87, vcc_lo
	global_store_dword v[41:42], v40, off
	global_load_dword v38, v[38:39], off
	s_waitcnt vmcnt(0)
	v_mul_f32_e32 v41, s1, v38
.LBB61_106:
	v_add_f32_e32 v33, v1, v33
	v_add_f32_e32 v32, v0, v32
	;; [unrolled: 1-line block ×4, first 2 shown]
	s_waitcnt lgkmcnt(3)
	v_add_f32_e32 v38, v17, v29
	v_add_f32_e32 v39, v16, v28
	v_min3_f32 v32, v32, v33, v122
	v_add_f32_e32 v40, v18, v30
	v_min_f32_e32 v33, v34, v35
	v_add_nc_u32_e32 v34, 0x60, v88
	v_min3_f32 v38, v39, v38, v124
	v_add_f32_e32 v39, v19, v31
	v_add_co_u32 v36, vcc_lo, v36, v86
	v_min3_f32 v41, v41, v33, v32
	v_mad_i64_i32 v[32:33], null, v34, s6, 0
	v_mad_i64_i32 v[34:35], null, v34, s4, 0
	v_add_co_ci_u32_e64 v37, null, v37, v87, vcc_lo
	v_min3_f32 v38, v40, v39, v38
	s_mov_b32 s5, -1
	v_lshlrev_b64 v[32:33], 2, v[32:33]
	global_store_dword v[36:37], v41, off
	v_lshlrev_b64 v[34:35], 2, v[34:35]
	v_max_f32_e32 v36, v38, v38
	v_add_co_u32 v32, vcc_lo, s2, v32
	v_add_co_ci_u32_e64 v33, null, s3, v33, vcc_lo
	v_add_co_u32 v34, vcc_lo, s12, v34
	v_add_co_ci_u32_e64 v35, null, s13, v35, vcc_lo
	s_mov_b32 vcc_lo, s0
	s_cbranch_vccz .LBB61_108
; %bb.107:
	v_add_co_u32 v37, vcc_lo, v32, v82
	v_min_f32_e32 v39, 0, v36
	v_add_co_ci_u32_e64 v38, null, v33, v83, vcc_lo
	s_mov_b32 s5, 0
	global_store_dword v[37:38], v39, off
.LBB61_108:
	v_mov_b32_e32 v37, 0
	s_andn2_b32 vcc_lo, exec_lo, s5
	s_cbranch_vccnz .LBB61_110
; %bb.109:
	v_add_co_u32 v37, vcc_lo, v34, v82
	v_add_co_ci_u32_e64 v38, null, v35, v83, vcc_lo
	global_load_dword v37, v[37:38], off
	s_waitcnt vmcnt(0)
	v_mul_f32_e32 v39, s1, v37
	v_add_co_u32 v37, vcc_lo, v32, v82
	v_add_co_ci_u32_e64 v38, null, v33, v83, vcc_lo
	v_min_f32_e32 v36, v39, v36
	v_add_co_u32 v39, vcc_lo, v34, v80
	v_add_co_ci_u32_e64 v40, null, v35, v81, vcc_lo
	global_store_dword v[37:38], v36, off
	global_load_dword v36, v[39:40], off
	s_waitcnt vmcnt(0)
	v_mul_f32_e32 v37, s1, v36
.LBB61_110:
	v_add_f32_e32 v36, v13, v29
	v_add_f32_e32 v38, v12, v28
	v_add_f32_e32 v39, v15, v31
	v_add_f32_e32 v40, v14, v30
	v_add_f32_e32 v41, v9, v29
	v_add_f32_e32 v42, v8, v28
	v_min3_f32 v36, v38, v36, v118
	s_mov_b32 s5, -1
	v_min_f32_e32 v38, v40, v39
	v_add_f32_e32 v40, v11, v31
	v_min3_f32 v39, v42, v41, v121
	v_add_f32_e32 v41, v10, v30
	v_min3_f32 v38, v37, v38, v36
	v_add_co_u32 v36, vcc_lo, v32, v80
	v_add_co_ci_u32_e64 v37, null, v33, v81, vcc_lo
	v_min3_f32 v39, v41, v40, v39
	s_mov_b32 vcc_lo, s0
	global_store_dword v[36:37], v38, off
	v_max_f32_e32 v36, v39, v39
	s_cbranch_vccz .LBB61_112
; %bb.111:
	v_add_co_u32 v37, vcc_lo, v32, v84
	v_min_f32_e32 v39, 0, v36
	v_add_co_ci_u32_e64 v38, null, v33, v85, vcc_lo
	s_mov_b32 s5, 0
	global_store_dword v[37:38], v39, off
.LBB61_112:
	v_mov_b32_e32 v37, 0
	s_andn2_b32 vcc_lo, exec_lo, s5
	s_cbranch_vccnz .LBB61_114
; %bb.113:
	v_add_co_u32 v37, vcc_lo, v34, v84
	v_add_co_ci_u32_e64 v38, null, v35, v85, vcc_lo
	global_load_dword v37, v[37:38], off
	s_waitcnt vmcnt(0)
	v_mul_f32_e32 v39, s1, v37
	v_add_co_u32 v37, vcc_lo, v32, v84
	v_add_co_ci_u32_e64 v38, null, v33, v85, vcc_lo
	v_add_co_u32 v34, vcc_lo, v34, v86
	v_min_f32_e32 v36, v39, v36
	v_add_co_ci_u32_e64 v35, null, v35, v87, vcc_lo
	global_store_dword v[37:38], v36, off
	global_load_dword v34, v[34:35], off
	s_waitcnt vmcnt(0)
	v_mul_f32_e32 v37, s1, v34
.LBB61_114:
	v_add_f32_e32 v29, v1, v29
	v_add_f32_e32 v28, v0, v28
	;; [unrolled: 1-line block ×4, first 2 shown]
	s_waitcnt lgkmcnt(2)
	v_add_f32_e32 v34, v17, v25
	v_add_f32_e32 v35, v16, v24
	v_min3_f32 v28, v28, v29, v104
	v_add_f32_e32 v36, v18, v26
	v_min_f32_e32 v29, v30, v31
	v_add_nc_u32_e32 v30, 0x68, v88
	v_min3_f32 v34, v35, v34, v116
	v_add_f32_e32 v35, v19, v27
	v_add_co_u32 v32, vcc_lo, v32, v86
	v_min3_f32 v37, v37, v29, v28
	v_mad_i64_i32 v[28:29], null, v30, s6, 0
	v_mad_i64_i32 v[30:31], null, v30, s4, 0
	v_add_co_ci_u32_e64 v33, null, v33, v87, vcc_lo
	v_min3_f32 v34, v36, v35, v34
	s_mov_b32 s5, -1
	v_lshlrev_b64 v[28:29], 2, v[28:29]
	global_store_dword v[32:33], v37, off
	v_lshlrev_b64 v[30:31], 2, v[30:31]
	v_max_f32_e32 v32, v34, v34
	v_add_co_u32 v28, vcc_lo, s2, v28
	v_add_co_ci_u32_e64 v29, null, s3, v29, vcc_lo
	v_add_co_u32 v30, vcc_lo, s12, v30
	v_add_co_ci_u32_e64 v31, null, s13, v31, vcc_lo
	s_mov_b32 vcc_lo, s0
	s_cbranch_vccz .LBB61_116
; %bb.115:
	v_add_co_u32 v33, vcc_lo, v28, v82
	v_min_f32_e32 v35, 0, v32
	v_add_co_ci_u32_e64 v34, null, v29, v83, vcc_lo
	s_mov_b32 s5, 0
	global_store_dword v[33:34], v35, off
.LBB61_116:
	v_mov_b32_e32 v33, 0
	s_andn2_b32 vcc_lo, exec_lo, s5
	s_cbranch_vccnz .LBB61_118
; %bb.117:
	v_add_co_u32 v33, vcc_lo, v30, v82
	v_add_co_ci_u32_e64 v34, null, v31, v83, vcc_lo
	global_load_dword v33, v[33:34], off
	s_waitcnt vmcnt(0)
	v_mul_f32_e32 v35, s1, v33
	v_add_co_u32 v33, vcc_lo, v28, v82
	v_add_co_ci_u32_e64 v34, null, v29, v83, vcc_lo
	v_min_f32_e32 v32, v35, v32
	v_add_co_u32 v35, vcc_lo, v30, v80
	v_add_co_ci_u32_e64 v36, null, v31, v81, vcc_lo
	global_store_dword v[33:34], v32, off
	global_load_dword v32, v[35:36], off
	s_waitcnt vmcnt(0)
	v_mul_f32_e32 v33, s1, v32
.LBB61_118:
	v_add_f32_e32 v32, v13, v25
	v_add_f32_e32 v34, v12, v24
	;; [unrolled: 1-line block ×6, first 2 shown]
	v_min3_f32 v32, v34, v32, v101
	s_mov_b32 s5, -1
	v_min_f32_e32 v34, v36, v35
	v_add_f32_e32 v36, v11, v27
	v_min3_f32 v35, v38, v37, v103
	v_add_f32_e32 v37, v10, v26
	v_min3_f32 v34, v33, v34, v32
	v_add_co_u32 v32, vcc_lo, v28, v80
	v_add_co_ci_u32_e64 v33, null, v29, v81, vcc_lo
	v_min3_f32 v35, v37, v36, v35
	s_mov_b32 vcc_lo, s0
	global_store_dword v[32:33], v34, off
	v_max_f32_e32 v32, v35, v35
	s_cbranch_vccz .LBB61_120
; %bb.119:
	v_add_co_u32 v33, vcc_lo, v28, v84
	v_min_f32_e32 v35, 0, v32
	v_add_co_ci_u32_e64 v34, null, v29, v85, vcc_lo
	s_mov_b32 s5, 0
	global_store_dword v[33:34], v35, off
.LBB61_120:
	v_mov_b32_e32 v33, 0
	s_andn2_b32 vcc_lo, exec_lo, s5
	s_cbranch_vccnz .LBB61_122
; %bb.121:
	v_add_co_u32 v33, vcc_lo, v30, v84
	v_add_co_ci_u32_e64 v34, null, v31, v85, vcc_lo
	global_load_dword v33, v[33:34], off
	s_waitcnt vmcnt(0)
	v_mul_f32_e32 v35, s1, v33
	v_add_co_u32 v33, vcc_lo, v28, v84
	v_add_co_ci_u32_e64 v34, null, v29, v85, vcc_lo
	v_add_co_u32 v30, vcc_lo, v30, v86
	v_min_f32_e32 v32, v35, v32
	v_add_co_ci_u32_e64 v31, null, v31, v87, vcc_lo
	global_store_dword v[33:34], v32, off
	global_load_dword v30, v[30:31], off
	s_waitcnt vmcnt(0)
	v_mul_f32_e32 v33, s1, v30
.LBB61_122:
	v_add_f32_e32 v25, v1, v25
	v_add_f32_e32 v24, v0, v24
	;; [unrolled: 1-line block ×4, first 2 shown]
	s_waitcnt lgkmcnt(1)
	v_add_f32_e32 v30, v17, v21
	v_add_f32_e32 v31, v16, v20
	v_min3_f32 v24, v24, v25, v100
	v_add_f32_e32 v32, v18, v22
	v_min_f32_e32 v25, v26, v27
	v_add_nc_u32_e32 v26, 0x70, v88
	v_min3_f32 v30, v31, v30, v102
	v_add_f32_e32 v31, v19, v23
	v_add_co_u32 v28, vcc_lo, v28, v86
	v_min3_f32 v33, v33, v25, v24
	v_mad_i64_i32 v[24:25], null, v26, s6, 0
	v_mad_i64_i32 v[26:27], null, v26, s4, 0
	v_add_co_ci_u32_e64 v29, null, v29, v87, vcc_lo
	v_min3_f32 v30, v32, v31, v30
	s_mov_b32 s5, -1
	v_lshlrev_b64 v[24:25], 2, v[24:25]
	global_store_dword v[28:29], v33, off
	v_lshlrev_b64 v[26:27], 2, v[26:27]
	v_max_f32_e32 v28, v30, v30
	v_add_co_u32 v24, vcc_lo, s2, v24
	v_add_co_ci_u32_e64 v25, null, s3, v25, vcc_lo
	v_add_co_u32 v26, vcc_lo, s12, v26
	v_add_co_ci_u32_e64 v27, null, s13, v27, vcc_lo
	s_mov_b32 vcc_lo, s0
	s_cbranch_vccz .LBB61_124
; %bb.123:
	v_add_co_u32 v29, vcc_lo, v24, v82
	v_min_f32_e32 v31, 0, v28
	v_add_co_ci_u32_e64 v30, null, v25, v83, vcc_lo
	s_mov_b32 s5, 0
	global_store_dword v[29:30], v31, off
.LBB61_124:
	v_mov_b32_e32 v29, 0
	s_andn2_b32 vcc_lo, exec_lo, s5
	s_cbranch_vccnz .LBB61_126
; %bb.125:
	v_add_co_u32 v29, vcc_lo, v26, v82
	v_add_co_ci_u32_e64 v30, null, v27, v83, vcc_lo
	global_load_dword v29, v[29:30], off
	s_waitcnt vmcnt(0)
	v_mul_f32_e32 v31, s1, v29
	v_add_co_u32 v29, vcc_lo, v24, v82
	v_add_co_ci_u32_e64 v30, null, v25, v83, vcc_lo
	v_min_f32_e32 v28, v31, v28
	v_add_co_u32 v31, vcc_lo, v26, v80
	v_add_co_ci_u32_e64 v32, null, v27, v81, vcc_lo
	global_store_dword v[29:30], v28, off
	global_load_dword v28, v[31:32], off
	s_waitcnt vmcnt(0)
	v_mul_f32_e32 v29, s1, v28
.LBB61_126:
	v_add_f32_e32 v28, v13, v21
	v_add_f32_e32 v30, v12, v20
	;; [unrolled: 1-line block ×6, first 2 shown]
	v_min3_f32 v28, v30, v28, v98
	s_mov_b32 s5, -1
	v_min_f32_e32 v30, v32, v31
	v_add_f32_e32 v32, v11, v23
	v_min3_f32 v31, v34, v33, v99
	v_add_f32_e32 v33, v10, v22
	v_min3_f32 v30, v29, v30, v28
	v_add_co_u32 v28, vcc_lo, v24, v80
	v_add_co_ci_u32_e64 v29, null, v25, v81, vcc_lo
	v_min3_f32 v31, v33, v32, v31
	s_mov_b32 vcc_lo, s0
	global_store_dword v[28:29], v30, off
	v_max_f32_e32 v28, v31, v31
	s_cbranch_vccz .LBB61_128
; %bb.127:
	v_add_co_u32 v29, vcc_lo, v24, v84
	v_min_f32_e32 v31, 0, v28
	v_add_co_ci_u32_e64 v30, null, v25, v85, vcc_lo
	s_mov_b32 s5, 0
	global_store_dword v[29:30], v31, off
.LBB61_128:
	v_mov_b32_e32 v29, 0
	s_andn2_b32 vcc_lo, exec_lo, s5
	s_cbranch_vccnz .LBB61_130
; %bb.129:
	v_add_co_u32 v29, vcc_lo, v26, v84
	v_add_co_ci_u32_e64 v30, null, v27, v85, vcc_lo
	global_load_dword v29, v[29:30], off
	s_waitcnt vmcnt(0)
	v_mul_f32_e32 v31, s1, v29
	v_add_co_u32 v29, vcc_lo, v24, v84
	v_add_co_ci_u32_e64 v30, null, v25, v85, vcc_lo
	v_add_co_u32 v26, vcc_lo, v26, v86
	v_min_f32_e32 v28, v31, v28
	v_add_co_ci_u32_e64 v27, null, v27, v87, vcc_lo
	global_store_dword v[29:30], v28, off
	global_load_dword v26, v[26:27], off
	s_waitcnt vmcnt(0)
	v_mul_f32_e32 v29, s1, v26
.LBB61_130:
	v_add_f32_e32 v21, v1, v21
	v_add_f32_e32 v20, v0, v20
	;; [unrolled: 1-line block ×4, first 2 shown]
	s_waitcnt lgkmcnt(0)
	v_add_f32_e32 v17, v17, v5
	v_add_f32_e32 v16, v16, v4
	v_min3_f32 v20, v20, v21, v96
	v_add_f32_e32 v26, v19, v7
	v_min_f32_e32 v21, v22, v23
	v_add_nc_u32_e32 v23, 0x78, v88
	v_min3_f32 v22, v16, v17, v97
	v_add_f32_e32 v27, v18, v6
	v_min3_f32 v28, v29, v21, v20
	v_mad_i64_i32 v[16:17], null, v23, s6, 0
	v_mad_i64_i32 v[18:19], null, v23, s4, 0
	v_add_co_u32 v20, vcc_lo, v24, v86
	v_add_co_ci_u32_e64 v21, null, v25, v87, vcc_lo
	v_lshlrev_b64 v[16:17], 2, v[16:17]
	v_min3_f32 v22, v27, v26, v22
	v_lshlrev_b64 v[18:19], 2, v[18:19]
	global_store_dword v[20:21], v28, off
	v_add_co_u32 v16, vcc_lo, s2, v16
	v_add_co_ci_u32_e64 v17, null, s3, v17, vcc_lo
	v_add_co_u32 v18, vcc_lo, s12, v18
	v_add_co_ci_u32_e64 v19, null, s13, v19, vcc_lo
	v_max_f32_e32 v20, v22, v22
	s_mov_b32 s2, -1
	s_mov_b32 vcc_lo, s0
	s_cbranch_vccz .LBB61_132
; %bb.131:
	v_add_co_u32 v21, vcc_lo, v16, v82
	v_min_f32_e32 v23, 0, v20
	v_add_co_ci_u32_e64 v22, null, v17, v83, vcc_lo
	s_mov_b32 s2, 0
	global_store_dword v[21:22], v23, off
.LBB61_132:
	v_mov_b32_e32 v21, 0
	s_andn2_b32 vcc_lo, exec_lo, s2
	s_cbranch_vccnz .LBB61_134
; %bb.133:
	v_add_co_u32 v21, vcc_lo, v18, v82
	v_add_co_ci_u32_e64 v22, null, v19, v83, vcc_lo
	global_load_dword v21, v[21:22], off
	s_waitcnt vmcnt(0)
	v_mul_f32_e32 v23, s1, v21
	v_add_co_u32 v21, vcc_lo, v16, v82
	v_add_co_ci_u32_e64 v22, null, v17, v83, vcc_lo
	v_min_f32_e32 v20, v23, v20
	v_add_co_u32 v23, vcc_lo, v18, v80
	v_add_co_ci_u32_e64 v24, null, v19, v81, vcc_lo
	global_store_dword v[21:22], v20, off
	global_load_dword v20, v[23:24], off
	s_waitcnt vmcnt(0)
	v_mul_f32_e32 v21, s1, v20
.LBB61_134:
	v_add_f32_e32 v13, v13, v5
	v_add_f32_e32 v12, v12, v4
	;; [unrolled: 1-line block ×6, first 2 shown]
	v_min3_f32 v12, v12, v13, v94
	v_add_f32_e32 v11, v11, v7
	v_min_f32_e32 v13, v14, v15
	v_add_f32_e32 v10, v10, v6
	v_min3_f32 v14, v8, v9, v95
	v_add_co_u32 v8, vcc_lo, v16, v80
	v_min3_f32 v12, v21, v13, v12
	v_add_co_ci_u32_e64 v9, null, v17, v81, vcc_lo
	v_min3_f32 v10, v10, v11, v14
	s_mov_b32 s2, -1
	s_mov_b32 vcc_lo, s0
	global_store_dword v[8:9], v12, off
	v_max_f32_e32 v8, v10, v10
	s_cbranch_vccz .LBB61_136
; %bb.135:
	v_add_co_u32 v9, vcc_lo, v16, v84
	v_min_f32_e32 v11, 0, v8
	v_add_co_ci_u32_e64 v10, null, v17, v85, vcc_lo
	s_mov_b32 s2, 0
	global_store_dword v[9:10], v11, off
.LBB61_136:
	v_mov_b32_e32 v9, 0
	s_andn2_b32 vcc_lo, exec_lo, s2
	s_cbranch_vccnz .LBB61_138
; %bb.137:
	v_add_co_u32 v9, vcc_lo, v18, v84
	v_add_co_ci_u32_e64 v10, null, v19, v85, vcc_lo
	global_load_dword v9, v[9:10], off
	s_waitcnt vmcnt(0)
	v_mul_f32_e32 v11, s1, v9
	v_add_co_u32 v9, vcc_lo, v16, v84
	v_add_co_ci_u32_e64 v10, null, v17, v85, vcc_lo
	v_min_f32_e32 v8, v11, v8
	v_add_co_u32 v11, vcc_lo, v18, v86
	v_add_co_ci_u32_e64 v12, null, v19, v87, vcc_lo
	global_store_dword v[9:10], v8, off
	global_load_dword v8, v[11:12], off
	s_waitcnt vmcnt(0)
	v_mul_f32_e32 v9, s1, v8
.LBB61_138:
	v_add_f32_e32 v3, v3, v7
	v_add_f32_e32 v2, v2, v6
	;; [unrolled: 1-line block ×4, first 2 shown]
	v_min_f32_e32 v2, v2, v3
	v_min3_f32 v0, v0, v1, v143
	v_min3_f32 v2, v9, v2, v0
	v_add_co_u32 v0, vcc_lo, v16, v86
	v_add_co_ci_u32_e64 v1, null, v17, v87, vcc_lo
	global_store_dword v[0:1], v2, off
	s_endpgm
.LBB61_139:
	s_mov_b64 s[16:17], 0
	s_andn2_b32 vcc_lo, exec_lo, s8
	s_mov_b32 s0, -1
	s_cbranch_vccz .LBB61_2
	s_branch .LBB61_3
	.section	.rodata,"a",@progbits
	.p2align	6, 0x0
	.amdhsa_kernel _ZN12_GLOBAL__N_120geam_min_plus_kernelIf15HIP_vector_typeIfLj2EEfLi32ELi8ELi128ELi128ELi4ELi4ELi64ELi4ELi64ELc84ELc78ELb1ELb0ELb1EfKffEEviiiT16_PT17_ilS6_ilS4_S6_ilPT18_ili26rocblas_geam_ex_operation_
		.amdhsa_group_segment_fixed_size 8192
		.amdhsa_private_segment_fixed_size 0
		.amdhsa_kernarg_size 128
		.amdhsa_user_sgpr_count 6
		.amdhsa_user_sgpr_private_segment_buffer 1
		.amdhsa_user_sgpr_dispatch_ptr 0
		.amdhsa_user_sgpr_queue_ptr 0
		.amdhsa_user_sgpr_kernarg_segment_ptr 1
		.amdhsa_user_sgpr_dispatch_id 0
		.amdhsa_user_sgpr_flat_scratch_init 0
		.amdhsa_user_sgpr_private_segment_size 0
		.amdhsa_wavefront_size32 1
		.amdhsa_uses_dynamic_stack 0
		.amdhsa_system_sgpr_private_segment_wavefront_offset 0
		.amdhsa_system_sgpr_workgroup_id_x 1
		.amdhsa_system_sgpr_workgroup_id_y 0
		.amdhsa_system_sgpr_workgroup_id_z 1
		.amdhsa_system_sgpr_workgroup_info 0
		.amdhsa_system_vgpr_workitem_id 1
		.amdhsa_next_free_vgpr 187
		.amdhsa_next_free_sgpr 22
		.amdhsa_reserve_vcc 1
		.amdhsa_reserve_flat_scratch 0
		.amdhsa_float_round_mode_32 0
		.amdhsa_float_round_mode_16_64 0
		.amdhsa_float_denorm_mode_32 3
		.amdhsa_float_denorm_mode_16_64 3
		.amdhsa_dx10_clamp 1
		.amdhsa_ieee_mode 1
		.amdhsa_fp16_overflow 0
		.amdhsa_workgroup_processor_mode 1
		.amdhsa_memory_ordered 1
		.amdhsa_forward_progress 1
		.amdhsa_shared_vgpr_count 0
		.amdhsa_exception_fp_ieee_invalid_op 0
		.amdhsa_exception_fp_denorm_src 0
		.amdhsa_exception_fp_ieee_div_zero 0
		.amdhsa_exception_fp_ieee_overflow 0
		.amdhsa_exception_fp_ieee_underflow 0
		.amdhsa_exception_fp_ieee_inexact 0
		.amdhsa_exception_int_div_zero 0
	.end_amdhsa_kernel
	.section	.text._ZN12_GLOBAL__N_120geam_min_plus_kernelIf15HIP_vector_typeIfLj2EEfLi32ELi8ELi128ELi128ELi4ELi4ELi64ELi4ELi64ELc84ELc78ELb1ELb0ELb1EfKffEEviiiT16_PT17_ilS6_ilS4_S6_ilPT18_ili26rocblas_geam_ex_operation_,"axG",@progbits,_ZN12_GLOBAL__N_120geam_min_plus_kernelIf15HIP_vector_typeIfLj2EEfLi32ELi8ELi128ELi128ELi4ELi4ELi64ELi4ELi64ELc84ELc78ELb1ELb0ELb1EfKffEEviiiT16_PT17_ilS6_ilS4_S6_ilPT18_ili26rocblas_geam_ex_operation_,comdat
.Lfunc_end61:
	.size	_ZN12_GLOBAL__N_120geam_min_plus_kernelIf15HIP_vector_typeIfLj2EEfLi32ELi8ELi128ELi128ELi4ELi4ELi64ELi4ELi64ELc84ELc78ELb1ELb0ELb1EfKffEEviiiT16_PT17_ilS6_ilS4_S6_ilPT18_ili26rocblas_geam_ex_operation_, .Lfunc_end61-_ZN12_GLOBAL__N_120geam_min_plus_kernelIf15HIP_vector_typeIfLj2EEfLi32ELi8ELi128ELi128ELi4ELi4ELi64ELi4ELi64ELc84ELc78ELb1ELb0ELb1EfKffEEviiiT16_PT17_ilS6_ilS4_S6_ilPT18_ili26rocblas_geam_ex_operation_
                                        ; -- End function
	.set _ZN12_GLOBAL__N_120geam_min_plus_kernelIf15HIP_vector_typeIfLj2EEfLi32ELi8ELi128ELi128ELi4ELi4ELi64ELi4ELi64ELc84ELc78ELb1ELb0ELb1EfKffEEviiiT16_PT17_ilS6_ilS4_S6_ilPT18_ili26rocblas_geam_ex_operation_.num_vgpr, 187
	.set _ZN12_GLOBAL__N_120geam_min_plus_kernelIf15HIP_vector_typeIfLj2EEfLi32ELi8ELi128ELi128ELi4ELi4ELi64ELi4ELi64ELc84ELc78ELb1ELb0ELb1EfKffEEviiiT16_PT17_ilS6_ilS4_S6_ilPT18_ili26rocblas_geam_ex_operation_.num_agpr, 0
	.set _ZN12_GLOBAL__N_120geam_min_plus_kernelIf15HIP_vector_typeIfLj2EEfLi32ELi8ELi128ELi128ELi4ELi4ELi64ELi4ELi64ELc84ELc78ELb1ELb0ELb1EfKffEEviiiT16_PT17_ilS6_ilS4_S6_ilPT18_ili26rocblas_geam_ex_operation_.numbered_sgpr, 22
	.set _ZN12_GLOBAL__N_120geam_min_plus_kernelIf15HIP_vector_typeIfLj2EEfLi32ELi8ELi128ELi128ELi4ELi4ELi64ELi4ELi64ELc84ELc78ELb1ELb0ELb1EfKffEEviiiT16_PT17_ilS6_ilS4_S6_ilPT18_ili26rocblas_geam_ex_operation_.num_named_barrier, 0
	.set _ZN12_GLOBAL__N_120geam_min_plus_kernelIf15HIP_vector_typeIfLj2EEfLi32ELi8ELi128ELi128ELi4ELi4ELi64ELi4ELi64ELc84ELc78ELb1ELb0ELb1EfKffEEviiiT16_PT17_ilS6_ilS4_S6_ilPT18_ili26rocblas_geam_ex_operation_.private_seg_size, 0
	.set _ZN12_GLOBAL__N_120geam_min_plus_kernelIf15HIP_vector_typeIfLj2EEfLi32ELi8ELi128ELi128ELi4ELi4ELi64ELi4ELi64ELc84ELc78ELb1ELb0ELb1EfKffEEviiiT16_PT17_ilS6_ilS4_S6_ilPT18_ili26rocblas_geam_ex_operation_.uses_vcc, 1
	.set _ZN12_GLOBAL__N_120geam_min_plus_kernelIf15HIP_vector_typeIfLj2EEfLi32ELi8ELi128ELi128ELi4ELi4ELi64ELi4ELi64ELc84ELc78ELb1ELb0ELb1EfKffEEviiiT16_PT17_ilS6_ilS4_S6_ilPT18_ili26rocblas_geam_ex_operation_.uses_flat_scratch, 0
	.set _ZN12_GLOBAL__N_120geam_min_plus_kernelIf15HIP_vector_typeIfLj2EEfLi32ELi8ELi128ELi128ELi4ELi4ELi64ELi4ELi64ELc84ELc78ELb1ELb0ELb1EfKffEEviiiT16_PT17_ilS6_ilS4_S6_ilPT18_ili26rocblas_geam_ex_operation_.has_dyn_sized_stack, 0
	.set _ZN12_GLOBAL__N_120geam_min_plus_kernelIf15HIP_vector_typeIfLj2EEfLi32ELi8ELi128ELi128ELi4ELi4ELi64ELi4ELi64ELc84ELc78ELb1ELb0ELb1EfKffEEviiiT16_PT17_ilS6_ilS4_S6_ilPT18_ili26rocblas_geam_ex_operation_.has_recursion, 0
	.set _ZN12_GLOBAL__N_120geam_min_plus_kernelIf15HIP_vector_typeIfLj2EEfLi32ELi8ELi128ELi128ELi4ELi4ELi64ELi4ELi64ELc84ELc78ELb1ELb0ELb1EfKffEEviiiT16_PT17_ilS6_ilS4_S6_ilPT18_ili26rocblas_geam_ex_operation_.has_indirect_call, 0
	.section	.AMDGPU.csdata,"",@progbits
; Kernel info:
; codeLenInByte = 17372
; TotalNumSgprs: 24
; NumVgprs: 187
; ScratchSize: 0
; MemoryBound: 0
; FloatMode: 240
; IeeeMode: 1
; LDSByteSize: 8192 bytes/workgroup (compile time only)
; SGPRBlocks: 0
; VGPRBlocks: 23
; NumSGPRsForWavesPerEU: 24
; NumVGPRsForWavesPerEU: 187
; Occupancy: 5
; WaveLimiterHint : 0
; COMPUTE_PGM_RSRC2:SCRATCH_EN: 0
; COMPUTE_PGM_RSRC2:USER_SGPR: 6
; COMPUTE_PGM_RSRC2:TRAP_HANDLER: 0
; COMPUTE_PGM_RSRC2:TGID_X_EN: 1
; COMPUTE_PGM_RSRC2:TGID_Y_EN: 0
; COMPUTE_PGM_RSRC2:TGID_Z_EN: 1
; COMPUTE_PGM_RSRC2:TIDIG_COMP_CNT: 1
	.section	.text._ZN12_GLOBAL__N_120geam_min_plus_kernelIf15HIP_vector_typeIfLj2EEfLi32ELi8ELi128ELi128ELi4ELi4ELi64ELi4ELi64ELc84ELc78ELb0ELb0ELb1EfKffEEviiiT16_PT17_ilS6_ilS4_S6_ilPT18_ili26rocblas_geam_ex_operation_,"axG",@progbits,_ZN12_GLOBAL__N_120geam_min_plus_kernelIf15HIP_vector_typeIfLj2EEfLi32ELi8ELi128ELi128ELi4ELi4ELi64ELi4ELi64ELc84ELc78ELb0ELb0ELb1EfKffEEviiiT16_PT17_ilS6_ilS4_S6_ilPT18_ili26rocblas_geam_ex_operation_,comdat
	.globl	_ZN12_GLOBAL__N_120geam_min_plus_kernelIf15HIP_vector_typeIfLj2EEfLi32ELi8ELi128ELi128ELi4ELi4ELi64ELi4ELi64ELc84ELc78ELb0ELb0ELb1EfKffEEviiiT16_PT17_ilS6_ilS4_S6_ilPT18_ili26rocblas_geam_ex_operation_ ; -- Begin function _ZN12_GLOBAL__N_120geam_min_plus_kernelIf15HIP_vector_typeIfLj2EEfLi32ELi8ELi128ELi128ELi4ELi4ELi64ELi4ELi64ELc84ELc78ELb0ELb0ELb1EfKffEEviiiT16_PT17_ilS6_ilS4_S6_ilPT18_ili26rocblas_geam_ex_operation_
	.p2align	8
	.type	_ZN12_GLOBAL__N_120geam_min_plus_kernelIf15HIP_vector_typeIfLj2EEfLi32ELi8ELi128ELi128ELi4ELi4ELi64ELi4ELi64ELc84ELc78ELb0ELb0ELb1EfKffEEviiiT16_PT17_ilS6_ilS4_S6_ilPT18_ili26rocblas_geam_ex_operation_,@function
_ZN12_GLOBAL__N_120geam_min_plus_kernelIf15HIP_vector_typeIfLj2EEfLi32ELi8ELi128ELi128ELi4ELi4ELi64ELi4ELi64ELc84ELc78ELb0ELb0ELb1EfKffEEviiiT16_PT17_ilS6_ilS4_S6_ilPT18_ili26rocblas_geam_ex_operation_: ; @_ZN12_GLOBAL__N_120geam_min_plus_kernelIf15HIP_vector_typeIfLj2EEfLi32ELi8ELi128ELi128ELi4ELi4ELi64ELi4ELi64ELc84ELc78ELb0ELb0ELb1EfKffEEviiiT16_PT17_ilS6_ilS4_S6_ilPT18_ili26rocblas_geam_ex_operation_
; %bb.0:
	s_clause 0x1
	s_load_dwordx2 s[14:15], s[4:5], 0x8
	s_load_dwordx4 s[8:11], s[4:5], 0x20
	s_waitcnt lgkmcnt(0)
	v_cmp_eq_f32_e64 s0, s15, 0
	s_and_b32 s1, exec_lo, s0
	s_mov_b32 vcc_lo, s1
	s_cbranch_vccnz .LBB62_163
; %bb.1:
	s_load_dwordx2 s[2:3], s[4:5], 0x10
	s_mul_i32 s9, s9, s7
	s_mul_hi_u32 s12, s8, s7
	s_mul_i32 s8, s8, s7
	s_add_i32 s9, s12, s9
	s_lshl_b64 s[8:9], s[8:9], 2
	s_waitcnt lgkmcnt(0)
	s_add_u32 s16, s2, s8
	s_addc_u32 s17, s3, s9
	s_andn2_b32 vcc_lo, exec_lo, s0
	s_mov_b32 s0, -1
	s_cbranch_vccnz .LBB62_3
.LBB62_2:
	s_mov_b32 s0, 0
.LBB62_3:
	s_mov_b64 s[12:13], 0
	s_andn2_b32 vcc_lo, exec_lo, s0
	s_mov_b64 s[18:19], 0
	s_cbranch_vccnz .LBB62_5
; %bb.4:
	s_load_dwordx2 s[2:3], s[4:5], 0x38
	s_waitcnt lgkmcnt(0)
	s_mul_i32 s0, s3, s7
	s_mul_hi_u32 s3, s2, s7
	s_mul_i32 s2, s2, s7
	s_add_i32 s3, s3, s0
	s_lshl_b64 s[2:3], s[2:3], 2
	s_add_u32 s18, s10, s2
	s_addc_u32 s19, s11, s3
.LBB62_5:
	s_clause 0x1
	s_load_dword s3, s[4:5], 0x40
	s_load_dwordx4 s[8:11], s[4:5], 0x58
	v_cmp_neq_f32_e64 s20, s15, 0
	s_waitcnt lgkmcnt(0)
	v_cmp_eq_f32_e64 s0, s3, 0
	s_and_b32 s0, exec_lo, s0
	s_mov_b32 vcc_lo, s0
	s_cbranch_vccnz .LBB62_7
; %bb.6:
	s_load_dwordx2 s[12:13], s[4:5], 0x48
	s_mul_i32 s2, s9, s7
	s_mul_hi_u32 s9, s8, s7
	s_mul_i32 s8, s8, s7
	s_add_i32 s9, s9, s2
	s_lshl_b64 s[8:9], s[8:9], 2
	s_waitcnt lgkmcnt(0)
	s_add_u32 s12, s12, s8
	s_addc_u32 s13, s13, s9
.LBB62_7:
	s_clause 0x1
	s_load_dword s2, s[4:5], 0x0
	s_load_dword s9, s[4:5], 0x18
	v_lshl_add_u32 v3, v1, 5, v0
	v_cndmask_b32_e64 v5, 0, 1, s20
	v_mov_b32_e32 v4, 0
	v_lshrrev_b32_e32 v3, 2, v3
	s_waitcnt lgkmcnt(0)
	s_add_i32 s2, s2, -1
	s_ashr_i32 s8, s2, 31
	s_lshr_b32 s8, s8, 25
	s_add_i32 s2, s2, s8
	s_ashr_i32 s2, s2, 7
	s_add_i32 s21, s2, 1
	s_not_b32 s2, s2
	v_cvt_f32_u32_e32 v2, s21
	v_rcp_iflag_f32_e32 v2, v2
	v_mul_f32_e32 v2, 0x4f7ffffe, v2
	v_cvt_u32_f32_e32 v2, v2
	v_readfirstlane_b32 s8, v2
	v_and_b32_e32 v2, 3, v0
	s_mul_i32 s2, s2, s8
	v_lshlrev_b32_e32 v84, 2, v2
	s_mul_hi_u32 s2, s8, s2
	s_add_i32 s8, s8, s2
	s_mul_hi_u32 s2, s6, s8
	s_mul_i32 s8, s2, s21
	s_add_i32 s22, s2, 1
	s_sub_i32 s8, s6, s8
	s_sub_i32 s23, s8, s21
	s_cmp_ge_u32 s8, s21
	s_cselect_b32 s2, s22, s2
	s_cselect_b32 s8, s23, s8
	s_add_i32 s22, s2, 1
	s_cmp_ge_u32 s8, s21
	s_cselect_b32 s8, s22, s2
	s_andn2_b32 vcc_lo, exec_lo, s20
	s_mul_i32 s2, s8, s21
	s_sub_i32 s2, s6, s2
	s_lshl_b32 s6, s2, 7
	v_cmp_ne_u32_e64 s2, 1, v5
	v_add_co_u32 v5, s21, s16, v84
	v_add_nc_u32_e32 v82, s6, v3
	v_add_co_ci_u32_e64 v6, null, s17, 0, s21
	s_mov_b32 s21, -1
	s_cbranch_vccnz .LBB62_9
; %bb.8:
	v_mad_i64_i32 v[7:8], null, v82, s9, 0
	v_lshlrev_b64 v[7:8], 2, v[7:8]
	v_add_co_u32 v7, vcc_lo, v5, v7
	v_add_co_ci_u32_e64 v8, null, v6, v8, vcc_lo
	global_load_dword v4, v[7:8], off
	s_waitcnt vmcnt(0)
	v_mul_f32_e32 v4, s15, v4
.LBB62_9:
	s_load_dword s20, s[4:5], 0x30
	s_lshl_b32 s8, s8, 7
	s_mov_b32 vcc_lo, s1
                                        ; implicit-def: $vgpr7
	s_cbranch_vccz .LBB62_11
; %bb.10:
	v_mov_b32_e32 v7, 0
	s_mov_b32 s21, 0
.LBB62_11:
	v_add_nc_u32_e32 v137, s8, v3
	v_mov_b32_e32 v153, 0
	v_add_nc_u32_e32 v83, 64, v82
	v_mov_b32_e32 v8, 0
	v_mov_b32_e32 v9, 0
	v_add_nc_u32_e32 v152, 64, v137
	s_andn2_b32 vcc_lo, exec_lo, s21
	s_cbranch_vccnz .LBB62_13
; %bb.12:
	v_mad_i64_i32 v[7:8], null, v83, s9, 0
	s_waitcnt lgkmcnt(0)
	v_mad_i64_i32 v[9:10], null, v137, s20, 0
	v_mad_i64_i32 v[11:12], null, v152, s20, 0
	v_add_co_u32 v13, s21, s18, v84
	v_lshlrev_b64 v[7:8], 2, v[7:8]
	v_add_co_ci_u32_e64 v14, null, s19, 0, s21
	v_lshlrev_b64 v[9:10], 2, v[9:10]
	v_lshlrev_b64 v[11:12], 2, v[11:12]
	v_add_co_u32 v7, vcc_lo, v5, v7
	v_add_co_ci_u32_e64 v8, null, v6, v8, vcc_lo
	v_add_co_u32 v9, vcc_lo, v13, v9
	v_add_co_ci_u32_e64 v10, null, v14, v10, vcc_lo
	;; [unrolled: 2-line block ×3, first 2 shown]
	global_load_dword v7, v[7:8], off
	s_clause 0x1
	global_load_dword v8, v[9:10], off
	global_load_dword v10, v[11:12], off
	s_waitcnt vmcnt(2)
	v_mul_f32_e32 v7, s15, v7
	s_waitcnt vmcnt(1)
	v_mul_f32_e32 v9, s15, v8
	;; [unrolled: 2-line block ×3, first 2 shown]
.LBB62_13:
	s_and_b32 vcc_lo, exec_lo, s2
	s_cbranch_vccnz .LBB62_15
; %bb.14:
	v_mad_i64_i32 v[10:11], null, v82, s9, 0
	v_lshlrev_b64 v[10:11], 2, v[10:11]
	v_add_co_u32 v10, vcc_lo, v5, v10
	v_add_co_ci_u32_e64 v11, null, v6, v11, vcc_lo
	global_load_dword v10, v[10:11], off offset:16
	s_waitcnt vmcnt(0)
	v_mul_f32_e32 v153, s15, v10
.LBB62_15:
	v_mov_b32_e32 v155, 0
	s_mov_b32 vcc_lo, s1
	s_cbranch_vccz .LBB62_17
; %bb.16:
	v_mov_b32_e32 v156, 0
	v_mov_b32_e32 v157, 0
	s_cbranch_execz .LBB62_18
	s_branch .LBB62_19
.LBB62_17:
                                        ; implicit-def: $vgpr156
	v_mov_b32_e32 v157, 0
.LBB62_18:
	v_mad_i64_i32 v[10:11], null, v83, s9, 0
	s_waitcnt lgkmcnt(0)
	v_mad_i64_i32 v[12:13], null, v137, s20, 0
	v_mad_i64_i32 v[14:15], null, v152, s20, 0
	v_add_co_u32 v16, s21, s18, v84
	v_lshlrev_b64 v[10:11], 2, v[10:11]
	v_add_co_ci_u32_e64 v17, null, s19, 0, s21
	v_lshlrev_b64 v[12:13], 2, v[12:13]
	v_add_co_u32 v5, vcc_lo, v5, v10
	v_add_co_ci_u32_e64 v6, null, v6, v11, vcc_lo
	v_lshlrev_b64 v[10:11], 2, v[14:15]
	v_add_co_u32 v12, vcc_lo, v16, v12
	v_add_co_ci_u32_e64 v13, null, v17, v13, vcc_lo
	v_add_co_u32 v10, vcc_lo, v16, v10
	v_add_co_ci_u32_e64 v11, null, v17, v11, vcc_lo
	global_load_dword v5, v[5:6], off offset:16
	s_clause 0x1
	global_load_dword v6, v[12:13], off offset:16
	global_load_dword v10, v[10:11], off offset:16
	s_waitcnt vmcnt(2)
	v_mul_f32_e32 v156, s15, v5
	s_waitcnt vmcnt(1)
	v_mul_f32_e32 v157, s15, v6
	;; [unrolled: 2-line block ×3, first 2 shown]
.LBB62_19:
	v_lshlrev_b32_e32 v3, 4, v3
	v_lshlrev_b32_e32 v87, 4, v0
	v_lshlrev_b32_e32 v86, 4, v1
	s_cmp_lt_i32 s14, 9
	v_lshl_or_b32 v85, v2, 2, v3
	ds_write2st64_b32 v85, v4, v7 offset1:4
	ds_write2st64_b32 v85, v9, v8 offset0:16 offset1:20
	s_waitcnt lgkmcnt(0)
	s_barrier
	buffer_gl0_inv
	ds_read_b128 v[14:17], v87
	ds_read_b128 v[10:13], v87 offset:512
	ds_read_b128 v[6:9], v87 offset:1024
	;; [unrolled: 1-line block ×19, first 2 shown]
	ds_write2st64_b32 v85, v153, v156 offset0:8 offset1:12
	ds_write2st64_b32 v85, v157, v155 offset0:24 offset1:28
	s_waitcnt lgkmcnt(0)
	s_barrier
	buffer_gl0_inv
	v_add_f32_e32 v88, v15, v79
	v_add_f32_e32 v89, v14, v78
	v_min3_f32 v115, v89, v88, 0x7f7fffff
	v_add_f32_e32 v88, v11, v79
	v_add_f32_e32 v89, v10, v78
	v_min3_f32 v116, v89, v88, 0x7f7fffff
	v_add_f32_e32 v88, v7, v79
	v_add_f32_e32 v89, v6, v78
	;; [unrolled: 1-line block ×5, first 2 shown]
	v_min3_f32 v117, v89, v88, 0x7f7fffff
	v_min3_f32 v118, v78, v79, 0x7f7fffff
	v_add_f32_e32 v78, v15, v75
	v_add_f32_e32 v79, v14, v74
	v_min3_f32 v114, v79, v78, 0x7f7fffff
	v_add_f32_e32 v78, v11, v75
	v_add_f32_e32 v79, v10, v74
	v_min3_f32 v113, v79, v78, 0x7f7fffff
	v_add_f32_e32 v78, v7, v75
	v_add_f32_e32 v79, v6, v74
	v_add_f32_e32 v75, v3, v75
	v_add_f32_e32 v74, v2, v74
	v_min3_f32 v112, v79, v78, 0x7f7fffff
	v_min3_f32 v111, v74, v75, 0x7f7fffff
	v_add_f32_e32 v74, v15, v71
	v_add_f32_e32 v75, v14, v70
	v_min3_f32 v110, v75, v74, 0x7f7fffff
	v_add_f32_e32 v74, v11, v71
	v_add_f32_e32 v75, v10, v70
	v_min3_f32 v109, v75, v74, 0x7f7fffff
	v_add_f32_e32 v74, v7, v71
	v_add_f32_e32 v75, v6, v70
	v_add_f32_e32 v71, v3, v71
	v_add_f32_e32 v70, v2, v70
	;; [unrolled: 12-line block ×13, first 2 shown]
	v_add_f32_e32 v6, v6, v18
	v_min3_f32 v34, v31, v30, 0x7f7fffff
	v_min3_f32 v31, v26, v27, 0x7f7fffff
	v_add_f32_e32 v26, v15, v23
	v_add_f32_e32 v27, v14, v22
	;; [unrolled: 1-line block ×4, first 2 shown]
	v_min3_f32 v30, v27, v26, 0x7f7fffff
	v_add_f32_e32 v26, v11, v23
	v_add_f32_e32 v27, v10, v22
	;; [unrolled: 1-line block ×4, first 2 shown]
	v_min3_f32 v14, v14, v15, 0x7f7fffff
	v_add_f32_e32 v11, v11, v19
	v_min3_f32 v27, v27, v26, 0x7f7fffff
	v_add_f32_e32 v26, v7, v23
	v_add_f32_e32 v23, v3, v23
	v_add_f32_e32 v7, v7, v19
	v_add_f32_e32 v3, v3, v19
	v_add_f32_e32 v10, v10, v18
	v_min3_f32 v26, v119, v26, 0x7f7fffff
	v_min3_f32 v22, v22, v23, 0x7f7fffff
	;; [unrolled: 1-line block ×4, first 2 shown]
	v_add_f32_e32 v3, v17, v81
	v_add_f32_e32 v7, v16, v80
	v_min3_f32 v10, v10, v11, 0x7f7fffff
	v_min3_f32 v154, v7, v3, v115
	v_add_f32_e32 v3, v13, v81
	v_add_f32_e32 v7, v12, v80
	v_min3_f32 v150, v7, v3, v116
	v_add_f32_e32 v3, v9, v81
	v_add_f32_e32 v7, v8, v80
	;; [unrolled: 3-line block ×59, first 2 shown]
	v_add_f32_e32 v4, v4, v20
	v_min3_f32 v91, v7, v3, v22
	v_add_f32_e32 v3, v17, v21
	v_add_f32_e32 v7, v16, v20
	v_min3_f32 v90, v7, v3, v14
	v_add_f32_e32 v3, v13, v21
	;; [unrolled: 3-line block ×4, first 2 shown]
	v_min3_f32 v99, v4, v3, v2
	s_cbranch_scc1 .LBB62_34
; %bb.20:
	v_mad_i64_i32 v[2:3], null, s20, v152, 0
	v_mad_i64_i32 v[4:5], null, s20, v137, 0
	;; [unrolled: 1-line block ×4, first 2 shown]
	v_lshlrev_b64 v[2:3], 2, v[2:3]
	v_add_nc_u32_e32 v153, 0x1000, v85
	v_lshlrev_b64 v[4:5], 2, v[4:5]
	v_or_b32_e32 v155, 0x1000, v86
	v_add_nc_u32_e32 v152, 0x800, v85
	v_add_nc_u32_e32 v137, 0x1800, v85
	v_add_co_u32 v159, vcc_lo, s18, v2
	v_add_co_ci_u32_e64 v160, null, s19, v3, vcc_lo
	v_lshlrev_b64 v[2:3], 2, v[6:7]
	v_add_co_u32 v161, vcc_lo, s18, v4
	v_add_co_ci_u32_e64 v162, null, s19, v5, vcc_lo
	v_lshlrev_b64 v[4:5], 2, v[8:9]
	v_add_co_u32 v163, vcc_lo, s16, v2
	v_add_co_ci_u32_e64 v164, null, s17, v3, vcc_lo
	v_lshl_add_u32 v156, v0, 4, 0x800
	v_add_co_u32 v165, vcc_lo, s16, v4
	v_lshl_add_u32 v157, v1, 4, 0x1800
	v_mov_b32_e32 v158, 0
	v_add_co_ci_u32_e64 v166, null, s17, v5, vcc_lo
	s_add_i32 s9, s14, -8
	s_mov_b32 s14, 0
	s_branch .LBB62_22
.LBB62_21:                              ;   in Loop: Header=BB62_22 Depth=1
	v_add_f32_e32 v169, v15, v79
	v_add_f32_e32 v170, v14, v78
	;; [unrolled: 1-line block ×10, first 2 shown]
	v_min3_f32 v154, v170, v169, v154
	v_min3_f32 v150, v172, v171, v150
	;; [unrolled: 1-line block ×3, first 2 shown]
	v_add_f32_e32 v148, v11, v75
	v_min3_f32 v79, v176, v175, v149
	v_add_f32_e32 v149, v10, v74
	v_add_f32_e32 v169, v7, v75
	;; [unrolled: 1-line block ×7, first 2 shown]
	v_min3_f32 v151, v174, v173, v151
	v_add_f32_e32 v173, v11, v71
	v_add_f32_e32 v174, v10, v70
	v_min3_f32 v146, v149, v148, v146
	v_min3_f32 v74, v74, v75, v144
	;; [unrolled: 1-line block ×3, first 2 shown]
	v_add_f32_e32 v144, v7, v71
	v_add_f32_e32 v145, v6, v70
	;; [unrolled: 1-line block ×6, first 2 shown]
	v_min3_f32 v147, v170, v169, v147
	v_add_f32_e32 v169, v11, v67
	v_add_f32_e32 v170, v10, v66
	;; [unrolled: 1-line block ×4, first 2 shown]
	v_min3_f32 v142, v145, v144, v142
	v_min3_f32 v70, v70, v71, v140
	;; [unrolled: 1-line block ×3, first 2 shown]
	v_add_f32_e32 v67, v3, v67
	v_add_f32_e32 v66, v2, v66
	;; [unrolled: 1-line block ×10, first 2 shown]
	v_min3_f32 v66, v66, v67, v135
	v_min3_f32 v67, v141, v140, v136
	;; [unrolled: 1-line block ×3, first 2 shown]
	v_add_f32_e32 v135, v11, v59
	v_min3_f32 v62, v62, v63, v131
	v_add_f32_e32 v63, v15, v59
	v_add_f32_e32 v131, v14, v58
	;; [unrolled: 1-line block ×9, first 2 shown]
	v_min3_f32 v63, v131, v63, v132
	v_min3_f32 v129, v136, v135, v129
	;; [unrolled: 1-line block ×3, first 2 shown]
	v_add_f32_e32 v127, v11, v55
	v_min3_f32 v59, v145, v144, v128
	v_add_f32_e32 v128, v10, v54
	v_add_f32_e32 v131, v7, v55
	;; [unrolled: 1-line block ×7, first 2 shown]
	v_min3_f32 v130, v141, v140, v130
	v_add_f32_e32 v140, v11, v51
	v_add_f32_e32 v141, v10, v50
	v_min3_f32 v125, v128, v127, v125
	v_min3_f32 v54, v54, v55, v123
	;; [unrolled: 1-line block ×3, first 2 shown]
	v_add_f32_e32 v123, v7, v51
	v_add_f32_e32 v124, v6, v50
	;; [unrolled: 1-line block ×6, first 2 shown]
	v_min3_f32 v126, v132, v131, v126
	v_add_f32_e32 v131, v11, v47
	v_add_f32_e32 v132, v10, v46
	;; [unrolled: 1-line block ×4, first 2 shown]
	v_min3_f32 v121, v124, v123, v121
	v_min3_f32 v50, v50, v51, v119
	;; [unrolled: 1-line block ×3, first 2 shown]
	v_add_f32_e32 v47, v3, v47
	v_add_f32_e32 v46, v2, v46
	;; [unrolled: 1-line block ×10, first 2 shown]
	v_min3_f32 v46, v46, v47, v115
	v_min3_f32 v47, v120, v119, v116
	;; [unrolled: 1-line block ×3, first 2 shown]
	v_add_f32_e32 v115, v11, v39
	v_min3_f32 v42, v42, v43, v111
	v_add_f32_e32 v43, v15, v39
	v_add_f32_e32 v111, v14, v38
	v_add_f32_e32 v116, v10, v38
	v_add_f32_e32 v119, v7, v39
	v_add_f32_e32 v120, v6, v38
	v_add_f32_e32 v39, v3, v39
	v_add_f32_e32 v38, v2, v38
	v_add_f32_e32 v123, v15, v35
	v_add_f32_e32 v124, v14, v34
	v_min3_f32 v43, v111, v43, v112
	v_min3_f32 v109, v116, v115, v109
	;; [unrolled: 1-line block ×3, first 2 shown]
	v_add_f32_e32 v107, v11, v35
	v_min3_f32 v39, v124, v123, v108
	v_add_f32_e32 v108, v10, v34
	v_add_f32_e32 v111, v7, v35
	;; [unrolled: 1-line block ×7, first 2 shown]
	v_min3_f32 v110, v120, v119, v110
	v_add_f32_e32 v119, v11, v31
	v_add_f32_e32 v120, v10, v30
	v_min3_f32 v105, v108, v107, v105
	v_min3_f32 v34, v34, v35, v103
	;; [unrolled: 1-line block ×3, first 2 shown]
	v_add_f32_e32 v103, v7, v31
	v_add_f32_e32 v104, v6, v30
	;; [unrolled: 1-line block ×6, first 2 shown]
	v_min3_f32 v106, v112, v111, v106
	v_add_f32_e32 v111, v11, v27
	v_add_f32_e32 v112, v10, v26
	;; [unrolled: 1-line block ×4, first 2 shown]
	v_min3_f32 v101, v104, v103, v101
	v_min3_f32 v30, v30, v31, v98
	;; [unrolled: 1-line block ×3, first 2 shown]
	v_add_f32_e32 v27, v3, v27
	v_add_f32_e32 v26, v2, v26
	;; [unrolled: 1-line block ×20, first 2 shown]
	v_min3_f32 v22, v22, v23, v91
	v_min3_f32 v10, v10, v11, v88
	;; [unrolled: 1-line block ×3, first 2 shown]
	v_add_f32_e32 v2, v13, v81
	v_min3_f32 v88, v19, v18, v154
	v_add_f32_e32 v3, v12, v80
	v_add_f32_e32 v11, v5, v81
	;; [unrolled: 1-line block ×3, first 2 shown]
	v_min3_f32 v26, v26, v27, v94
	v_min3_f32 v14, v14, v15, v90
	;; [unrolled: 1-line block ×3, first 2 shown]
	v_add_f32_e32 v6, v9, v81
	v_add_f32_e32 v7, v8, v80
	;; [unrolled: 1-line block ×4, first 2 shown]
	v_min3_f32 v90, v3, v2, v150
	v_min3_f32 v94, v18, v11, v78
	v_add_f32_e32 v2, v9, v77
	v_add_f32_e32 v3, v8, v76
	;; [unrolled: 1-line block ×4, first 2 shown]
	v_min3_f32 v143, v174, v173, v143
	v_min3_f32 v138, v170, v169, v138
	;; [unrolled: 1-line block ×3, first 2 shown]
	v_add_f32_e32 v89, v12, v76
	v_min3_f32 v91, v7, v6, v151
	v_min3_f32 v95, v80, v19, v79
	v_add_f32_e32 v6, v5, v77
	v_add_f32_e32 v7, v4, v76
	;; [unrolled: 1-line block ×4, first 2 shown]
	v_min3_f32 v98, v3, v2, v147
	v_min3_f32 v100, v18, v11, v75
	v_add_f32_e32 v2, v5, v73
	v_add_f32_e32 v3, v4, v72
	;; [unrolled: 1-line block ×4, first 2 shown]
	v_min3_f32 v139, v172, v171, v139
	v_min3_f32 v134, v149, v148, v134
	v_min3_f32 v96, v112, v111, v96
	v_min3_f32 v92, v104, v103, v92
	v_min3_f32 v93, v108, v107, v93
	v_add_f32_e32 v78, v8, v72
	v_min3_f32 v99, v7, v6, v74
	v_min3_f32 v103, v76, v19, v143
	v_add_f32_e32 v6, v17, v69
	v_add_f32_e32 v7, v16, v68
	;; [unrolled: 1-line block ×4, first 2 shown]
	v_min3_f32 v107, v3, v2, v70
	v_min3_f32 v111, v18, v11, v138
	v_add_f32_e32 v2, v17, v65
	v_add_f32_e32 v3, v16, v64
	v_add_f32_e32 v11, v9, v65
	v_add_f32_e32 v18, v8, v64
	v_min3_f32 v102, v120, v119, v102
	v_min3_f32 v97, v116, v115, v97
	v_add_f32_e32 v69, v5, v69
	v_add_f32_e32 v68, v4, v68
	v_min3_f32 v108, v7, v6, v71
	v_min3_f32 v112, v72, v19, v139
	v_add_f32_e32 v6, v13, v65
	v_add_f32_e32 v7, v12, v64
	;; [unrolled: 1-line block ×4, first 2 shown]
	v_min3_f32 v116, v3, v2, v67
	v_min3_f32 v120, v18, v11, v134
	v_add_f32_e32 v2, v13, v61
	v_add_f32_e32 v3, v12, v60
	;; [unrolled: 1-line block ×4, first 2 shown]
	v_min3_f32 v114, v128, v127, v114
	v_min3_f32 v115, v68, v69, v66
	v_add_f32_e32 v66, v16, v60
	v_min3_f32 v119, v7, v6, v133
	v_min3_f32 v123, v64, v19, v62
	v_add_f32_e32 v6, v9, v61
	v_add_f32_e32 v7, v8, v60
	;; [unrolled: 1-line block ×4, first 2 shown]
	v_min3_f32 v127, v3, v2, v129
	v_min3_f32 v129, v18, v11, v58
	v_add_f32_e32 v2, v9, v57
	v_add_f32_e32 v3, v8, v56
	;; [unrolled: 1-line block ×4, first 2 shown]
	v_min3_f32 v122, v141, v140, v122
	v_min3_f32 v117, v132, v131, v117
	v_add_f32_e32 v62, v12, v56
	v_min3_f32 v128, v7, v6, v130
	v_min3_f32 v130, v60, v19, v59
	v_add_f32_e32 v6, v5, v57
	v_add_f32_e32 v7, v4, v56
	;; [unrolled: 1-line block ×4, first 2 shown]
	v_min3_f32 v126, v3, v2, v126
	v_min3_f32 v132, v18, v11, v55
	v_add_f32_e32 v2, v5, v53
	v_add_f32_e32 v3, v4, v52
	;; [unrolled: 1-line block ×4, first 2 shown]
	v_min3_f32 v118, v136, v135, v118
	v_add_f32_e32 v58, v8, v52
	v_min3_f32 v131, v7, v6, v54
	v_min3_f32 v122, v56, v19, v122
	v_add_f32_e32 v6, v17, v49
	v_add_f32_e32 v7, v16, v48
	;; [unrolled: 1-line block ×4, first 2 shown]
	v_min3_f32 v133, v3, v2, v50
	v_min3_f32 v117, v18, v11, v117
	v_add_f32_e32 v2, v17, v45
	v_add_f32_e32 v3, v16, v44
	;; [unrolled: 1-line block ×6, first 2 shown]
	v_min3_f32 v134, v7, v6, v51
	v_min3_f32 v118, v52, v19, v118
	v_add_f32_e32 v6, v13, v45
	v_add_f32_e32 v7, v12, v44
	;; [unrolled: 1-line block ×4, first 2 shown]
	v_min3_f32 v136, v3, v2, v47
	v_min3_f32 v114, v18, v11, v114
	v_add_f32_e32 v2, v13, v41
	v_add_f32_e32 v3, v12, v40
	;; [unrolled: 1-line block ×4, first 2 shown]
	v_min3_f32 v135, v48, v49, v46
	v_add_f32_e32 v46, v16, v40
	v_min3_f32 v113, v7, v6, v113
	v_min3_f32 v138, v44, v19, v42
	v_add_f32_e32 v6, v9, v41
	v_add_f32_e32 v7, v8, v40
	;; [unrolled: 1-line block ×4, first 2 shown]
	v_min3_f32 v109, v3, v2, v109
	v_min3_f32 v140, v18, v11, v38
	v_add_f32_e32 v2, v9, v37
	v_add_f32_e32 v3, v8, v36
	;; [unrolled: 1-line block ×7, first 2 shown]
	v_min3_f32 v110, v7, v6, v110
	v_min3_f32 v141, v40, v19, v39
	v_add_f32_e32 v6, v5, v37
	v_add_f32_e32 v7, v4, v36
	;; [unrolled: 1-line block ×4, first 2 shown]
	v_min3_f32 v106, v3, v2, v106
	v_min3_f32 v143, v18, v11, v35
	v_add_f32_e32 v2, v5, v33
	v_add_f32_e32 v3, v4, v32
	v_add_f32_e32 v11, v13, v29
	v_add_f32_e32 v18, v12, v28
	v_min3_f32 v104, v78, v77, v142
	v_add_f32_e32 v65, v17, v61
	v_add_f32_e32 v45, v17, v41
	;; [unrolled: 1-line block ×3, first 2 shown]
	v_min3_f32 v142, v7, v6, v34
	v_min3_f32 v102, v36, v19, v102
	v_add_f32_e32 v6, v17, v29
	v_add_f32_e32 v7, v16, v28
	v_add_f32_e32 v19, v9, v29
	v_add_f32_e32 v32, v8, v28
	v_min3_f32 v144, v3, v2, v30
	v_min3_f32 v96, v18, v11, v96
	v_add_f32_e32 v2, v17, v25
	v_add_f32_e32 v3, v16, v24
	v_add_f32_e32 v11, v9, v25
	v_add_f32_e32 v18, v8, v24
	v_add_f32_e32 v17, v17, v21
	v_add_f32_e32 v16, v16, v20
	v_min3_f32 v145, v7, v6, v31
	v_min3_f32 v97, v32, v19, v97
	v_add_f32_e32 v6, v13, v25
	v_add_f32_e32 v7, v12, v24
	v_add_f32_e32 v19, v5, v25
	v_add_f32_e32 v24, v4, v24
	v_min3_f32 v93, v18, v11, v93
	v_min3_f32 v149, v16, v17, v14
	v_add_f32_e32 v11, v13, v21
	v_add_f32_e32 v12, v12, v20
	;; [unrolled: 1-line block ×10, first 2 shown]
	v_min3_f32 v147, v3, v2, v27
	v_min3_f32 v92, v7, v6, v92
	;; [unrolled: 1-line block ×3, first 2 shown]
	v_add_f32_e32 v18, v5, v21
	v_add_f32_e32 v19, v4, v20
	ds_read_b128 v[2:5], v87
	ds_read_b128 v[6:9], v155
	v_min3_f32 v150, v12, v11, v10
	ds_read_b128 v[10:13], v87 offset:512
	v_min3_f32 v151, v16, v14, v15
	ds_read_b128 v[14:17], v87 offset:1024
	v_min3_f32 v89, v89, v81, v146
	v_min3_f32 v124, v66, v65, v63
	;; [unrolled: 1-line block ×9, first 2 shown]
	ds_read_b128 v[18:21], v87 offset:1536
	ds_read_b128 v[22:25], v155 offset:128
	;; [unrolled: 1-line block ×16, first 2 shown]
	v_add_co_u32 v159, vcc_lo, v159, 32
	v_add_co_ci_u32_e64 v160, null, 0, v160, vcc_lo
	s_waitcnt lgkmcnt(18)
	v_add_f32_e32 v169, v3, v7
	v_add_f32_e32 v170, v2, v6
	s_waitcnt lgkmcnt(17)
	v_add_f32_e32 v171, v11, v7
	v_add_f32_e32 v172, v10, v6
	;; [unrolled: 3-line block ×3, first 2 shown]
	v_min3_f32 v88, v170, v169, v88
	s_waitcnt lgkmcnt(15)
	v_add_f32_e32 v7, v19, v7
	v_min3_f32 v90, v172, v171, v90
	v_add_f32_e32 v6, v18, v6
	v_min3_f32 v91, v174, v173, v91
	s_waitcnt lgkmcnt(14)
	v_add_f32_e32 v169, v3, v23
	v_add_f32_e32 v170, v2, v22
	;; [unrolled: 1-line block ×8, first 2 shown]
	v_min3_f32 v6, v6, v7, v94
	v_min3_f32 v7, v170, v169, v95
	;; [unrolled: 1-line block ×5, first 2 shown]
	s_waitcnt lgkmcnt(13)
	v_add_f32_e32 v23, v3, v27
	v_add_f32_e32 v95, v2, v26
	;; [unrolled: 1-line block ×8, first 2 shown]
	s_waitcnt lgkmcnt(12)
	v_add_f32_e32 v171, v3, v31
	v_add_f32_e32 v172, v2, v30
	v_min3_f32 v23, v95, v23, v100
	v_min3_f32 v95, v99, v98, v103
	;; [unrolled: 1-line block ×5, first 2 shown]
	v_add_f32_e32 v99, v11, v31
	v_add_f32_e32 v100, v10, v30
	;; [unrolled: 1-line block ×6, first 2 shown]
	s_waitcnt lgkmcnt(11)
	v_add_f32_e32 v107, v3, v35
	v_add_f32_e32 v108, v2, v34
	v_add_f32_e32 v169, v11, v35
	v_add_f32_e32 v170, v10, v34
	v_min3_f32 v99, v100, v99, v111
	v_min3_f32 v100, v104, v103, v112
	;; [unrolled: 1-line block ×5, first 2 shown]
	v_add_f32_e32 v104, v15, v35
	v_add_f32_e32 v107, v14, v34
	;; [unrolled: 1-line block ×4, first 2 shown]
	s_waitcnt lgkmcnt(10)
	v_add_f32_e32 v108, v3, v39
	v_add_f32_e32 v111, v2, v38
	;; [unrolled: 1-line block ×6, first 2 shown]
	v_min3_f32 v104, v107, v104, v120
	v_min3_f32 v34, v34, v35, v123
	;; [unrolled: 1-line block ×5, first 2 shown]
	v_add_f32_e32 v39, v19, v39
	v_add_f32_e32 v38, v18, v38
	s_waitcnt lgkmcnt(9)
	v_add_f32_e32 v111, v3, v43
	v_add_f32_e32 v112, v2, v42
	;; [unrolled: 1-line block ×8, first 2 shown]
	v_min3_f32 v38, v38, v39, v129
	v_min3_f32 v39, v112, v111, v130
	;; [unrolled: 1-line block ×5, first 2 shown]
	s_waitcnt lgkmcnt(8)
	v_add_f32_e32 v43, v3, v47
	v_add_f32_e32 v115, v2, v46
	;; [unrolled: 1-line block ×8, first 2 shown]
	s_waitcnt lgkmcnt(7)
	v_add_f32_e32 v124, v3, v51
	v_add_f32_e32 v125, v2, v50
	v_min3_f32 v43, v115, v43, v132
	v_min3_f32 v115, v119, v116, v122
	;; [unrolled: 1-line block ×5, first 2 shown]
	v_add_f32_e32 v119, v11, v51
	v_add_f32_e32 v120, v10, v50
	;; [unrolled: 1-line block ×6, first 2 shown]
	s_waitcnt lgkmcnt(6)
	v_add_f32_e32 v123, v3, v55
	v_add_f32_e32 v124, v2, v54
	;; [unrolled: 1-line block ×4, first 2 shown]
	v_min3_f32 v117, v120, v119, v117
	v_min3_f32 v118, v122, v121, v118
	;; [unrolled: 1-line block ×4, first 2 shown]
	v_add_f32_e32 v119, v15, v55
	v_add_f32_e32 v120, v14, v54
	;; [unrolled: 1-line block ×4, first 2 shown]
	s_waitcnt lgkmcnt(5)
	v_add_f32_e32 v121, v3, v59
	v_add_f32_e32 v122, v2, v58
	;; [unrolled: 1-line block ×4, first 2 shown]
	v_min3_f32 v113, v126, v125, v113
	v_add_f32_e32 v125, v15, v59
	v_add_f32_e32 v126, v14, v58
	v_min3_f32 v114, v120, v119, v114
	v_min3_f32 v54, v54, v55, v138
	;; [unrolled: 1-line block ×4, first 2 shown]
	v_add_f32_e32 v59, v19, v59
	v_add_f32_e32 v58, v18, v58
	s_waitcnt lgkmcnt(4)
	v_add_f32_e32 v119, v3, v63
	v_add_f32_e32 v120, v2, v62
	;; [unrolled: 1-line block ×8, first 2 shown]
	v_min3_f32 v58, v58, v59, v140
	v_min3_f32 v59, v120, v119, v141
	;; [unrolled: 1-line block ×3, first 2 shown]
	s_waitcnt lgkmcnt(3)
	v_add_f32_e32 v119, v2, v66
	v_min3_f32 v62, v62, v63, v142
	v_add_f32_e32 v63, v3, v67
	v_add_f32_e32 v120, v11, v67
	;; [unrolled: 1-line block ×3, first 2 shown]
	v_min3_f32 v110, v126, v125, v110
	v_min3_f32 v106, v124, v123, v106
	v_add_f32_e32 v122, v15, v67
	v_add_f32_e32 v123, v14, v66
	;; [unrolled: 1-line block ×4, first 2 shown]
	s_waitcnt lgkmcnt(2)
	v_add_f32_e32 v124, v3, v71
	v_add_f32_e32 v125, v2, v70
	v_min3_f32 v63, v119, v63, v143
	v_min3_f32 v102, v121, v120, v102
	v_add_f32_e32 v119, v11, v71
	v_add_f32_e32 v120, v10, v70
	v_min3_f32 v101, v123, v122, v101
	v_min3_f32 v66, v66, v67, v144
	v_min3_f32 v67, v125, v124, v145
	v_add_f32_e32 v121, v15, v71
	v_add_f32_e32 v122, v14, v70
	s_waitcnt lgkmcnt(1)
	v_add_f32_e32 v123, v3, v75
	v_add_f32_e32 v124, v2, v74
	;; [unrolled: 1-line block ×4, first 2 shown]
	v_min3_f32 v96, v120, v119, v96
	v_add_f32_e32 v119, v15, v75
	v_add_f32_e32 v120, v14, v74
	;; [unrolled: 1-line block ×4, first 2 shown]
	s_waitcnt lgkmcnt(0)
	v_add_f32_e32 v3, v3, v79
	v_add_f32_e32 v2, v2, v78
	;; [unrolled: 1-line block ×8, first 2 shown]
	v_min3_f32 v74, v74, v75, v148
	v_min3_f32 v2, v2, v3, v149
	;; [unrolled: 1-line block ×4, first 2 shown]
	v_add_f32_e32 v11, v19, v79
	v_add_f32_e32 v14, v18, v78
	;; [unrolled: 1-line block ×10, first 2 shown]
	v_min3_f32 v11, v14, v11, v154
	v_min3_f32 v154, v18, v15, v88
	v_add_f32_e32 v14, v12, v24
	v_add_f32_e32 v15, v17, v25
	v_min3_f32 v148, v8, v9, v6
	v_add_f32_e32 v6, v5, v25
	v_add_f32_e32 v8, v4, v24
	;; [unrolled: 1-line block ×4, first 2 shown]
	v_min3_f32 v70, v70, v71, v146
	v_min3_f32 v71, v124, v123, v147
	;; [unrolled: 1-line block ×3, first 2 shown]
	v_add_f32_e32 v19, v21, v25
	v_add_f32_e32 v24, v20, v24
	v_add_f32_e32 v25, v5, v29
	v_add_f32_e32 v75, v4, v28
	v_min3_f32 v149, v8, v6, v7
	v_min3_f32 v146, v14, v9, v89
	v_min3_f32 v147, v18, v15, v94
	v_add_f32_e32 v6, v13, v29
	v_add_f32_e32 v7, v12, v28
	v_add_f32_e32 v8, v17, v29
	v_add_f32_e32 v9, v16, v28
	v_add_f32_e32 v14, v21, v29
	v_add_f32_e32 v15, v20, v28
	v_min3_f32 v144, v24, v19, v22
	v_min3_f32 v145, v75, v25, v23
	v_add_f32_e32 v18, v5, v33
	v_add_f32_e32 v19, v4, v32
	v_add_f32_e32 v22, v13, v33
	v_add_f32_e32 v23, v12, v32
	v_min3_f32 v143, v7, v6, v95
	v_min3_f32 v142, v9, v8, v98
	v_min3_f32 v140, v15, v14, v26
	v_add_f32_e32 v6, v17, v33
	v_add_f32_e32 v7, v16, v32
	v_add_f32_e32 v8, v21, v33
	v_add_f32_e32 v9, v20, v32
	v_add_f32_e32 v14, v5, v37
	v_add_f32_e32 v15, v4, v36
	v_min3_f32 v141, v19, v18, v27
	v_min3_f32 v138, v23, v22, v99
	;; [unrolled: 15-line block ×4, first 2 shown]
	v_min3_f32 v127, v23, v22, v38
	v_add_f32_e32 v18, v21, v45
	v_add_f32_e32 v19, v20, v44
	;; [unrolled: 1-line block ×4, first 2 shown]
	v_min3_f32 v128, v7, v6, v39
	v_min3_f32 v125, v9, v8, v111
	;; [unrolled: 1-line block ×3, first 2 shown]
	v_add_f32_e32 v6, v13, v49
	v_add_f32_e32 v7, v12, v48
	;; [unrolled: 1-line block ×6, first 2 shown]
	v_min3_f32 v97, v122, v121, v97
	v_min3_f32 v93, v120, v119, v93
	;; [unrolled: 1-line block ×4, first 2 shown]
	v_add_f32_e32 v18, v5, v53
	v_add_f32_e32 v19, v4, v52
	v_add_f32_e32 v22, v13, v53
	v_add_f32_e32 v23, v12, v52
	v_min3_f32 v122, v7, v6, v115
	v_min3_f32 v121, v9, v8, v116
	v_min3_f32 v119, v15, v14, v46
	v_add_f32_e32 v6, v17, v53
	v_add_f32_e32 v7, v16, v52
	v_add_f32_e32 v8, v21, v53
	v_add_f32_e32 v9, v20, v52
	v_add_f32_e32 v14, v5, v57
	v_add_f32_e32 v15, v4, v56
	v_min3_f32 v120, v19, v18, v47
	v_min3_f32 v117, v23, v22, v117
	v_add_f32_e32 v18, v13, v57
	v_add_f32_e32 v19, v12, v56
	v_add_f32_e32 v22, v17, v57
	v_add_f32_e32 v23, v16, v56
	v_min3_f32 v118, v7, v6, v118
	v_min3_f32 v115, v9, v8, v50
	v_min3_f32 v116, v15, v14, v51
	v_add_f32_e32 v6, v21, v57
	v_add_f32_e32 v7, v20, v56
	v_add_f32_e32 v8, v5, v61
	v_add_f32_e32 v9, v4, v60
	v_add_f32_e32 v14, v13, v61
	v_add_f32_e32 v15, v12, v60
	v_min3_f32 v113, v19, v18, v113
	v_min3_f32 v114, v23, v22, v114
	v_add_f32_e32 v18, v17, v61
	v_add_f32_e32 v19, v16, v60
	v_add_f32_e32 v22, v21, v61
	v_add_f32_e32 v23, v20, v60
	v_min3_f32 v111, v7, v6, v54
	v_min3_f32 v112, v9, v8, v55
	v_min3_f32 v109, v15, v14, v109
	v_add_f32_e32 v6, v5, v65
	v_add_f32_e32 v7, v4, v64
	v_add_f32_e32 v8, v13, v65
	v_add_f32_e32 v9, v12, v64
	v_add_f32_e32 v14, v17, v65
	v_add_f32_e32 v15, v16, v64
	v_min3_f32 v110, v19, v18, v110
	v_min3_f32 v107, v23, v22, v58
	v_add_f32_e32 v18, v21, v65
	v_add_f32_e32 v19, v20, v64
	v_add_f32_e32 v22, v5, v69
	v_add_f32_e32 v23, v4, v68
	v_min3_f32 v108, v7, v6, v59
	v_min3_f32 v105, v9, v8, v105
	v_min3_f32 v106, v15, v14, v106
	v_add_f32_e32 v6, v13, v69
	v_add_f32_e32 v7, v12, v68
	v_add_f32_e32 v8, v17, v69
	v_add_f32_e32 v9, v16, v68
	v_add_f32_e32 v14, v21, v69
	v_add_f32_e32 v15, v20, v68
	v_min3_f32 v103, v19, v18, v62
	v_min3_f32 v104, v23, v22, v63
	v_add_f32_e32 v18, v5, v73
	v_add_f32_e32 v19, v4, v72
	v_add_f32_e32 v22, v13, v73
	v_add_f32_e32 v23, v12, v72
	v_min3_f32 v102, v7, v6, v102
	v_min3_f32 v101, v9, v8, v101
	;; [unrolled: 1-line block ×3, first 2 shown]
	v_add_f32_e32 v6, v17, v73
	v_add_f32_e32 v7, v16, v72
	;; [unrolled: 1-line block ×6, first 2 shown]
	v_add_co_u32 v161, vcc_lo, v161, 32
	v_min3_f32 v100, v19, v18, v67
	v_min3_f32 v96, v23, v22, v96
	v_add_f32_e32 v18, v13, v77
	v_add_f32_e32 v19, v12, v76
	;; [unrolled: 1-line block ×4, first 2 shown]
	v_min3_f32 v97, v7, v6, v97
	v_min3_f32 v94, v9, v8, v70
	;; [unrolled: 1-line block ×3, first 2 shown]
	v_add_f32_e32 v6, v21, v77
	v_add_f32_e32 v7, v20, v76
	v_add_f32_e32 v5, v5, v81
	v_add_f32_e32 v4, v4, v80
	v_add_f32_e32 v8, v13, v81
	v_add_f32_e32 v9, v12, v80
	v_add_f32_e32 v12, v17, v81
	v_add_f32_e32 v13, v16, v80
	v_add_f32_e32 v14, v21, v81
	v_add_f32_e32 v15, v20, v80
	v_add_co_ci_u32_e64 v162, null, 0, v162, vcc_lo
	v_add_co_u32 v163, vcc_lo, v163, 32
	v_add_co_ci_u32_e64 v164, null, 0, v164, vcc_lo
	v_add_co_u32 v165, vcc_lo, v165, 32
	v_min3_f32 v151, v79, v78, v91
	v_min3_f32 v92, v19, v18, v92
	;; [unrolled: 1-line block ×8, first 2 shown]
	v_add_co_ci_u32_e64 v166, null, 0, v166, vcc_lo
	s_add_i32 s14, s14, 8
	ds_write2st64_b32 v152, v167, v83 offset1:4
	ds_write2st64_b32 v137, v82, v168 offset1:4
	s_cmp_ge_i32 s14, s9
	s_waitcnt lgkmcnt(0)
	s_barrier
	buffer_gl0_inv
	s_cbranch_scc1 .LBB62_34
.LBB62_22:                              ; =>This Inner Loop Header: Depth=1
	v_mov_b32_e32 v168, 0
	s_and_b32 vcc_lo, exec_lo, s2
	s_cbranch_vccnz .LBB62_24
; %bb.23:                               ;   in Loop: Header=BB62_22 Depth=1
	v_add_co_u32 v2, vcc_lo, v165, v84
	v_add_co_ci_u32_e64 v3, null, 0, v166, vcc_lo
	global_load_dword v2, v[2:3], off offset:32
	s_waitcnt vmcnt(0)
	v_mul_f32_e32 v168, s15, v2
.LBB62_24:                              ;   in Loop: Header=BB62_22 Depth=1
	s_mov_b32 s16, -1
	s_mov_b32 vcc_lo, s1
                                        ; implicit-def: $vgpr82_vgpr83
                                        ; implicit-def: $vgpr83
	s_cbranch_vccz .LBB62_26
; %bb.25:                               ;   in Loop: Header=BB62_22 Depth=1
	v_mov_b32_e32 v83, v158
	v_mov_b32_e32 v82, 0
	s_mov_b32 s16, 0
.LBB62_26:                              ;   in Loop: Header=BB62_22 Depth=1
	v_mov_b32_e32 v167, 0
	v_mov_b32_e32 v169, 0
	s_andn2_b32 vcc_lo, exec_lo, s16
	s_cbranch_vccnz .LBB62_28
; %bb.27:                               ;   in Loop: Header=BB62_22 Depth=1
	v_add_co_u32 v2, vcc_lo, v163, v84
	v_add_co_ci_u32_e64 v3, null, 0, v164, vcc_lo
	v_add_co_u32 v4, vcc_lo, v161, v84
	v_add_co_ci_u32_e64 v5, null, 0, v162, vcc_lo
	;; [unrolled: 2-line block ×3, first 2 shown]
	global_load_dword v2, v[2:3], off offset:32
	global_load_dword v3, v[4:5], off offset:32
	;; [unrolled: 1-line block ×3, first 2 shown]
	s_waitcnt vmcnt(2)
	v_mul_f32_e32 v83, s15, v2
	s_waitcnt vmcnt(1)
	v_mul_f32_e32 v82, s15, v3
	;; [unrolled: 2-line block ×3, first 2 shown]
.LBB62_28:                              ;   in Loop: Header=BB62_22 Depth=1
	ds_read_b128 v[14:17], v156
	ds_read_b128 v[10:13], v156 offset:512
	ds_read_b128 v[6:9], v156 offset:1024
	;; [unrolled: 1-line block ×3, first 2 shown]
	ds_read_b128 v[78:81], v157
	ds_read_b128 v[74:77], v157 offset:128
	ds_read_b128 v[70:73], v157 offset:256
	;; [unrolled: 1-line block ×15, first 2 shown]
	s_and_b32 vcc_lo, exec_lo, s2
	ds_write2st64_b32 v85, v168, v83 offset1:4
	ds_write2st64_b32 v153, v82, v169 offset1:4
	s_waitcnt lgkmcnt(0)
	s_barrier
	buffer_gl0_inv
	s_cbranch_vccnz .LBB62_30
; %bb.29:                               ;   in Loop: Header=BB62_22 Depth=1
	v_add_co_u32 v82, vcc_lo, v165, v84
	v_add_co_ci_u32_e64 v83, null, 0, v166, vcc_lo
	global_load_dword v82, v[82:83], off offset:48
	s_waitcnt vmcnt(0)
	v_mul_f32_e32 v167, s15, v82
.LBB62_30:                              ;   in Loop: Header=BB62_22 Depth=1
	s_mov_b32 s16, -1
	s_mov_b32 vcc_lo, s1
                                        ; implicit-def: $vgpr82_vgpr83
                                        ; implicit-def: $vgpr83
	s_cbranch_vccz .LBB62_32
; %bb.31:                               ;   in Loop: Header=BB62_22 Depth=1
	v_mov_b32_e32 v83, v158
	v_mov_b32_e32 v82, 0
	s_mov_b32 s16, 0
.LBB62_32:                              ;   in Loop: Header=BB62_22 Depth=1
	v_mov_b32_e32 v168, 0
	s_andn2_b32 vcc_lo, exec_lo, s16
	s_cbranch_vccnz .LBB62_21
; %bb.33:                               ;   in Loop: Header=BB62_22 Depth=1
	v_add_co_u32 v82, vcc_lo, v163, v84
	v_add_co_ci_u32_e64 v83, null, 0, v164, vcc_lo
	v_add_co_u32 v168, vcc_lo, v161, v84
	v_add_co_ci_u32_e64 v169, null, 0, v162, vcc_lo
	v_add_co_u32 v170, vcc_lo, v159, v84
	v_add_co_ci_u32_e64 v171, null, 0, v160, vcc_lo
	global_load_dword v82, v[82:83], off offset:48
	global_load_dword v168, v[168:169], off offset:48
	;; [unrolled: 1-line block ×3, first 2 shown]
	s_waitcnt vmcnt(2)
	v_mul_f32_e32 v83, s15, v82
	s_waitcnt vmcnt(1)
	v_mul_f32_e32 v82, s15, v168
	s_waitcnt vmcnt(0)
	v_mul_f32_e32 v168, s15, v169
	s_branch .LBB62_21
.LBB62_34:
	ds_read_b128 v[16:19], v87 offset:2048
	ds_read_b128 v[76:79], v86 offset:6144
	s_clause 0x2
	s_load_dword s2, s[4:5], 0x68
	s_load_dword s1, s[4:5], 0x50
	s_load_dwordx2 s[14:15], s[4:5], 0x70
	v_add_nc_u32_e32 v137, s8, v1
	v_add_nc_u32_e32 v84, s6, v0
	v_ashrrev_i32_e32 v85, 31, v84
	v_add_nc_u32_e32 v0, 32, v84
	v_lshlrev_b64 v[82:83], 2, v[84:85]
	v_ashrrev_i32_e32 v1, 31, v0
	s_waitcnt lgkmcnt(0)
	v_mad_i64_i32 v[2:3], null, v137, s2, 0
	v_mad_i64_i32 v[4:5], null, v137, s1, 0
	v_add_f32_e32 v6, v17, v77
	v_add_f32_e32 v7, v16, v76
	s_mul_i32 s5, s15, s7
	s_mul_hi_u32 s6, s14, s7
	s_mul_i32 s4, s14, s7
	v_add_f32_e32 v8, v19, v79
	s_add_i32 s5, s6, s5
	v_add_f32_e32 v9, v18, v78
	v_min3_f32 v6, v7, v6, v154
	v_lshlrev_b64 v[2:3], 2, v[2:3]
	s_lshl_b64 s[4:5], s[4:5], 2
	v_lshlrev_b64 v[4:5], 2, v[4:5]
	s_add_u32 s4, s10, s4
	v_min3_f32 v6, v9, v8, v6
	s_addc_u32 s5, s11, s5
	v_add_co_u32 v152, vcc_lo, s4, v2
	v_add_co_ci_u32_e64 v153, null, s5, v3, vcc_lo
	v_add_co_u32 v154, vcc_lo, s12, v4
	v_add_co_ci_u32_e64 v155, null, s13, v5, vcc_lo
	v_max_f32_e32 v2, v6, v6
	s_mov_b32 s6, -1
	s_mov_b32 vcc_lo, s0
	s_cbranch_vccz .LBB62_36
; %bb.35:
	v_add_co_u32 v3, vcc_lo, v152, v82
	v_min_f32_e32 v5, 0, v2
	v_add_co_ci_u32_e64 v4, null, v153, v83, vcc_lo
	s_mov_b32 s6, 0
	global_store_dword v[3:4], v5, off
.LBB62_36:
	ds_read_b128 v[12:15], v87 offset:2560
	ds_read_b128 v[8:11], v87 offset:3072
	v_lshlrev_b64 v[80:81], 2, v[0:1]
	v_mov_b32_e32 v85, 0
	s_andn2_b32 vcc_lo, exec_lo, s6
	s_cbranch_vccnz .LBB62_38
; %bb.37:
	v_add_co_u32 v0, vcc_lo, v154, v82
	v_add_co_ci_u32_e64 v1, null, v155, v83, vcc_lo
	global_load_dword v0, v[0:1], off
	s_waitcnt vmcnt(0)
	v_mul_f32_e32 v3, s3, v0
	v_add_co_u32 v0, vcc_lo, v152, v82
	v_add_co_ci_u32_e64 v1, null, v153, v83, vcc_lo
	v_min_f32_e32 v4, v3, v2
	v_add_co_u32 v2, vcc_lo, v154, v80
	v_add_co_ci_u32_e64 v3, null, v155, v81, vcc_lo
	global_store_dword v[0:1], v4, off
	global_load_dword v0, v[2:3], off
	s_waitcnt vmcnt(0)
	v_mul_f32_e32 v85, s3, v0
.LBB62_38:
	ds_read_b128 v[0:3], v87 offset:3584
	ds_read_b128 v[72:75], v86 offset:6272
	;; [unrolled: 1-line block ×14, first 2 shown]
	s_waitcnt lgkmcnt(15)
	v_add_f32_e32 v87, v13, v77
	v_add_f32_e32 v156, v12, v76
	s_waitcnt lgkmcnt(14)
	v_add_f32_e32 v157, v9, v77
	v_add_f32_e32 v158, v8, v76
	;; [unrolled: 1-line block ×4, first 2 shown]
	ds_read_b128 v[20:23], v86 offset:7936
	ds_read_b128 v[4:7], v86 offset:8064
	v_min3_f32 v87, v156, v87, v150
	v_min3_f32 v156, v158, v157, v151
	v_add_nc_u32_e32 v150, 64, v84
	v_min_f32_e32 v151, v160, v159
	v_add_f32_e32 v157, v11, v79
	v_add_f32_e32 v158, v10, v78
	v_add_nc_u32_e32 v86, 0x60, v84
	v_add_co_u32 v84, vcc_lo, v152, v80
	v_min3_f32 v159, v85, v151, v87
	v_add_co_ci_u32_e64 v85, null, v153, v81, vcc_lo
	v_ashrrev_i32_e32 v151, 31, v150
	v_min3_f32 v156, v158, v157, v156
	v_ashrrev_i32_e32 v87, 31, v86
	global_store_dword v[84:85], v159, off
	s_mov_b32 s6, -1
	v_lshlrev_b64 v[84:85], 2, v[150:151]
	v_max_f32_e32 v150, v156, v156
	s_mov_b32 vcc_lo, s0
	s_cbranch_vccz .LBB62_40
; %bb.39:
	v_add_co_u32 v156, vcc_lo, v152, v84
	v_min_f32_e32 v151, 0, v150
	v_add_co_ci_u32_e64 v157, null, v153, v85, vcc_lo
	s_mov_b32 s6, 0
	global_store_dword v[156:157], v151, off
.LBB62_40:
	v_lshlrev_b64 v[86:87], 2, v[86:87]
	v_mov_b32_e32 v151, 0
	s_andn2_b32 vcc_lo, exec_lo, s6
	s_cbranch_vccnz .LBB62_42
; %bb.41:
	v_add_co_u32 v156, vcc_lo, v154, v84
	v_add_co_ci_u32_e64 v157, null, v155, v85, vcc_lo
	global_load_dword v151, v[156:157], off
	v_add_co_u32 v156, vcc_lo, v152, v84
	v_add_co_ci_u32_e64 v157, null, v153, v85, vcc_lo
	s_waitcnt vmcnt(0)
	v_mul_f32_e32 v151, s3, v151
	v_min_f32_e32 v158, v151, v150
	v_add_co_u32 v150, vcc_lo, v154, v86
	v_add_co_ci_u32_e64 v151, null, v155, v87, vcc_lo
	global_store_dword v[156:157], v158, off
	global_load_dword v150, v[150:151], off
	s_waitcnt vmcnt(0)
	v_mul_f32_e32 v151, s3, v150
.LBB62_42:
	s_waitcnt lgkmcnt(15)
	v_add_f32_e32 v77, v1, v77
	v_add_f32_e32 v76, v0, v76
	;; [unrolled: 1-line block ×4, first 2 shown]
	s_waitcnt lgkmcnt(14)
	v_add_f32_e32 v150, v17, v73
	v_add_f32_e32 v154, v16, v72
	v_min3_f32 v76, v76, v77, v148
	v_add_f32_e32 v155, v18, v74
	v_min_f32_e32 v77, v78, v79
	v_add_nc_u32_e32 v78, 8, v137
	v_min3_f32 v150, v154, v150, v149
	v_add_f32_e32 v154, v19, v75
	v_add_co_u32 v148, vcc_lo, v152, v86
	v_min3_f32 v151, v151, v77, v76
	v_mad_i64_i32 v[76:77], null, v78, s2, 0
	v_mad_i64_i32 v[78:79], null, v78, s1, 0
	v_add_co_ci_u32_e64 v149, null, v153, v87, vcc_lo
	v_min3_f32 v150, v155, v154, v150
	s_mov_b32 s6, -1
	v_lshlrev_b64 v[76:77], 2, v[76:77]
	global_store_dword v[148:149], v151, off
	v_lshlrev_b64 v[78:79], 2, v[78:79]
	v_max_f32_e32 v148, v150, v150
	v_add_co_u32 v76, vcc_lo, s4, v76
	v_add_co_ci_u32_e64 v77, null, s5, v77, vcc_lo
	v_add_co_u32 v78, vcc_lo, s12, v78
	v_add_co_ci_u32_e64 v79, null, s13, v79, vcc_lo
	s_mov_b32 vcc_lo, s0
	s_cbranch_vccz .LBB62_44
; %bb.43:
	v_add_co_u32 v149, vcc_lo, v76, v82
	v_min_f32_e32 v151, 0, v148
	v_add_co_ci_u32_e64 v150, null, v77, v83, vcc_lo
	s_mov_b32 s6, 0
	global_store_dword v[149:150], v151, off
.LBB62_44:
	v_mov_b32_e32 v149, 0
	s_andn2_b32 vcc_lo, exec_lo, s6
	s_cbranch_vccnz .LBB62_46
; %bb.45:
	v_add_co_u32 v149, vcc_lo, v78, v82
	v_add_co_ci_u32_e64 v150, null, v79, v83, vcc_lo
	global_load_dword v149, v[149:150], off
	s_waitcnt vmcnt(0)
	v_mul_f32_e32 v151, s3, v149
	v_add_co_u32 v149, vcc_lo, v76, v82
	v_add_co_ci_u32_e64 v150, null, v77, v83, vcc_lo
	v_min_f32_e32 v148, v151, v148
	v_add_co_u32 v151, vcc_lo, v78, v80
	v_add_co_ci_u32_e64 v152, null, v79, v81, vcc_lo
	global_store_dword v[149:150], v148, off
	global_load_dword v148, v[151:152], off
	s_waitcnt vmcnt(0)
	v_mul_f32_e32 v149, s3, v148
.LBB62_46:
	v_add_f32_e32 v148, v13, v73
	v_add_f32_e32 v150, v12, v72
	;; [unrolled: 1-line block ×6, first 2 shown]
	v_min3_f32 v146, v150, v148, v146
	s_mov_b32 s6, -1
	v_min_f32_e32 v148, v152, v151
	v_add_f32_e32 v151, v11, v75
	v_min3_f32 v150, v154, v153, v147
	v_add_f32_e32 v152, v10, v74
	v_min3_f32 v148, v149, v148, v146
	v_add_co_u32 v146, vcc_lo, v76, v80
	v_add_co_ci_u32_e64 v147, null, v77, v81, vcc_lo
	v_min3_f32 v149, v152, v151, v150
	s_mov_b32 vcc_lo, s0
	global_store_dword v[146:147], v148, off
	v_max_f32_e32 v146, v149, v149
	s_cbranch_vccz .LBB62_48
; %bb.47:
	v_add_co_u32 v147, vcc_lo, v76, v84
	v_min_f32_e32 v149, 0, v146
	v_add_co_ci_u32_e64 v148, null, v77, v85, vcc_lo
	s_mov_b32 s6, 0
	global_store_dword v[147:148], v149, off
.LBB62_48:
	v_mov_b32_e32 v147, 0
	s_andn2_b32 vcc_lo, exec_lo, s6
	s_cbranch_vccnz .LBB62_50
; %bb.49:
	v_add_co_u32 v147, vcc_lo, v78, v84
	v_add_co_ci_u32_e64 v148, null, v79, v85, vcc_lo
	global_load_dword v147, v[147:148], off
	s_waitcnt vmcnt(0)
	v_mul_f32_e32 v149, s3, v147
	v_add_co_u32 v147, vcc_lo, v76, v84
	v_add_co_ci_u32_e64 v148, null, v77, v85, vcc_lo
	v_add_co_u32 v78, vcc_lo, v78, v86
	v_min_f32_e32 v146, v149, v146
	v_add_co_ci_u32_e64 v79, null, v79, v87, vcc_lo
	global_store_dword v[147:148], v146, off
	global_load_dword v78, v[78:79], off
	s_waitcnt vmcnt(0)
	v_mul_f32_e32 v147, s3, v78
.LBB62_50:
	v_add_f32_e32 v73, v1, v73
	v_add_f32_e32 v72, v0, v72
	;; [unrolled: 1-line block ×4, first 2 shown]
	s_waitcnt lgkmcnt(13)
	v_add_f32_e32 v78, v17, v69
	v_add_f32_e32 v79, v16, v68
	v_min3_f32 v72, v72, v73, v144
	v_add_f32_e32 v144, v18, v70
	v_min_f32_e32 v73, v74, v75
	v_add_nc_u32_e32 v74, 16, v137
	v_min3_f32 v78, v79, v78, v145
	v_add_f32_e32 v79, v19, v71
	v_add_co_u32 v76, vcc_lo, v76, v86
	v_min3_f32 v145, v147, v73, v72
	v_mad_i64_i32 v[72:73], null, v74, s2, 0
	v_mad_i64_i32 v[74:75], null, v74, s1, 0
	v_add_co_ci_u32_e64 v77, null, v77, v87, vcc_lo
	v_min3_f32 v78, v144, v79, v78
	s_mov_b32 s6, -1
	v_lshlrev_b64 v[72:73], 2, v[72:73]
	global_store_dword v[76:77], v145, off
	v_lshlrev_b64 v[74:75], 2, v[74:75]
	v_max_f32_e32 v76, v78, v78
	v_add_co_u32 v72, vcc_lo, s4, v72
	v_add_co_ci_u32_e64 v73, null, s5, v73, vcc_lo
	v_add_co_u32 v74, vcc_lo, s12, v74
	v_add_co_ci_u32_e64 v75, null, s13, v75, vcc_lo
	s_mov_b32 vcc_lo, s0
	s_cbranch_vccz .LBB62_52
; %bb.51:
	v_add_co_u32 v77, vcc_lo, v72, v82
	v_min_f32_e32 v79, 0, v76
	v_add_co_ci_u32_e64 v78, null, v73, v83, vcc_lo
	s_mov_b32 s6, 0
	global_store_dword v[77:78], v79, off
.LBB62_52:
	v_mov_b32_e32 v77, 0
	s_andn2_b32 vcc_lo, exec_lo, s6
	s_cbranch_vccnz .LBB62_54
; %bb.53:
	v_add_co_u32 v77, vcc_lo, v74, v82
	v_add_co_ci_u32_e64 v78, null, v75, v83, vcc_lo
	global_load_dword v77, v[77:78], off
	s_waitcnt vmcnt(0)
	v_mul_f32_e32 v79, s3, v77
	v_add_co_u32 v77, vcc_lo, v72, v82
	v_add_co_ci_u32_e64 v78, null, v73, v83, vcc_lo
	v_add_co_u32 v144, vcc_lo, v74, v80
	v_min_f32_e32 v76, v79, v76
	v_add_co_ci_u32_e64 v145, null, v75, v81, vcc_lo
	global_store_dword v[77:78], v76, off
	global_load_dword v76, v[144:145], off
	s_waitcnt vmcnt(0)
	v_mul_f32_e32 v77, s3, v76
.LBB62_54:
	v_add_f32_e32 v76, v13, v69
	v_add_f32_e32 v78, v12, v68
	;; [unrolled: 1-line block ×6, first 2 shown]
	v_min3_f32 v76, v78, v76, v143
	v_add_f32_e32 v143, v10, v70
	v_min_f32_e32 v78, v144, v79
	s_mov_b32 s6, -1
	v_min3_f32 v79, v146, v145, v142
	v_add_f32_e32 v142, v11, v71
	v_min3_f32 v78, v77, v78, v76
	v_add_co_u32 v76, vcc_lo, v72, v80
	v_add_co_ci_u32_e64 v77, null, v73, v81, vcc_lo
	v_min3_f32 v79, v143, v142, v79
	s_mov_b32 vcc_lo, s0
	global_store_dword v[76:77], v78, off
	v_max_f32_e32 v76, v79, v79
	s_cbranch_vccz .LBB62_56
; %bb.55:
	v_add_co_u32 v77, vcc_lo, v72, v84
	v_min_f32_e32 v79, 0, v76
	v_add_co_ci_u32_e64 v78, null, v73, v85, vcc_lo
	s_mov_b32 s6, 0
	global_store_dword v[77:78], v79, off
.LBB62_56:
	v_mov_b32_e32 v77, 0
	s_andn2_b32 vcc_lo, exec_lo, s6
	s_cbranch_vccnz .LBB62_58
; %bb.57:
	v_add_co_u32 v77, vcc_lo, v74, v84
	v_add_co_ci_u32_e64 v78, null, v75, v85, vcc_lo
	global_load_dword v77, v[77:78], off
	s_waitcnt vmcnt(0)
	v_mul_f32_e32 v79, s3, v77
	v_add_co_u32 v77, vcc_lo, v72, v84
	v_add_co_ci_u32_e64 v78, null, v73, v85, vcc_lo
	v_add_co_u32 v74, vcc_lo, v74, v86
	v_min_f32_e32 v76, v79, v76
	v_add_co_ci_u32_e64 v75, null, v75, v87, vcc_lo
	global_store_dword v[77:78], v76, off
	global_load_dword v74, v[74:75], off
	s_waitcnt vmcnt(0)
	v_mul_f32_e32 v77, s3, v74
.LBB62_58:
	v_add_f32_e32 v69, v1, v69
	v_add_f32_e32 v68, v0, v68
	;; [unrolled: 1-line block ×4, first 2 shown]
	s_waitcnt lgkmcnt(12)
	v_add_f32_e32 v74, v17, v65
	v_add_f32_e32 v75, v16, v64
	v_min3_f32 v68, v68, v69, v140
	v_add_f32_e32 v76, v18, v66
	v_min_f32_e32 v69, v70, v71
	v_add_nc_u32_e32 v70, 24, v137
	v_min3_f32 v74, v75, v74, v141
	v_add_f32_e32 v75, v19, v67
	v_add_co_u32 v72, vcc_lo, v72, v86
	v_min3_f32 v77, v77, v69, v68
	v_mad_i64_i32 v[68:69], null, v70, s2, 0
	v_mad_i64_i32 v[70:71], null, v70, s1, 0
	v_add_co_ci_u32_e64 v73, null, v73, v87, vcc_lo
	v_min3_f32 v74, v76, v75, v74
	s_mov_b32 s6, -1
	v_lshlrev_b64 v[68:69], 2, v[68:69]
	global_store_dword v[72:73], v77, off
	v_lshlrev_b64 v[70:71], 2, v[70:71]
	v_max_f32_e32 v72, v74, v74
	v_add_co_u32 v68, vcc_lo, s4, v68
	v_add_co_ci_u32_e64 v69, null, s5, v69, vcc_lo
	v_add_co_u32 v70, vcc_lo, s12, v70
	v_add_co_ci_u32_e64 v71, null, s13, v71, vcc_lo
	s_mov_b32 vcc_lo, s0
	s_cbranch_vccz .LBB62_60
; %bb.59:
	v_add_co_u32 v73, vcc_lo, v68, v82
	v_min_f32_e32 v75, 0, v72
	v_add_co_ci_u32_e64 v74, null, v69, v83, vcc_lo
	s_mov_b32 s6, 0
	global_store_dword v[73:74], v75, off
.LBB62_60:
	v_mov_b32_e32 v73, 0
	s_andn2_b32 vcc_lo, exec_lo, s6
	s_cbranch_vccnz .LBB62_62
; %bb.61:
	v_add_co_u32 v73, vcc_lo, v70, v82
	v_add_co_ci_u32_e64 v74, null, v71, v83, vcc_lo
	global_load_dword v73, v[73:74], off
	s_waitcnt vmcnt(0)
	v_mul_f32_e32 v75, s3, v73
	v_add_co_u32 v73, vcc_lo, v68, v82
	v_add_co_ci_u32_e64 v74, null, v69, v83, vcc_lo
	v_min_f32_e32 v72, v75, v72
	v_add_co_u32 v75, vcc_lo, v70, v80
	v_add_co_ci_u32_e64 v76, null, v71, v81, vcc_lo
	global_store_dword v[73:74], v72, off
	global_load_dword v72, v[75:76], off
	s_waitcnt vmcnt(0)
	v_mul_f32_e32 v73, s3, v72
.LBB62_62:
	v_add_f32_e32 v72, v13, v65
	v_add_f32_e32 v74, v12, v64
	;; [unrolled: 1-line block ×6, first 2 shown]
	v_min3_f32 v72, v74, v72, v138
	s_mov_b32 s6, -1
	v_min_f32_e32 v74, v76, v75
	v_add_f32_e32 v76, v11, v67
	v_min3_f32 v75, v78, v77, v139
	v_add_f32_e32 v77, v10, v66
	v_min3_f32 v74, v73, v74, v72
	v_add_co_u32 v72, vcc_lo, v68, v80
	v_add_co_ci_u32_e64 v73, null, v69, v81, vcc_lo
	v_min3_f32 v75, v77, v76, v75
	s_mov_b32 vcc_lo, s0
	global_store_dword v[72:73], v74, off
	v_max_f32_e32 v72, v75, v75
	s_cbranch_vccz .LBB62_64
; %bb.63:
	v_add_co_u32 v73, vcc_lo, v68, v84
	v_min_f32_e32 v75, 0, v72
	v_add_co_ci_u32_e64 v74, null, v69, v85, vcc_lo
	s_mov_b32 s6, 0
	global_store_dword v[73:74], v75, off
.LBB62_64:
	v_mov_b32_e32 v73, 0
	s_andn2_b32 vcc_lo, exec_lo, s6
	s_cbranch_vccnz .LBB62_66
; %bb.65:
	v_add_co_u32 v73, vcc_lo, v70, v84
	v_add_co_ci_u32_e64 v74, null, v71, v85, vcc_lo
	global_load_dword v73, v[73:74], off
	s_waitcnt vmcnt(0)
	v_mul_f32_e32 v75, s3, v73
	v_add_co_u32 v73, vcc_lo, v68, v84
	v_add_co_ci_u32_e64 v74, null, v69, v85, vcc_lo
	v_add_co_u32 v70, vcc_lo, v70, v86
	v_min_f32_e32 v72, v75, v72
	v_add_co_ci_u32_e64 v71, null, v71, v87, vcc_lo
	global_store_dword v[73:74], v72, off
	global_load_dword v70, v[70:71], off
	s_waitcnt vmcnt(0)
	v_mul_f32_e32 v73, s3, v70
.LBB62_66:
	v_add_f32_e32 v65, v1, v65
	v_add_f32_e32 v64, v0, v64
	;; [unrolled: 1-line block ×4, first 2 shown]
	s_waitcnt lgkmcnt(11)
	v_add_f32_e32 v70, v17, v61
	v_add_f32_e32 v71, v16, v60
	v_min3_f32 v64, v64, v65, v135
	v_add_f32_e32 v72, v18, v62
	v_min_f32_e32 v65, v66, v67
	v_add_nc_u32_e32 v66, 32, v137
	v_min3_f32 v70, v71, v70, v136
	v_add_f32_e32 v71, v19, v63
	v_add_co_u32 v68, vcc_lo, v68, v86
	v_min3_f32 v73, v73, v65, v64
	v_mad_i64_i32 v[64:65], null, v66, s2, 0
	v_mad_i64_i32 v[66:67], null, v66, s1, 0
	v_add_co_ci_u32_e64 v69, null, v69, v87, vcc_lo
	v_min3_f32 v70, v72, v71, v70
	s_mov_b32 s6, -1
	v_lshlrev_b64 v[64:65], 2, v[64:65]
	global_store_dword v[68:69], v73, off
	v_lshlrev_b64 v[66:67], 2, v[66:67]
	v_max_f32_e32 v68, v70, v70
	v_add_co_u32 v64, vcc_lo, s4, v64
	v_add_co_ci_u32_e64 v65, null, s5, v65, vcc_lo
	v_add_co_u32 v66, vcc_lo, s12, v66
	v_add_co_ci_u32_e64 v67, null, s13, v67, vcc_lo
	s_mov_b32 vcc_lo, s0
	s_cbranch_vccz .LBB62_68
; %bb.67:
	v_add_co_u32 v69, vcc_lo, v64, v82
	v_min_f32_e32 v71, 0, v68
	v_add_co_ci_u32_e64 v70, null, v65, v83, vcc_lo
	s_mov_b32 s6, 0
	global_store_dword v[69:70], v71, off
.LBB62_68:
	v_mov_b32_e32 v69, 0
	s_andn2_b32 vcc_lo, exec_lo, s6
	s_cbranch_vccnz .LBB62_70
; %bb.69:
	v_add_co_u32 v69, vcc_lo, v66, v82
	v_add_co_ci_u32_e64 v70, null, v67, v83, vcc_lo
	global_load_dword v69, v[69:70], off
	s_waitcnt vmcnt(0)
	v_mul_f32_e32 v71, s3, v69
	v_add_co_u32 v69, vcc_lo, v64, v82
	v_add_co_ci_u32_e64 v70, null, v65, v83, vcc_lo
	v_min_f32_e32 v68, v71, v68
	v_add_co_u32 v71, vcc_lo, v66, v80
	v_add_co_ci_u32_e64 v72, null, v67, v81, vcc_lo
	global_store_dword v[69:70], v68, off
	global_load_dword v68, v[71:72], off
	s_waitcnt vmcnt(0)
	v_mul_f32_e32 v69, s3, v68
.LBB62_70:
	v_add_f32_e32 v68, v13, v61
	v_add_f32_e32 v70, v12, v60
	v_add_f32_e32 v71, v15, v63
	v_add_f32_e32 v72, v14, v62
	v_add_f32_e32 v73, v9, v61
	v_add_f32_e32 v74, v8, v60
	v_min3_f32 v68, v70, v68, v133
	s_mov_b32 s6, -1
	v_min_f32_e32 v70, v72, v71
	v_add_f32_e32 v72, v11, v63
	v_min3_f32 v71, v74, v73, v134
	v_add_f32_e32 v73, v10, v62
	v_min3_f32 v70, v69, v70, v68
	v_add_co_u32 v68, vcc_lo, v64, v80
	v_add_co_ci_u32_e64 v69, null, v65, v81, vcc_lo
	v_min3_f32 v71, v73, v72, v71
	s_mov_b32 vcc_lo, s0
	global_store_dword v[68:69], v70, off
	v_max_f32_e32 v68, v71, v71
	s_cbranch_vccz .LBB62_72
; %bb.71:
	v_add_co_u32 v69, vcc_lo, v64, v84
	v_min_f32_e32 v71, 0, v68
	v_add_co_ci_u32_e64 v70, null, v65, v85, vcc_lo
	s_mov_b32 s6, 0
	global_store_dword v[69:70], v71, off
.LBB62_72:
	v_mov_b32_e32 v69, 0
	s_andn2_b32 vcc_lo, exec_lo, s6
	s_cbranch_vccnz .LBB62_74
; %bb.73:
	v_add_co_u32 v69, vcc_lo, v66, v84
	v_add_co_ci_u32_e64 v70, null, v67, v85, vcc_lo
	global_load_dword v69, v[69:70], off
	s_waitcnt vmcnt(0)
	v_mul_f32_e32 v71, s3, v69
	v_add_co_u32 v69, vcc_lo, v64, v84
	v_add_co_ci_u32_e64 v70, null, v65, v85, vcc_lo
	v_add_co_u32 v66, vcc_lo, v66, v86
	v_min_f32_e32 v68, v71, v68
	v_add_co_ci_u32_e64 v67, null, v67, v87, vcc_lo
	global_store_dword v[69:70], v68, off
	global_load_dword v66, v[66:67], off
	s_waitcnt vmcnt(0)
	v_mul_f32_e32 v69, s3, v66
.LBB62_74:
	v_add_f32_e32 v61, v1, v61
	v_add_f32_e32 v60, v0, v60
	;; [unrolled: 1-line block ×4, first 2 shown]
	s_waitcnt lgkmcnt(10)
	v_add_f32_e32 v66, v17, v57
	v_add_f32_e32 v67, v16, v56
	v_min3_f32 v60, v60, v61, v131
	v_add_f32_e32 v68, v18, v58
	v_min_f32_e32 v61, v62, v63
	v_add_nc_u32_e32 v62, 40, v137
	v_min3_f32 v66, v67, v66, v132
	v_add_f32_e32 v67, v19, v59
	v_add_co_u32 v64, vcc_lo, v64, v86
	v_min3_f32 v69, v69, v61, v60
	v_mad_i64_i32 v[60:61], null, v62, s2, 0
	v_mad_i64_i32 v[62:63], null, v62, s1, 0
	v_add_co_ci_u32_e64 v65, null, v65, v87, vcc_lo
	v_min3_f32 v66, v68, v67, v66
	s_mov_b32 s6, -1
	v_lshlrev_b64 v[60:61], 2, v[60:61]
	global_store_dword v[64:65], v69, off
	v_lshlrev_b64 v[62:63], 2, v[62:63]
	v_max_f32_e32 v64, v66, v66
	v_add_co_u32 v60, vcc_lo, s4, v60
	v_add_co_ci_u32_e64 v61, null, s5, v61, vcc_lo
	v_add_co_u32 v62, vcc_lo, s12, v62
	v_add_co_ci_u32_e64 v63, null, s13, v63, vcc_lo
	s_mov_b32 vcc_lo, s0
	s_cbranch_vccz .LBB62_76
; %bb.75:
	v_add_co_u32 v65, vcc_lo, v60, v82
	v_min_f32_e32 v67, 0, v64
	v_add_co_ci_u32_e64 v66, null, v61, v83, vcc_lo
	s_mov_b32 s6, 0
	global_store_dword v[65:66], v67, off
.LBB62_76:
	v_mov_b32_e32 v65, 0
	s_andn2_b32 vcc_lo, exec_lo, s6
	s_cbranch_vccnz .LBB62_78
; %bb.77:
	v_add_co_u32 v65, vcc_lo, v62, v82
	v_add_co_ci_u32_e64 v66, null, v63, v83, vcc_lo
	global_load_dword v65, v[65:66], off
	s_waitcnt vmcnt(0)
	v_mul_f32_e32 v67, s3, v65
	v_add_co_u32 v65, vcc_lo, v60, v82
	v_add_co_ci_u32_e64 v66, null, v61, v83, vcc_lo
	v_min_f32_e32 v64, v67, v64
	v_add_co_u32 v67, vcc_lo, v62, v80
	v_add_co_ci_u32_e64 v68, null, v63, v81, vcc_lo
	global_store_dword v[65:66], v64, off
	global_load_dword v64, v[67:68], off
	s_waitcnt vmcnt(0)
	v_mul_f32_e32 v65, s3, v64
.LBB62_78:
	v_add_f32_e32 v64, v13, v57
	v_add_f32_e32 v66, v12, v56
	;; [unrolled: 1-line block ×6, first 2 shown]
	v_min3_f32 v64, v66, v64, v129
	s_mov_b32 s6, -1
	v_min_f32_e32 v66, v68, v67
	v_add_f32_e32 v68, v11, v59
	v_min3_f32 v67, v70, v69, v130
	v_add_f32_e32 v69, v10, v58
	v_min3_f32 v66, v65, v66, v64
	v_add_co_u32 v64, vcc_lo, v60, v80
	v_add_co_ci_u32_e64 v65, null, v61, v81, vcc_lo
	v_min3_f32 v67, v69, v68, v67
	s_mov_b32 vcc_lo, s0
	global_store_dword v[64:65], v66, off
	v_max_f32_e32 v64, v67, v67
	s_cbranch_vccz .LBB62_80
; %bb.79:
	v_add_co_u32 v65, vcc_lo, v60, v84
	v_min_f32_e32 v67, 0, v64
	v_add_co_ci_u32_e64 v66, null, v61, v85, vcc_lo
	s_mov_b32 s6, 0
	global_store_dword v[65:66], v67, off
.LBB62_80:
	v_mov_b32_e32 v65, 0
	s_andn2_b32 vcc_lo, exec_lo, s6
	s_cbranch_vccnz .LBB62_82
; %bb.81:
	v_add_co_u32 v65, vcc_lo, v62, v84
	v_add_co_ci_u32_e64 v66, null, v63, v85, vcc_lo
	global_load_dword v65, v[65:66], off
	s_waitcnt vmcnt(0)
	v_mul_f32_e32 v67, s3, v65
	v_add_co_u32 v65, vcc_lo, v60, v84
	v_add_co_ci_u32_e64 v66, null, v61, v85, vcc_lo
	v_add_co_u32 v62, vcc_lo, v62, v86
	v_min_f32_e32 v64, v67, v64
	v_add_co_ci_u32_e64 v63, null, v63, v87, vcc_lo
	global_store_dword v[65:66], v64, off
	global_load_dword v62, v[62:63], off
	s_waitcnt vmcnt(0)
	v_mul_f32_e32 v65, s3, v62
.LBB62_82:
	v_add_f32_e32 v57, v1, v57
	v_add_f32_e32 v56, v0, v56
	;; [unrolled: 1-line block ×4, first 2 shown]
	s_waitcnt lgkmcnt(9)
	v_add_f32_e32 v62, v17, v53
	v_add_f32_e32 v63, v16, v52
	v_min3_f32 v56, v56, v57, v127
	v_add_f32_e32 v64, v18, v54
	v_min_f32_e32 v57, v58, v59
	v_add_nc_u32_e32 v58, 48, v137
	v_min3_f32 v62, v63, v62, v128
	v_add_f32_e32 v63, v19, v55
	v_add_co_u32 v60, vcc_lo, v60, v86
	v_min3_f32 v65, v65, v57, v56
	v_mad_i64_i32 v[56:57], null, v58, s2, 0
	v_mad_i64_i32 v[58:59], null, v58, s1, 0
	v_add_co_ci_u32_e64 v61, null, v61, v87, vcc_lo
	v_min3_f32 v62, v64, v63, v62
	s_mov_b32 s6, -1
	v_lshlrev_b64 v[56:57], 2, v[56:57]
	global_store_dword v[60:61], v65, off
	v_lshlrev_b64 v[58:59], 2, v[58:59]
	v_max_f32_e32 v60, v62, v62
	v_add_co_u32 v56, vcc_lo, s4, v56
	v_add_co_ci_u32_e64 v57, null, s5, v57, vcc_lo
	v_add_co_u32 v58, vcc_lo, s12, v58
	v_add_co_ci_u32_e64 v59, null, s13, v59, vcc_lo
	s_mov_b32 vcc_lo, s0
	s_cbranch_vccz .LBB62_84
; %bb.83:
	v_add_co_u32 v61, vcc_lo, v56, v82
	v_min_f32_e32 v63, 0, v60
	v_add_co_ci_u32_e64 v62, null, v57, v83, vcc_lo
	s_mov_b32 s6, 0
	global_store_dword v[61:62], v63, off
.LBB62_84:
	v_mov_b32_e32 v61, 0
	s_andn2_b32 vcc_lo, exec_lo, s6
	s_cbranch_vccnz .LBB62_86
; %bb.85:
	v_add_co_u32 v61, vcc_lo, v58, v82
	v_add_co_ci_u32_e64 v62, null, v59, v83, vcc_lo
	global_load_dword v61, v[61:62], off
	s_waitcnt vmcnt(0)
	v_mul_f32_e32 v63, s3, v61
	v_add_co_u32 v61, vcc_lo, v56, v82
	v_add_co_ci_u32_e64 v62, null, v57, v83, vcc_lo
	v_min_f32_e32 v60, v63, v60
	v_add_co_u32 v63, vcc_lo, v58, v80
	v_add_co_ci_u32_e64 v64, null, v59, v81, vcc_lo
	global_store_dword v[61:62], v60, off
	global_load_dword v60, v[63:64], off
	s_waitcnt vmcnt(0)
	v_mul_f32_e32 v61, s3, v60
.LBB62_86:
	v_add_f32_e32 v60, v13, v53
	v_add_f32_e32 v62, v12, v52
	;; [unrolled: 1-line block ×6, first 2 shown]
	v_min3_f32 v60, v62, v60, v125
	s_mov_b32 s6, -1
	v_min_f32_e32 v62, v64, v63
	v_add_f32_e32 v64, v11, v55
	v_min3_f32 v63, v66, v65, v126
	v_add_f32_e32 v65, v10, v54
	v_min3_f32 v62, v61, v62, v60
	v_add_co_u32 v60, vcc_lo, v56, v80
	v_add_co_ci_u32_e64 v61, null, v57, v81, vcc_lo
	v_min3_f32 v63, v65, v64, v63
	s_mov_b32 vcc_lo, s0
	global_store_dword v[60:61], v62, off
	v_max_f32_e32 v60, v63, v63
	s_cbranch_vccz .LBB62_88
; %bb.87:
	v_add_co_u32 v61, vcc_lo, v56, v84
	v_min_f32_e32 v63, 0, v60
	v_add_co_ci_u32_e64 v62, null, v57, v85, vcc_lo
	s_mov_b32 s6, 0
	global_store_dword v[61:62], v63, off
.LBB62_88:
	v_mov_b32_e32 v61, 0
	s_andn2_b32 vcc_lo, exec_lo, s6
	s_cbranch_vccnz .LBB62_90
; %bb.89:
	v_add_co_u32 v61, vcc_lo, v58, v84
	v_add_co_ci_u32_e64 v62, null, v59, v85, vcc_lo
	global_load_dword v61, v[61:62], off
	s_waitcnt vmcnt(0)
	v_mul_f32_e32 v63, s3, v61
	v_add_co_u32 v61, vcc_lo, v56, v84
	v_add_co_ci_u32_e64 v62, null, v57, v85, vcc_lo
	v_add_co_u32 v58, vcc_lo, v58, v86
	v_min_f32_e32 v60, v63, v60
	v_add_co_ci_u32_e64 v59, null, v59, v87, vcc_lo
	global_store_dword v[61:62], v60, off
	global_load_dword v58, v[58:59], off
	s_waitcnt vmcnt(0)
	v_mul_f32_e32 v61, s3, v58
.LBB62_90:
	v_add_f32_e32 v53, v1, v53
	v_add_f32_e32 v52, v0, v52
	;; [unrolled: 1-line block ×4, first 2 shown]
	s_waitcnt lgkmcnt(8)
	v_add_f32_e32 v58, v17, v49
	v_add_f32_e32 v59, v16, v48
	v_min3_f32 v52, v52, v53, v123
	v_add_f32_e32 v60, v18, v50
	v_min_f32_e32 v53, v54, v55
	v_add_nc_u32_e32 v54, 56, v137
	v_min3_f32 v58, v59, v58, v124
	v_add_f32_e32 v59, v19, v51
	v_add_co_u32 v56, vcc_lo, v56, v86
	v_min3_f32 v61, v61, v53, v52
	v_mad_i64_i32 v[52:53], null, v54, s2, 0
	v_mad_i64_i32 v[54:55], null, v54, s1, 0
	v_add_co_ci_u32_e64 v57, null, v57, v87, vcc_lo
	v_min3_f32 v58, v60, v59, v58
	s_mov_b32 s6, -1
	v_lshlrev_b64 v[52:53], 2, v[52:53]
	global_store_dword v[56:57], v61, off
	v_lshlrev_b64 v[54:55], 2, v[54:55]
	v_max_f32_e32 v56, v58, v58
	v_add_co_u32 v52, vcc_lo, s4, v52
	v_add_co_ci_u32_e64 v53, null, s5, v53, vcc_lo
	v_add_co_u32 v54, vcc_lo, s12, v54
	v_add_co_ci_u32_e64 v55, null, s13, v55, vcc_lo
	s_mov_b32 vcc_lo, s0
	s_cbranch_vccz .LBB62_92
; %bb.91:
	v_add_co_u32 v57, vcc_lo, v52, v82
	v_min_f32_e32 v59, 0, v56
	v_add_co_ci_u32_e64 v58, null, v53, v83, vcc_lo
	s_mov_b32 s6, 0
	global_store_dword v[57:58], v59, off
.LBB62_92:
	v_mov_b32_e32 v57, 0
	s_andn2_b32 vcc_lo, exec_lo, s6
	s_cbranch_vccnz .LBB62_94
; %bb.93:
	v_add_co_u32 v57, vcc_lo, v54, v82
	v_add_co_ci_u32_e64 v58, null, v55, v83, vcc_lo
	global_load_dword v57, v[57:58], off
	s_waitcnt vmcnt(0)
	v_mul_f32_e32 v59, s3, v57
	v_add_co_u32 v57, vcc_lo, v52, v82
	v_add_co_ci_u32_e64 v58, null, v53, v83, vcc_lo
	v_min_f32_e32 v56, v59, v56
	v_add_co_u32 v59, vcc_lo, v54, v80
	v_add_co_ci_u32_e64 v60, null, v55, v81, vcc_lo
	global_store_dword v[57:58], v56, off
	global_load_dword v56, v[59:60], off
	s_waitcnt vmcnt(0)
	v_mul_f32_e32 v57, s3, v56
.LBB62_94:
	v_add_f32_e32 v56, v13, v49
	v_add_f32_e32 v58, v12, v48
	v_add_f32_e32 v59, v15, v51
	v_add_f32_e32 v60, v14, v50
	v_add_f32_e32 v61, v9, v49
	v_add_f32_e32 v62, v8, v48
	v_min3_f32 v56, v58, v56, v122
	s_mov_b32 s6, -1
	v_min_f32_e32 v58, v60, v59
	v_add_f32_e32 v60, v11, v51
	v_min3_f32 v59, v62, v61, v121
	v_add_f32_e32 v61, v10, v50
	v_min3_f32 v58, v57, v58, v56
	v_add_co_u32 v56, vcc_lo, v52, v80
	v_add_co_ci_u32_e64 v57, null, v53, v81, vcc_lo
	v_min3_f32 v59, v61, v60, v59
	s_mov_b32 vcc_lo, s0
	global_store_dword v[56:57], v58, off
	v_max_f32_e32 v56, v59, v59
	s_cbranch_vccz .LBB62_96
; %bb.95:
	v_add_co_u32 v57, vcc_lo, v52, v84
	v_min_f32_e32 v59, 0, v56
	v_add_co_ci_u32_e64 v58, null, v53, v85, vcc_lo
	s_mov_b32 s6, 0
	global_store_dword v[57:58], v59, off
.LBB62_96:
	v_mov_b32_e32 v57, 0
	s_andn2_b32 vcc_lo, exec_lo, s6
	s_cbranch_vccnz .LBB62_98
; %bb.97:
	v_add_co_u32 v57, vcc_lo, v54, v84
	v_add_co_ci_u32_e64 v58, null, v55, v85, vcc_lo
	global_load_dword v57, v[57:58], off
	s_waitcnt vmcnt(0)
	v_mul_f32_e32 v59, s3, v57
	v_add_co_u32 v57, vcc_lo, v52, v84
	v_add_co_ci_u32_e64 v58, null, v53, v85, vcc_lo
	v_add_co_u32 v54, vcc_lo, v54, v86
	v_min_f32_e32 v56, v59, v56
	v_add_co_ci_u32_e64 v55, null, v55, v87, vcc_lo
	global_store_dword v[57:58], v56, off
	global_load_dword v54, v[54:55], off
	s_waitcnt vmcnt(0)
	v_mul_f32_e32 v57, s3, v54
.LBB62_98:
	v_add_f32_e32 v49, v1, v49
	v_add_f32_e32 v48, v0, v48
	;; [unrolled: 1-line block ×4, first 2 shown]
	s_waitcnt lgkmcnt(7)
	v_add_f32_e32 v54, v17, v45
	v_add_f32_e32 v55, v16, v44
	v_min3_f32 v48, v48, v49, v119
	v_add_f32_e32 v56, v18, v46
	v_min_f32_e32 v49, v50, v51
	v_add_nc_u32_e32 v50, 64, v137
	v_min3_f32 v54, v55, v54, v120
	v_add_f32_e32 v55, v19, v47
	v_add_co_u32 v52, vcc_lo, v52, v86
	v_min3_f32 v57, v57, v49, v48
	v_mad_i64_i32 v[48:49], null, v50, s2, 0
	v_mad_i64_i32 v[50:51], null, v50, s1, 0
	v_add_co_ci_u32_e64 v53, null, v53, v87, vcc_lo
	v_min3_f32 v54, v56, v55, v54
	s_mov_b32 s6, -1
	v_lshlrev_b64 v[48:49], 2, v[48:49]
	global_store_dword v[52:53], v57, off
	v_lshlrev_b64 v[50:51], 2, v[50:51]
	v_max_f32_e32 v52, v54, v54
	v_add_co_u32 v48, vcc_lo, s4, v48
	v_add_co_ci_u32_e64 v49, null, s5, v49, vcc_lo
	v_add_co_u32 v50, vcc_lo, s12, v50
	v_add_co_ci_u32_e64 v51, null, s13, v51, vcc_lo
	s_mov_b32 vcc_lo, s0
	s_cbranch_vccz .LBB62_100
; %bb.99:
	v_add_co_u32 v53, vcc_lo, v48, v82
	v_min_f32_e32 v55, 0, v52
	v_add_co_ci_u32_e64 v54, null, v49, v83, vcc_lo
	s_mov_b32 s6, 0
	global_store_dword v[53:54], v55, off
.LBB62_100:
	v_mov_b32_e32 v53, 0
	s_andn2_b32 vcc_lo, exec_lo, s6
	s_cbranch_vccnz .LBB62_102
; %bb.101:
	v_add_co_u32 v53, vcc_lo, v50, v82
	v_add_co_ci_u32_e64 v54, null, v51, v83, vcc_lo
	global_load_dword v53, v[53:54], off
	s_waitcnt vmcnt(0)
	v_mul_f32_e32 v55, s3, v53
	v_add_co_u32 v53, vcc_lo, v48, v82
	v_add_co_ci_u32_e64 v54, null, v49, v83, vcc_lo
	v_min_f32_e32 v52, v55, v52
	v_add_co_u32 v55, vcc_lo, v50, v80
	v_add_co_ci_u32_e64 v56, null, v51, v81, vcc_lo
	global_store_dword v[53:54], v52, off
	global_load_dword v52, v[55:56], off
	s_waitcnt vmcnt(0)
	v_mul_f32_e32 v53, s3, v52
.LBB62_102:
	v_add_f32_e32 v52, v13, v45
	v_add_f32_e32 v54, v12, v44
	;; [unrolled: 1-line block ×6, first 2 shown]
	v_min3_f32 v52, v54, v52, v117
	s_mov_b32 s6, -1
	v_min_f32_e32 v54, v56, v55
	v_add_f32_e32 v56, v11, v47
	v_min3_f32 v55, v58, v57, v118
	v_add_f32_e32 v57, v10, v46
	v_min3_f32 v54, v53, v54, v52
	v_add_co_u32 v52, vcc_lo, v48, v80
	v_add_co_ci_u32_e64 v53, null, v49, v81, vcc_lo
	v_min3_f32 v55, v57, v56, v55
	s_mov_b32 vcc_lo, s0
	global_store_dword v[52:53], v54, off
	v_max_f32_e32 v52, v55, v55
	s_cbranch_vccz .LBB62_104
; %bb.103:
	v_add_co_u32 v53, vcc_lo, v48, v84
	v_min_f32_e32 v55, 0, v52
	v_add_co_ci_u32_e64 v54, null, v49, v85, vcc_lo
	s_mov_b32 s6, 0
	global_store_dword v[53:54], v55, off
.LBB62_104:
	v_mov_b32_e32 v53, 0
	s_andn2_b32 vcc_lo, exec_lo, s6
	s_cbranch_vccnz .LBB62_106
; %bb.105:
	v_add_co_u32 v53, vcc_lo, v50, v84
	v_add_co_ci_u32_e64 v54, null, v51, v85, vcc_lo
	global_load_dword v53, v[53:54], off
	s_waitcnt vmcnt(0)
	v_mul_f32_e32 v55, s3, v53
	v_add_co_u32 v53, vcc_lo, v48, v84
	v_add_co_ci_u32_e64 v54, null, v49, v85, vcc_lo
	v_add_co_u32 v50, vcc_lo, v50, v86
	v_min_f32_e32 v52, v55, v52
	v_add_co_ci_u32_e64 v51, null, v51, v87, vcc_lo
	global_store_dword v[53:54], v52, off
	global_load_dword v50, v[50:51], off
	s_waitcnt vmcnt(0)
	v_mul_f32_e32 v53, s3, v50
.LBB62_106:
	v_add_f32_e32 v45, v1, v45
	v_add_f32_e32 v44, v0, v44
	;; [unrolled: 1-line block ×4, first 2 shown]
	s_waitcnt lgkmcnt(6)
	v_add_f32_e32 v50, v17, v41
	v_add_f32_e32 v51, v16, v40
	v_min3_f32 v44, v44, v45, v115
	v_add_f32_e32 v52, v18, v42
	v_min_f32_e32 v45, v46, v47
	v_add_nc_u32_e32 v46, 0x48, v137
	v_min3_f32 v50, v51, v50, v116
	v_add_f32_e32 v51, v19, v43
	v_add_co_u32 v48, vcc_lo, v48, v86
	v_min3_f32 v53, v53, v45, v44
	v_mad_i64_i32 v[44:45], null, v46, s2, 0
	v_mad_i64_i32 v[46:47], null, v46, s1, 0
	v_add_co_ci_u32_e64 v49, null, v49, v87, vcc_lo
	v_min3_f32 v50, v52, v51, v50
	s_mov_b32 s6, -1
	v_lshlrev_b64 v[44:45], 2, v[44:45]
	global_store_dword v[48:49], v53, off
	v_lshlrev_b64 v[46:47], 2, v[46:47]
	v_max_f32_e32 v48, v50, v50
	v_add_co_u32 v44, vcc_lo, s4, v44
	v_add_co_ci_u32_e64 v45, null, s5, v45, vcc_lo
	v_add_co_u32 v46, vcc_lo, s12, v46
	v_add_co_ci_u32_e64 v47, null, s13, v47, vcc_lo
	s_mov_b32 vcc_lo, s0
	s_cbranch_vccz .LBB62_108
; %bb.107:
	v_add_co_u32 v49, vcc_lo, v44, v82
	v_min_f32_e32 v51, 0, v48
	v_add_co_ci_u32_e64 v50, null, v45, v83, vcc_lo
	s_mov_b32 s6, 0
	global_store_dword v[49:50], v51, off
.LBB62_108:
	v_mov_b32_e32 v49, 0
	s_andn2_b32 vcc_lo, exec_lo, s6
	s_cbranch_vccnz .LBB62_110
; %bb.109:
	v_add_co_u32 v49, vcc_lo, v46, v82
	v_add_co_ci_u32_e64 v50, null, v47, v83, vcc_lo
	global_load_dword v49, v[49:50], off
	s_waitcnt vmcnt(0)
	v_mul_f32_e32 v51, s3, v49
	v_add_co_u32 v49, vcc_lo, v44, v82
	v_add_co_ci_u32_e64 v50, null, v45, v83, vcc_lo
	v_min_f32_e32 v48, v51, v48
	v_add_co_u32 v51, vcc_lo, v46, v80
	v_add_co_ci_u32_e64 v52, null, v47, v81, vcc_lo
	global_store_dword v[49:50], v48, off
	global_load_dword v48, v[51:52], off
	s_waitcnt vmcnt(0)
	v_mul_f32_e32 v49, s3, v48
.LBB62_110:
	v_add_f32_e32 v48, v13, v41
	v_add_f32_e32 v50, v12, v40
	;; [unrolled: 1-line block ×6, first 2 shown]
	v_min3_f32 v48, v50, v48, v113
	s_mov_b32 s6, -1
	v_min_f32_e32 v50, v52, v51
	v_add_f32_e32 v52, v11, v43
	v_min3_f32 v51, v54, v53, v114
	v_add_f32_e32 v53, v10, v42
	v_min3_f32 v50, v49, v50, v48
	v_add_co_u32 v48, vcc_lo, v44, v80
	v_add_co_ci_u32_e64 v49, null, v45, v81, vcc_lo
	v_min3_f32 v51, v53, v52, v51
	s_mov_b32 vcc_lo, s0
	global_store_dword v[48:49], v50, off
	v_max_f32_e32 v48, v51, v51
	s_cbranch_vccz .LBB62_112
; %bb.111:
	v_add_co_u32 v49, vcc_lo, v44, v84
	v_min_f32_e32 v51, 0, v48
	v_add_co_ci_u32_e64 v50, null, v45, v85, vcc_lo
	s_mov_b32 s6, 0
	global_store_dword v[49:50], v51, off
.LBB62_112:
	v_mov_b32_e32 v49, 0
	s_andn2_b32 vcc_lo, exec_lo, s6
	s_cbranch_vccnz .LBB62_114
; %bb.113:
	v_add_co_u32 v49, vcc_lo, v46, v84
	v_add_co_ci_u32_e64 v50, null, v47, v85, vcc_lo
	global_load_dword v49, v[49:50], off
	s_waitcnt vmcnt(0)
	v_mul_f32_e32 v51, s3, v49
	v_add_co_u32 v49, vcc_lo, v44, v84
	v_add_co_ci_u32_e64 v50, null, v45, v85, vcc_lo
	v_add_co_u32 v46, vcc_lo, v46, v86
	v_min_f32_e32 v48, v51, v48
	v_add_co_ci_u32_e64 v47, null, v47, v87, vcc_lo
	global_store_dword v[49:50], v48, off
	global_load_dword v46, v[46:47], off
	s_waitcnt vmcnt(0)
	v_mul_f32_e32 v49, s3, v46
.LBB62_114:
	v_add_f32_e32 v41, v1, v41
	v_add_f32_e32 v40, v0, v40
	;; [unrolled: 1-line block ×4, first 2 shown]
	s_waitcnt lgkmcnt(5)
	v_add_f32_e32 v46, v17, v37
	v_add_f32_e32 v47, v16, v36
	v_min3_f32 v40, v40, v41, v111
	v_add_f32_e32 v48, v18, v38
	v_min_f32_e32 v41, v42, v43
	v_add_nc_u32_e32 v42, 0x50, v137
	v_min3_f32 v46, v47, v46, v112
	v_add_f32_e32 v47, v19, v39
	v_add_co_u32 v44, vcc_lo, v44, v86
	v_min3_f32 v49, v49, v41, v40
	v_mad_i64_i32 v[40:41], null, v42, s2, 0
	v_mad_i64_i32 v[42:43], null, v42, s1, 0
	v_add_co_ci_u32_e64 v45, null, v45, v87, vcc_lo
	v_min3_f32 v46, v48, v47, v46
	s_mov_b32 s6, -1
	v_lshlrev_b64 v[40:41], 2, v[40:41]
	global_store_dword v[44:45], v49, off
	v_lshlrev_b64 v[42:43], 2, v[42:43]
	v_max_f32_e32 v44, v46, v46
	v_add_co_u32 v40, vcc_lo, s4, v40
	v_add_co_ci_u32_e64 v41, null, s5, v41, vcc_lo
	v_add_co_u32 v42, vcc_lo, s12, v42
	v_add_co_ci_u32_e64 v43, null, s13, v43, vcc_lo
	s_mov_b32 vcc_lo, s0
	s_cbranch_vccz .LBB62_116
; %bb.115:
	v_add_co_u32 v45, vcc_lo, v40, v82
	v_min_f32_e32 v47, 0, v44
	v_add_co_ci_u32_e64 v46, null, v41, v83, vcc_lo
	s_mov_b32 s6, 0
	global_store_dword v[45:46], v47, off
.LBB62_116:
	v_mov_b32_e32 v45, 0
	s_andn2_b32 vcc_lo, exec_lo, s6
	s_cbranch_vccnz .LBB62_118
; %bb.117:
	v_add_co_u32 v45, vcc_lo, v42, v82
	v_add_co_ci_u32_e64 v46, null, v43, v83, vcc_lo
	global_load_dword v45, v[45:46], off
	s_waitcnt vmcnt(0)
	v_mul_f32_e32 v47, s3, v45
	v_add_co_u32 v45, vcc_lo, v40, v82
	v_add_co_ci_u32_e64 v46, null, v41, v83, vcc_lo
	v_min_f32_e32 v44, v47, v44
	v_add_co_u32 v47, vcc_lo, v42, v80
	v_add_co_ci_u32_e64 v48, null, v43, v81, vcc_lo
	global_store_dword v[45:46], v44, off
	global_load_dword v44, v[47:48], off
	s_waitcnt vmcnt(0)
	v_mul_f32_e32 v45, s3, v44
.LBB62_118:
	v_add_f32_e32 v44, v13, v37
	v_add_f32_e32 v46, v12, v36
	;; [unrolled: 1-line block ×6, first 2 shown]
	v_min3_f32 v44, v46, v44, v109
	s_mov_b32 s6, -1
	v_min_f32_e32 v46, v48, v47
	v_add_f32_e32 v48, v11, v39
	v_min3_f32 v47, v50, v49, v110
	v_add_f32_e32 v49, v10, v38
	v_min3_f32 v46, v45, v46, v44
	v_add_co_u32 v44, vcc_lo, v40, v80
	v_add_co_ci_u32_e64 v45, null, v41, v81, vcc_lo
	v_min3_f32 v47, v49, v48, v47
	s_mov_b32 vcc_lo, s0
	global_store_dword v[44:45], v46, off
	v_max_f32_e32 v44, v47, v47
	s_cbranch_vccz .LBB62_120
; %bb.119:
	v_add_co_u32 v45, vcc_lo, v40, v84
	v_min_f32_e32 v47, 0, v44
	v_add_co_ci_u32_e64 v46, null, v41, v85, vcc_lo
	s_mov_b32 s6, 0
	global_store_dword v[45:46], v47, off
.LBB62_120:
	v_mov_b32_e32 v45, 0
	s_andn2_b32 vcc_lo, exec_lo, s6
	s_cbranch_vccnz .LBB62_122
; %bb.121:
	v_add_co_u32 v45, vcc_lo, v42, v84
	v_add_co_ci_u32_e64 v46, null, v43, v85, vcc_lo
	global_load_dword v45, v[45:46], off
	s_waitcnt vmcnt(0)
	v_mul_f32_e32 v47, s3, v45
	v_add_co_u32 v45, vcc_lo, v40, v84
	v_add_co_ci_u32_e64 v46, null, v41, v85, vcc_lo
	v_add_co_u32 v42, vcc_lo, v42, v86
	v_min_f32_e32 v44, v47, v44
	v_add_co_ci_u32_e64 v43, null, v43, v87, vcc_lo
	global_store_dword v[45:46], v44, off
	global_load_dword v42, v[42:43], off
	s_waitcnt vmcnt(0)
	v_mul_f32_e32 v45, s3, v42
.LBB62_122:
	v_add_f32_e32 v37, v1, v37
	v_add_f32_e32 v36, v0, v36
	;; [unrolled: 1-line block ×4, first 2 shown]
	s_waitcnt lgkmcnt(4)
	v_add_f32_e32 v42, v17, v33
	v_add_f32_e32 v43, v16, v32
	v_min3_f32 v36, v36, v37, v107
	v_add_f32_e32 v44, v18, v34
	v_min_f32_e32 v37, v38, v39
	v_add_nc_u32_e32 v38, 0x58, v137
	v_min3_f32 v42, v43, v42, v108
	v_add_f32_e32 v43, v19, v35
	v_add_co_u32 v40, vcc_lo, v40, v86
	v_min3_f32 v45, v45, v37, v36
	v_mad_i64_i32 v[36:37], null, v38, s2, 0
	v_mad_i64_i32 v[38:39], null, v38, s1, 0
	v_add_co_ci_u32_e64 v41, null, v41, v87, vcc_lo
	v_min3_f32 v42, v44, v43, v42
	s_mov_b32 s6, -1
	v_lshlrev_b64 v[36:37], 2, v[36:37]
	global_store_dword v[40:41], v45, off
	v_lshlrev_b64 v[38:39], 2, v[38:39]
	v_max_f32_e32 v40, v42, v42
	v_add_co_u32 v36, vcc_lo, s4, v36
	v_add_co_ci_u32_e64 v37, null, s5, v37, vcc_lo
	v_add_co_u32 v38, vcc_lo, s12, v38
	v_add_co_ci_u32_e64 v39, null, s13, v39, vcc_lo
	s_mov_b32 vcc_lo, s0
	s_cbranch_vccz .LBB62_124
; %bb.123:
	v_add_co_u32 v41, vcc_lo, v36, v82
	v_min_f32_e32 v43, 0, v40
	v_add_co_ci_u32_e64 v42, null, v37, v83, vcc_lo
	s_mov_b32 s6, 0
	global_store_dword v[41:42], v43, off
.LBB62_124:
	v_mov_b32_e32 v41, 0
	s_andn2_b32 vcc_lo, exec_lo, s6
	s_cbranch_vccnz .LBB62_126
; %bb.125:
	v_add_co_u32 v41, vcc_lo, v38, v82
	v_add_co_ci_u32_e64 v42, null, v39, v83, vcc_lo
	global_load_dword v41, v[41:42], off
	s_waitcnt vmcnt(0)
	v_mul_f32_e32 v43, s3, v41
	v_add_co_u32 v41, vcc_lo, v36, v82
	v_add_co_ci_u32_e64 v42, null, v37, v83, vcc_lo
	v_min_f32_e32 v40, v43, v40
	v_add_co_u32 v43, vcc_lo, v38, v80
	v_add_co_ci_u32_e64 v44, null, v39, v81, vcc_lo
	global_store_dword v[41:42], v40, off
	global_load_dword v40, v[43:44], off
	s_waitcnt vmcnt(0)
	v_mul_f32_e32 v41, s3, v40
.LBB62_126:
	v_add_f32_e32 v40, v13, v33
	v_add_f32_e32 v42, v12, v32
	;; [unrolled: 1-line block ×6, first 2 shown]
	v_min3_f32 v40, v42, v40, v105
	s_mov_b32 s6, -1
	v_min_f32_e32 v42, v44, v43
	v_add_f32_e32 v44, v11, v35
	v_min3_f32 v43, v46, v45, v106
	v_add_f32_e32 v45, v10, v34
	v_min3_f32 v42, v41, v42, v40
	v_add_co_u32 v40, vcc_lo, v36, v80
	v_add_co_ci_u32_e64 v41, null, v37, v81, vcc_lo
	v_min3_f32 v43, v45, v44, v43
	s_mov_b32 vcc_lo, s0
	global_store_dword v[40:41], v42, off
	v_max_f32_e32 v40, v43, v43
	s_cbranch_vccz .LBB62_128
; %bb.127:
	v_add_co_u32 v41, vcc_lo, v36, v84
	v_min_f32_e32 v43, 0, v40
	v_add_co_ci_u32_e64 v42, null, v37, v85, vcc_lo
	s_mov_b32 s6, 0
	global_store_dword v[41:42], v43, off
.LBB62_128:
	v_mov_b32_e32 v41, 0
	s_andn2_b32 vcc_lo, exec_lo, s6
	s_cbranch_vccnz .LBB62_130
; %bb.129:
	v_add_co_u32 v41, vcc_lo, v38, v84
	v_add_co_ci_u32_e64 v42, null, v39, v85, vcc_lo
	global_load_dword v41, v[41:42], off
	s_waitcnt vmcnt(0)
	v_mul_f32_e32 v43, s3, v41
	v_add_co_u32 v41, vcc_lo, v36, v84
	v_add_co_ci_u32_e64 v42, null, v37, v85, vcc_lo
	v_add_co_u32 v38, vcc_lo, v38, v86
	v_min_f32_e32 v40, v43, v40
	v_add_co_ci_u32_e64 v39, null, v39, v87, vcc_lo
	global_store_dword v[41:42], v40, off
	global_load_dword v38, v[38:39], off
	s_waitcnt vmcnt(0)
	v_mul_f32_e32 v41, s3, v38
.LBB62_130:
	v_add_f32_e32 v33, v1, v33
	v_add_f32_e32 v32, v0, v32
	;; [unrolled: 1-line block ×4, first 2 shown]
	s_waitcnt lgkmcnt(3)
	v_add_f32_e32 v38, v17, v29
	v_add_f32_e32 v39, v16, v28
	v_min3_f32 v32, v32, v33, v103
	v_add_f32_e32 v40, v18, v30
	v_min_f32_e32 v33, v34, v35
	v_add_nc_u32_e32 v34, 0x60, v137
	v_min3_f32 v38, v39, v38, v104
	v_add_f32_e32 v39, v19, v31
	v_add_co_u32 v36, vcc_lo, v36, v86
	v_min3_f32 v41, v41, v33, v32
	v_mad_i64_i32 v[32:33], null, v34, s2, 0
	v_mad_i64_i32 v[34:35], null, v34, s1, 0
	v_add_co_ci_u32_e64 v37, null, v37, v87, vcc_lo
	v_min3_f32 v38, v40, v39, v38
	s_mov_b32 s6, -1
	v_lshlrev_b64 v[32:33], 2, v[32:33]
	global_store_dword v[36:37], v41, off
	v_lshlrev_b64 v[34:35], 2, v[34:35]
	v_max_f32_e32 v36, v38, v38
	v_add_co_u32 v32, vcc_lo, s4, v32
	v_add_co_ci_u32_e64 v33, null, s5, v33, vcc_lo
	v_add_co_u32 v34, vcc_lo, s12, v34
	v_add_co_ci_u32_e64 v35, null, s13, v35, vcc_lo
	s_mov_b32 vcc_lo, s0
	s_cbranch_vccz .LBB62_132
; %bb.131:
	v_add_co_u32 v37, vcc_lo, v32, v82
	v_min_f32_e32 v39, 0, v36
	v_add_co_ci_u32_e64 v38, null, v33, v83, vcc_lo
	s_mov_b32 s6, 0
	global_store_dword v[37:38], v39, off
.LBB62_132:
	v_mov_b32_e32 v37, 0
	s_andn2_b32 vcc_lo, exec_lo, s6
	s_cbranch_vccnz .LBB62_134
; %bb.133:
	v_add_co_u32 v37, vcc_lo, v34, v82
	v_add_co_ci_u32_e64 v38, null, v35, v83, vcc_lo
	global_load_dword v37, v[37:38], off
	s_waitcnt vmcnt(0)
	v_mul_f32_e32 v39, s3, v37
	v_add_co_u32 v37, vcc_lo, v32, v82
	v_add_co_ci_u32_e64 v38, null, v33, v83, vcc_lo
	v_min_f32_e32 v36, v39, v36
	v_add_co_u32 v39, vcc_lo, v34, v80
	v_add_co_ci_u32_e64 v40, null, v35, v81, vcc_lo
	global_store_dword v[37:38], v36, off
	global_load_dword v36, v[39:40], off
	s_waitcnt vmcnt(0)
	v_mul_f32_e32 v37, s3, v36
.LBB62_134:
	v_add_f32_e32 v36, v13, v29
	v_add_f32_e32 v38, v12, v28
	;; [unrolled: 1-line block ×6, first 2 shown]
	v_min3_f32 v36, v38, v36, v102
	s_mov_b32 s6, -1
	v_min_f32_e32 v38, v40, v39
	v_add_f32_e32 v40, v11, v31
	v_min3_f32 v39, v42, v41, v101
	v_add_f32_e32 v41, v10, v30
	v_min3_f32 v38, v37, v38, v36
	v_add_co_u32 v36, vcc_lo, v32, v80
	v_add_co_ci_u32_e64 v37, null, v33, v81, vcc_lo
	v_min3_f32 v39, v41, v40, v39
	s_mov_b32 vcc_lo, s0
	global_store_dword v[36:37], v38, off
	v_max_f32_e32 v36, v39, v39
	s_cbranch_vccz .LBB62_136
; %bb.135:
	v_add_co_u32 v37, vcc_lo, v32, v84
	v_min_f32_e32 v39, 0, v36
	v_add_co_ci_u32_e64 v38, null, v33, v85, vcc_lo
	s_mov_b32 s6, 0
	global_store_dword v[37:38], v39, off
.LBB62_136:
	v_mov_b32_e32 v37, 0
	s_andn2_b32 vcc_lo, exec_lo, s6
	s_cbranch_vccnz .LBB62_138
; %bb.137:
	v_add_co_u32 v37, vcc_lo, v34, v84
	v_add_co_ci_u32_e64 v38, null, v35, v85, vcc_lo
	global_load_dword v37, v[37:38], off
	s_waitcnt vmcnt(0)
	v_mul_f32_e32 v39, s3, v37
	v_add_co_u32 v37, vcc_lo, v32, v84
	v_add_co_ci_u32_e64 v38, null, v33, v85, vcc_lo
	v_add_co_u32 v34, vcc_lo, v34, v86
	v_min_f32_e32 v36, v39, v36
	v_add_co_ci_u32_e64 v35, null, v35, v87, vcc_lo
	global_store_dword v[37:38], v36, off
	global_load_dword v34, v[34:35], off
	s_waitcnt vmcnt(0)
	v_mul_f32_e32 v37, s3, v34
.LBB62_138:
	v_add_f32_e32 v29, v1, v29
	v_add_f32_e32 v28, v0, v28
	;; [unrolled: 1-line block ×4, first 2 shown]
	s_waitcnt lgkmcnt(2)
	v_add_f32_e32 v34, v17, v25
	v_add_f32_e32 v35, v16, v24
	v_min3_f32 v28, v28, v29, v98
	v_add_f32_e32 v36, v18, v26
	v_min_f32_e32 v29, v30, v31
	v_add_nc_u32_e32 v30, 0x68, v137
	v_min3_f32 v34, v35, v34, v100
	v_add_f32_e32 v35, v19, v27
	v_add_co_u32 v32, vcc_lo, v32, v86
	v_min3_f32 v37, v37, v29, v28
	v_mad_i64_i32 v[28:29], null, v30, s2, 0
	v_mad_i64_i32 v[30:31], null, v30, s1, 0
	v_add_co_ci_u32_e64 v33, null, v33, v87, vcc_lo
	v_min3_f32 v34, v36, v35, v34
	s_mov_b32 s6, -1
	v_lshlrev_b64 v[28:29], 2, v[28:29]
	global_store_dword v[32:33], v37, off
	v_lshlrev_b64 v[30:31], 2, v[30:31]
	v_max_f32_e32 v32, v34, v34
	v_add_co_u32 v28, vcc_lo, s4, v28
	v_add_co_ci_u32_e64 v29, null, s5, v29, vcc_lo
	v_add_co_u32 v30, vcc_lo, s12, v30
	v_add_co_ci_u32_e64 v31, null, s13, v31, vcc_lo
	s_mov_b32 vcc_lo, s0
	s_cbranch_vccz .LBB62_140
; %bb.139:
	v_add_co_u32 v33, vcc_lo, v28, v82
	v_min_f32_e32 v35, 0, v32
	v_add_co_ci_u32_e64 v34, null, v29, v83, vcc_lo
	s_mov_b32 s6, 0
	global_store_dword v[33:34], v35, off
.LBB62_140:
	v_mov_b32_e32 v33, 0
	s_andn2_b32 vcc_lo, exec_lo, s6
	s_cbranch_vccnz .LBB62_142
; %bb.141:
	v_add_co_u32 v33, vcc_lo, v30, v82
	v_add_co_ci_u32_e64 v34, null, v31, v83, vcc_lo
	global_load_dword v33, v[33:34], off
	s_waitcnt vmcnt(0)
	v_mul_f32_e32 v35, s3, v33
	v_add_co_u32 v33, vcc_lo, v28, v82
	v_add_co_ci_u32_e64 v34, null, v29, v83, vcc_lo
	v_min_f32_e32 v32, v35, v32
	v_add_co_u32 v35, vcc_lo, v30, v80
	v_add_co_ci_u32_e64 v36, null, v31, v81, vcc_lo
	global_store_dword v[33:34], v32, off
	global_load_dword v32, v[35:36], off
	s_waitcnt vmcnt(0)
	v_mul_f32_e32 v33, s3, v32
.LBB62_142:
	v_add_f32_e32 v32, v13, v25
	v_add_f32_e32 v34, v12, v24
	;; [unrolled: 1-line block ×6, first 2 shown]
	v_min3_f32 v32, v34, v32, v96
	s_mov_b32 s6, -1
	v_min_f32_e32 v34, v36, v35
	v_add_f32_e32 v36, v11, v27
	v_min3_f32 v35, v38, v37, v97
	v_add_f32_e32 v37, v10, v26
	v_min3_f32 v34, v33, v34, v32
	v_add_co_u32 v32, vcc_lo, v28, v80
	v_add_co_ci_u32_e64 v33, null, v29, v81, vcc_lo
	v_min3_f32 v35, v37, v36, v35
	s_mov_b32 vcc_lo, s0
	global_store_dword v[32:33], v34, off
	v_max_f32_e32 v32, v35, v35
	s_cbranch_vccz .LBB62_144
; %bb.143:
	v_add_co_u32 v33, vcc_lo, v28, v84
	v_min_f32_e32 v35, 0, v32
	v_add_co_ci_u32_e64 v34, null, v29, v85, vcc_lo
	s_mov_b32 s6, 0
	global_store_dword v[33:34], v35, off
.LBB62_144:
	v_mov_b32_e32 v33, 0
	s_andn2_b32 vcc_lo, exec_lo, s6
	s_cbranch_vccnz .LBB62_146
; %bb.145:
	v_add_co_u32 v33, vcc_lo, v30, v84
	v_add_co_ci_u32_e64 v34, null, v31, v85, vcc_lo
	global_load_dword v33, v[33:34], off
	s_waitcnt vmcnt(0)
	v_mul_f32_e32 v35, s3, v33
	v_add_co_u32 v33, vcc_lo, v28, v84
	v_add_co_ci_u32_e64 v34, null, v29, v85, vcc_lo
	v_add_co_u32 v30, vcc_lo, v30, v86
	v_min_f32_e32 v32, v35, v32
	v_add_co_ci_u32_e64 v31, null, v31, v87, vcc_lo
	global_store_dword v[33:34], v32, off
	global_load_dword v30, v[30:31], off
	s_waitcnt vmcnt(0)
	v_mul_f32_e32 v33, s3, v30
.LBB62_146:
	v_add_f32_e32 v25, v1, v25
	v_add_f32_e32 v24, v0, v24
	;; [unrolled: 1-line block ×4, first 2 shown]
	s_waitcnt lgkmcnt(1)
	v_add_f32_e32 v30, v17, v21
	v_add_f32_e32 v31, v16, v20
	v_min3_f32 v24, v24, v25, v94
	v_add_f32_e32 v32, v18, v22
	v_min_f32_e32 v25, v26, v27
	v_add_nc_u32_e32 v26, 0x70, v137
	v_min3_f32 v30, v31, v30, v95
	v_add_f32_e32 v31, v19, v23
	v_add_co_u32 v28, vcc_lo, v28, v86
	v_min3_f32 v33, v33, v25, v24
	v_mad_i64_i32 v[24:25], null, v26, s2, 0
	v_mad_i64_i32 v[26:27], null, v26, s1, 0
	v_add_co_ci_u32_e64 v29, null, v29, v87, vcc_lo
	v_min3_f32 v30, v32, v31, v30
	s_mov_b32 s6, -1
	v_lshlrev_b64 v[24:25], 2, v[24:25]
	global_store_dword v[28:29], v33, off
	v_lshlrev_b64 v[26:27], 2, v[26:27]
	v_max_f32_e32 v28, v30, v30
	v_add_co_u32 v24, vcc_lo, s4, v24
	v_add_co_ci_u32_e64 v25, null, s5, v25, vcc_lo
	v_add_co_u32 v26, vcc_lo, s12, v26
	v_add_co_ci_u32_e64 v27, null, s13, v27, vcc_lo
	s_mov_b32 vcc_lo, s0
	s_cbranch_vccz .LBB62_148
; %bb.147:
	v_add_co_u32 v29, vcc_lo, v24, v82
	v_min_f32_e32 v31, 0, v28
	v_add_co_ci_u32_e64 v30, null, v25, v83, vcc_lo
	s_mov_b32 s6, 0
	global_store_dword v[29:30], v31, off
.LBB62_148:
	v_mov_b32_e32 v29, 0
	s_andn2_b32 vcc_lo, exec_lo, s6
	s_cbranch_vccnz .LBB62_150
; %bb.149:
	v_add_co_u32 v29, vcc_lo, v26, v82
	v_add_co_ci_u32_e64 v30, null, v27, v83, vcc_lo
	global_load_dword v29, v[29:30], off
	s_waitcnt vmcnt(0)
	v_mul_f32_e32 v31, s3, v29
	v_add_co_u32 v29, vcc_lo, v24, v82
	v_add_co_ci_u32_e64 v30, null, v25, v83, vcc_lo
	v_min_f32_e32 v28, v31, v28
	v_add_co_u32 v31, vcc_lo, v26, v80
	v_add_co_ci_u32_e64 v32, null, v27, v81, vcc_lo
	global_store_dword v[29:30], v28, off
	global_load_dword v28, v[31:32], off
	s_waitcnt vmcnt(0)
	v_mul_f32_e32 v29, s3, v28
.LBB62_150:
	v_add_f32_e32 v28, v13, v21
	v_add_f32_e32 v30, v12, v20
	;; [unrolled: 1-line block ×6, first 2 shown]
	v_min3_f32 v28, v30, v28, v92
	s_mov_b32 s6, -1
	v_min_f32_e32 v30, v32, v31
	v_add_f32_e32 v32, v11, v23
	v_min3_f32 v31, v34, v33, v93
	v_add_f32_e32 v33, v10, v22
	v_min3_f32 v30, v29, v30, v28
	v_add_co_u32 v28, vcc_lo, v24, v80
	v_add_co_ci_u32_e64 v29, null, v25, v81, vcc_lo
	v_min3_f32 v31, v33, v32, v31
	s_mov_b32 vcc_lo, s0
	global_store_dword v[28:29], v30, off
	v_max_f32_e32 v28, v31, v31
	s_cbranch_vccz .LBB62_152
; %bb.151:
	v_add_co_u32 v29, vcc_lo, v24, v84
	v_min_f32_e32 v31, 0, v28
	v_add_co_ci_u32_e64 v30, null, v25, v85, vcc_lo
	s_mov_b32 s6, 0
	global_store_dword v[29:30], v31, off
.LBB62_152:
	v_mov_b32_e32 v29, 0
	s_andn2_b32 vcc_lo, exec_lo, s6
	s_cbranch_vccnz .LBB62_154
; %bb.153:
	v_add_co_u32 v29, vcc_lo, v26, v84
	v_add_co_ci_u32_e64 v30, null, v27, v85, vcc_lo
	global_load_dword v29, v[29:30], off
	s_waitcnt vmcnt(0)
	v_mul_f32_e32 v31, s3, v29
	v_add_co_u32 v29, vcc_lo, v24, v84
	v_add_co_ci_u32_e64 v30, null, v25, v85, vcc_lo
	v_add_co_u32 v26, vcc_lo, v26, v86
	v_min_f32_e32 v28, v31, v28
	v_add_co_ci_u32_e64 v27, null, v27, v87, vcc_lo
	global_store_dword v[29:30], v28, off
	global_load_dword v26, v[26:27], off
	s_waitcnt vmcnt(0)
	v_mul_f32_e32 v29, s3, v26
.LBB62_154:
	v_add_f32_e32 v21, v1, v21
	v_add_f32_e32 v20, v0, v20
	;; [unrolled: 1-line block ×4, first 2 shown]
	s_waitcnt lgkmcnt(0)
	v_add_f32_e32 v17, v17, v5
	v_add_f32_e32 v16, v16, v4
	v_min3_f32 v20, v20, v21, v91
	v_add_f32_e32 v26, v19, v7
	v_min_f32_e32 v21, v22, v23
	v_add_nc_u32_e32 v23, 0x78, v137
	v_min3_f32 v22, v16, v17, v90
	v_add_f32_e32 v27, v18, v6
	v_min3_f32 v28, v29, v21, v20
	v_mad_i64_i32 v[16:17], null, v23, s2, 0
	v_mad_i64_i32 v[18:19], null, v23, s1, 0
	v_add_co_u32 v20, vcc_lo, v24, v86
	v_add_co_ci_u32_e64 v21, null, v25, v87, vcc_lo
	v_lshlrev_b64 v[16:17], 2, v[16:17]
	v_min3_f32 v22, v27, v26, v22
	v_lshlrev_b64 v[18:19], 2, v[18:19]
	global_store_dword v[20:21], v28, off
	s_mov_b32 s1, -1
	v_add_co_u32 v16, vcc_lo, s4, v16
	v_add_co_ci_u32_e64 v17, null, s5, v17, vcc_lo
	v_add_co_u32 v18, vcc_lo, s12, v18
	v_add_co_ci_u32_e64 v19, null, s13, v19, vcc_lo
	v_max_f32_e32 v20, v22, v22
	s_mov_b32 vcc_lo, s0
	s_cbranch_vccz .LBB62_156
; %bb.155:
	v_add_co_u32 v21, vcc_lo, v16, v82
	v_min_f32_e32 v23, 0, v20
	v_add_co_ci_u32_e64 v22, null, v17, v83, vcc_lo
	s_mov_b32 s1, 0
	global_store_dword v[21:22], v23, off
.LBB62_156:
	v_mov_b32_e32 v21, 0
	s_andn2_b32 vcc_lo, exec_lo, s1
	s_cbranch_vccnz .LBB62_158
; %bb.157:
	v_add_co_u32 v21, vcc_lo, v18, v82
	v_add_co_ci_u32_e64 v22, null, v19, v83, vcc_lo
	global_load_dword v21, v[21:22], off
	s_waitcnt vmcnt(0)
	v_mul_f32_e32 v23, s3, v21
	v_add_co_u32 v21, vcc_lo, v16, v82
	v_add_co_ci_u32_e64 v22, null, v17, v83, vcc_lo
	v_min_f32_e32 v20, v23, v20
	v_add_co_u32 v23, vcc_lo, v18, v80
	v_add_co_ci_u32_e64 v24, null, v19, v81, vcc_lo
	global_store_dword v[21:22], v20, off
	global_load_dword v20, v[23:24], off
	s_waitcnt vmcnt(0)
	v_mul_f32_e32 v21, s3, v20
.LBB62_158:
	v_add_f32_e32 v13, v13, v5
	v_add_f32_e32 v12, v12, v4
	;; [unrolled: 1-line block ×6, first 2 shown]
	v_min3_f32 v12, v12, v13, v88
	v_add_f32_e32 v11, v11, v7
	v_min_f32_e32 v13, v14, v15
	v_add_f32_e32 v10, v10, v6
	v_min3_f32 v14, v8, v9, v89
	v_add_co_u32 v8, vcc_lo, v16, v80
	v_min3_f32 v12, v21, v13, v12
	v_add_co_ci_u32_e64 v9, null, v17, v81, vcc_lo
	v_min3_f32 v10, v10, v11, v14
	s_mov_b32 s1, -1
	s_mov_b32 vcc_lo, s0
	global_store_dword v[8:9], v12, off
	v_max_f32_e32 v8, v10, v10
	s_cbranch_vccz .LBB62_160
; %bb.159:
	v_add_co_u32 v9, vcc_lo, v16, v84
	v_min_f32_e32 v11, 0, v8
	v_add_co_ci_u32_e64 v10, null, v17, v85, vcc_lo
	s_mov_b32 s1, 0
	global_store_dword v[9:10], v11, off
.LBB62_160:
	v_mov_b32_e32 v9, 0
	s_andn2_b32 vcc_lo, exec_lo, s1
	s_cbranch_vccnz .LBB62_162
; %bb.161:
	v_add_co_u32 v9, vcc_lo, v18, v84
	v_add_co_ci_u32_e64 v10, null, v19, v85, vcc_lo
	global_load_dword v9, v[9:10], off
	s_waitcnt vmcnt(0)
	v_mul_f32_e32 v11, s3, v9
	v_add_co_u32 v9, vcc_lo, v16, v84
	v_add_co_ci_u32_e64 v10, null, v17, v85, vcc_lo
	v_min_f32_e32 v8, v11, v8
	v_add_co_u32 v11, vcc_lo, v18, v86
	v_add_co_ci_u32_e64 v12, null, v19, v87, vcc_lo
	global_store_dword v[9:10], v8, off
	global_load_dword v8, v[11:12], off
	s_waitcnt vmcnt(0)
	v_mul_f32_e32 v9, s3, v8
.LBB62_162:
	v_add_f32_e32 v3, v3, v7
	v_add_f32_e32 v2, v2, v6
	;; [unrolled: 1-line block ×4, first 2 shown]
	v_min_f32_e32 v2, v2, v3
	v_min3_f32 v0, v0, v1, v99
	v_min3_f32 v2, v9, v2, v0
	v_add_co_u32 v0, vcc_lo, v16, v86
	v_add_co_ci_u32_e64 v1, null, v17, v87, vcc_lo
	global_store_dword v[0:1], v2, off
	s_endpgm
.LBB62_163:
	s_mov_b64 s[16:17], 0
	s_andn2_b32 vcc_lo, exec_lo, s0
	s_mov_b32 s0, -1
	s_cbranch_vccz .LBB62_2
	s_branch .LBB62_3
	.section	.rodata,"a",@progbits
	.p2align	6, 0x0
	.amdhsa_kernel _ZN12_GLOBAL__N_120geam_min_plus_kernelIf15HIP_vector_typeIfLj2EEfLi32ELi8ELi128ELi128ELi4ELi4ELi64ELi4ELi64ELc84ELc78ELb0ELb0ELb1EfKffEEviiiT16_PT17_ilS6_ilS4_S6_ilPT18_ili26rocblas_geam_ex_operation_
		.amdhsa_group_segment_fixed_size 8192
		.amdhsa_private_segment_fixed_size 0
		.amdhsa_kernarg_size 128
		.amdhsa_user_sgpr_count 6
		.amdhsa_user_sgpr_private_segment_buffer 1
		.amdhsa_user_sgpr_dispatch_ptr 0
		.amdhsa_user_sgpr_queue_ptr 0
		.amdhsa_user_sgpr_kernarg_segment_ptr 1
		.amdhsa_user_sgpr_dispatch_id 0
		.amdhsa_user_sgpr_flat_scratch_init 0
		.amdhsa_user_sgpr_private_segment_size 0
		.amdhsa_wavefront_size32 1
		.amdhsa_uses_dynamic_stack 0
		.amdhsa_system_sgpr_private_segment_wavefront_offset 0
		.amdhsa_system_sgpr_workgroup_id_x 1
		.amdhsa_system_sgpr_workgroup_id_y 0
		.amdhsa_system_sgpr_workgroup_id_z 1
		.amdhsa_system_sgpr_workgroup_info 0
		.amdhsa_system_vgpr_workitem_id 1
		.amdhsa_next_free_vgpr 177
		.amdhsa_next_free_sgpr 24
		.amdhsa_reserve_vcc 1
		.amdhsa_reserve_flat_scratch 0
		.amdhsa_float_round_mode_32 0
		.amdhsa_float_round_mode_16_64 0
		.amdhsa_float_denorm_mode_32 3
		.amdhsa_float_denorm_mode_16_64 3
		.amdhsa_dx10_clamp 1
		.amdhsa_ieee_mode 1
		.amdhsa_fp16_overflow 0
		.amdhsa_workgroup_processor_mode 1
		.amdhsa_memory_ordered 1
		.amdhsa_forward_progress 1
		.amdhsa_shared_vgpr_count 0
		.amdhsa_exception_fp_ieee_invalid_op 0
		.amdhsa_exception_fp_denorm_src 0
		.amdhsa_exception_fp_ieee_div_zero 0
		.amdhsa_exception_fp_ieee_overflow 0
		.amdhsa_exception_fp_ieee_underflow 0
		.amdhsa_exception_fp_ieee_inexact 0
		.amdhsa_exception_int_div_zero 0
	.end_amdhsa_kernel
	.section	.text._ZN12_GLOBAL__N_120geam_min_plus_kernelIf15HIP_vector_typeIfLj2EEfLi32ELi8ELi128ELi128ELi4ELi4ELi64ELi4ELi64ELc84ELc78ELb0ELb0ELb1EfKffEEviiiT16_PT17_ilS6_ilS4_S6_ilPT18_ili26rocblas_geam_ex_operation_,"axG",@progbits,_ZN12_GLOBAL__N_120geam_min_plus_kernelIf15HIP_vector_typeIfLj2EEfLi32ELi8ELi128ELi128ELi4ELi4ELi64ELi4ELi64ELc84ELc78ELb0ELb0ELb1EfKffEEviiiT16_PT17_ilS6_ilS4_S6_ilPT18_ili26rocblas_geam_ex_operation_,comdat
.Lfunc_end62:
	.size	_ZN12_GLOBAL__N_120geam_min_plus_kernelIf15HIP_vector_typeIfLj2EEfLi32ELi8ELi128ELi128ELi4ELi4ELi64ELi4ELi64ELc84ELc78ELb0ELb0ELb1EfKffEEviiiT16_PT17_ilS6_ilS4_S6_ilPT18_ili26rocblas_geam_ex_operation_, .Lfunc_end62-_ZN12_GLOBAL__N_120geam_min_plus_kernelIf15HIP_vector_typeIfLj2EEfLi32ELi8ELi128ELi128ELi4ELi4ELi64ELi4ELi64ELc84ELc78ELb0ELb0ELb1EfKffEEviiiT16_PT17_ilS6_ilS4_S6_ilPT18_ili26rocblas_geam_ex_operation_
                                        ; -- End function
	.set _ZN12_GLOBAL__N_120geam_min_plus_kernelIf15HIP_vector_typeIfLj2EEfLi32ELi8ELi128ELi128ELi4ELi4ELi64ELi4ELi64ELc84ELc78ELb0ELb0ELb1EfKffEEviiiT16_PT17_ilS6_ilS4_S6_ilPT18_ili26rocblas_geam_ex_operation_.num_vgpr, 177
	.set _ZN12_GLOBAL__N_120geam_min_plus_kernelIf15HIP_vector_typeIfLj2EEfLi32ELi8ELi128ELi128ELi4ELi4ELi64ELi4ELi64ELc84ELc78ELb0ELb0ELb1EfKffEEviiiT16_PT17_ilS6_ilS4_S6_ilPT18_ili26rocblas_geam_ex_operation_.num_agpr, 0
	.set _ZN12_GLOBAL__N_120geam_min_plus_kernelIf15HIP_vector_typeIfLj2EEfLi32ELi8ELi128ELi128ELi4ELi4ELi64ELi4ELi64ELc84ELc78ELb0ELb0ELb1EfKffEEviiiT16_PT17_ilS6_ilS4_S6_ilPT18_ili26rocblas_geam_ex_operation_.numbered_sgpr, 24
	.set _ZN12_GLOBAL__N_120geam_min_plus_kernelIf15HIP_vector_typeIfLj2EEfLi32ELi8ELi128ELi128ELi4ELi4ELi64ELi4ELi64ELc84ELc78ELb0ELb0ELb1EfKffEEviiiT16_PT17_ilS6_ilS4_S6_ilPT18_ili26rocblas_geam_ex_operation_.num_named_barrier, 0
	.set _ZN12_GLOBAL__N_120geam_min_plus_kernelIf15HIP_vector_typeIfLj2EEfLi32ELi8ELi128ELi128ELi4ELi4ELi64ELi4ELi64ELc84ELc78ELb0ELb0ELb1EfKffEEviiiT16_PT17_ilS6_ilS4_S6_ilPT18_ili26rocblas_geam_ex_operation_.private_seg_size, 0
	.set _ZN12_GLOBAL__N_120geam_min_plus_kernelIf15HIP_vector_typeIfLj2EEfLi32ELi8ELi128ELi128ELi4ELi4ELi64ELi4ELi64ELc84ELc78ELb0ELb0ELb1EfKffEEviiiT16_PT17_ilS6_ilS4_S6_ilPT18_ili26rocblas_geam_ex_operation_.uses_vcc, 1
	.set _ZN12_GLOBAL__N_120geam_min_plus_kernelIf15HIP_vector_typeIfLj2EEfLi32ELi8ELi128ELi128ELi4ELi4ELi64ELi4ELi64ELc84ELc78ELb0ELb0ELb1EfKffEEviiiT16_PT17_ilS6_ilS4_S6_ilPT18_ili26rocblas_geam_ex_operation_.uses_flat_scratch, 0
	.set _ZN12_GLOBAL__N_120geam_min_plus_kernelIf15HIP_vector_typeIfLj2EEfLi32ELi8ELi128ELi128ELi4ELi4ELi64ELi4ELi64ELc84ELc78ELb0ELb0ELb1EfKffEEviiiT16_PT17_ilS6_ilS4_S6_ilPT18_ili26rocblas_geam_ex_operation_.has_dyn_sized_stack, 0
	.set _ZN12_GLOBAL__N_120geam_min_plus_kernelIf15HIP_vector_typeIfLj2EEfLi32ELi8ELi128ELi128ELi4ELi4ELi64ELi4ELi64ELc84ELc78ELb0ELb0ELb1EfKffEEviiiT16_PT17_ilS6_ilS4_S6_ilPT18_ili26rocblas_geam_ex_operation_.has_recursion, 0
	.set _ZN12_GLOBAL__N_120geam_min_plus_kernelIf15HIP_vector_typeIfLj2EEfLi32ELi8ELi128ELi128ELi4ELi4ELi64ELi4ELi64ELc84ELc78ELb0ELb0ELb1EfKffEEviiiT16_PT17_ilS6_ilS4_S6_ilPT18_ili26rocblas_geam_ex_operation_.has_indirect_call, 0
	.section	.AMDGPU.csdata,"",@progbits
; Kernel info:
; codeLenInByte = 18048
; TotalNumSgprs: 26
; NumVgprs: 177
; ScratchSize: 0
; MemoryBound: 0
; FloatMode: 240
; IeeeMode: 1
; LDSByteSize: 8192 bytes/workgroup (compile time only)
; SGPRBlocks: 0
; VGPRBlocks: 22
; NumSGPRsForWavesPerEU: 26
; NumVGPRsForWavesPerEU: 177
; Occupancy: 5
; WaveLimiterHint : 0
; COMPUTE_PGM_RSRC2:SCRATCH_EN: 0
; COMPUTE_PGM_RSRC2:USER_SGPR: 6
; COMPUTE_PGM_RSRC2:TRAP_HANDLER: 0
; COMPUTE_PGM_RSRC2:TGID_X_EN: 1
; COMPUTE_PGM_RSRC2:TGID_Y_EN: 0
; COMPUTE_PGM_RSRC2:TGID_Z_EN: 1
; COMPUTE_PGM_RSRC2:TIDIG_COMP_CNT: 1
	.section	.text._ZN12_GLOBAL__N_120geam_min_plus_kernelIf15HIP_vector_typeIfLj2EEfLi32ELi8ELi128ELi128ELi4ELi4ELi64ELi4ELi64ELc84ELc78ELb0ELb1ELb1EPKfS3_fEEviiiT16_PT17_ilS7_ilS5_S7_ilPT18_ili26rocblas_geam_ex_operation_,"axG",@progbits,_ZN12_GLOBAL__N_120geam_min_plus_kernelIf15HIP_vector_typeIfLj2EEfLi32ELi8ELi128ELi128ELi4ELi4ELi64ELi4ELi64ELc84ELc78ELb0ELb1ELb1EPKfS3_fEEviiiT16_PT17_ilS7_ilS5_S7_ilPT18_ili26rocblas_geam_ex_operation_,comdat
	.globl	_ZN12_GLOBAL__N_120geam_min_plus_kernelIf15HIP_vector_typeIfLj2EEfLi32ELi8ELi128ELi128ELi4ELi4ELi64ELi4ELi64ELc84ELc78ELb0ELb1ELb1EPKfS3_fEEviiiT16_PT17_ilS7_ilS5_S7_ilPT18_ili26rocblas_geam_ex_operation_ ; -- Begin function _ZN12_GLOBAL__N_120geam_min_plus_kernelIf15HIP_vector_typeIfLj2EEfLi32ELi8ELi128ELi128ELi4ELi4ELi64ELi4ELi64ELc84ELc78ELb0ELb1ELb1EPKfS3_fEEviiiT16_PT17_ilS7_ilS5_S7_ilPT18_ili26rocblas_geam_ex_operation_
	.p2align	8
	.type	_ZN12_GLOBAL__N_120geam_min_plus_kernelIf15HIP_vector_typeIfLj2EEfLi32ELi8ELi128ELi128ELi4ELi4ELi64ELi4ELi64ELc84ELc78ELb0ELb1ELb1EPKfS3_fEEviiiT16_PT17_ilS7_ilS5_S7_ilPT18_ili26rocblas_geam_ex_operation_,@function
_ZN12_GLOBAL__N_120geam_min_plus_kernelIf15HIP_vector_typeIfLj2EEfLi32ELi8ELi128ELi128ELi4ELi4ELi64ELi4ELi64ELc84ELc78ELb0ELb1ELb1EPKfS3_fEEviiiT16_PT17_ilS7_ilS5_S7_ilPT18_ili26rocblas_geam_ex_operation_: ; @_ZN12_GLOBAL__N_120geam_min_plus_kernelIf15HIP_vector_typeIfLj2EEfLi32ELi8ELi128ELi128ELi4ELi4ELi64ELi4ELi64ELc84ELc78ELb0ELb1ELb1EPKfS3_fEEviiiT16_PT17_ilS7_ilS5_S7_ilPT18_ili26rocblas_geam_ex_operation_
; %bb.0:
	s_clause 0x1
	s_load_dwordx4 s[12:15], s[4:5], 0x10
	s_load_dwordx4 s[0:3], s[4:5], 0x28
	s_mov_b32 s16, s7
	s_mov_b32 s17, 0
	s_mov_b64 s[20:21], 0
	s_lshl_b64 s[18:19], s[16:17], 2
	s_waitcnt lgkmcnt(0)
	s_add_u32 s8, s12, s18
	s_addc_u32 s9, s13, s19
	s_load_dword s24, s[8:9], 0x0
	s_clause 0x1
	s_load_dwordx4 s[8:11], s[4:5], 0x40
	s_load_dwordx2 s[22:23], s[4:5], 0x50
	s_waitcnt lgkmcnt(0)
	v_cmp_eq_f32_e64 s7, s24, 0
	v_cmp_neq_f32_e64 s12, s24, 0
	s_add_u32 s10, s10, s18
	s_addc_u32 s11, s11, s19
	s_mov_b64 s[18:19], 0
	s_and_b32 vcc_lo, exec_lo, s7
	s_cbranch_vccnz .LBB63_2
; %bb.1:
	s_mul_i32 s1, s1, s16
	s_mul_hi_u32 s7, s0, s16
	s_mul_i32 s0, s0, s16
	s_add_i32 s1, s7, s1
	s_lshl_b64 s[0:1], s[0:1], 2
	s_add_u32 s20, s14, s0
	s_addc_u32 s21, s15, s1
.LBB63_2:
	s_load_dword s7, s[10:11], 0x0
	s_andn2_b32 vcc_lo, exec_lo, s12
	s_cbranch_vccnz .LBB63_4
; %bb.3:
	s_mul_i32 s0, s9, s16
	s_mul_hi_u32 s1, s8, s16
	s_add_i32 s1, s1, s0
	s_mul_i32 s0, s8, s16
	s_lshl_b64 s[0:1], s[0:1], 2
	s_add_u32 s18, s2, s0
	s_addc_u32 s19, s3, s1
.LBB63_4:
	s_load_dwordx4 s[12:15], s[4:5], 0x60
	s_waitcnt lgkmcnt(0)
	v_cmp_eq_f32_e64 s0, s7, 0
	v_cmp_neq_f32_e64 s17, s7, 0
	s_and_b32 vcc_lo, exec_lo, s0
	s_cbranch_vccnz .LBB63_6
; %bb.5:
	s_mul_i32 s0, s13, s16
	s_mul_hi_u32 s1, s12, s16
	s_add_i32 s1, s1, s0
	s_mul_i32 s0, s12, s16
	s_lshl_b64 s[0:1], s[0:1], 2
	s_add_u32 s12, s22, s0
	s_addc_u32 s13, s23, s1
	s_branch .LBB63_7
.LBB63_6:
	s_mov_b64 s[12:13], 0
.LBB63_7:
	s_clause 0x1
	s_load_dwordx4 s[8:11], s[4:5], 0x0
	s_load_dword s26, s[4:5], 0x20
	v_and_b32_e32 v115, 3, v0
	v_lshl_add_u32 v3, v1, 5, v0
	v_cmp_eq_f32_e64 s25, s24, 0
	v_lshrrev_b32_e32 v4, 2, v3
	s_waitcnt lgkmcnt(0)
	s_add_i32 s0, s8, -1
	s_ashr_i32 s1, s0, 31
	s_lshr_b32 s1, s1, 25
	s_add_i32 s0, s0, s1
	s_ashr_i32 s0, s0, 7
	s_add_i32 s1, s0, 1
	s_not_b32 s0, s0
	v_cvt_f32_u32_e32 v2, s1
	v_rcp_iflag_f32_e32 v2, v2
	v_mul_f32_e32 v2, 0x4f7ffffe, v2
	v_cvt_u32_f32_e32 v2, v2
	v_readfirstlane_b32 s2, v2
	s_mul_i32 s0, s0, s2
	s_mul_hi_u32 s0, s2, s0
	s_add_i32 s2, s2, s0
	s_mul_hi_u32 s0, s6, s2
	s_mul_i32 s2, s0, s1
	s_add_i32 s3, s0, 1
	s_sub_i32 s2, s6, s2
	s_sub_i32 s11, s2, s1
	s_cmp_ge_u32 s2, s1
	s_cselect_b32 s0, s3, s0
	s_cselect_b32 s2, s11, s2
	s_add_i32 s3, s0, 1
	s_cmp_ge_u32 s2, s1
	s_cselect_b32 s2, s3, s0
	s_add_i32 s23, s10, -1
	s_mul_i32 s0, s2, s1
	v_min_i32_e32 v2, s23, v115
	s_sub_i32 s0, s6, s0
	v_cmp_le_i32_e64 s3, s10, v115
	s_lshl_b32 s11, s0, 7
	v_ashrrev_i32_e32 v3, 31, v2
	v_add_nc_u32_e32 v82, s11, v4
	v_lshlrev_b64 v[2:3], 2, v[2:3]
	v_cmp_le_i32_e32 vcc_lo, s8, v82
	v_add_co_u32 v7, s0, s20, v2
	v_add_co_ci_u32_e64 v8, null, s21, v3, s0
	s_or_b32 s0, s3, vcc_lo
	v_cndmask_b32_e64 v5, 0, 0x7f7fffff, s0
	s_nor_b32 s0, s25, s0
	s_and_saveexec_b32 s1, s0
	s_cbranch_execz .LBB63_9
; %bb.8:
	v_mad_i64_i32 v[5:6], null, v82, s26, 0
	v_lshlrev_b64 v[5:6], 2, v[5:6]
	v_add_co_u32 v5, s0, v7, v5
	v_add_co_ci_u32_e64 v6, null, v8, v6, s0
	global_load_dword v5, v[5:6], off
	s_waitcnt vmcnt(0)
	v_mul_f32_e32 v5, s24, v5
.LBB63_9:
	s_or_b32 exec_lo, exec_lo, s1
	v_add_nc_u32_e32 v83, 64, v82
	v_cmp_le_i32_e64 s0, s8, v83
	s_or_b32 s1, s3, s0
	v_cndmask_b32_e64 v6, 0, 0x7f7fffff, s1
	s_nor_b32 s1, s25, s1
	s_and_saveexec_b32 s6, s1
	s_cbranch_execz .LBB63_11
; %bb.10:
	v_mad_i64_i32 v[9:10], null, v83, s26, 0
	v_lshlrev_b64 v[9:10], 2, v[9:10]
	v_add_co_u32 v6, s1, v7, v9
	v_add_co_ci_u32_e64 v7, null, v8, v10, s1
	global_load_dword v6, v[6:7], off
	s_waitcnt vmcnt(0)
	v_mul_f32_e32 v6, s24, v6
.LBB63_11:
	s_or_b32 exec_lo, exec_lo, s6
	s_load_dword s27, s[4:5], 0x38
	s_lshl_b32 s22, s2, 7
	v_add_co_u32 v2, s2, s18, v2
	v_add_nc_u32_e32 v84, s22, v4
	v_add_co_ci_u32_e64 v3, null, s19, v3, s2
	v_cmp_le_i32_e64 s1, s9, v84
	s_or_b32 s2, s3, s1
	v_cndmask_b32_e64 v7, 0, 0x7f7fffff, s2
	s_nor_b32 s2, s25, s2
	s_and_saveexec_b32 s6, s2
	s_cbranch_execz .LBB63_13
; %bb.12:
	s_waitcnt lgkmcnt(0)
	v_mad_i64_i32 v[7:8], null, v84, s27, 0
	v_lshlrev_b64 v[7:8], 2, v[7:8]
	v_add_co_u32 v7, s2, v2, v7
	v_add_co_ci_u32_e64 v8, null, v3, v8, s2
	global_load_dword v7, v[7:8], off
	s_waitcnt vmcnt(0)
	v_mul_f32_e32 v7, s24, v7
.LBB63_13:
	s_or_b32 exec_lo, exec_lo, s6
	v_add_nc_u32_e32 v85, 64, v84
	v_cmp_le_i32_e64 s2, s9, v85
	s_or_b32 s3, s3, s2
	v_cndmask_b32_e64 v8, 0, 0x7f7fffff, s3
	s_nor_b32 s3, s25, s3
	s_and_saveexec_b32 s6, s3
	s_cbranch_execz .LBB63_15
; %bb.14:
	s_waitcnt lgkmcnt(0)
	v_mad_i64_i32 v[8:9], null, v85, s27, 0
	v_lshlrev_b64 v[8:9], 2, v[8:9]
	v_add_co_u32 v2, s3, v2, v8
	v_add_co_ci_u32_e64 v3, null, v3, v9, s3
	global_load_dword v2, v[2:3], off
	s_waitcnt vmcnt(0)
	v_mul_f32_e32 v8, s24, v2
.LBB63_15:
	s_or_b32 exec_lo, exec_lo, s6
	v_or_b32_e32 v9, 4, v115
	v_min_i32_e32 v2, s23, v9
	v_cmp_le_i32_e64 s3, s10, v9
	v_ashrrev_i32_e32 v3, 31, v2
	v_lshlrev_b64 v[2:3], 2, v[2:3]
	v_add_co_u32 v9, s6, s20, v2
	v_add_co_ci_u32_e64 v10, null, s21, v3, s6
	s_or_b32 s6, s3, vcc_lo
	v_cndmask_b32_e64 v86, 0, 0x7f7fffff, s6
	s_nor_b32 s6, s25, s6
	s_and_saveexec_b32 s28, s6
	s_cbranch_execz .LBB63_17
; %bb.16:
	v_mad_i64_i32 v[11:12], null, v82, s26, 0
	v_lshlrev_b64 v[11:12], 2, v[11:12]
	v_add_co_u32 v11, s6, v9, v11
	v_add_co_ci_u32_e64 v12, null, v10, v12, s6
	global_load_dword v11, v[11:12], off
	s_waitcnt vmcnt(0)
	v_mul_f32_e32 v86, s24, v11
.LBB63_17:
	s_or_b32 exec_lo, exec_lo, s28
	s_or_b32 s6, s3, s0
	v_cndmask_b32_e64 v87, 0, 0x7f7fffff, s6
	s_nor_b32 s6, s25, s6
	s_and_saveexec_b32 s28, s6
	s_cbranch_execz .LBB63_19
; %bb.18:
	v_mad_i64_i32 v[11:12], null, v83, s26, 0
	v_lshlrev_b64 v[11:12], 2, v[11:12]
	v_add_co_u32 v9, s6, v9, v11
	v_add_co_ci_u32_e64 v10, null, v10, v12, s6
	global_load_dword v9, v[9:10], off
	s_waitcnt vmcnt(0)
	v_mul_f32_e32 v87, s24, v9
.LBB63_19:
	s_or_b32 exec_lo, exec_lo, s28
	v_add_co_u32 v2, s6, s18, v2
	v_add_co_ci_u32_e64 v3, null, s19, v3, s6
	s_or_b32 s6, s3, s1
	v_cndmask_b32_e64 v88, 0, 0x7f7fffff, s6
	s_nor_b32 s6, s25, s6
	s_and_saveexec_b32 s28, s6
	s_cbranch_execz .LBB63_21
; %bb.20:
	s_waitcnt lgkmcnt(0)
	v_mad_i64_i32 v[9:10], null, v84, s27, 0
	v_lshlrev_b64 v[9:10], 2, v[9:10]
	v_add_co_u32 v9, s6, v2, v9
	v_add_co_ci_u32_e64 v10, null, v3, v10, s6
	global_load_dword v9, v[9:10], off
	s_waitcnt vmcnt(0)
	v_mul_f32_e32 v88, s24, v9
.LBB63_21:
	s_or_b32 exec_lo, exec_lo, s28
	s_or_b32 s3, s3, s2
	v_cndmask_b32_e64 v89, 0, 0x7f7fffff, s3
	s_nor_b32 s3, s25, s3
	s_and_saveexec_b32 s6, s3
	s_cbranch_execz .LBB63_23
; %bb.22:
	s_waitcnt lgkmcnt(0)
	v_mad_i64_i32 v[9:10], null, v85, s27, 0
	v_lshlrev_b64 v[9:10], 2, v[9:10]
	v_add_co_u32 v2, s3, v2, v9
	v_add_co_ci_u32_e64 v3, null, v3, v10, s3
	global_load_dword v2, v[2:3], off
	s_waitcnt vmcnt(0)
	v_mul_f32_e32 v89, s24, v2
.LBB63_23:
	s_or_b32 exec_lo, exec_lo, s6
	v_lshlrev_b32_e32 v2, 4, v4
	v_lshlrev_b32_e32 v118, 4, v0
	;; [unrolled: 1-line block ×3, first 2 shown]
	s_cmp_lt_i32 s10, 9
	v_lshl_or_b32 v124, v115, 2, v2
	ds_write2st64_b32 v124, v5, v6 offset1:4
	ds_write2st64_b32 v124, v7, v8 offset0:16 offset1:20
	s_waitcnt lgkmcnt(0)
	s_barrier
	buffer_gl0_inv
	ds_read_b128 v[14:17], v118
	ds_read_b128 v[10:13], v118 offset:512
	ds_read_b128 v[6:9], v118 offset:1024
	;; [unrolled: 1-line block ×19, first 2 shown]
	ds_write2st64_b32 v124, v86, v87 offset0:8 offset1:12
	ds_write2st64_b32 v124, v88, v89 offset0:24 offset1:28
	s_waitcnt lgkmcnt(0)
	s_barrier
	buffer_gl0_inv
	v_add_f32_e32 v90, v15, v79
	v_add_f32_e32 v91, v14, v78
	v_min3_f32 v120, v91, v90, 0x7f7fffff
	v_add_f32_e32 v90, v11, v79
	v_add_f32_e32 v91, v10, v78
	v_min3_f32 v121, v91, v90, 0x7f7fffff
	v_add_f32_e32 v90, v7, v79
	v_add_f32_e32 v91, v6, v78
	;; [unrolled: 1-line block ×5, first 2 shown]
	v_min3_f32 v122, v91, v90, 0x7f7fffff
	v_min3_f32 v123, v78, v79, 0x7f7fffff
	v_add_f32_e32 v78, v15, v75
	v_add_f32_e32 v79, v14, v74
	v_min3_f32 v119, v79, v78, 0x7f7fffff
	v_add_f32_e32 v78, v11, v75
	v_add_f32_e32 v79, v10, v74
	v_min3_f32 v117, v79, v78, 0x7f7fffff
	v_add_f32_e32 v78, v7, v75
	v_add_f32_e32 v79, v6, v74
	v_add_f32_e32 v75, v3, v75
	v_add_f32_e32 v74, v2, v74
	v_min3_f32 v114, v79, v78, 0x7f7fffff
	v_min3_f32 v113, v74, v75, 0x7f7fffff
	v_add_f32_e32 v74, v15, v71
	v_add_f32_e32 v75, v14, v70
	v_min3_f32 v112, v75, v74, 0x7f7fffff
	v_add_f32_e32 v74, v11, v71
	v_add_f32_e32 v75, v10, v70
	v_min3_f32 v111, v75, v74, 0x7f7fffff
	v_add_f32_e32 v74, v7, v71
	v_add_f32_e32 v75, v6, v70
	v_add_f32_e32 v71, v3, v71
	v_add_f32_e32 v70, v2, v70
	v_min3_f32 v110, v75, v74, 0x7f7fffff
	v_min3_f32 v109, v70, v71, 0x7f7fffff
	v_add_f32_e32 v70, v15, v67
	v_add_f32_e32 v71, v14, v66
	v_min3_f32 v108, v71, v70, 0x7f7fffff
	v_add_f32_e32 v70, v11, v67
	v_add_f32_e32 v71, v10, v66
	v_min3_f32 v107, v71, v70, 0x7f7fffff
	v_add_f32_e32 v70, v7, v67
	v_add_f32_e32 v71, v6, v66
	v_add_f32_e32 v67, v3, v67
	v_add_f32_e32 v66, v2, v66
	v_min3_f32 v106, v71, v70, 0x7f7fffff
	v_min3_f32 v105, v66, v67, 0x7f7fffff
	v_add_f32_e32 v66, v15, v63
	v_add_f32_e32 v67, v14, v62
	v_min3_f32 v104, v67, v66, 0x7f7fffff
	v_add_f32_e32 v66, v11, v63
	v_add_f32_e32 v67, v10, v62
	v_min3_f32 v103, v67, v66, 0x7f7fffff
	v_add_f32_e32 v66, v7, v63
	v_add_f32_e32 v67, v6, v62
	v_add_f32_e32 v63, v3, v63
	v_add_f32_e32 v62, v2, v62
	v_min3_f32 v102, v67, v66, 0x7f7fffff
	v_min3_f32 v101, v62, v63, 0x7f7fffff
	v_add_f32_e32 v62, v15, v59
	v_add_f32_e32 v63, v14, v58
	v_min3_f32 v100, v63, v62, 0x7f7fffff
	v_add_f32_e32 v62, v11, v59
	v_add_f32_e32 v63, v10, v58
	v_min3_f32 v99, v63, v62, 0x7f7fffff
	v_add_f32_e32 v62, v7, v59
	v_add_f32_e32 v63, v6, v58
	v_add_f32_e32 v59, v3, v59
	v_add_f32_e32 v58, v2, v58
	v_min3_f32 v98, v63, v62, 0x7f7fffff
	v_min3_f32 v97, v58, v59, 0x7f7fffff
	v_add_f32_e32 v58, v15, v55
	v_add_f32_e32 v59, v14, v54
	v_min3_f32 v96, v59, v58, 0x7f7fffff
	v_add_f32_e32 v58, v11, v55
	v_add_f32_e32 v59, v10, v54
	v_min3_f32 v95, v59, v58, 0x7f7fffff
	v_add_f32_e32 v58, v7, v55
	v_add_f32_e32 v59, v6, v54
	v_add_f32_e32 v55, v3, v55
	v_add_f32_e32 v54, v2, v54
	v_min3_f32 v94, v59, v58, 0x7f7fffff
	v_min3_f32 v93, v54, v55, 0x7f7fffff
	v_add_f32_e32 v54, v15, v51
	v_add_f32_e32 v55, v14, v50
	v_min3_f32 v92, v55, v54, 0x7f7fffff
	v_add_f32_e32 v54, v11, v51
	v_add_f32_e32 v55, v10, v50
	v_min3_f32 v91, v55, v54, 0x7f7fffff
	v_add_f32_e32 v54, v7, v51
	v_add_f32_e32 v55, v6, v50
	v_add_f32_e32 v51, v3, v51
	v_add_f32_e32 v50, v2, v50
	v_min3_f32 v90, v55, v54, 0x7f7fffff
	v_min3_f32 v79, v50, v51, 0x7f7fffff
	v_add_f32_e32 v50, v15, v47
	v_add_f32_e32 v51, v14, v46
	v_min3_f32 v78, v51, v50, 0x7f7fffff
	v_add_f32_e32 v50, v11, v47
	v_add_f32_e32 v51, v10, v46
	v_min3_f32 v75, v51, v50, 0x7f7fffff
	v_add_f32_e32 v50, v7, v47
	v_add_f32_e32 v51, v6, v46
	v_add_f32_e32 v47, v3, v47
	v_add_f32_e32 v46, v2, v46
	v_min3_f32 v74, v51, v50, 0x7f7fffff
	v_min3_f32 v71, v46, v47, 0x7f7fffff
	v_add_f32_e32 v46, v15, v43
	v_add_f32_e32 v47, v14, v42
	v_min3_f32 v70, v47, v46, 0x7f7fffff
	v_add_f32_e32 v46, v11, v43
	v_add_f32_e32 v47, v10, v42
	v_min3_f32 v67, v47, v46, 0x7f7fffff
	v_add_f32_e32 v46, v7, v43
	v_add_f32_e32 v47, v6, v42
	v_add_f32_e32 v43, v3, v43
	v_add_f32_e32 v42, v2, v42
	v_min3_f32 v66, v47, v46, 0x7f7fffff
	v_min3_f32 v63, v42, v43, 0x7f7fffff
	v_add_f32_e32 v42, v15, v39
	v_add_f32_e32 v43, v14, v38
	v_min3_f32 v62, v43, v42, 0x7f7fffff
	v_add_f32_e32 v42, v11, v39
	v_add_f32_e32 v43, v10, v38
	v_min3_f32 v59, v43, v42, 0x7f7fffff
	v_add_f32_e32 v42, v7, v39
	v_add_f32_e32 v43, v6, v38
	v_add_f32_e32 v39, v3, v39
	v_add_f32_e32 v38, v2, v38
	v_min3_f32 v58, v43, v42, 0x7f7fffff
	v_min3_f32 v55, v38, v39, 0x7f7fffff
	v_add_f32_e32 v38, v15, v35
	v_add_f32_e32 v39, v14, v34
	v_min3_f32 v54, v39, v38, 0x7f7fffff
	v_add_f32_e32 v38, v11, v35
	v_add_f32_e32 v39, v10, v34
	v_min3_f32 v51, v39, v38, 0x7f7fffff
	v_add_f32_e32 v38, v7, v35
	v_add_f32_e32 v39, v6, v34
	v_add_f32_e32 v35, v3, v35
	v_add_f32_e32 v34, v2, v34
	v_min3_f32 v50, v39, v38, 0x7f7fffff
	v_min3_f32 v47, v34, v35, 0x7f7fffff
	v_add_f32_e32 v34, v15, v31
	v_add_f32_e32 v35, v14, v30
	v_min3_f32 v46, v35, v34, 0x7f7fffff
	v_add_f32_e32 v34, v11, v31
	v_add_f32_e32 v35, v10, v30
	v_min3_f32 v43, v35, v34, 0x7f7fffff
	v_add_f32_e32 v34, v7, v31
	v_add_f32_e32 v35, v6, v30
	v_add_f32_e32 v31, v3, v31
	v_add_f32_e32 v30, v2, v30
	v_min3_f32 v42, v35, v34, 0x7f7fffff
	v_min3_f32 v39, v30, v31, 0x7f7fffff
	v_add_f32_e32 v30, v15, v27
	v_add_f32_e32 v31, v14, v26
	v_min3_f32 v38, v31, v30, 0x7f7fffff
	v_add_f32_e32 v30, v11, v27
	v_add_f32_e32 v31, v10, v26
	v_min3_f32 v35, v31, v30, 0x7f7fffff
	v_add_f32_e32 v30, v7, v27
	v_add_f32_e32 v31, v6, v26
	v_add_f32_e32 v27, v3, v27
	v_add_f32_e32 v26, v2, v26
	v_add_f32_e32 v6, v6, v18
	v_min3_f32 v34, v31, v30, 0x7f7fffff
	v_min3_f32 v31, v26, v27, 0x7f7fffff
	v_add_f32_e32 v26, v15, v23
	v_add_f32_e32 v27, v14, v22
	;; [unrolled: 1-line block ×4, first 2 shown]
	v_min3_f32 v30, v27, v26, 0x7f7fffff
	v_add_f32_e32 v26, v11, v23
	v_add_f32_e32 v27, v10, v22
	;; [unrolled: 1-line block ×4, first 2 shown]
	v_min3_f32 v14, v14, v15, 0x7f7fffff
	v_add_f32_e32 v11, v11, v19
	v_min3_f32 v27, v27, v26, 0x7f7fffff
	v_add_f32_e32 v26, v7, v23
	v_add_f32_e32 v23, v3, v23
	;; [unrolled: 1-line block ×5, first 2 shown]
	v_min3_f32 v26, v125, v26, 0x7f7fffff
	v_min3_f32 v22, v22, v23, 0x7f7fffff
	v_min3_f32 v6, v6, v7, 0x7f7fffff
	v_min3_f32 v2, v2, v3, 0x7f7fffff
	v_add_f32_e32 v3, v17, v81
	v_add_f32_e32 v7, v16, v80
	v_min3_f32 v10, v10, v11, 0x7f7fffff
	v_min3_f32 v159, v7, v3, v120
	v_add_f32_e32 v3, v13, v81
	v_add_f32_e32 v7, v12, v80
	v_min3_f32 v158, v7, v3, v121
	v_add_f32_e32 v3, v9, v81
	v_add_f32_e32 v7, v8, v80
	;; [unrolled: 3-line block ×59, first 2 shown]
	v_add_f32_e32 v4, v4, v20
	v_min3_f32 v95, v7, v3, v22
	v_add_f32_e32 v3, v17, v21
	v_add_f32_e32 v7, v16, v20
	v_min3_f32 v94, v7, v3, v14
	v_add_f32_e32 v3, v13, v21
	;; [unrolled: 3-line block ×4, first 2 shown]
	v_min3_f32 v102, v4, v3, v2
	s_cbranch_scc1 .LBB63_42
; %bb.24:
	v_mad_i64_i32 v[2:3], null, v82, s26, 0
	v_mad_i64_i32 v[4:5], null, v83, s26, 0
	;; [unrolled: 1-line block ×4, first 2 shown]
	v_lshlrev_b64 v[82:83], 2, v[2:3]
	v_add_nc_u32_e32 v160, 0x1000, v124
	v_lshlrev_b64 v[84:85], 2, v[4:5]
	v_or_b32_e32 v161, 0x1000, v116
	v_lshlrev_b64 v[86:87], 2, v[6:7]
	v_add_nc_u32_e32 v162, 0x800, v124
	v_lshlrev_b64 v[88:89], 2, v[8:9]
	v_add_nc_u32_e32 v163, 0x1800, v124
	v_lshl_add_u32 v164, v0, 4, 0x800
	v_lshl_add_u32 v165, v1, 4, 0x1800
	s_add_i32 s26, s10, -8
	s_mov_b32 s27, 0
	s_branch .LBB63_26
.LBB63_25:                              ;   in Loop: Header=BB63_26 Depth=1
	s_or_b32 exec_lo, exec_lo, s6
	v_add_f32_e32 v168, v15, v79
	v_add_f32_e32 v169, v14, v78
	;; [unrolled: 1-line block ×10, first 2 shown]
	v_min3_f32 v159, v169, v168, v159
	v_min3_f32 v158, v171, v170, v158
	;; [unrolled: 1-line block ×3, first 2 shown]
	v_add_f32_e32 v156, v10, v74
	v_min3_f32 v79, v175, v174, v155
	v_add_f32_e32 v155, v11, v75
	v_add_f32_e32 v168, v7, v75
	;; [unrolled: 1-line block ×7, first 2 shown]
	v_min3_f32 v157, v173, v172, v157
	v_add_f32_e32 v172, v11, v71
	v_add_f32_e32 v173, v10, v70
	v_min3_f32 v154, v156, v155, v154
	v_min3_f32 v74, v74, v75, v152
	;; [unrolled: 1-line block ×3, first 2 shown]
	v_add_f32_e32 v151, v7, v71
	v_add_f32_e32 v152, v6, v70
	;; [unrolled: 1-line block ×6, first 2 shown]
	v_min3_f32 v153, v169, v168, v153
	v_add_f32_e32 v168, v11, v67
	v_add_f32_e32 v169, v10, v66
	;; [unrolled: 1-line block ×4, first 2 shown]
	v_min3_f32 v149, v152, v151, v149
	v_min3_f32 v70, v70, v71, v148
	;; [unrolled: 1-line block ×3, first 2 shown]
	v_add_f32_e32 v67, v3, v67
	v_add_f32_e32 v66, v2, v66
	;; [unrolled: 1-line block ×10, first 2 shown]
	v_min3_f32 v66, v66, v67, v144
	v_min3_f32 v67, v148, v147, v143
	;; [unrolled: 1-line block ×3, first 2 shown]
	v_add_f32_e32 v143, v11, v59
	v_min3_f32 v62, v62, v63, v140
	v_add_f32_e32 v63, v15, v59
	v_add_f32_e32 v140, v14, v58
	;; [unrolled: 1-line block ×9, first 2 shown]
	v_min3_f32 v63, v140, v63, v139
	v_min3_f32 v138, v144, v143, v138
	;; [unrolled: 1-line block ×3, first 2 shown]
	v_add_f32_e32 v136, v10, v54
	v_min3_f32 v59, v152, v151, v135
	v_add_f32_e32 v135, v11, v55
	v_add_f32_e32 v139, v7, v55
	;; [unrolled: 1-line block ×7, first 2 shown]
	v_min3_f32 v137, v148, v147, v137
	v_add_f32_e32 v147, v11, v47
	v_add_f32_e32 v148, v10, v46
	v_min3_f32 v134, v136, v135, v134
	v_min3_f32 v54, v54, v55, v132
	;; [unrolled: 1-line block ×3, first 2 shown]
	v_add_f32_e32 v131, v7, v47
	v_add_f32_e32 v132, v6, v46
	;; [unrolled: 1-line block ×6, first 2 shown]
	v_min3_f32 v133, v140, v139, v133
	v_add_f32_e32 v139, v11, v51
	v_add_f32_e32 v140, v10, v50
	;; [unrolled: 1-line block ×4, first 2 shown]
	v_min3_f32 v129, v132, v131, v129
	v_min3_f32 v46, v46, v47, v128
	;; [unrolled: 1-line block ×3, first 2 shown]
	v_add_f32_e32 v51, v3, v51
	v_add_f32_e32 v50, v2, v50
	;; [unrolled: 1-line block ×10, first 2 shown]
	v_min3_f32 v50, v50, v51, v123
	v_min3_f32 v51, v128, v127, v122
	;; [unrolled: 1-line block ×3, first 2 shown]
	v_add_f32_e32 v122, v11, v39
	v_min3_f32 v42, v42, v43, v119
	v_add_f32_e32 v43, v15, v39
	v_add_f32_e32 v119, v14, v38
	;; [unrolled: 1-line block ×9, first 2 shown]
	v_min3_f32 v43, v119, v43, v117
	v_min3_f32 v114, v123, v122, v114
	;; [unrolled: 1-line block ×3, first 2 shown]
	v_add_f32_e32 v112, v10, v34
	v_min3_f32 v39, v132, v131, v111
	v_add_f32_e32 v111, v11, v35
	v_add_f32_e32 v117, v7, v35
	;; [unrolled: 1-line block ×7, first 2 shown]
	v_min3_f32 v113, v128, v127, v113
	v_add_f32_e32 v127, v11, v31
	v_add_f32_e32 v128, v10, v30
	v_min3_f32 v110, v112, v111, v110
	v_min3_f32 v34, v34, v35, v108
	;; [unrolled: 1-line block ×3, first 2 shown]
	v_add_f32_e32 v107, v7, v31
	v_add_f32_e32 v108, v6, v30
	;; [unrolled: 1-line block ×6, first 2 shown]
	v_min3_f32 v109, v119, v117, v109
	v_add_f32_e32 v117, v11, v27
	v_add_f32_e32 v119, v10, v26
	;; [unrolled: 1-line block ×4, first 2 shown]
	v_min3_f32 v105, v108, v107, v105
	v_min3_f32 v30, v30, v31, v104
	;; [unrolled: 1-line block ×3, first 2 shown]
	v_add_f32_e32 v27, v3, v27
	v_add_f32_e32 v26, v2, v26
	;; [unrolled: 1-line block ×20, first 2 shown]
	v_min3_f32 v22, v22, v23, v95
	v_min3_f32 v14, v14, v15, v94
	;; [unrolled: 1-line block ×6, first 2 shown]
	v_add_f32_e32 v2, v13, v81
	v_add_f32_e32 v3, v12, v80
	;; [unrolled: 1-line block ×6, first 2 shown]
	v_min3_f32 v26, v26, v27, v99
	v_min3_f32 v27, v104, v103, v98
	v_add_f32_e32 v19, v17, v77
	v_add_f32_e32 v80, v16, v76
	v_min3_f32 v94, v3, v2, v158
	v_min3_f32 v95, v7, v6, v157
	;; [unrolled: 1-line block ×3, first 2 shown]
	v_add_f32_e32 v2, v9, v77
	v_add_f32_e32 v3, v8, v76
	;; [unrolled: 1-line block ×6, first 2 shown]
	v_min3_f32 v150, v173, v172, v150
	v_min3_f32 v146, v169, v168, v146
	v_add_f32_e32 v93, v12, v76
	v_min3_f32 v99, v80, v19, v79
	v_add_f32_e32 v19, v13, v73
	v_add_f32_e32 v76, v12, v72
	v_min3_f32 v102, v3, v2, v153
	v_min3_f32 v103, v7, v6, v74
	;; [unrolled: 1-line block ×3, first 2 shown]
	v_add_f32_e32 v2, v5, v73
	v_add_f32_e32 v3, v4, v72
	;; [unrolled: 1-line block ×6, first 2 shown]
	v_min3_f32 v145, v171, v170, v145
	v_min3_f32 v141, v156, v155, v141
	;; [unrolled: 1-line block ×5, first 2 shown]
	v_add_f32_e32 v78, v8, v72
	v_min3_f32 v107, v76, v19, v150
	v_add_f32_e32 v19, v9, v69
	v_add_f32_e32 v72, v8, v68
	v_min3_f32 v111, v3, v2, v70
	v_min3_f32 v112, v7, v6, v71
	;; [unrolled: 1-line block ×3, first 2 shown]
	v_add_f32_e32 v2, v17, v65
	v_add_f32_e32 v3, v16, v64
	;; [unrolled: 1-line block ×6, first 2 shown]
	v_min3_f32 v106, v128, v127, v106
	v_min3_f32 v100, v123, v122, v100
	v_add_f32_e32 v69, v5, v69
	v_add_f32_e32 v68, v4, v68
	v_min3_f32 v119, v72, v19, v145
	v_add_f32_e32 v19, v5, v65
	v_add_f32_e32 v64, v4, v64
	v_min3_f32 v123, v3, v2, v67
	v_min3_f32 v127, v7, v6, v142
	;; [unrolled: 1-line block ×3, first 2 shown]
	v_add_f32_e32 v2, v13, v61
	v_add_f32_e32 v3, v12, v60
	v_add_f32_e32 v6, v9, v61
	v_add_f32_e32 v7, v8, v60
	v_add_f32_e32 v11, v5, v61
	v_add_f32_e32 v18, v4, v60
	v_min3_f32 v120, v136, v135, v120
	v_min3_f32 v122, v68, v69, v66
	v_add_f32_e32 v66, v16, v60
	v_min3_f32 v131, v64, v19, v62
	v_add_f32_e32 v19, v17, v57
	v_add_f32_e32 v60, v16, v56
	v_min3_f32 v135, v3, v2, v138
	v_min3_f32 v136, v7, v6, v137
	;; [unrolled: 1-line block ×3, first 2 shown]
	v_add_f32_e32 v2, v9, v57
	v_add_f32_e32 v3, v8, v56
	;; [unrolled: 1-line block ×4, first 2 shown]
	v_min3_f32 v130, v148, v147, v130
	v_min3_f32 v126, v140, v139, v126
	v_add_f32_e32 v62, v12, v56
	v_min3_f32 v138, v60, v19, v59
	v_add_f32_e32 v6, v5, v57
	v_add_f32_e32 v7, v4, v56
	;; [unrolled: 1-line block ×4, first 2 shown]
	v_min3_f32 v133, v3, v2, v133
	v_min3_f32 v140, v18, v11, v55
	v_add_f32_e32 v2, v5, v49
	v_add_f32_e32 v3, v4, v48
	v_add_f32_e32 v11, v13, v53
	v_add_f32_e32 v18, v12, v52
	v_min3_f32 v125, v144, v143, v125
	v_add_f32_e32 v58, v8, v48
	v_min3_f32 v139, v7, v6, v54
	v_min3_f32 v130, v56, v19, v130
	v_add_f32_e32 v6, v17, v53
	v_add_f32_e32 v7, v16, v52
	v_add_f32_e32 v19, v9, v53
	v_add_f32_e32 v48, v8, v52
	v_min3_f32 v141, v3, v2, v46
	v_min3_f32 v126, v18, v11, v126
	v_add_f32_e32 v2, v17, v45
	v_add_f32_e32 v3, v16, v44
	v_add_f32_e32 v11, v9, v45
	;; [unrolled: 6-line block ×4, first 2 shown]
	v_add_f32_e32 v18, v4, v40
	v_add_f32_e32 v46, v16, v40
	v_min3_f32 v121, v7, v6, v121
	v_min3_f32 v145, v44, v19, v42
	v_add_f32_e32 v6, v9, v41
	v_add_f32_e32 v7, v8, v40
	;; [unrolled: 1-line block ×4, first 2 shown]
	v_min3_f32 v114, v3, v2, v114
	v_min3_f32 v147, v18, v11, v38
	v_add_f32_e32 v2, v9, v37
	v_add_f32_e32 v3, v8, v36
	;; [unrolled: 1-line block ×7, first 2 shown]
	v_min3_f32 v113, v7, v6, v113
	v_min3_f32 v148, v40, v19, v39
	v_add_f32_e32 v6, v5, v37
	v_add_f32_e32 v7, v4, v36
	;; [unrolled: 1-line block ×4, first 2 shown]
	v_min3_f32 v109, v3, v2, v109
	v_min3_f32 v150, v18, v11, v35
	v_add_f32_e32 v2, v5, v33
	v_add_f32_e32 v3, v4, v32
	;; [unrolled: 1-line block ×4, first 2 shown]
	v_min3_f32 v108, v78, v77, v149
	v_add_f32_e32 v65, v17, v61
	v_add_f32_e32 v45, v17, v41
	;; [unrolled: 1-line block ×3, first 2 shown]
	v_min3_f32 v149, v7, v6, v34
	v_min3_f32 v106, v36, v19, v106
	v_add_f32_e32 v6, v17, v29
	v_add_f32_e32 v7, v16, v28
	;; [unrolled: 1-line block ×4, first 2 shown]
	v_min3_f32 v151, v3, v2, v30
	v_min3_f32 v101, v18, v11, v101
	v_add_f32_e32 v2, v17, v25
	v_add_f32_e32 v3, v16, v24
	;; [unrolled: 1-line block ×6, first 2 shown]
	v_min3_f32 v152, v7, v6, v31
	v_min3_f32 v100, v32, v19, v100
	v_add_f32_e32 v6, v13, v25
	v_add_f32_e32 v7, v12, v24
	;; [unrolled: 1-line block ×4, first 2 shown]
	v_min3_f32 v96, v18, v11, v96
	v_min3_f32 v156, v16, v17, v14
	v_add_f32_e32 v11, v13, v21
	v_add_f32_e32 v12, v12, v20
	v_add_f32_e32 v14, v9, v21
	v_add_f32_e32 v16, v8, v20
	v_min3_f32 v93, v93, v81, v154
	v_add_f32_e32 v61, v13, v57
	v_add_f32_e32 v57, v9, v49
	;; [unrolled: 1-line block ×8, first 2 shown]
	v_min3_f32 v154, v3, v2, v27
	v_min3_f32 v97, v7, v6, v97
	;; [unrolled: 1-line block ×3, first 2 shown]
	v_add_f32_e32 v18, v5, v21
	v_add_f32_e32 v19, v4, v20
	ds_read_b128 v[2:5], v118
	ds_read_b128 v[6:9], v161
	v_min3_f32 v157, v12, v11, v10
	ds_read_b128 v[10:13], v118 offset:512
	v_min3_f32 v158, v16, v14, v15
	ds_read_b128 v[14:17], v118 offset:1024
	v_min3_f32 v132, v66, v65, v63
	v_min3_f32 v134, v62, v61, v134
	v_min3_f32 v129, v58, v57, v129
	v_min3_f32 v143, v52, v49, v50
	v_min3_f32 v146, v46, v45, v43
	v_min3_f32 v110, v42, v41, v110
	v_min3_f32 v105, v38, v37, v105
	v_min3_f32 v153, v28, v29, v26
	v_min3_f32 v159, v19, v18, v23
	ds_read_b128 v[18:21], v118 offset:1536
	ds_read_b128 v[22:25], v161 offset:128
	;; [unrolled: 1-line block ×16, first 2 shown]
	s_add_i32 s27, s27, 8
	ds_write2st64_b32 v162, v166, v167 offset1:4
	ds_write2st64_b32 v163, v90, v91 offset1:4
	s_cmp_ge_i32 s27, s26
	s_waitcnt lgkmcnt(0)
	v_add_f32_e32 v168, v3, v7
	v_add_f32_e32 v169, v2, v6
	;; [unrolled: 1-line block ×6, first 2 shown]
	v_min3_f32 v92, v169, v168, v92
	v_add_f32_e32 v7, v19, v7
	v_min3_f32 v94, v171, v170, v94
	v_add_f32_e32 v6, v18, v6
	;; [unrolled: 2-line block ×3, first 2 shown]
	v_add_f32_e32 v169, v2, v22
	v_add_f32_e32 v170, v11, v23
	v_add_f32_e32 v171, v10, v22
	v_add_f32_e32 v172, v15, v23
	v_add_f32_e32 v173, v14, v22
	v_add_f32_e32 v23, v19, v23
	v_add_f32_e32 v22, v18, v22
	v_min3_f32 v6, v6, v7, v98
	v_min3_f32 v7, v169, v168, v99
	v_min3_f32 v93, v171, v170, v93
	v_min3_f32 v98, v173, v172, v102
	v_min3_f32 v22, v22, v23, v103
	v_add_f32_e32 v23, v3, v27
	v_add_f32_e32 v99, v2, v26
	v_add_f32_e32 v102, v11, v27
	v_add_f32_e32 v103, v10, v26
	v_add_f32_e32 v168, v15, v27
	v_add_f32_e32 v169, v14, v26
	v_add_f32_e32 v27, v19, v27
	v_add_f32_e32 v26, v18, v26
	v_add_f32_e32 v170, v3, v31
	v_add_f32_e32 v171, v2, v30
	v_min3_f32 v23, v99, v23, v104
	v_min3_f32 v99, v103, v102, v107
	v_min3_f32 v102, v169, v168, v108
	v_min3_f32 v26, v26, v27, v111
	v_min3_f32 v27, v171, v170, v112
	v_add_f32_e32 v103, v11, v31
	v_add_f32_e32 v104, v10, v30
	v_add_f32_e32 v107, v15, v31
	;; [unrolled: 15-line block ×6, first 2 shown]
	v_add_f32_e32 v130, v14, v50
	v_add_f32_e32 v51, v19, v51
	;; [unrolled: 1-line block ×7, first 2 shown]
	v_min3_f32 v126, v128, v127, v126
	v_min3_f32 v125, v130, v129, v125
	;; [unrolled: 1-line block ×4, first 2 shown]
	v_add_f32_e32 v127, v15, v55
	v_add_f32_e32 v128, v14, v54
	;; [unrolled: 1-line block ×8, first 2 shown]
	v_min3_f32 v121, v134, v133, v121
	v_add_f32_e32 v133, v15, v59
	v_add_f32_e32 v134, v14, v58
	v_min3_f32 v120, v128, v127, v120
	v_min3_f32 v54, v54, v55, v145
	;; [unrolled: 1-line block ×4, first 2 shown]
	v_add_f32_e32 v59, v19, v59
	v_add_f32_e32 v58, v18, v58
	;; [unrolled: 1-line block ×10, first 2 shown]
	v_min3_f32 v58, v58, v59, v147
	v_min3_f32 v59, v128, v127, v148
	v_min3_f32 v110, v130, v129, v110
	v_add_f32_e32 v127, v2, v66
	v_min3_f32 v62, v62, v63, v149
	v_add_f32_e32 v63, v3, v67
	v_add_f32_e32 v128, v11, v67
	;; [unrolled: 1-line block ×3, first 2 shown]
	v_min3_f32 v113, v134, v133, v113
	v_min3_f32 v109, v132, v131, v109
	v_add_f32_e32 v130, v15, v67
	v_add_f32_e32 v131, v14, v66
	;; [unrolled: 1-line block ×6, first 2 shown]
	v_min3_f32 v63, v127, v63, v150
	v_min3_f32 v106, v129, v128, v106
	v_add_f32_e32 v127, v11, v71
	v_add_f32_e32 v128, v10, v70
	v_min3_f32 v105, v131, v130, v105
	v_min3_f32 v66, v66, v67, v151
	v_min3_f32 v67, v133, v132, v152
	v_add_f32_e32 v129, v15, v71
	v_add_f32_e32 v130, v14, v70
	;; [unrolled: 1-line block ×6, first 2 shown]
	v_min3_f32 v101, v128, v127, v101
	v_add_f32_e32 v127, v15, v75
	v_add_f32_e32 v128, v14, v74
	;; [unrolled: 1-line block ×12, first 2 shown]
	v_min3_f32 v74, v74, v75, v155
	v_min3_f32 v2, v2, v3, v156
	;; [unrolled: 1-line block ×4, first 2 shown]
	v_add_f32_e32 v11, v19, v79
	v_add_f32_e32 v14, v18, v78
	;; [unrolled: 1-line block ×10, first 2 shown]
	v_min3_f32 v11, v14, v11, v159
	v_min3_f32 v159, v18, v15, v92
	v_add_f32_e32 v14, v12, v24
	v_add_f32_e32 v15, v17, v25
	v_min3_f32 v156, v8, v9, v6
	v_add_f32_e32 v6, v5, v25
	v_add_f32_e32 v8, v4, v24
	;; [unrolled: 1-line block ×4, first 2 shown]
	v_min3_f32 v70, v70, v71, v153
	v_min3_f32 v71, v132, v131, v154
	;; [unrolled: 1-line block ×3, first 2 shown]
	v_add_f32_e32 v19, v21, v25
	v_add_f32_e32 v24, v20, v24
	v_add_f32_e32 v25, v5, v29
	v_add_f32_e32 v75, v4, v28
	v_min3_f32 v155, v8, v6, v7
	v_min3_f32 v154, v14, v9, v93
	v_min3_f32 v153, v18, v15, v98
	v_add_f32_e32 v6, v13, v29
	v_add_f32_e32 v7, v12, v28
	v_add_f32_e32 v8, v17, v29
	v_add_f32_e32 v9, v16, v28
	v_add_f32_e32 v14, v21, v29
	v_add_f32_e32 v15, v20, v28
	v_min3_f32 v152, v24, v19, v22
	v_min3_f32 v151, v75, v25, v23
	v_add_f32_e32 v18, v5, v33
	v_add_f32_e32 v19, v4, v32
	v_add_f32_e32 v22, v13, v33
	v_add_f32_e32 v23, v12, v32
	v_min3_f32 v150, v7, v6, v99
	v_min3_f32 v149, v9, v8, v102
	v_min3_f32 v148, v15, v14, v26
	v_add_f32_e32 v6, v17, v33
	v_add_f32_e32 v7, v16, v32
	v_add_f32_e32 v8, v21, v33
	v_add_f32_e32 v9, v20, v32
	v_add_f32_e32 v14, v5, v37
	v_add_f32_e32 v15, v4, v36
	v_min3_f32 v147, v19, v18, v27
	v_min3_f32 v146, v23, v22, v103
	;; [unrolled: 15-line block ×4, first 2 shown]
	v_min3_f32 v136, v23, v22, v38
	v_add_f32_e32 v18, v21, v45
	v_add_f32_e32 v19, v20, v44
	v_add_f32_e32 v22, v5, v49
	v_add_f32_e32 v23, v4, v48
	v_min3_f32 v135, v7, v6, v39
	v_min3_f32 v134, v9, v8, v117
	;; [unrolled: 1-line block ×3, first 2 shown]
	v_add_f32_e32 v6, v13, v49
	v_add_f32_e32 v7, v12, v48
	;; [unrolled: 1-line block ×6, first 2 shown]
	v_min3_f32 v100, v130, v129, v100
	v_min3_f32 v96, v128, v127, v96
	;; [unrolled: 1-line block ×4, first 2 shown]
	v_add_f32_e32 v18, v5, v53
	v_add_f32_e32 v19, v4, v52
	v_add_f32_e32 v22, v13, v53
	v_add_f32_e32 v23, v12, v52
	v_min3_f32 v130, v7, v6, v122
	v_min3_f32 v129, v9, v8, v123
	v_min3_f32 v128, v15, v14, v46
	v_add_f32_e32 v6, v17, v53
	v_add_f32_e32 v7, v16, v52
	v_add_f32_e32 v8, v21, v53
	v_add_f32_e32 v9, v20, v52
	v_add_f32_e32 v14, v5, v57
	v_add_f32_e32 v15, v4, v56
	v_min3_f32 v127, v19, v18, v47
	v_min3_f32 v126, v23, v22, v126
	v_add_f32_e32 v18, v13, v57
	v_add_f32_e32 v19, v12, v56
	v_add_f32_e32 v22, v17, v57
	v_add_f32_e32 v23, v16, v56
	v_min3_f32 v125, v7, v6, v125
	v_min3_f32 v123, v9, v8, v50
	v_min3_f32 v122, v15, v14, v51
	v_add_f32_e32 v6, v21, v57
	v_add_f32_e32 v7, v20, v56
	v_add_f32_e32 v8, v5, v61
	v_add_f32_e32 v9, v4, v60
	v_add_f32_e32 v14, v13, v61
	v_add_f32_e32 v15, v12, v60
	v_min3_f32 v121, v19, v18, v121
	v_min3_f32 v120, v23, v22, v120
	;; [unrolled: 15-line block ×5, first 2 shown]
	v_add_f32_e32 v18, v13, v77
	v_add_f32_e32 v19, v12, v76
	;; [unrolled: 1-line block ×4, first 2 shown]
	v_min3_f32 v100, v7, v6, v100
	v_min3_f32 v99, v9, v8, v70
	;; [unrolled: 1-line block ×3, first 2 shown]
	v_add_f32_e32 v6, v21, v77
	v_add_f32_e32 v7, v20, v76
	;; [unrolled: 1-line block ×10, first 2 shown]
	v_min3_f32 v157, v79, v78, v95
	v_min3_f32 v97, v19, v18, v97
	;; [unrolled: 1-line block ×8, first 2 shown]
	s_barrier
	buffer_gl0_inv
	s_cbranch_scc1 .LBB63_42
.LBB63_26:                              ; =>This Inner Loop Header: Depth=1
	v_add_nc_u32_e32 v18, s27, v115
	v_add_nc_u32_e32 v4, 8, v18
	v_min_i32_e32 v2, s23, v4
	v_cmp_le_i32_e64 s3, s10, v4
	v_ashrrev_i32_e32 v3, 31, v2
	v_lshlrev_b64 v[2:3], 2, v[2:3]
	v_add_co_u32 v4, s6, s20, v2
	v_add_co_ci_u32_e64 v5, null, s21, v3, s6
	s_or_b32 s6, vcc_lo, s3
	v_cndmask_b32_e64 v166, 0, 0x7f7fffff, s6
	s_nor_b32 s6, s25, s6
	s_and_saveexec_b32 s28, s6
	s_cbranch_execz .LBB63_28
; %bb.27:                               ;   in Loop: Header=BB63_26 Depth=1
	v_add_co_u32 v6, s6, v4, v82
	v_add_co_ci_u32_e64 v7, null, v5, v83, s6
	global_load_dword v6, v[6:7], off
	s_waitcnt vmcnt(0)
	v_mul_f32_e32 v166, s24, v6
.LBB63_28:                              ;   in Loop: Header=BB63_26 Depth=1
	s_or_b32 exec_lo, exec_lo, s28
	s_or_b32 s6, s0, s3
	v_cndmask_b32_e64 v167, 0, 0x7f7fffff, s6
	s_nor_b32 s6, s25, s6
	s_and_saveexec_b32 s28, s6
	s_cbranch_execz .LBB63_30
; %bb.29:                               ;   in Loop: Header=BB63_26 Depth=1
	v_add_co_u32 v4, s6, v4, v84
	v_add_co_ci_u32_e64 v5, null, v5, v85, s6
	global_load_dword v4, v[4:5], off
	s_waitcnt vmcnt(0)
	v_mul_f32_e32 v167, s24, v4
.LBB63_30:                              ;   in Loop: Header=BB63_26 Depth=1
	s_or_b32 exec_lo, exec_lo, s28
	v_add_co_u32 v2, s6, s18, v2
	v_add_co_ci_u32_e64 v3, null, s19, v3, s6
	s_or_b32 s6, s1, s3
	v_cndmask_b32_e64 v168, 0, 0x7f7fffff, s6
	s_nor_b32 s6, s25, s6
	s_and_saveexec_b32 s28, s6
	s_cbranch_execz .LBB63_32
; %bb.31:                               ;   in Loop: Header=BB63_26 Depth=1
	v_add_co_u32 v4, s6, v2, v86
	v_add_co_ci_u32_e64 v5, null, v3, v87, s6
	global_load_dword v4, v[4:5], off
	s_waitcnt vmcnt(0)
	v_mul_f32_e32 v168, s24, v4
.LBB63_32:                              ;   in Loop: Header=BB63_26 Depth=1
	s_or_b32 exec_lo, exec_lo, s28
	s_or_b32 s3, s2, s3
	v_cndmask_b32_e64 v169, 0, 0x7f7fffff, s3
	s_nor_b32 s3, s25, s3
	s_and_saveexec_b32 s6, s3
	s_cbranch_execz .LBB63_34
; %bb.33:                               ;   in Loop: Header=BB63_26 Depth=1
	v_add_co_u32 v2, s3, v2, v88
	v_add_co_ci_u32_e64 v3, null, v3, v89, s3
	global_load_dword v2, v[2:3], off
	s_waitcnt vmcnt(0)
	v_mul_f32_e32 v169, s24, v2
.LBB63_34:                              ;   in Loop: Header=BB63_26 Depth=1
	s_or_b32 exec_lo, exec_lo, s6
	ds_read_b128 v[14:17], v164
	ds_read_b128 v[10:13], v164 offset:512
	ds_read_b128 v[6:9], v164 offset:1024
	;; [unrolled: 1-line block ×3, first 2 shown]
	ds_read_b128 v[78:81], v165
	ds_read_b128 v[74:77], v165 offset:128
	ds_read_b128 v[70:73], v165 offset:256
	;; [unrolled: 1-line block ×7, first 2 shown]
	v_add_nc_u32_e32 v170, 12, v18
	ds_read_b128 v[50:53], v165 offset:1024
	ds_read_b128 v[42:45], v165 offset:1152
	;; [unrolled: 1-line block ×8, first 2 shown]
	ds_write2st64_b32 v124, v166, v167 offset1:4
	ds_write2st64_b32 v160, v168, v169 offset1:4
	s_waitcnt lgkmcnt(0)
	v_min_i32_e32 v90, s23, v170
	v_cmp_le_i32_e64 s3, s10, v170
	s_barrier
	buffer_gl0_inv
	v_ashrrev_i32_e32 v91, 31, v90
	s_or_b32 s28, vcc_lo, s3
	v_cndmask_b32_e64 v166, 0, 0x7f7fffff, s28
	v_lshlrev_b64 v[90:91], 2, v[90:91]
	v_add_co_u32 v168, s6, s20, v90
	v_add_co_ci_u32_e64 v169, null, s21, v91, s6
	s_nor_b32 s6, s25, s28
	s_and_saveexec_b32 s28, s6
	s_cbranch_execz .LBB63_36
; %bb.35:                               ;   in Loop: Header=BB63_26 Depth=1
	v_add_co_u32 v166, s6, v168, v82
	v_add_co_ci_u32_e64 v167, null, v169, v83, s6
	global_load_dword v166, v[166:167], off
	s_waitcnt vmcnt(0)
	v_mul_f32_e32 v166, s24, v166
.LBB63_36:                              ;   in Loop: Header=BB63_26 Depth=1
	s_or_b32 exec_lo, exec_lo, s28
	s_or_b32 s6, s0, s3
	v_cndmask_b32_e64 v167, 0, 0x7f7fffff, s6
	s_nor_b32 s6, s25, s6
	s_and_saveexec_b32 s28, s6
	s_cbranch_execz .LBB63_38
; %bb.37:                               ;   in Loop: Header=BB63_26 Depth=1
	v_add_co_u32 v167, s6, v168, v84
	v_add_co_ci_u32_e64 v168, null, v169, v85, s6
	global_load_dword v167, v[167:168], off
	s_waitcnt vmcnt(0)
	v_mul_f32_e32 v167, s24, v167
.LBB63_38:                              ;   in Loop: Header=BB63_26 Depth=1
	s_or_b32 exec_lo, exec_lo, s28
	v_add_co_u32 v168, s6, s18, v90
	v_add_co_ci_u32_e64 v169, null, s19, v91, s6
	s_or_b32 s6, s1, s3
	v_cndmask_b32_e64 v90, 0, 0x7f7fffff, s6
	s_nor_b32 s6, s25, s6
	s_and_saveexec_b32 s28, s6
	s_cbranch_execz .LBB63_40
; %bb.39:                               ;   in Loop: Header=BB63_26 Depth=1
	v_add_co_u32 v90, s6, v168, v86
	v_add_co_ci_u32_e64 v91, null, v169, v87, s6
	global_load_dword v90, v[90:91], off
	s_waitcnt vmcnt(0)
	v_mul_f32_e32 v90, s24, v90
.LBB63_40:                              ;   in Loop: Header=BB63_26 Depth=1
	s_or_b32 exec_lo, exec_lo, s28
	s_or_b32 s3, s2, s3
	v_cndmask_b32_e64 v91, 0, 0x7f7fffff, s3
	s_nor_b32 s3, s25, s3
	s_and_saveexec_b32 s6, s3
	s_cbranch_execz .LBB63_25
; %bb.41:                               ;   in Loop: Header=BB63_26 Depth=1
	v_add_co_u32 v168, s3, v168, v88
	v_add_co_ci_u32_e64 v169, null, v169, v89, s3
	global_load_dword v91, v[168:169], off
	s_waitcnt vmcnt(0)
	v_mul_f32_e32 v91, s24, v91
	s_branch .LBB63_25
.LBB63_42:
	s_clause 0x2
	s_load_dwordx2 s[0:1], s[4:5], 0x78
	s_load_dword s6, s[4:5], 0x58
	s_load_dword s5, s[4:5], 0x70
	ds_read_b128 v[18:21], v118 offset:2048
	ds_read_b128 v[14:17], v118 offset:2560
	;; [unrolled: 1-line block ×14, first 2 shown]
	v_add_nc_u32_e32 v89, s22, v1
	ds_read_b128 v[38:41], v116 offset:7424
	ds_read_b128 v[34:37], v116 offset:7552
	ds_read_b128 v[30:33], v116 offset:7680
	ds_read_b128 v[26:29], v116 offset:7808
	ds_read_b128 v[22:25], v116 offset:7936
	ds_read_b128 v[6:9], v116 offset:8064
	v_add_nc_u32_e32 v0, s11, v0
	v_cmp_gt_i32_e64 s4, s9, v89
	v_cndmask_b32_e64 v88, 0, 1, s17
	v_ashrrev_i32_e32 v1, 31, v0
	s_waitcnt lgkmcnt(0)
	s_mul_i32 s1, s1, s16
	v_mad_i64_i32 v[82:83], null, v89, s6, 0
	v_mad_i64_i32 v[84:85], null, v89, s5, 0
	s_mul_hi_u32 s2, s0, s16
	s_mul_i32 s0, s0, s16
	s_add_i32 s1, s2, s1
	s_lshl_b64 s[0:1], s[0:1], 2
	v_lshlrev_b64 v[82:83], 2, v[82:83]
	v_lshlrev_b64 v[84:85], 2, v[84:85]
	s_add_u32 s10, s14, s0
	s_addc_u32 s11, s15, s1
	v_cmp_gt_i32_e64 s0, s8, v0
	v_add_co_u32 v115, vcc_lo, s12, v82
	v_add_co_ci_u32_e64 v116, null, s13, v83, vcc_lo
	v_add_co_u32 v90, vcc_lo, s10, v84
	v_add_co_ci_u32_e64 v91, null, s11, v85, vcc_lo
	s_and_b32 s2, s0, s4
	s_and_saveexec_b32 s1, s2
	s_cbranch_execz .LBB63_47
; %bb.43:
	s_andn2_b32 vcc_lo, exec_lo, s17
	s_cbranch_vccnz .LBB63_45
; %bb.44:
	v_lshlrev_b64 v[82:83], 2, v[0:1]
	v_add_co_u32 v82, vcc_lo, v115, v82
	v_add_co_ci_u32_e64 v83, null, v116, v83, vcc_lo
	global_load_dword v82, v[82:83], off
	s_waitcnt vmcnt(0)
	v_mul_f32_e32 v82, s7, v82
	s_branch .LBB63_46
.LBB63_45:
	v_mov_b32_e32 v82, 0
.LBB63_46:
	v_add_f32_e32 v83, v19, v79
	v_add_f32_e32 v84, v18, v78
	;; [unrolled: 1-line block ×4, first 2 shown]
	v_min3_f32 v87, v84, v83, v159
	v_lshlrev_b64 v[83:84], 2, v[0:1]
	v_min_f32_e32 v85, v86, v85
	v_min3_f32 v85, v82, v85, v87
	v_add_co_u32 v82, vcc_lo, v90, v83
	v_add_co_ci_u32_e64 v83, null, v91, v84, vcc_lo
	global_store_dword v[82:83], v85, off
.LBB63_47:
	s_or_b32 exec_lo, exec_lo, s1
	v_add_nc_u32_e32 v82, 32, v0
	v_cmp_gt_i32_e64 s1, s8, v82
	v_ashrrev_i32_e32 v83, 31, v82
	s_and_b32 s3, s1, s4
	s_and_saveexec_b32 s2, s3
	s_cbranch_execz .LBB63_52
; %bb.48:
	v_cmp_ne_u32_e32 vcc_lo, 1, v88
	s_cbranch_vccnz .LBB63_50
; %bb.49:
	v_lshlrev_b64 v[84:85], 2, v[82:83]
	v_add_co_u32 v84, vcc_lo, v115, v84
	v_add_co_ci_u32_e64 v85, null, v116, v85, vcc_lo
	global_load_dword v84, v[84:85], off
	s_waitcnt vmcnt(0)
	v_mul_f32_e32 v84, s7, v84
	s_branch .LBB63_51
.LBB63_50:
	v_mov_b32_e32 v84, 0
.LBB63_51:
	v_add_f32_e32 v85, v15, v79
	v_add_f32_e32 v86, v14, v78
	;; [unrolled: 1-line block ×4, first 2 shown]
	v_min3_f32 v124, v86, v85, v158
	v_lshlrev_b64 v[85:86], 2, v[82:83]
	v_min_f32_e32 v87, v118, v87
	v_min3_f32 v87, v84, v87, v124
	v_add_co_u32 v84, vcc_lo, v90, v85
	v_add_co_ci_u32_e64 v85, null, v91, v86, vcc_lo
	global_store_dword v[84:85], v87, off
.LBB63_52:
	s_or_b32 exec_lo, exec_lo, s2
	v_add_nc_u32_e32 v84, 64, v0
	v_cmp_gt_i32_e64 s2, s8, v84
	v_ashrrev_i32_e32 v85, 31, v84
	s_and_b32 s14, s2, s4
	s_and_saveexec_b32 s3, s14
	s_cbranch_execz .LBB63_57
; %bb.53:
	v_cmp_ne_u32_e32 vcc_lo, 1, v88
	s_cbranch_vccnz .LBB63_55
; %bb.54:
	v_lshlrev_b64 v[86:87], 2, v[84:85]
	v_add_co_u32 v86, vcc_lo, v115, v86
	v_add_co_ci_u32_e64 v87, null, v116, v87, vcc_lo
	global_load_dword v86, v[86:87], off
	s_waitcnt vmcnt(0)
	v_mul_f32_e32 v86, s7, v86
	s_branch .LBB63_56
.LBB63_55:
	v_mov_b32_e32 v86, 0
.LBB63_56:
	v_add_f32_e32 v87, v11, v79
	v_add_f32_e32 v118, v10, v78
	;; [unrolled: 1-line block ×4, first 2 shown]
	v_min3_f32 v87, v118, v87, v157
	v_min_f32_e32 v118, v158, v124
	v_lshlrev_b64 v[157:158], 2, v[84:85]
	v_min3_f32 v118, v86, v118, v87
	v_add_co_u32 v86, vcc_lo, v90, v157
	v_add_co_ci_u32_e64 v87, null, v91, v158, vcc_lo
	global_store_dword v[86:87], v118, off
.LBB63_57:
	s_or_b32 exec_lo, exec_lo, s3
	v_add_nc_u32_e32 v86, 0x60, v0
	v_cmp_gt_i32_e64 s3, s8, v86
	v_ashrrev_i32_e32 v87, 31, v86
	s_and_b32 s8, s3, s4
	s_and_saveexec_b32 s4, s8
	s_cbranch_execz .LBB63_62
; %bb.58:
	v_cmp_ne_u32_e32 vcc_lo, 1, v88
	s_cbranch_vccnz .LBB63_60
; %bb.59:
	v_lshlrev_b64 v[157:158], 2, v[86:87]
	v_add_co_u32 v115, vcc_lo, v115, v157
	v_add_co_ci_u32_e64 v116, null, v116, v158, vcc_lo
	global_load_dword v115, v[115:116], off
	s_waitcnt vmcnt(0)
	v_mul_f32_e32 v115, s7, v115
	s_branch .LBB63_61
.LBB63_60:
	v_mov_b32_e32 v115, 0
.LBB63_61:
	v_add_f32_e32 v79, v3, v79
	v_add_f32_e32 v78, v2, v78
	;; [unrolled: 1-line block ×4, first 2 shown]
	v_min3_f32 v116, v78, v79, v156
	v_lshlrev_b64 v[78:79], 2, v[86:87]
	v_min_f32_e32 v80, v80, v81
	v_min3_f32 v80, v115, v80, v116
	v_add_co_u32 v78, vcc_lo, v90, v78
	v_add_co_ci_u32_e64 v79, null, v91, v79, vcc_lo
	global_store_dword v[78:79], v80, off
.LBB63_62:
	s_or_b32 exec_lo, exec_lo, s4
	v_add_nc_u32_e32 v90, 8, v89
	v_mad_i64_i32 v[78:79], null, v90, s6, 0
	v_mad_i64_i32 v[80:81], null, v90, s5, 0
	v_cmp_gt_i32_e64 s4, s9, v90
	v_lshlrev_b64 v[78:79], 2, v[78:79]
	s_and_b32 s14, s0, s4
	v_lshlrev_b64 v[90:91], 2, v[80:81]
	v_add_co_u32 v80, vcc_lo, s12, v78
	v_add_co_ci_u32_e64 v81, null, s13, v79, vcc_lo
	v_add_co_u32 v78, vcc_lo, s10, v90
	v_add_co_ci_u32_e64 v79, null, s11, v91, vcc_lo
	s_and_saveexec_b32 s8, s14
	s_cbranch_execnz .LBB63_66
; %bb.63:
	s_or_b32 exec_lo, exec_lo, s8
	s_and_b32 s14, s1, s4
	s_and_saveexec_b32 s8, s14
	s_cbranch_execnz .LBB63_70
.LBB63_64:
	s_or_b32 exec_lo, exec_lo, s8
	s_and_b32 s14, s2, s4
	s_and_saveexec_b32 s8, s14
	s_cbranch_execnz .LBB63_74
.LBB63_65:
	s_or_b32 exec_lo, exec_lo, s8
	s_and_b32 s8, s3, s4
	s_and_saveexec_b32 s4, s8
	s_cbranch_execnz .LBB63_78
	s_branch .LBB63_82
.LBB63_66:
	v_cmp_ne_u32_e32 vcc_lo, 1, v88
	s_cbranch_vccnz .LBB63_68
; %bb.67:
	v_lshlrev_b64 v[90:91], 2, v[0:1]
	v_add_co_u32 v90, vcc_lo, v80, v90
	v_add_co_ci_u32_e64 v91, null, v81, v91, vcc_lo
	global_load_dword v90, v[90:91], off
	s_waitcnt vmcnt(0)
	v_mul_f32_e32 v90, s7, v90
	s_branch .LBB63_69
.LBB63_68:
	v_mov_b32_e32 v90, 0
.LBB63_69:
	v_add_f32_e32 v91, v19, v75
	v_add_f32_e32 v115, v18, v74
	;; [unrolled: 1-line block ×4, first 2 shown]
	v_min3_f32 v91, v115, v91, v155
	v_min_f32_e32 v118, v118, v116
	v_lshlrev_b64 v[115:116], 2, v[0:1]
	v_min3_f32 v118, v90, v118, v91
	v_add_co_u32 v90, vcc_lo, v78, v115
	v_add_co_ci_u32_e64 v91, null, v79, v116, vcc_lo
	global_store_dword v[90:91], v118, off
	s_or_b32 exec_lo, exec_lo, s8
	s_and_b32 s14, s1, s4
	s_and_saveexec_b32 s8, s14
	s_cbranch_execz .LBB63_64
.LBB63_70:
	v_cmp_ne_u32_e32 vcc_lo, 1, v88
	s_cbranch_vccnz .LBB63_72
; %bb.71:
	v_lshlrev_b64 v[90:91], 2, v[82:83]
	v_add_co_u32 v90, vcc_lo, v80, v90
	v_add_co_ci_u32_e64 v91, null, v81, v91, vcc_lo
	global_load_dword v90, v[90:91], off
	s_waitcnt vmcnt(0)
	v_mul_f32_e32 v90, s7, v90
	s_branch .LBB63_73
.LBB63_72:
	v_mov_b32_e32 v90, 0
.LBB63_73:
	v_add_f32_e32 v91, v15, v75
	v_add_f32_e32 v115, v14, v74
	;; [unrolled: 1-line block ×4, first 2 shown]
	v_min3_f32 v91, v115, v91, v154
	v_min_f32_e32 v118, v118, v116
	v_lshlrev_b64 v[115:116], 2, v[82:83]
	v_min3_f32 v118, v90, v118, v91
	v_add_co_u32 v90, vcc_lo, v78, v115
	v_add_co_ci_u32_e64 v91, null, v79, v116, vcc_lo
	global_store_dword v[90:91], v118, off
	s_or_b32 exec_lo, exec_lo, s8
	s_and_b32 s14, s2, s4
	s_and_saveexec_b32 s8, s14
	s_cbranch_execz .LBB63_65
.LBB63_74:
	v_cmp_ne_u32_e32 vcc_lo, 1, v88
	s_cbranch_vccnz .LBB63_76
; %bb.75:
	v_lshlrev_b64 v[90:91], 2, v[84:85]
	v_add_co_u32 v90, vcc_lo, v80, v90
	v_add_co_ci_u32_e64 v91, null, v81, v91, vcc_lo
	global_load_dword v90, v[90:91], off
	s_waitcnt vmcnt(0)
	v_mul_f32_e32 v90, s7, v90
	s_branch .LBB63_77
.LBB63_76:
	v_mov_b32_e32 v90, 0
.LBB63_77:
	v_add_f32_e32 v91, v11, v75
	v_add_f32_e32 v115, v10, v74
	v_add_f32_e32 v116, v13, v77
	v_add_f32_e32 v118, v12, v76
	v_min3_f32 v91, v115, v91, v153
	v_min_f32_e32 v118, v118, v116
	v_lshlrev_b64 v[115:116], 2, v[84:85]
	v_min3_f32 v118, v90, v118, v91
	v_add_co_u32 v90, vcc_lo, v78, v115
	v_add_co_ci_u32_e64 v91, null, v79, v116, vcc_lo
	global_store_dword v[90:91], v118, off
	s_or_b32 exec_lo, exec_lo, s8
	s_and_b32 s8, s3, s4
	s_and_saveexec_b32 s4, s8
	s_cbranch_execz .LBB63_82
.LBB63_78:
	v_cmp_ne_u32_e32 vcc_lo, 1, v88
	s_cbranch_vccnz .LBB63_80
; %bb.79:
	v_lshlrev_b64 v[90:91], 2, v[86:87]
	v_add_co_u32 v80, vcc_lo, v80, v90
	v_add_co_ci_u32_e64 v81, null, v81, v91, vcc_lo
	global_load_dword v80, v[80:81], off
	s_waitcnt vmcnt(0)
	v_mul_f32_e32 v80, s7, v80
	s_branch .LBB63_81
.LBB63_80:
	v_mov_b32_e32 v80, 0
.LBB63_81:
	v_add_f32_e32 v75, v3, v75
	v_add_f32_e32 v74, v2, v74
	;; [unrolled: 1-line block ×4, first 2 shown]
	v_min3_f32 v81, v74, v75, v152
	v_lshlrev_b64 v[74:75], 2, v[86:87]
	v_min_f32_e32 v76, v76, v77
	v_min3_f32 v76, v80, v76, v81
	v_add_co_u32 v74, vcc_lo, v78, v74
	v_add_co_ci_u32_e64 v75, null, v79, v75, vcc_lo
	global_store_dword v[74:75], v76, off
.LBB63_82:
	s_or_b32 exec_lo, exec_lo, s4
	v_add_nc_u32_e32 v78, 16, v89
	v_mad_i64_i32 v[74:75], null, v78, s6, 0
	v_mad_i64_i32 v[76:77], null, v78, s5, 0
	v_cmp_gt_i32_e64 s4, s9, v78
	v_lshlrev_b64 v[74:75], 2, v[74:75]
	s_and_b32 s14, s0, s4
	v_lshlrev_b64 v[78:79], 2, v[76:77]
	v_add_co_u32 v76, vcc_lo, s12, v74
	v_add_co_ci_u32_e64 v77, null, s13, v75, vcc_lo
	v_add_co_u32 v74, vcc_lo, s10, v78
	v_add_co_ci_u32_e64 v75, null, s11, v79, vcc_lo
	s_and_saveexec_b32 s8, s14
	s_cbranch_execnz .LBB63_86
; %bb.83:
	s_or_b32 exec_lo, exec_lo, s8
	s_and_b32 s14, s1, s4
	s_and_saveexec_b32 s8, s14
	s_cbranch_execnz .LBB63_90
.LBB63_84:
	s_or_b32 exec_lo, exec_lo, s8
	s_and_b32 s14, s2, s4
	s_and_saveexec_b32 s8, s14
	s_cbranch_execnz .LBB63_94
.LBB63_85:
	s_or_b32 exec_lo, exec_lo, s8
	s_and_b32 s8, s3, s4
	s_and_saveexec_b32 s4, s8
	s_cbranch_execnz .LBB63_98
	s_branch .LBB63_102
.LBB63_86:
	v_cmp_ne_u32_e32 vcc_lo, 1, v88
	s_cbranch_vccnz .LBB63_88
; %bb.87:
	v_lshlrev_b64 v[78:79], 2, v[0:1]
	v_add_co_u32 v78, vcc_lo, v76, v78
	v_add_co_ci_u32_e64 v79, null, v77, v79, vcc_lo
	global_load_dword v78, v[78:79], off
	s_waitcnt vmcnt(0)
	v_mul_f32_e32 v78, s7, v78
	s_branch .LBB63_89
.LBB63_88:
	v_mov_b32_e32 v78, 0
.LBB63_89:
	v_add_f32_e32 v79, v19, v71
	v_add_f32_e32 v80, v18, v70
	v_add_f32_e32 v81, v21, v73
	v_add_f32_e32 v90, v20, v72
	v_min3_f32 v91, v80, v79, v151
	v_lshlrev_b64 v[79:80], 2, v[0:1]
	v_min_f32_e32 v81, v90, v81
	v_min3_f32 v81, v78, v81, v91
	v_add_co_u32 v78, vcc_lo, v74, v79
	v_add_co_ci_u32_e64 v79, null, v75, v80, vcc_lo
	global_store_dword v[78:79], v81, off
	s_or_b32 exec_lo, exec_lo, s8
	s_and_b32 s14, s1, s4
	s_and_saveexec_b32 s8, s14
	s_cbranch_execz .LBB63_84
.LBB63_90:
	v_cmp_ne_u32_e32 vcc_lo, 1, v88
	s_cbranch_vccnz .LBB63_92
; %bb.91:
	v_lshlrev_b64 v[78:79], 2, v[82:83]
	v_add_co_u32 v78, vcc_lo, v76, v78
	v_add_co_ci_u32_e64 v79, null, v77, v79, vcc_lo
	global_load_dword v78, v[78:79], off
	s_waitcnt vmcnt(0)
	v_mul_f32_e32 v78, s7, v78
	s_branch .LBB63_93
.LBB63_92:
	v_mov_b32_e32 v78, 0
.LBB63_93:
	v_add_f32_e32 v79, v15, v71
	v_add_f32_e32 v80, v14, v70
	v_add_f32_e32 v81, v17, v73
	v_add_f32_e32 v90, v16, v72
	v_min3_f32 v91, v80, v79, v150
	v_lshlrev_b64 v[79:80], 2, v[82:83]
	v_min_f32_e32 v81, v90, v81
	v_min3_f32 v81, v78, v81, v91
	v_add_co_u32 v78, vcc_lo, v74, v79
	v_add_co_ci_u32_e64 v79, null, v75, v80, vcc_lo
	global_store_dword v[78:79], v81, off
	s_or_b32 exec_lo, exec_lo, s8
	s_and_b32 s14, s2, s4
	s_and_saveexec_b32 s8, s14
	s_cbranch_execz .LBB63_85
.LBB63_94:
	v_cmp_ne_u32_e32 vcc_lo, 1, v88
	s_cbranch_vccnz .LBB63_96
; %bb.95:
	v_lshlrev_b64 v[78:79], 2, v[84:85]
	v_add_co_u32 v78, vcc_lo, v76, v78
	v_add_co_ci_u32_e64 v79, null, v77, v79, vcc_lo
	global_load_dword v78, v[78:79], off
	s_waitcnt vmcnt(0)
	v_mul_f32_e32 v78, s7, v78
	s_branch .LBB63_97
.LBB63_96:
	v_mov_b32_e32 v78, 0
.LBB63_97:
	v_add_f32_e32 v79, v11, v71
	v_add_f32_e32 v80, v10, v70
	;; [unrolled: 1-line block ×4, first 2 shown]
	v_min3_f32 v91, v80, v79, v149
	v_lshlrev_b64 v[79:80], 2, v[84:85]
	v_min_f32_e32 v81, v90, v81
	v_min3_f32 v81, v78, v81, v91
	v_add_co_u32 v78, vcc_lo, v74, v79
	v_add_co_ci_u32_e64 v79, null, v75, v80, vcc_lo
	global_store_dword v[78:79], v81, off
	s_or_b32 exec_lo, exec_lo, s8
	s_and_b32 s8, s3, s4
	s_and_saveexec_b32 s4, s8
	s_cbranch_execz .LBB63_102
.LBB63_98:
	v_cmp_ne_u32_e32 vcc_lo, 1, v88
	s_cbranch_vccnz .LBB63_100
; %bb.99:
	v_lshlrev_b64 v[78:79], 2, v[86:87]
	v_add_co_u32 v76, vcc_lo, v76, v78
	v_add_co_ci_u32_e64 v77, null, v77, v79, vcc_lo
	global_load_dword v76, v[76:77], off
	s_waitcnt vmcnt(0)
	v_mul_f32_e32 v76, s7, v76
	s_branch .LBB63_101
.LBB63_100:
	v_mov_b32_e32 v76, 0
.LBB63_101:
	v_add_f32_e32 v71, v3, v71
	v_add_f32_e32 v70, v2, v70
	;; [unrolled: 1-line block ×4, first 2 shown]
	v_min3_f32 v77, v70, v71, v148
	v_lshlrev_b64 v[70:71], 2, v[86:87]
	v_min_f32_e32 v72, v72, v73
	v_min3_f32 v72, v76, v72, v77
	v_add_co_u32 v70, vcc_lo, v74, v70
	v_add_co_ci_u32_e64 v71, null, v75, v71, vcc_lo
	global_store_dword v[70:71], v72, off
.LBB63_102:
	s_or_b32 exec_lo, exec_lo, s4
	v_add_nc_u32_e32 v74, 24, v89
	v_mad_i64_i32 v[70:71], null, v74, s6, 0
	v_mad_i64_i32 v[72:73], null, v74, s5, 0
	v_cmp_gt_i32_e64 s4, s9, v74
	v_lshlrev_b64 v[70:71], 2, v[70:71]
	s_and_b32 s14, s0, s4
	v_lshlrev_b64 v[74:75], 2, v[72:73]
	v_add_co_u32 v72, vcc_lo, s12, v70
	v_add_co_ci_u32_e64 v73, null, s13, v71, vcc_lo
	v_add_co_u32 v70, vcc_lo, s10, v74
	v_add_co_ci_u32_e64 v71, null, s11, v75, vcc_lo
	s_and_saveexec_b32 s8, s14
	s_cbranch_execnz .LBB63_106
; %bb.103:
	s_or_b32 exec_lo, exec_lo, s8
	s_and_b32 s14, s1, s4
	s_and_saveexec_b32 s8, s14
	s_cbranch_execnz .LBB63_110
.LBB63_104:
	s_or_b32 exec_lo, exec_lo, s8
	s_and_b32 s14, s2, s4
	s_and_saveexec_b32 s8, s14
	s_cbranch_execnz .LBB63_114
.LBB63_105:
	s_or_b32 exec_lo, exec_lo, s8
	s_and_b32 s8, s3, s4
	s_and_saveexec_b32 s4, s8
	s_cbranch_execnz .LBB63_118
	s_branch .LBB63_122
.LBB63_106:
	v_cmp_ne_u32_e32 vcc_lo, 1, v88
	s_cbranch_vccnz .LBB63_108
; %bb.107:
	v_lshlrev_b64 v[74:75], 2, v[0:1]
	v_add_co_u32 v74, vcc_lo, v72, v74
	v_add_co_ci_u32_e64 v75, null, v73, v75, vcc_lo
	global_load_dword v74, v[74:75], off
	s_waitcnt vmcnt(0)
	v_mul_f32_e32 v74, s7, v74
	s_branch .LBB63_109
.LBB63_108:
	v_mov_b32_e32 v74, 0
.LBB63_109:
	v_add_f32_e32 v75, v19, v67
	v_add_f32_e32 v76, v18, v66
	;; [unrolled: 1-line block ×4, first 2 shown]
	v_min3_f32 v79, v76, v75, v147
	v_lshlrev_b64 v[75:76], 2, v[0:1]
	v_min_f32_e32 v77, v78, v77
	v_min3_f32 v77, v74, v77, v79
	v_add_co_u32 v74, vcc_lo, v70, v75
	v_add_co_ci_u32_e64 v75, null, v71, v76, vcc_lo
	global_store_dword v[74:75], v77, off
	s_or_b32 exec_lo, exec_lo, s8
	s_and_b32 s14, s1, s4
	s_and_saveexec_b32 s8, s14
	s_cbranch_execz .LBB63_104
.LBB63_110:
	v_cmp_ne_u32_e32 vcc_lo, 1, v88
	s_cbranch_vccnz .LBB63_112
; %bb.111:
	v_lshlrev_b64 v[74:75], 2, v[82:83]
	v_add_co_u32 v74, vcc_lo, v72, v74
	v_add_co_ci_u32_e64 v75, null, v73, v75, vcc_lo
	global_load_dword v74, v[74:75], off
	s_waitcnt vmcnt(0)
	v_mul_f32_e32 v74, s7, v74
	s_branch .LBB63_113
.LBB63_112:
	v_mov_b32_e32 v74, 0
.LBB63_113:
	v_add_f32_e32 v75, v15, v67
	v_add_f32_e32 v76, v14, v66
	;; [unrolled: 1-line block ×4, first 2 shown]
	v_min3_f32 v79, v76, v75, v146
	v_lshlrev_b64 v[75:76], 2, v[82:83]
	v_min_f32_e32 v77, v78, v77
	v_min3_f32 v77, v74, v77, v79
	v_add_co_u32 v74, vcc_lo, v70, v75
	v_add_co_ci_u32_e64 v75, null, v71, v76, vcc_lo
	global_store_dword v[74:75], v77, off
	s_or_b32 exec_lo, exec_lo, s8
	s_and_b32 s14, s2, s4
	s_and_saveexec_b32 s8, s14
	s_cbranch_execz .LBB63_105
.LBB63_114:
	v_cmp_ne_u32_e32 vcc_lo, 1, v88
	s_cbranch_vccnz .LBB63_116
; %bb.115:
	v_lshlrev_b64 v[74:75], 2, v[84:85]
	v_add_co_u32 v74, vcc_lo, v72, v74
	v_add_co_ci_u32_e64 v75, null, v73, v75, vcc_lo
	global_load_dword v74, v[74:75], off
	s_waitcnt vmcnt(0)
	v_mul_f32_e32 v74, s7, v74
	s_branch .LBB63_117
.LBB63_116:
	v_mov_b32_e32 v74, 0
.LBB63_117:
	v_add_f32_e32 v75, v11, v67
	v_add_f32_e32 v76, v10, v66
	;; [unrolled: 1-line block ×4, first 2 shown]
	v_min3_f32 v79, v76, v75, v145
	v_lshlrev_b64 v[75:76], 2, v[84:85]
	v_min_f32_e32 v77, v78, v77
	v_min3_f32 v77, v74, v77, v79
	v_add_co_u32 v74, vcc_lo, v70, v75
	v_add_co_ci_u32_e64 v75, null, v71, v76, vcc_lo
	global_store_dword v[74:75], v77, off
	s_or_b32 exec_lo, exec_lo, s8
	s_and_b32 s8, s3, s4
	s_and_saveexec_b32 s4, s8
	s_cbranch_execz .LBB63_122
.LBB63_118:
	v_cmp_ne_u32_e32 vcc_lo, 1, v88
	s_cbranch_vccnz .LBB63_120
; %bb.119:
	v_lshlrev_b64 v[74:75], 2, v[86:87]
	v_add_co_u32 v72, vcc_lo, v72, v74
	v_add_co_ci_u32_e64 v73, null, v73, v75, vcc_lo
	global_load_dword v72, v[72:73], off
	s_waitcnt vmcnt(0)
	v_mul_f32_e32 v72, s7, v72
	s_branch .LBB63_121
.LBB63_120:
	v_mov_b32_e32 v72, 0
.LBB63_121:
	v_add_f32_e32 v67, v3, v67
	v_add_f32_e32 v66, v2, v66
	;; [unrolled: 1-line block ×4, first 2 shown]
	v_min3_f32 v73, v66, v67, v144
	v_lshlrev_b64 v[66:67], 2, v[86:87]
	v_min_f32_e32 v68, v68, v69
	v_min3_f32 v68, v72, v68, v73
	v_add_co_u32 v66, vcc_lo, v70, v66
	v_add_co_ci_u32_e64 v67, null, v71, v67, vcc_lo
	global_store_dword v[66:67], v68, off
.LBB63_122:
	s_or_b32 exec_lo, exec_lo, s4
	v_add_nc_u32_e32 v70, 32, v89
	v_mad_i64_i32 v[66:67], null, v70, s6, 0
	v_mad_i64_i32 v[68:69], null, v70, s5, 0
	v_cmp_gt_i32_e64 s4, s9, v70
	v_lshlrev_b64 v[66:67], 2, v[66:67]
	s_and_b32 s14, s0, s4
	v_lshlrev_b64 v[70:71], 2, v[68:69]
	v_add_co_u32 v68, vcc_lo, s12, v66
	v_add_co_ci_u32_e64 v69, null, s13, v67, vcc_lo
	v_add_co_u32 v66, vcc_lo, s10, v70
	v_add_co_ci_u32_e64 v67, null, s11, v71, vcc_lo
	s_and_saveexec_b32 s8, s14
	s_cbranch_execnz .LBB63_126
; %bb.123:
	s_or_b32 exec_lo, exec_lo, s8
	s_and_b32 s14, s1, s4
	s_and_saveexec_b32 s8, s14
	s_cbranch_execnz .LBB63_130
.LBB63_124:
	s_or_b32 exec_lo, exec_lo, s8
	s_and_b32 s14, s2, s4
	s_and_saveexec_b32 s8, s14
	s_cbranch_execnz .LBB63_134
.LBB63_125:
	s_or_b32 exec_lo, exec_lo, s8
	s_and_b32 s8, s3, s4
	s_and_saveexec_b32 s4, s8
	s_cbranch_execnz .LBB63_138
	s_branch .LBB63_142
.LBB63_126:
	v_cmp_ne_u32_e32 vcc_lo, 1, v88
	s_cbranch_vccnz .LBB63_128
; %bb.127:
	v_lshlrev_b64 v[70:71], 2, v[0:1]
	v_add_co_u32 v70, vcc_lo, v68, v70
	v_add_co_ci_u32_e64 v71, null, v69, v71, vcc_lo
	global_load_dword v70, v[70:71], off
	s_waitcnt vmcnt(0)
	v_mul_f32_e32 v70, s7, v70
	s_branch .LBB63_129
.LBB63_128:
	v_mov_b32_e32 v70, 0
.LBB63_129:
	v_add_f32_e32 v71, v19, v63
	v_add_f32_e32 v72, v18, v62
	;; [unrolled: 1-line block ×4, first 2 shown]
	v_min3_f32 v75, v72, v71, v143
	v_lshlrev_b64 v[71:72], 2, v[0:1]
	v_min_f32_e32 v73, v74, v73
	v_min3_f32 v73, v70, v73, v75
	v_add_co_u32 v70, vcc_lo, v66, v71
	v_add_co_ci_u32_e64 v71, null, v67, v72, vcc_lo
	global_store_dword v[70:71], v73, off
	s_or_b32 exec_lo, exec_lo, s8
	s_and_b32 s14, s1, s4
	s_and_saveexec_b32 s8, s14
	s_cbranch_execz .LBB63_124
.LBB63_130:
	v_cmp_ne_u32_e32 vcc_lo, 1, v88
	s_cbranch_vccnz .LBB63_132
; %bb.131:
	v_lshlrev_b64 v[70:71], 2, v[82:83]
	v_add_co_u32 v70, vcc_lo, v68, v70
	v_add_co_ci_u32_e64 v71, null, v69, v71, vcc_lo
	global_load_dword v70, v[70:71], off
	s_waitcnt vmcnt(0)
	v_mul_f32_e32 v70, s7, v70
	s_branch .LBB63_133
.LBB63_132:
	v_mov_b32_e32 v70, 0
.LBB63_133:
	v_add_f32_e32 v71, v15, v63
	v_add_f32_e32 v72, v14, v62
	;; [unrolled: 1-line block ×4, first 2 shown]
	v_min3_f32 v75, v72, v71, v142
	v_lshlrev_b64 v[71:72], 2, v[82:83]
	v_min_f32_e32 v73, v74, v73
	v_min3_f32 v73, v70, v73, v75
	v_add_co_u32 v70, vcc_lo, v66, v71
	v_add_co_ci_u32_e64 v71, null, v67, v72, vcc_lo
	global_store_dword v[70:71], v73, off
	s_or_b32 exec_lo, exec_lo, s8
	s_and_b32 s14, s2, s4
	s_and_saveexec_b32 s8, s14
	s_cbranch_execz .LBB63_125
.LBB63_134:
	v_cmp_ne_u32_e32 vcc_lo, 1, v88
	s_cbranch_vccnz .LBB63_136
; %bb.135:
	v_lshlrev_b64 v[70:71], 2, v[84:85]
	v_add_co_u32 v70, vcc_lo, v68, v70
	v_add_co_ci_u32_e64 v71, null, v69, v71, vcc_lo
	global_load_dword v70, v[70:71], off
	s_waitcnt vmcnt(0)
	v_mul_f32_e32 v70, s7, v70
	s_branch .LBB63_137
.LBB63_136:
	v_mov_b32_e32 v70, 0
.LBB63_137:
	v_add_f32_e32 v71, v11, v63
	v_add_f32_e32 v72, v10, v62
	;; [unrolled: 1-line block ×4, first 2 shown]
	v_min3_f32 v75, v72, v71, v141
	v_lshlrev_b64 v[71:72], 2, v[84:85]
	v_min_f32_e32 v73, v74, v73
	v_min3_f32 v73, v70, v73, v75
	v_add_co_u32 v70, vcc_lo, v66, v71
	v_add_co_ci_u32_e64 v71, null, v67, v72, vcc_lo
	global_store_dword v[70:71], v73, off
	s_or_b32 exec_lo, exec_lo, s8
	s_and_b32 s8, s3, s4
	s_and_saveexec_b32 s4, s8
	s_cbranch_execz .LBB63_142
.LBB63_138:
	v_cmp_ne_u32_e32 vcc_lo, 1, v88
	s_cbranch_vccnz .LBB63_140
; %bb.139:
	v_lshlrev_b64 v[70:71], 2, v[86:87]
	v_add_co_u32 v68, vcc_lo, v68, v70
	v_add_co_ci_u32_e64 v69, null, v69, v71, vcc_lo
	global_load_dword v68, v[68:69], off
	s_waitcnt vmcnt(0)
	v_mul_f32_e32 v68, s7, v68
	s_branch .LBB63_141
.LBB63_140:
	v_mov_b32_e32 v68, 0
.LBB63_141:
	v_add_f32_e32 v63, v3, v63
	v_add_f32_e32 v62, v2, v62
	;; [unrolled: 1-line block ×4, first 2 shown]
	v_min3_f32 v69, v62, v63, v140
	v_lshlrev_b64 v[62:63], 2, v[86:87]
	v_min_f32_e32 v64, v64, v65
	v_min3_f32 v64, v68, v64, v69
	v_add_co_u32 v62, vcc_lo, v66, v62
	v_add_co_ci_u32_e64 v63, null, v67, v63, vcc_lo
	global_store_dword v[62:63], v64, off
.LBB63_142:
	s_or_b32 exec_lo, exec_lo, s4
	v_add_nc_u32_e32 v66, 40, v89
	v_mad_i64_i32 v[62:63], null, v66, s6, 0
	v_mad_i64_i32 v[64:65], null, v66, s5, 0
	v_cmp_gt_i32_e64 s4, s9, v66
	v_lshlrev_b64 v[62:63], 2, v[62:63]
	s_and_b32 s14, s0, s4
	v_lshlrev_b64 v[66:67], 2, v[64:65]
	v_add_co_u32 v64, vcc_lo, s12, v62
	v_add_co_ci_u32_e64 v65, null, s13, v63, vcc_lo
	v_add_co_u32 v62, vcc_lo, s10, v66
	v_add_co_ci_u32_e64 v63, null, s11, v67, vcc_lo
	s_and_saveexec_b32 s8, s14
	s_cbranch_execnz .LBB63_146
; %bb.143:
	s_or_b32 exec_lo, exec_lo, s8
	s_and_b32 s14, s1, s4
	s_and_saveexec_b32 s8, s14
	s_cbranch_execnz .LBB63_150
.LBB63_144:
	s_or_b32 exec_lo, exec_lo, s8
	s_and_b32 s14, s2, s4
	s_and_saveexec_b32 s8, s14
	s_cbranch_execnz .LBB63_154
.LBB63_145:
	s_or_b32 exec_lo, exec_lo, s8
	s_and_b32 s8, s3, s4
	s_and_saveexec_b32 s4, s8
	s_cbranch_execnz .LBB63_158
	s_branch .LBB63_162
.LBB63_146:
	v_cmp_ne_u32_e32 vcc_lo, 1, v88
	s_cbranch_vccnz .LBB63_148
; %bb.147:
	v_lshlrev_b64 v[66:67], 2, v[0:1]
	v_add_co_u32 v66, vcc_lo, v64, v66
	v_add_co_ci_u32_e64 v67, null, v65, v67, vcc_lo
	global_load_dword v66, v[66:67], off
	s_waitcnt vmcnt(0)
	v_mul_f32_e32 v66, s7, v66
	s_branch .LBB63_149
.LBB63_148:
	v_mov_b32_e32 v66, 0
.LBB63_149:
	v_add_f32_e32 v67, v19, v59
	v_add_f32_e32 v68, v18, v58
	;; [unrolled: 1-line block ×4, first 2 shown]
	v_min3_f32 v71, v68, v67, v139
	v_lshlrev_b64 v[67:68], 2, v[0:1]
	v_min_f32_e32 v69, v70, v69
	v_min3_f32 v69, v66, v69, v71
	v_add_co_u32 v66, vcc_lo, v62, v67
	v_add_co_ci_u32_e64 v67, null, v63, v68, vcc_lo
	global_store_dword v[66:67], v69, off
	s_or_b32 exec_lo, exec_lo, s8
	s_and_b32 s14, s1, s4
	s_and_saveexec_b32 s8, s14
	s_cbranch_execz .LBB63_144
.LBB63_150:
	v_cmp_ne_u32_e32 vcc_lo, 1, v88
	s_cbranch_vccnz .LBB63_152
; %bb.151:
	v_lshlrev_b64 v[66:67], 2, v[82:83]
	v_add_co_u32 v66, vcc_lo, v64, v66
	v_add_co_ci_u32_e64 v67, null, v65, v67, vcc_lo
	global_load_dword v66, v[66:67], off
	s_waitcnt vmcnt(0)
	v_mul_f32_e32 v66, s7, v66
	s_branch .LBB63_153
.LBB63_152:
	v_mov_b32_e32 v66, 0
.LBB63_153:
	v_add_f32_e32 v67, v15, v59
	v_add_f32_e32 v68, v14, v58
	;; [unrolled: 1-line block ×4, first 2 shown]
	v_min3_f32 v71, v68, v67, v138
	v_lshlrev_b64 v[67:68], 2, v[82:83]
	v_min_f32_e32 v69, v70, v69
	v_min3_f32 v69, v66, v69, v71
	v_add_co_u32 v66, vcc_lo, v62, v67
	v_add_co_ci_u32_e64 v67, null, v63, v68, vcc_lo
	global_store_dword v[66:67], v69, off
	s_or_b32 exec_lo, exec_lo, s8
	s_and_b32 s14, s2, s4
	s_and_saveexec_b32 s8, s14
	s_cbranch_execz .LBB63_145
.LBB63_154:
	v_cmp_ne_u32_e32 vcc_lo, 1, v88
	s_cbranch_vccnz .LBB63_156
; %bb.155:
	v_lshlrev_b64 v[66:67], 2, v[84:85]
	v_add_co_u32 v66, vcc_lo, v64, v66
	v_add_co_ci_u32_e64 v67, null, v65, v67, vcc_lo
	global_load_dword v66, v[66:67], off
	s_waitcnt vmcnt(0)
	v_mul_f32_e32 v66, s7, v66
	s_branch .LBB63_157
.LBB63_156:
	v_mov_b32_e32 v66, 0
.LBB63_157:
	v_add_f32_e32 v67, v11, v59
	v_add_f32_e32 v68, v10, v58
	;; [unrolled: 1-line block ×4, first 2 shown]
	v_min3_f32 v71, v68, v67, v137
	v_lshlrev_b64 v[67:68], 2, v[84:85]
	v_min_f32_e32 v69, v70, v69
	v_min3_f32 v69, v66, v69, v71
	v_add_co_u32 v66, vcc_lo, v62, v67
	v_add_co_ci_u32_e64 v67, null, v63, v68, vcc_lo
	global_store_dword v[66:67], v69, off
	s_or_b32 exec_lo, exec_lo, s8
	s_and_b32 s8, s3, s4
	s_and_saveexec_b32 s4, s8
	s_cbranch_execz .LBB63_162
.LBB63_158:
	v_cmp_ne_u32_e32 vcc_lo, 1, v88
	s_cbranch_vccnz .LBB63_160
; %bb.159:
	v_lshlrev_b64 v[66:67], 2, v[86:87]
	v_add_co_u32 v64, vcc_lo, v64, v66
	v_add_co_ci_u32_e64 v65, null, v65, v67, vcc_lo
	global_load_dword v64, v[64:65], off
	s_waitcnt vmcnt(0)
	v_mul_f32_e32 v64, s7, v64
	s_branch .LBB63_161
.LBB63_160:
	v_mov_b32_e32 v64, 0
.LBB63_161:
	v_add_f32_e32 v59, v3, v59
	v_add_f32_e32 v58, v2, v58
	v_add_f32_e32 v61, v5, v61
	v_add_f32_e32 v60, v4, v60
	v_min3_f32 v65, v58, v59, v136
	v_lshlrev_b64 v[58:59], 2, v[86:87]
	v_min_f32_e32 v60, v60, v61
	v_min3_f32 v60, v64, v60, v65
	v_add_co_u32 v58, vcc_lo, v62, v58
	v_add_co_ci_u32_e64 v59, null, v63, v59, vcc_lo
	global_store_dword v[58:59], v60, off
.LBB63_162:
	s_or_b32 exec_lo, exec_lo, s4
	v_add_nc_u32_e32 v62, 48, v89
	v_mad_i64_i32 v[58:59], null, v62, s6, 0
	v_mad_i64_i32 v[60:61], null, v62, s5, 0
	v_cmp_gt_i32_e64 s4, s9, v62
	v_lshlrev_b64 v[58:59], 2, v[58:59]
	s_and_b32 s14, s0, s4
	v_lshlrev_b64 v[62:63], 2, v[60:61]
	v_add_co_u32 v60, vcc_lo, s12, v58
	v_add_co_ci_u32_e64 v61, null, s13, v59, vcc_lo
	v_add_co_u32 v58, vcc_lo, s10, v62
	v_add_co_ci_u32_e64 v59, null, s11, v63, vcc_lo
	s_and_saveexec_b32 s8, s14
	s_cbranch_execnz .LBB63_166
; %bb.163:
	s_or_b32 exec_lo, exec_lo, s8
	s_and_b32 s14, s1, s4
	s_and_saveexec_b32 s8, s14
	s_cbranch_execnz .LBB63_170
.LBB63_164:
	s_or_b32 exec_lo, exec_lo, s8
	s_and_b32 s14, s2, s4
	s_and_saveexec_b32 s8, s14
	s_cbranch_execnz .LBB63_174
.LBB63_165:
	s_or_b32 exec_lo, exec_lo, s8
	s_and_b32 s8, s3, s4
	s_and_saveexec_b32 s4, s8
	s_cbranch_execnz .LBB63_178
	s_branch .LBB63_182
.LBB63_166:
	v_cmp_ne_u32_e32 vcc_lo, 1, v88
	s_cbranch_vccnz .LBB63_168
; %bb.167:
	v_lshlrev_b64 v[62:63], 2, v[0:1]
	v_add_co_u32 v62, vcc_lo, v60, v62
	v_add_co_ci_u32_e64 v63, null, v61, v63, vcc_lo
	global_load_dword v62, v[62:63], off
	s_waitcnt vmcnt(0)
	v_mul_f32_e32 v62, s7, v62
	s_branch .LBB63_169
.LBB63_168:
	v_mov_b32_e32 v62, 0
.LBB63_169:
	v_add_f32_e32 v63, v19, v55
	v_add_f32_e32 v64, v18, v54
	;; [unrolled: 1-line block ×4, first 2 shown]
	v_min3_f32 v67, v64, v63, v135
	v_lshlrev_b64 v[63:64], 2, v[0:1]
	v_min_f32_e32 v65, v66, v65
	v_min3_f32 v65, v62, v65, v67
	v_add_co_u32 v62, vcc_lo, v58, v63
	v_add_co_ci_u32_e64 v63, null, v59, v64, vcc_lo
	global_store_dword v[62:63], v65, off
	s_or_b32 exec_lo, exec_lo, s8
	s_and_b32 s14, s1, s4
	s_and_saveexec_b32 s8, s14
	s_cbranch_execz .LBB63_164
.LBB63_170:
	v_cmp_ne_u32_e32 vcc_lo, 1, v88
	s_cbranch_vccnz .LBB63_172
; %bb.171:
	v_lshlrev_b64 v[62:63], 2, v[82:83]
	v_add_co_u32 v62, vcc_lo, v60, v62
	v_add_co_ci_u32_e64 v63, null, v61, v63, vcc_lo
	global_load_dword v62, v[62:63], off
	s_waitcnt vmcnt(0)
	v_mul_f32_e32 v62, s7, v62
	s_branch .LBB63_173
.LBB63_172:
	v_mov_b32_e32 v62, 0
.LBB63_173:
	v_add_f32_e32 v63, v15, v55
	v_add_f32_e32 v64, v14, v54
	;; [unrolled: 1-line block ×4, first 2 shown]
	v_min3_f32 v67, v64, v63, v134
	v_lshlrev_b64 v[63:64], 2, v[82:83]
	v_min_f32_e32 v65, v66, v65
	v_min3_f32 v65, v62, v65, v67
	v_add_co_u32 v62, vcc_lo, v58, v63
	v_add_co_ci_u32_e64 v63, null, v59, v64, vcc_lo
	global_store_dword v[62:63], v65, off
	s_or_b32 exec_lo, exec_lo, s8
	s_and_b32 s14, s2, s4
	s_and_saveexec_b32 s8, s14
	s_cbranch_execz .LBB63_165
.LBB63_174:
	v_cmp_ne_u32_e32 vcc_lo, 1, v88
	s_cbranch_vccnz .LBB63_176
; %bb.175:
	v_lshlrev_b64 v[62:63], 2, v[84:85]
	v_add_co_u32 v62, vcc_lo, v60, v62
	v_add_co_ci_u32_e64 v63, null, v61, v63, vcc_lo
	global_load_dword v62, v[62:63], off
	s_waitcnt vmcnt(0)
	v_mul_f32_e32 v62, s7, v62
	s_branch .LBB63_177
.LBB63_176:
	v_mov_b32_e32 v62, 0
.LBB63_177:
	v_add_f32_e32 v63, v11, v55
	v_add_f32_e32 v64, v10, v54
	v_add_f32_e32 v65, v13, v57
	v_add_f32_e32 v66, v12, v56
	v_min3_f32 v67, v64, v63, v133
	v_lshlrev_b64 v[63:64], 2, v[84:85]
	v_min_f32_e32 v65, v66, v65
	v_min3_f32 v65, v62, v65, v67
	v_add_co_u32 v62, vcc_lo, v58, v63
	v_add_co_ci_u32_e64 v63, null, v59, v64, vcc_lo
	global_store_dword v[62:63], v65, off
	s_or_b32 exec_lo, exec_lo, s8
	s_and_b32 s8, s3, s4
	s_and_saveexec_b32 s4, s8
	s_cbranch_execz .LBB63_182
.LBB63_178:
	v_cmp_ne_u32_e32 vcc_lo, 1, v88
	s_cbranch_vccnz .LBB63_180
; %bb.179:
	v_lshlrev_b64 v[62:63], 2, v[86:87]
	v_add_co_u32 v60, vcc_lo, v60, v62
	v_add_co_ci_u32_e64 v61, null, v61, v63, vcc_lo
	global_load_dword v60, v[60:61], off
	s_waitcnt vmcnt(0)
	v_mul_f32_e32 v60, s7, v60
	s_branch .LBB63_181
.LBB63_180:
	v_mov_b32_e32 v60, 0
.LBB63_181:
	v_add_f32_e32 v55, v3, v55
	v_add_f32_e32 v54, v2, v54
	;; [unrolled: 1-line block ×4, first 2 shown]
	v_min3_f32 v61, v54, v55, v132
	v_lshlrev_b64 v[54:55], 2, v[86:87]
	v_min_f32_e32 v56, v56, v57
	v_min3_f32 v56, v60, v56, v61
	v_add_co_u32 v54, vcc_lo, v58, v54
	v_add_co_ci_u32_e64 v55, null, v59, v55, vcc_lo
	global_store_dword v[54:55], v56, off
.LBB63_182:
	s_or_b32 exec_lo, exec_lo, s4
	v_add_nc_u32_e32 v58, 56, v89
	v_mad_i64_i32 v[54:55], null, v58, s6, 0
	v_mad_i64_i32 v[56:57], null, v58, s5, 0
	v_cmp_gt_i32_e64 s4, s9, v58
	v_lshlrev_b64 v[54:55], 2, v[54:55]
	s_and_b32 s14, s0, s4
	v_lshlrev_b64 v[58:59], 2, v[56:57]
	v_add_co_u32 v56, vcc_lo, s12, v54
	v_add_co_ci_u32_e64 v57, null, s13, v55, vcc_lo
	v_add_co_u32 v54, vcc_lo, s10, v58
	v_add_co_ci_u32_e64 v55, null, s11, v59, vcc_lo
	s_and_saveexec_b32 s8, s14
	s_cbranch_execnz .LBB63_186
; %bb.183:
	s_or_b32 exec_lo, exec_lo, s8
	s_and_b32 s14, s1, s4
	s_and_saveexec_b32 s8, s14
	s_cbranch_execnz .LBB63_190
.LBB63_184:
	s_or_b32 exec_lo, exec_lo, s8
	s_and_b32 s14, s2, s4
	s_and_saveexec_b32 s8, s14
	s_cbranch_execnz .LBB63_194
.LBB63_185:
	s_or_b32 exec_lo, exec_lo, s8
	s_and_b32 s8, s3, s4
	s_and_saveexec_b32 s4, s8
	s_cbranch_execnz .LBB63_198
	s_branch .LBB63_202
.LBB63_186:
	v_cmp_ne_u32_e32 vcc_lo, 1, v88
	s_cbranch_vccnz .LBB63_188
; %bb.187:
	v_lshlrev_b64 v[58:59], 2, v[0:1]
	v_add_co_u32 v58, vcc_lo, v56, v58
	v_add_co_ci_u32_e64 v59, null, v57, v59, vcc_lo
	global_load_dword v58, v[58:59], off
	s_waitcnt vmcnt(0)
	v_mul_f32_e32 v58, s7, v58
	s_branch .LBB63_189
.LBB63_188:
	v_mov_b32_e32 v58, 0
.LBB63_189:
	v_add_f32_e32 v59, v19, v51
	v_add_f32_e32 v60, v18, v50
	;; [unrolled: 1-line block ×4, first 2 shown]
	v_min3_f32 v63, v60, v59, v131
	v_lshlrev_b64 v[59:60], 2, v[0:1]
	v_min_f32_e32 v61, v62, v61
	v_min3_f32 v61, v58, v61, v63
	v_add_co_u32 v58, vcc_lo, v54, v59
	v_add_co_ci_u32_e64 v59, null, v55, v60, vcc_lo
	global_store_dword v[58:59], v61, off
	s_or_b32 exec_lo, exec_lo, s8
	s_and_b32 s14, s1, s4
	s_and_saveexec_b32 s8, s14
	s_cbranch_execz .LBB63_184
.LBB63_190:
	v_cmp_ne_u32_e32 vcc_lo, 1, v88
	s_cbranch_vccnz .LBB63_192
; %bb.191:
	v_lshlrev_b64 v[58:59], 2, v[82:83]
	v_add_co_u32 v58, vcc_lo, v56, v58
	v_add_co_ci_u32_e64 v59, null, v57, v59, vcc_lo
	global_load_dword v58, v[58:59], off
	s_waitcnt vmcnt(0)
	v_mul_f32_e32 v58, s7, v58
	s_branch .LBB63_193
.LBB63_192:
	v_mov_b32_e32 v58, 0
.LBB63_193:
	v_add_f32_e32 v59, v15, v51
	v_add_f32_e32 v60, v14, v50
	;; [unrolled: 1-line block ×4, first 2 shown]
	v_min3_f32 v63, v60, v59, v130
	v_lshlrev_b64 v[59:60], 2, v[82:83]
	v_min_f32_e32 v61, v62, v61
	v_min3_f32 v61, v58, v61, v63
	v_add_co_u32 v58, vcc_lo, v54, v59
	v_add_co_ci_u32_e64 v59, null, v55, v60, vcc_lo
	global_store_dword v[58:59], v61, off
	s_or_b32 exec_lo, exec_lo, s8
	s_and_b32 s14, s2, s4
	s_and_saveexec_b32 s8, s14
	s_cbranch_execz .LBB63_185
.LBB63_194:
	v_cmp_ne_u32_e32 vcc_lo, 1, v88
	s_cbranch_vccnz .LBB63_196
; %bb.195:
	v_lshlrev_b64 v[58:59], 2, v[84:85]
	v_add_co_u32 v58, vcc_lo, v56, v58
	v_add_co_ci_u32_e64 v59, null, v57, v59, vcc_lo
	global_load_dword v58, v[58:59], off
	s_waitcnt vmcnt(0)
	v_mul_f32_e32 v58, s7, v58
	s_branch .LBB63_197
.LBB63_196:
	v_mov_b32_e32 v58, 0
.LBB63_197:
	v_add_f32_e32 v59, v11, v51
	v_add_f32_e32 v60, v10, v50
	;; [unrolled: 1-line block ×4, first 2 shown]
	v_min3_f32 v63, v60, v59, v129
	v_lshlrev_b64 v[59:60], 2, v[84:85]
	v_min_f32_e32 v61, v62, v61
	v_min3_f32 v61, v58, v61, v63
	v_add_co_u32 v58, vcc_lo, v54, v59
	v_add_co_ci_u32_e64 v59, null, v55, v60, vcc_lo
	global_store_dword v[58:59], v61, off
	s_or_b32 exec_lo, exec_lo, s8
	s_and_b32 s8, s3, s4
	s_and_saveexec_b32 s4, s8
	s_cbranch_execz .LBB63_202
.LBB63_198:
	v_cmp_ne_u32_e32 vcc_lo, 1, v88
	s_cbranch_vccnz .LBB63_200
; %bb.199:
	v_lshlrev_b64 v[58:59], 2, v[86:87]
	v_add_co_u32 v56, vcc_lo, v56, v58
	v_add_co_ci_u32_e64 v57, null, v57, v59, vcc_lo
	global_load_dword v56, v[56:57], off
	s_waitcnt vmcnt(0)
	v_mul_f32_e32 v56, s7, v56
	s_branch .LBB63_201
.LBB63_200:
	v_mov_b32_e32 v56, 0
.LBB63_201:
	v_add_f32_e32 v51, v3, v51
	v_add_f32_e32 v50, v2, v50
	;; [unrolled: 1-line block ×4, first 2 shown]
	v_min3_f32 v57, v50, v51, v128
	v_lshlrev_b64 v[50:51], 2, v[86:87]
	v_min_f32_e32 v52, v52, v53
	v_min3_f32 v52, v56, v52, v57
	v_add_co_u32 v50, vcc_lo, v54, v50
	v_add_co_ci_u32_e64 v51, null, v55, v51, vcc_lo
	global_store_dword v[50:51], v52, off
.LBB63_202:
	s_or_b32 exec_lo, exec_lo, s4
	v_add_nc_u32_e32 v54, 64, v89
	v_mad_i64_i32 v[50:51], null, v54, s6, 0
	v_mad_i64_i32 v[52:53], null, v54, s5, 0
	v_cmp_gt_i32_e64 s4, s9, v54
	v_lshlrev_b64 v[50:51], 2, v[50:51]
	s_and_b32 s14, s0, s4
	v_lshlrev_b64 v[54:55], 2, v[52:53]
	v_add_co_u32 v52, vcc_lo, s12, v50
	v_add_co_ci_u32_e64 v53, null, s13, v51, vcc_lo
	v_add_co_u32 v50, vcc_lo, s10, v54
	v_add_co_ci_u32_e64 v51, null, s11, v55, vcc_lo
	s_and_saveexec_b32 s8, s14
	s_cbranch_execnz .LBB63_206
; %bb.203:
	s_or_b32 exec_lo, exec_lo, s8
	s_and_b32 s14, s1, s4
	s_and_saveexec_b32 s8, s14
	s_cbranch_execnz .LBB63_210
.LBB63_204:
	s_or_b32 exec_lo, exec_lo, s8
	s_and_b32 s14, s2, s4
	s_and_saveexec_b32 s8, s14
	s_cbranch_execnz .LBB63_214
.LBB63_205:
	s_or_b32 exec_lo, exec_lo, s8
	s_and_b32 s8, s3, s4
	s_and_saveexec_b32 s4, s8
	s_cbranch_execnz .LBB63_218
	s_branch .LBB63_222
.LBB63_206:
	v_cmp_ne_u32_e32 vcc_lo, 1, v88
	s_cbranch_vccnz .LBB63_208
; %bb.207:
	v_lshlrev_b64 v[54:55], 2, v[0:1]
	v_add_co_u32 v54, vcc_lo, v52, v54
	v_add_co_ci_u32_e64 v55, null, v53, v55, vcc_lo
	global_load_dword v54, v[54:55], off
	s_waitcnt vmcnt(0)
	v_mul_f32_e32 v54, s7, v54
	s_branch .LBB63_209
.LBB63_208:
	v_mov_b32_e32 v54, 0
.LBB63_209:
	v_add_f32_e32 v55, v19, v47
	v_add_f32_e32 v56, v18, v46
	;; [unrolled: 1-line block ×4, first 2 shown]
	v_min3_f32 v59, v56, v55, v127
	v_lshlrev_b64 v[55:56], 2, v[0:1]
	v_min_f32_e32 v57, v58, v57
	v_min3_f32 v57, v54, v57, v59
	v_add_co_u32 v54, vcc_lo, v50, v55
	v_add_co_ci_u32_e64 v55, null, v51, v56, vcc_lo
	global_store_dword v[54:55], v57, off
	s_or_b32 exec_lo, exec_lo, s8
	s_and_b32 s14, s1, s4
	s_and_saveexec_b32 s8, s14
	s_cbranch_execz .LBB63_204
.LBB63_210:
	v_cmp_ne_u32_e32 vcc_lo, 1, v88
	s_cbranch_vccnz .LBB63_212
; %bb.211:
	v_lshlrev_b64 v[54:55], 2, v[82:83]
	v_add_co_u32 v54, vcc_lo, v52, v54
	v_add_co_ci_u32_e64 v55, null, v53, v55, vcc_lo
	global_load_dword v54, v[54:55], off
	s_waitcnt vmcnt(0)
	v_mul_f32_e32 v54, s7, v54
	s_branch .LBB63_213
.LBB63_212:
	v_mov_b32_e32 v54, 0
.LBB63_213:
	v_add_f32_e32 v55, v15, v47
	v_add_f32_e32 v56, v14, v46
	;; [unrolled: 1-line block ×4, first 2 shown]
	v_min3_f32 v59, v56, v55, v126
	v_lshlrev_b64 v[55:56], 2, v[82:83]
	v_min_f32_e32 v57, v58, v57
	v_min3_f32 v57, v54, v57, v59
	v_add_co_u32 v54, vcc_lo, v50, v55
	v_add_co_ci_u32_e64 v55, null, v51, v56, vcc_lo
	global_store_dword v[54:55], v57, off
	s_or_b32 exec_lo, exec_lo, s8
	s_and_b32 s14, s2, s4
	s_and_saveexec_b32 s8, s14
	s_cbranch_execz .LBB63_205
.LBB63_214:
	v_cmp_ne_u32_e32 vcc_lo, 1, v88
	s_cbranch_vccnz .LBB63_216
; %bb.215:
	v_lshlrev_b64 v[54:55], 2, v[84:85]
	v_add_co_u32 v54, vcc_lo, v52, v54
	v_add_co_ci_u32_e64 v55, null, v53, v55, vcc_lo
	global_load_dword v54, v[54:55], off
	s_waitcnt vmcnt(0)
	v_mul_f32_e32 v54, s7, v54
	s_branch .LBB63_217
.LBB63_216:
	v_mov_b32_e32 v54, 0
.LBB63_217:
	v_add_f32_e32 v55, v11, v47
	v_add_f32_e32 v56, v10, v46
	;; [unrolled: 1-line block ×4, first 2 shown]
	v_min3_f32 v59, v56, v55, v125
	v_lshlrev_b64 v[55:56], 2, v[84:85]
	v_min_f32_e32 v57, v58, v57
	v_min3_f32 v57, v54, v57, v59
	v_add_co_u32 v54, vcc_lo, v50, v55
	v_add_co_ci_u32_e64 v55, null, v51, v56, vcc_lo
	global_store_dword v[54:55], v57, off
	s_or_b32 exec_lo, exec_lo, s8
	s_and_b32 s8, s3, s4
	s_and_saveexec_b32 s4, s8
	s_cbranch_execz .LBB63_222
.LBB63_218:
	v_cmp_ne_u32_e32 vcc_lo, 1, v88
	s_cbranch_vccnz .LBB63_220
; %bb.219:
	v_lshlrev_b64 v[54:55], 2, v[86:87]
	v_add_co_u32 v52, vcc_lo, v52, v54
	v_add_co_ci_u32_e64 v53, null, v53, v55, vcc_lo
	global_load_dword v52, v[52:53], off
	s_waitcnt vmcnt(0)
	v_mul_f32_e32 v52, s7, v52
	s_branch .LBB63_221
.LBB63_220:
	v_mov_b32_e32 v52, 0
.LBB63_221:
	v_add_f32_e32 v47, v3, v47
	v_add_f32_e32 v46, v2, v46
	;; [unrolled: 1-line block ×4, first 2 shown]
	v_min3_f32 v53, v46, v47, v123
	v_lshlrev_b64 v[46:47], 2, v[86:87]
	v_min_f32_e32 v48, v48, v49
	v_min3_f32 v48, v52, v48, v53
	v_add_co_u32 v46, vcc_lo, v50, v46
	v_add_co_ci_u32_e64 v47, null, v51, v47, vcc_lo
	global_store_dword v[46:47], v48, off
.LBB63_222:
	s_or_b32 exec_lo, exec_lo, s4
	v_add_nc_u32_e32 v50, 0x48, v89
	v_mad_i64_i32 v[46:47], null, v50, s6, 0
	v_mad_i64_i32 v[48:49], null, v50, s5, 0
	v_cmp_gt_i32_e64 s4, s9, v50
	v_lshlrev_b64 v[46:47], 2, v[46:47]
	s_and_b32 s14, s0, s4
	v_lshlrev_b64 v[50:51], 2, v[48:49]
	v_add_co_u32 v48, vcc_lo, s12, v46
	v_add_co_ci_u32_e64 v49, null, s13, v47, vcc_lo
	v_add_co_u32 v46, vcc_lo, s10, v50
	v_add_co_ci_u32_e64 v47, null, s11, v51, vcc_lo
	s_and_saveexec_b32 s8, s14
	s_cbranch_execnz .LBB63_226
; %bb.223:
	s_or_b32 exec_lo, exec_lo, s8
	s_and_b32 s14, s1, s4
	s_and_saveexec_b32 s8, s14
	s_cbranch_execnz .LBB63_230
.LBB63_224:
	s_or_b32 exec_lo, exec_lo, s8
	s_and_b32 s14, s2, s4
	s_and_saveexec_b32 s8, s14
	s_cbranch_execnz .LBB63_234
.LBB63_225:
	s_or_b32 exec_lo, exec_lo, s8
	s_and_b32 s8, s3, s4
	s_and_saveexec_b32 s4, s8
	s_cbranch_execnz .LBB63_238
	s_branch .LBB63_242
.LBB63_226:
	v_cmp_ne_u32_e32 vcc_lo, 1, v88
	s_cbranch_vccnz .LBB63_228
; %bb.227:
	v_lshlrev_b64 v[50:51], 2, v[0:1]
	v_add_co_u32 v50, vcc_lo, v48, v50
	v_add_co_ci_u32_e64 v51, null, v49, v51, vcc_lo
	global_load_dword v50, v[50:51], off
	s_waitcnt vmcnt(0)
	v_mul_f32_e32 v50, s7, v50
	s_branch .LBB63_229
.LBB63_228:
	v_mov_b32_e32 v50, 0
.LBB63_229:
	v_add_f32_e32 v51, v19, v43
	v_add_f32_e32 v52, v18, v42
	;; [unrolled: 1-line block ×4, first 2 shown]
	v_min3_f32 v55, v52, v51, v122
	v_lshlrev_b64 v[51:52], 2, v[0:1]
	v_min_f32_e32 v53, v54, v53
	v_min3_f32 v53, v50, v53, v55
	v_add_co_u32 v50, vcc_lo, v46, v51
	v_add_co_ci_u32_e64 v51, null, v47, v52, vcc_lo
	global_store_dword v[50:51], v53, off
	s_or_b32 exec_lo, exec_lo, s8
	s_and_b32 s14, s1, s4
	s_and_saveexec_b32 s8, s14
	s_cbranch_execz .LBB63_224
.LBB63_230:
	v_cmp_ne_u32_e32 vcc_lo, 1, v88
	s_cbranch_vccnz .LBB63_232
; %bb.231:
	v_lshlrev_b64 v[50:51], 2, v[82:83]
	v_add_co_u32 v50, vcc_lo, v48, v50
	v_add_co_ci_u32_e64 v51, null, v49, v51, vcc_lo
	global_load_dword v50, v[50:51], off
	s_waitcnt vmcnt(0)
	v_mul_f32_e32 v50, s7, v50
	s_branch .LBB63_233
.LBB63_232:
	v_mov_b32_e32 v50, 0
.LBB63_233:
	v_add_f32_e32 v51, v15, v43
	v_add_f32_e32 v52, v14, v42
	;; [unrolled: 1-line block ×4, first 2 shown]
	v_min3_f32 v55, v52, v51, v121
	v_lshlrev_b64 v[51:52], 2, v[82:83]
	v_min_f32_e32 v53, v54, v53
	v_min3_f32 v53, v50, v53, v55
	v_add_co_u32 v50, vcc_lo, v46, v51
	v_add_co_ci_u32_e64 v51, null, v47, v52, vcc_lo
	global_store_dword v[50:51], v53, off
	s_or_b32 exec_lo, exec_lo, s8
	s_and_b32 s14, s2, s4
	s_and_saveexec_b32 s8, s14
	s_cbranch_execz .LBB63_225
.LBB63_234:
	v_cmp_ne_u32_e32 vcc_lo, 1, v88
	s_cbranch_vccnz .LBB63_236
; %bb.235:
	v_lshlrev_b64 v[50:51], 2, v[84:85]
	v_add_co_u32 v50, vcc_lo, v48, v50
	v_add_co_ci_u32_e64 v51, null, v49, v51, vcc_lo
	global_load_dword v50, v[50:51], off
	s_waitcnt vmcnt(0)
	v_mul_f32_e32 v50, s7, v50
	s_branch .LBB63_237
.LBB63_236:
	v_mov_b32_e32 v50, 0
.LBB63_237:
	v_add_f32_e32 v51, v11, v43
	v_add_f32_e32 v52, v10, v42
	;; [unrolled: 1-line block ×4, first 2 shown]
	v_min3_f32 v55, v52, v51, v120
	v_lshlrev_b64 v[51:52], 2, v[84:85]
	v_min_f32_e32 v53, v54, v53
	v_min3_f32 v53, v50, v53, v55
	v_add_co_u32 v50, vcc_lo, v46, v51
	v_add_co_ci_u32_e64 v51, null, v47, v52, vcc_lo
	global_store_dword v[50:51], v53, off
	s_or_b32 exec_lo, exec_lo, s8
	s_and_b32 s8, s3, s4
	s_and_saveexec_b32 s4, s8
	s_cbranch_execz .LBB63_242
.LBB63_238:
	v_cmp_ne_u32_e32 vcc_lo, 1, v88
	s_cbranch_vccnz .LBB63_240
; %bb.239:
	v_lshlrev_b64 v[50:51], 2, v[86:87]
	v_add_co_u32 v48, vcc_lo, v48, v50
	v_add_co_ci_u32_e64 v49, null, v49, v51, vcc_lo
	global_load_dword v48, v[48:49], off
	s_waitcnt vmcnt(0)
	v_mul_f32_e32 v48, s7, v48
	s_branch .LBB63_241
.LBB63_240:
	v_mov_b32_e32 v48, 0
.LBB63_241:
	v_add_f32_e32 v43, v3, v43
	v_add_f32_e32 v42, v2, v42
	;; [unrolled: 1-line block ×4, first 2 shown]
	v_min3_f32 v49, v42, v43, v119
	v_lshlrev_b64 v[42:43], 2, v[86:87]
	v_min_f32_e32 v44, v44, v45
	v_min3_f32 v44, v48, v44, v49
	v_add_co_u32 v42, vcc_lo, v46, v42
	v_add_co_ci_u32_e64 v43, null, v47, v43, vcc_lo
	global_store_dword v[42:43], v44, off
.LBB63_242:
	s_or_b32 exec_lo, exec_lo, s4
	v_add_nc_u32_e32 v46, 0x50, v89
	v_mad_i64_i32 v[42:43], null, v46, s6, 0
	v_mad_i64_i32 v[44:45], null, v46, s5, 0
	v_cmp_gt_i32_e64 s4, s9, v46
	v_lshlrev_b64 v[42:43], 2, v[42:43]
	s_and_b32 s14, s0, s4
	v_lshlrev_b64 v[46:47], 2, v[44:45]
	v_add_co_u32 v44, vcc_lo, s12, v42
	v_add_co_ci_u32_e64 v45, null, s13, v43, vcc_lo
	v_add_co_u32 v42, vcc_lo, s10, v46
	v_add_co_ci_u32_e64 v43, null, s11, v47, vcc_lo
	s_and_saveexec_b32 s8, s14
	s_cbranch_execnz .LBB63_246
; %bb.243:
	s_or_b32 exec_lo, exec_lo, s8
	s_and_b32 s14, s1, s4
	s_and_saveexec_b32 s8, s14
	s_cbranch_execnz .LBB63_250
.LBB63_244:
	s_or_b32 exec_lo, exec_lo, s8
	s_and_b32 s14, s2, s4
	s_and_saveexec_b32 s8, s14
	s_cbranch_execnz .LBB63_254
.LBB63_245:
	s_or_b32 exec_lo, exec_lo, s8
	s_and_b32 s8, s3, s4
	s_and_saveexec_b32 s4, s8
	s_cbranch_execnz .LBB63_258
	s_branch .LBB63_262
.LBB63_246:
	v_cmp_ne_u32_e32 vcc_lo, 1, v88
	s_cbranch_vccnz .LBB63_248
; %bb.247:
	v_lshlrev_b64 v[46:47], 2, v[0:1]
	v_add_co_u32 v46, vcc_lo, v44, v46
	v_add_co_ci_u32_e64 v47, null, v45, v47, vcc_lo
	global_load_dword v46, v[46:47], off
	s_waitcnt vmcnt(0)
	v_mul_f32_e32 v46, s7, v46
	s_branch .LBB63_249
.LBB63_248:
	v_mov_b32_e32 v46, 0
.LBB63_249:
	v_add_f32_e32 v47, v19, v39
	v_add_f32_e32 v48, v18, v38
	;; [unrolled: 1-line block ×4, first 2 shown]
	v_min3_f32 v51, v48, v47, v117
	v_lshlrev_b64 v[47:48], 2, v[0:1]
	v_min_f32_e32 v49, v50, v49
	v_min3_f32 v49, v46, v49, v51
	v_add_co_u32 v46, vcc_lo, v42, v47
	v_add_co_ci_u32_e64 v47, null, v43, v48, vcc_lo
	global_store_dword v[46:47], v49, off
	s_or_b32 exec_lo, exec_lo, s8
	s_and_b32 s14, s1, s4
	s_and_saveexec_b32 s8, s14
	s_cbranch_execz .LBB63_244
.LBB63_250:
	v_cmp_ne_u32_e32 vcc_lo, 1, v88
	s_cbranch_vccnz .LBB63_252
; %bb.251:
	v_lshlrev_b64 v[46:47], 2, v[82:83]
	v_add_co_u32 v46, vcc_lo, v44, v46
	v_add_co_ci_u32_e64 v47, null, v45, v47, vcc_lo
	global_load_dword v46, v[46:47], off
	s_waitcnt vmcnt(0)
	v_mul_f32_e32 v46, s7, v46
	s_branch .LBB63_253
.LBB63_252:
	v_mov_b32_e32 v46, 0
.LBB63_253:
	v_add_f32_e32 v47, v15, v39
	v_add_f32_e32 v48, v14, v38
	;; [unrolled: 1-line block ×4, first 2 shown]
	v_min3_f32 v51, v48, v47, v114
	v_lshlrev_b64 v[47:48], 2, v[82:83]
	v_min_f32_e32 v49, v50, v49
	v_min3_f32 v49, v46, v49, v51
	v_add_co_u32 v46, vcc_lo, v42, v47
	v_add_co_ci_u32_e64 v47, null, v43, v48, vcc_lo
	global_store_dword v[46:47], v49, off
	s_or_b32 exec_lo, exec_lo, s8
	s_and_b32 s14, s2, s4
	s_and_saveexec_b32 s8, s14
	s_cbranch_execz .LBB63_245
.LBB63_254:
	v_cmp_ne_u32_e32 vcc_lo, 1, v88
	s_cbranch_vccnz .LBB63_256
; %bb.255:
	v_lshlrev_b64 v[46:47], 2, v[84:85]
	v_add_co_u32 v46, vcc_lo, v44, v46
	v_add_co_ci_u32_e64 v47, null, v45, v47, vcc_lo
	global_load_dword v46, v[46:47], off
	s_waitcnt vmcnt(0)
	v_mul_f32_e32 v46, s7, v46
	s_branch .LBB63_257
.LBB63_256:
	v_mov_b32_e32 v46, 0
.LBB63_257:
	v_add_f32_e32 v47, v11, v39
	v_add_f32_e32 v48, v10, v38
	;; [unrolled: 1-line block ×4, first 2 shown]
	v_min3_f32 v51, v48, v47, v113
	v_lshlrev_b64 v[47:48], 2, v[84:85]
	v_min_f32_e32 v49, v50, v49
	v_min3_f32 v49, v46, v49, v51
	v_add_co_u32 v46, vcc_lo, v42, v47
	v_add_co_ci_u32_e64 v47, null, v43, v48, vcc_lo
	global_store_dword v[46:47], v49, off
	s_or_b32 exec_lo, exec_lo, s8
	s_and_b32 s8, s3, s4
	s_and_saveexec_b32 s4, s8
	s_cbranch_execz .LBB63_262
.LBB63_258:
	v_cmp_ne_u32_e32 vcc_lo, 1, v88
	s_cbranch_vccnz .LBB63_260
; %bb.259:
	v_lshlrev_b64 v[46:47], 2, v[86:87]
	v_add_co_u32 v44, vcc_lo, v44, v46
	v_add_co_ci_u32_e64 v45, null, v45, v47, vcc_lo
	global_load_dword v44, v[44:45], off
	s_waitcnt vmcnt(0)
	v_mul_f32_e32 v44, s7, v44
	s_branch .LBB63_261
.LBB63_260:
	v_mov_b32_e32 v44, 0
.LBB63_261:
	v_add_f32_e32 v39, v3, v39
	v_add_f32_e32 v38, v2, v38
	;; [unrolled: 1-line block ×4, first 2 shown]
	v_min3_f32 v45, v38, v39, v112
	v_lshlrev_b64 v[38:39], 2, v[86:87]
	v_min_f32_e32 v40, v40, v41
	v_min3_f32 v40, v44, v40, v45
	v_add_co_u32 v38, vcc_lo, v42, v38
	v_add_co_ci_u32_e64 v39, null, v43, v39, vcc_lo
	global_store_dword v[38:39], v40, off
.LBB63_262:
	s_or_b32 exec_lo, exec_lo, s4
	v_add_nc_u32_e32 v42, 0x58, v89
	v_mad_i64_i32 v[38:39], null, v42, s6, 0
	v_mad_i64_i32 v[40:41], null, v42, s5, 0
	v_cmp_gt_i32_e64 s4, s9, v42
	v_lshlrev_b64 v[38:39], 2, v[38:39]
	s_and_b32 s14, s0, s4
	v_lshlrev_b64 v[42:43], 2, v[40:41]
	v_add_co_u32 v40, vcc_lo, s12, v38
	v_add_co_ci_u32_e64 v41, null, s13, v39, vcc_lo
	v_add_co_u32 v38, vcc_lo, s10, v42
	v_add_co_ci_u32_e64 v39, null, s11, v43, vcc_lo
	s_and_saveexec_b32 s8, s14
	s_cbranch_execnz .LBB63_266
; %bb.263:
	s_or_b32 exec_lo, exec_lo, s8
	s_and_b32 s14, s1, s4
	s_and_saveexec_b32 s8, s14
	s_cbranch_execnz .LBB63_270
.LBB63_264:
	s_or_b32 exec_lo, exec_lo, s8
	s_and_b32 s14, s2, s4
	s_and_saveexec_b32 s8, s14
	s_cbranch_execnz .LBB63_274
.LBB63_265:
	s_or_b32 exec_lo, exec_lo, s8
	s_and_b32 s8, s3, s4
	s_and_saveexec_b32 s4, s8
	s_cbranch_execnz .LBB63_278
	s_branch .LBB63_282
.LBB63_266:
	v_cmp_ne_u32_e32 vcc_lo, 1, v88
	s_cbranch_vccnz .LBB63_268
; %bb.267:
	v_lshlrev_b64 v[42:43], 2, v[0:1]
	v_add_co_u32 v42, vcc_lo, v40, v42
	v_add_co_ci_u32_e64 v43, null, v41, v43, vcc_lo
	global_load_dword v42, v[42:43], off
	s_waitcnt vmcnt(0)
	v_mul_f32_e32 v42, s7, v42
	s_branch .LBB63_269
.LBB63_268:
	v_mov_b32_e32 v42, 0
.LBB63_269:
	v_add_f32_e32 v43, v19, v35
	v_add_f32_e32 v44, v18, v34
	;; [unrolled: 1-line block ×4, first 2 shown]
	v_min3_f32 v47, v44, v43, v111
	v_lshlrev_b64 v[43:44], 2, v[0:1]
	v_min_f32_e32 v45, v46, v45
	v_min3_f32 v45, v42, v45, v47
	v_add_co_u32 v42, vcc_lo, v38, v43
	v_add_co_ci_u32_e64 v43, null, v39, v44, vcc_lo
	global_store_dword v[42:43], v45, off
	s_or_b32 exec_lo, exec_lo, s8
	s_and_b32 s14, s1, s4
	s_and_saveexec_b32 s8, s14
	s_cbranch_execz .LBB63_264
.LBB63_270:
	v_cmp_ne_u32_e32 vcc_lo, 1, v88
	s_cbranch_vccnz .LBB63_272
; %bb.271:
	v_lshlrev_b64 v[42:43], 2, v[82:83]
	v_add_co_u32 v42, vcc_lo, v40, v42
	v_add_co_ci_u32_e64 v43, null, v41, v43, vcc_lo
	global_load_dword v42, v[42:43], off
	s_waitcnt vmcnt(0)
	v_mul_f32_e32 v42, s7, v42
	s_branch .LBB63_273
.LBB63_272:
	v_mov_b32_e32 v42, 0
.LBB63_273:
	v_add_f32_e32 v43, v15, v35
	v_add_f32_e32 v44, v14, v34
	;; [unrolled: 1-line block ×4, first 2 shown]
	v_min3_f32 v47, v44, v43, v110
	v_lshlrev_b64 v[43:44], 2, v[82:83]
	v_min_f32_e32 v45, v46, v45
	v_min3_f32 v45, v42, v45, v47
	v_add_co_u32 v42, vcc_lo, v38, v43
	v_add_co_ci_u32_e64 v43, null, v39, v44, vcc_lo
	global_store_dword v[42:43], v45, off
	s_or_b32 exec_lo, exec_lo, s8
	s_and_b32 s14, s2, s4
	s_and_saveexec_b32 s8, s14
	s_cbranch_execz .LBB63_265
.LBB63_274:
	v_cmp_ne_u32_e32 vcc_lo, 1, v88
	s_cbranch_vccnz .LBB63_276
; %bb.275:
	v_lshlrev_b64 v[42:43], 2, v[84:85]
	v_add_co_u32 v42, vcc_lo, v40, v42
	v_add_co_ci_u32_e64 v43, null, v41, v43, vcc_lo
	global_load_dword v42, v[42:43], off
	s_waitcnt vmcnt(0)
	v_mul_f32_e32 v42, s7, v42
	s_branch .LBB63_277
.LBB63_276:
	v_mov_b32_e32 v42, 0
.LBB63_277:
	v_add_f32_e32 v43, v11, v35
	v_add_f32_e32 v44, v10, v34
	;; [unrolled: 1-line block ×4, first 2 shown]
	v_min3_f32 v47, v44, v43, v109
	v_lshlrev_b64 v[43:44], 2, v[84:85]
	v_min_f32_e32 v45, v46, v45
	v_min3_f32 v45, v42, v45, v47
	v_add_co_u32 v42, vcc_lo, v38, v43
	v_add_co_ci_u32_e64 v43, null, v39, v44, vcc_lo
	global_store_dword v[42:43], v45, off
	s_or_b32 exec_lo, exec_lo, s8
	s_and_b32 s8, s3, s4
	s_and_saveexec_b32 s4, s8
	s_cbranch_execz .LBB63_282
.LBB63_278:
	v_cmp_ne_u32_e32 vcc_lo, 1, v88
	s_cbranch_vccnz .LBB63_280
; %bb.279:
	v_lshlrev_b64 v[42:43], 2, v[86:87]
	v_add_co_u32 v40, vcc_lo, v40, v42
	v_add_co_ci_u32_e64 v41, null, v41, v43, vcc_lo
	global_load_dword v40, v[40:41], off
	s_waitcnt vmcnt(0)
	v_mul_f32_e32 v40, s7, v40
	s_branch .LBB63_281
.LBB63_280:
	v_mov_b32_e32 v40, 0
.LBB63_281:
	v_add_f32_e32 v35, v3, v35
	v_add_f32_e32 v34, v2, v34
	;; [unrolled: 1-line block ×4, first 2 shown]
	v_min3_f32 v41, v34, v35, v108
	v_lshlrev_b64 v[34:35], 2, v[86:87]
	v_min_f32_e32 v36, v36, v37
	v_min3_f32 v36, v40, v36, v41
	v_add_co_u32 v34, vcc_lo, v38, v34
	v_add_co_ci_u32_e64 v35, null, v39, v35, vcc_lo
	global_store_dword v[34:35], v36, off
.LBB63_282:
	s_or_b32 exec_lo, exec_lo, s4
	v_add_nc_u32_e32 v38, 0x60, v89
	v_mad_i64_i32 v[34:35], null, v38, s6, 0
	v_mad_i64_i32 v[36:37], null, v38, s5, 0
	v_cmp_gt_i32_e64 s4, s9, v38
	v_lshlrev_b64 v[34:35], 2, v[34:35]
	s_and_b32 s14, s0, s4
	v_lshlrev_b64 v[38:39], 2, v[36:37]
	v_add_co_u32 v36, vcc_lo, s12, v34
	v_add_co_ci_u32_e64 v37, null, s13, v35, vcc_lo
	v_add_co_u32 v34, vcc_lo, s10, v38
	v_add_co_ci_u32_e64 v35, null, s11, v39, vcc_lo
	s_and_saveexec_b32 s8, s14
	s_cbranch_execnz .LBB63_286
; %bb.283:
	s_or_b32 exec_lo, exec_lo, s8
	s_and_b32 s14, s1, s4
	s_and_saveexec_b32 s8, s14
	s_cbranch_execnz .LBB63_290
.LBB63_284:
	s_or_b32 exec_lo, exec_lo, s8
	s_and_b32 s14, s2, s4
	s_and_saveexec_b32 s8, s14
	s_cbranch_execnz .LBB63_294
.LBB63_285:
	s_or_b32 exec_lo, exec_lo, s8
	s_and_b32 s8, s3, s4
	s_and_saveexec_b32 s4, s8
	s_cbranch_execnz .LBB63_298
	s_branch .LBB63_302
.LBB63_286:
	v_cmp_ne_u32_e32 vcc_lo, 1, v88
	s_cbranch_vccnz .LBB63_288
; %bb.287:
	v_lshlrev_b64 v[38:39], 2, v[0:1]
	v_add_co_u32 v38, vcc_lo, v36, v38
	v_add_co_ci_u32_e64 v39, null, v37, v39, vcc_lo
	global_load_dword v38, v[38:39], off
	s_waitcnt vmcnt(0)
	v_mul_f32_e32 v38, s7, v38
	s_branch .LBB63_289
.LBB63_288:
	v_mov_b32_e32 v38, 0
.LBB63_289:
	v_add_f32_e32 v39, v19, v31
	v_add_f32_e32 v40, v18, v30
	;; [unrolled: 1-line block ×4, first 2 shown]
	v_min3_f32 v43, v40, v39, v107
	v_lshlrev_b64 v[39:40], 2, v[0:1]
	v_min_f32_e32 v41, v42, v41
	v_min3_f32 v41, v38, v41, v43
	v_add_co_u32 v38, vcc_lo, v34, v39
	v_add_co_ci_u32_e64 v39, null, v35, v40, vcc_lo
	global_store_dword v[38:39], v41, off
	s_or_b32 exec_lo, exec_lo, s8
	s_and_b32 s14, s1, s4
	s_and_saveexec_b32 s8, s14
	s_cbranch_execz .LBB63_284
.LBB63_290:
	v_cmp_ne_u32_e32 vcc_lo, 1, v88
	s_cbranch_vccnz .LBB63_292
; %bb.291:
	v_lshlrev_b64 v[38:39], 2, v[82:83]
	v_add_co_u32 v38, vcc_lo, v36, v38
	v_add_co_ci_u32_e64 v39, null, v37, v39, vcc_lo
	global_load_dword v38, v[38:39], off
	s_waitcnt vmcnt(0)
	v_mul_f32_e32 v38, s7, v38
	s_branch .LBB63_293
.LBB63_292:
	v_mov_b32_e32 v38, 0
.LBB63_293:
	v_add_f32_e32 v39, v15, v31
	v_add_f32_e32 v40, v14, v30
	;; [unrolled: 1-line block ×4, first 2 shown]
	v_min3_f32 v43, v40, v39, v106
	v_lshlrev_b64 v[39:40], 2, v[82:83]
	v_min_f32_e32 v41, v42, v41
	v_min3_f32 v41, v38, v41, v43
	v_add_co_u32 v38, vcc_lo, v34, v39
	v_add_co_ci_u32_e64 v39, null, v35, v40, vcc_lo
	global_store_dword v[38:39], v41, off
	s_or_b32 exec_lo, exec_lo, s8
	s_and_b32 s14, s2, s4
	s_and_saveexec_b32 s8, s14
	s_cbranch_execz .LBB63_285
.LBB63_294:
	v_cmp_ne_u32_e32 vcc_lo, 1, v88
	s_cbranch_vccnz .LBB63_296
; %bb.295:
	v_lshlrev_b64 v[38:39], 2, v[84:85]
	v_add_co_u32 v38, vcc_lo, v36, v38
	v_add_co_ci_u32_e64 v39, null, v37, v39, vcc_lo
	global_load_dword v38, v[38:39], off
	s_waitcnt vmcnt(0)
	v_mul_f32_e32 v38, s7, v38
	s_branch .LBB63_297
.LBB63_296:
	v_mov_b32_e32 v38, 0
.LBB63_297:
	v_add_f32_e32 v39, v11, v31
	v_add_f32_e32 v40, v10, v30
	;; [unrolled: 1-line block ×4, first 2 shown]
	v_min3_f32 v43, v40, v39, v105
	v_lshlrev_b64 v[39:40], 2, v[84:85]
	v_min_f32_e32 v41, v42, v41
	v_min3_f32 v41, v38, v41, v43
	v_add_co_u32 v38, vcc_lo, v34, v39
	v_add_co_ci_u32_e64 v39, null, v35, v40, vcc_lo
	global_store_dword v[38:39], v41, off
	s_or_b32 exec_lo, exec_lo, s8
	s_and_b32 s8, s3, s4
	s_and_saveexec_b32 s4, s8
	s_cbranch_execz .LBB63_302
.LBB63_298:
	v_cmp_ne_u32_e32 vcc_lo, 1, v88
	s_cbranch_vccnz .LBB63_300
; %bb.299:
	v_lshlrev_b64 v[38:39], 2, v[86:87]
	v_add_co_u32 v36, vcc_lo, v36, v38
	v_add_co_ci_u32_e64 v37, null, v37, v39, vcc_lo
	global_load_dword v36, v[36:37], off
	s_waitcnt vmcnt(0)
	v_mul_f32_e32 v36, s7, v36
	s_branch .LBB63_301
.LBB63_300:
	v_mov_b32_e32 v36, 0
.LBB63_301:
	v_add_f32_e32 v31, v3, v31
	v_add_f32_e32 v30, v2, v30
	;; [unrolled: 1-line block ×4, first 2 shown]
	v_min3_f32 v37, v30, v31, v104
	v_lshlrev_b64 v[30:31], 2, v[86:87]
	v_min_f32_e32 v32, v32, v33
	v_min3_f32 v32, v36, v32, v37
	v_add_co_u32 v30, vcc_lo, v34, v30
	v_add_co_ci_u32_e64 v31, null, v35, v31, vcc_lo
	global_store_dword v[30:31], v32, off
.LBB63_302:
	s_or_b32 exec_lo, exec_lo, s4
	v_add_nc_u32_e32 v34, 0x68, v89
	v_mad_i64_i32 v[30:31], null, v34, s6, 0
	v_mad_i64_i32 v[32:33], null, v34, s5, 0
	v_cmp_gt_i32_e64 s4, s9, v34
	v_lshlrev_b64 v[30:31], 2, v[30:31]
	s_and_b32 s14, s0, s4
	v_lshlrev_b64 v[34:35], 2, v[32:33]
	v_add_co_u32 v32, vcc_lo, s12, v30
	v_add_co_ci_u32_e64 v33, null, s13, v31, vcc_lo
	v_add_co_u32 v30, vcc_lo, s10, v34
	v_add_co_ci_u32_e64 v31, null, s11, v35, vcc_lo
	s_and_saveexec_b32 s8, s14
	s_cbranch_execnz .LBB63_306
; %bb.303:
	s_or_b32 exec_lo, exec_lo, s8
	s_and_b32 s14, s1, s4
	s_and_saveexec_b32 s8, s14
	s_cbranch_execnz .LBB63_310
.LBB63_304:
	s_or_b32 exec_lo, exec_lo, s8
	s_and_b32 s14, s2, s4
	s_and_saveexec_b32 s8, s14
	s_cbranch_execnz .LBB63_314
.LBB63_305:
	s_or_b32 exec_lo, exec_lo, s8
	s_and_b32 s8, s3, s4
	s_and_saveexec_b32 s4, s8
	s_cbranch_execnz .LBB63_318
	s_branch .LBB63_322
.LBB63_306:
	v_cmp_ne_u32_e32 vcc_lo, 1, v88
	s_cbranch_vccnz .LBB63_308
; %bb.307:
	v_lshlrev_b64 v[34:35], 2, v[0:1]
	v_add_co_u32 v34, vcc_lo, v32, v34
	v_add_co_ci_u32_e64 v35, null, v33, v35, vcc_lo
	global_load_dword v34, v[34:35], off
	s_waitcnt vmcnt(0)
	v_mul_f32_e32 v34, s7, v34
	s_branch .LBB63_309
.LBB63_308:
	v_mov_b32_e32 v34, 0
.LBB63_309:
	v_add_f32_e32 v35, v19, v27
	v_add_f32_e32 v36, v18, v26
	;; [unrolled: 1-line block ×4, first 2 shown]
	v_min3_f32 v39, v36, v35, v103
	v_lshlrev_b64 v[35:36], 2, v[0:1]
	v_min_f32_e32 v37, v38, v37
	v_min3_f32 v37, v34, v37, v39
	v_add_co_u32 v34, vcc_lo, v30, v35
	v_add_co_ci_u32_e64 v35, null, v31, v36, vcc_lo
	global_store_dword v[34:35], v37, off
	s_or_b32 exec_lo, exec_lo, s8
	s_and_b32 s14, s1, s4
	s_and_saveexec_b32 s8, s14
	s_cbranch_execz .LBB63_304
.LBB63_310:
	v_cmp_ne_u32_e32 vcc_lo, 1, v88
	s_cbranch_vccnz .LBB63_312
; %bb.311:
	v_lshlrev_b64 v[34:35], 2, v[82:83]
	v_add_co_u32 v34, vcc_lo, v32, v34
	v_add_co_ci_u32_e64 v35, null, v33, v35, vcc_lo
	global_load_dword v34, v[34:35], off
	s_waitcnt vmcnt(0)
	v_mul_f32_e32 v34, s7, v34
	s_branch .LBB63_313
.LBB63_312:
	v_mov_b32_e32 v34, 0
.LBB63_313:
	v_add_f32_e32 v35, v15, v27
	v_add_f32_e32 v36, v14, v26
	;; [unrolled: 1-line block ×4, first 2 shown]
	v_min3_f32 v39, v36, v35, v101
	v_lshlrev_b64 v[35:36], 2, v[82:83]
	v_min_f32_e32 v37, v38, v37
	v_min3_f32 v37, v34, v37, v39
	v_add_co_u32 v34, vcc_lo, v30, v35
	v_add_co_ci_u32_e64 v35, null, v31, v36, vcc_lo
	global_store_dword v[34:35], v37, off
	s_or_b32 exec_lo, exec_lo, s8
	s_and_b32 s14, s2, s4
	s_and_saveexec_b32 s8, s14
	s_cbranch_execz .LBB63_305
.LBB63_314:
	v_cmp_ne_u32_e32 vcc_lo, 1, v88
	s_cbranch_vccnz .LBB63_316
; %bb.315:
	v_lshlrev_b64 v[34:35], 2, v[84:85]
	v_add_co_u32 v34, vcc_lo, v32, v34
	v_add_co_ci_u32_e64 v35, null, v33, v35, vcc_lo
	global_load_dword v34, v[34:35], off
	s_waitcnt vmcnt(0)
	v_mul_f32_e32 v34, s7, v34
	s_branch .LBB63_317
.LBB63_316:
	v_mov_b32_e32 v34, 0
.LBB63_317:
	v_add_f32_e32 v35, v11, v27
	v_add_f32_e32 v36, v10, v26
	;; [unrolled: 1-line block ×4, first 2 shown]
	v_min3_f32 v39, v36, v35, v100
	v_lshlrev_b64 v[35:36], 2, v[84:85]
	v_min_f32_e32 v37, v38, v37
	v_min3_f32 v37, v34, v37, v39
	v_add_co_u32 v34, vcc_lo, v30, v35
	v_add_co_ci_u32_e64 v35, null, v31, v36, vcc_lo
	global_store_dword v[34:35], v37, off
	s_or_b32 exec_lo, exec_lo, s8
	s_and_b32 s8, s3, s4
	s_and_saveexec_b32 s4, s8
	s_cbranch_execz .LBB63_322
.LBB63_318:
	v_cmp_ne_u32_e32 vcc_lo, 1, v88
	s_cbranch_vccnz .LBB63_320
; %bb.319:
	v_lshlrev_b64 v[34:35], 2, v[86:87]
	v_add_co_u32 v32, vcc_lo, v32, v34
	v_add_co_ci_u32_e64 v33, null, v33, v35, vcc_lo
	global_load_dword v32, v[32:33], off
	s_waitcnt vmcnt(0)
	v_mul_f32_e32 v32, s7, v32
	s_branch .LBB63_321
.LBB63_320:
	v_mov_b32_e32 v32, 0
.LBB63_321:
	v_add_f32_e32 v27, v3, v27
	v_add_f32_e32 v26, v2, v26
	;; [unrolled: 1-line block ×4, first 2 shown]
	v_min3_f32 v33, v26, v27, v99
	v_lshlrev_b64 v[26:27], 2, v[86:87]
	v_min_f32_e32 v28, v28, v29
	v_min3_f32 v28, v32, v28, v33
	v_add_co_u32 v26, vcc_lo, v30, v26
	v_add_co_ci_u32_e64 v27, null, v31, v27, vcc_lo
	global_store_dword v[26:27], v28, off
.LBB63_322:
	s_or_b32 exec_lo, exec_lo, s4
	v_add_nc_u32_e32 v30, 0x70, v89
	v_mad_i64_i32 v[26:27], null, v30, s6, 0
	v_mad_i64_i32 v[28:29], null, v30, s5, 0
	v_cmp_gt_i32_e64 s4, s9, v30
	v_lshlrev_b64 v[26:27], 2, v[26:27]
	s_and_b32 s14, s0, s4
	v_lshlrev_b64 v[30:31], 2, v[28:29]
	v_add_co_u32 v28, vcc_lo, s12, v26
	v_add_co_ci_u32_e64 v29, null, s13, v27, vcc_lo
	v_add_co_u32 v26, vcc_lo, s10, v30
	v_add_co_ci_u32_e64 v27, null, s11, v31, vcc_lo
	s_and_saveexec_b32 s8, s14
	s_cbranch_execnz .LBB63_326
; %bb.323:
	s_or_b32 exec_lo, exec_lo, s8
	s_and_b32 s14, s1, s4
	s_and_saveexec_b32 s8, s14
	s_cbranch_execnz .LBB63_330
.LBB63_324:
	s_or_b32 exec_lo, exec_lo, s8
	s_and_b32 s14, s2, s4
	s_and_saveexec_b32 s8, s14
	s_cbranch_execnz .LBB63_334
.LBB63_325:
	s_or_b32 exec_lo, exec_lo, s8
	s_and_b32 s8, s3, s4
	s_and_saveexec_b32 s4, s8
	s_cbranch_execnz .LBB63_338
	s_branch .LBB63_342
.LBB63_326:
	v_cmp_ne_u32_e32 vcc_lo, 1, v88
	s_cbranch_vccnz .LBB63_328
; %bb.327:
	v_lshlrev_b64 v[30:31], 2, v[0:1]
	v_add_co_u32 v30, vcc_lo, v28, v30
	v_add_co_ci_u32_e64 v31, null, v29, v31, vcc_lo
	global_load_dword v30, v[30:31], off
	s_waitcnt vmcnt(0)
	v_mul_f32_e32 v30, s7, v30
	s_branch .LBB63_329
.LBB63_328:
	v_mov_b32_e32 v30, 0
.LBB63_329:
	v_add_f32_e32 v31, v19, v23
	v_add_f32_e32 v32, v18, v22
	;; [unrolled: 1-line block ×4, first 2 shown]
	v_min3_f32 v35, v32, v31, v98
	v_lshlrev_b64 v[31:32], 2, v[0:1]
	v_min_f32_e32 v33, v34, v33
	v_min3_f32 v33, v30, v33, v35
	v_add_co_u32 v30, vcc_lo, v26, v31
	v_add_co_ci_u32_e64 v31, null, v27, v32, vcc_lo
	global_store_dword v[30:31], v33, off
	s_or_b32 exec_lo, exec_lo, s8
	s_and_b32 s14, s1, s4
	s_and_saveexec_b32 s8, s14
	s_cbranch_execz .LBB63_324
.LBB63_330:
	v_cmp_ne_u32_e32 vcc_lo, 1, v88
	s_cbranch_vccnz .LBB63_332
; %bb.331:
	v_lshlrev_b64 v[30:31], 2, v[82:83]
	v_add_co_u32 v30, vcc_lo, v28, v30
	v_add_co_ci_u32_e64 v31, null, v29, v31, vcc_lo
	global_load_dword v30, v[30:31], off
	s_waitcnt vmcnt(0)
	v_mul_f32_e32 v30, s7, v30
	s_branch .LBB63_333
.LBB63_332:
	v_mov_b32_e32 v30, 0
.LBB63_333:
	v_add_f32_e32 v31, v15, v23
	v_add_f32_e32 v32, v14, v22
	;; [unrolled: 1-line block ×4, first 2 shown]
	v_min3_f32 v35, v32, v31, v97
	v_lshlrev_b64 v[31:32], 2, v[82:83]
	v_min_f32_e32 v33, v34, v33
	v_min3_f32 v33, v30, v33, v35
	v_add_co_u32 v30, vcc_lo, v26, v31
	v_add_co_ci_u32_e64 v31, null, v27, v32, vcc_lo
	global_store_dword v[30:31], v33, off
	s_or_b32 exec_lo, exec_lo, s8
	s_and_b32 s14, s2, s4
	s_and_saveexec_b32 s8, s14
	s_cbranch_execz .LBB63_325
.LBB63_334:
	v_cmp_ne_u32_e32 vcc_lo, 1, v88
	s_cbranch_vccnz .LBB63_336
; %bb.335:
	v_lshlrev_b64 v[30:31], 2, v[84:85]
	v_add_co_u32 v30, vcc_lo, v28, v30
	v_add_co_ci_u32_e64 v31, null, v29, v31, vcc_lo
	global_load_dword v30, v[30:31], off
	s_waitcnt vmcnt(0)
	v_mul_f32_e32 v30, s7, v30
	s_branch .LBB63_337
.LBB63_336:
	v_mov_b32_e32 v30, 0
.LBB63_337:
	v_add_f32_e32 v31, v11, v23
	v_add_f32_e32 v32, v10, v22
	;; [unrolled: 1-line block ×4, first 2 shown]
	v_min3_f32 v35, v32, v31, v96
	v_lshlrev_b64 v[31:32], 2, v[84:85]
	v_min_f32_e32 v33, v34, v33
	v_min3_f32 v33, v30, v33, v35
	v_add_co_u32 v30, vcc_lo, v26, v31
	v_add_co_ci_u32_e64 v31, null, v27, v32, vcc_lo
	global_store_dword v[30:31], v33, off
	s_or_b32 exec_lo, exec_lo, s8
	s_and_b32 s8, s3, s4
	s_and_saveexec_b32 s4, s8
	s_cbranch_execz .LBB63_342
.LBB63_338:
	v_cmp_ne_u32_e32 vcc_lo, 1, v88
	s_cbranch_vccnz .LBB63_340
; %bb.339:
	v_lshlrev_b64 v[30:31], 2, v[86:87]
	v_add_co_u32 v28, vcc_lo, v28, v30
	v_add_co_ci_u32_e64 v29, null, v29, v31, vcc_lo
	global_load_dword v28, v[28:29], off
	s_waitcnt vmcnt(0)
	v_mul_f32_e32 v28, s7, v28
	s_branch .LBB63_341
.LBB63_340:
	v_mov_b32_e32 v28, 0
.LBB63_341:
	v_add_f32_e32 v23, v3, v23
	v_add_f32_e32 v22, v2, v22
	v_add_f32_e32 v25, v5, v25
	v_add_f32_e32 v24, v4, v24
	v_min3_f32 v29, v22, v23, v95
	v_lshlrev_b64 v[22:23], 2, v[86:87]
	v_min_f32_e32 v24, v24, v25
	v_min3_f32 v24, v28, v24, v29
	v_add_co_u32 v22, vcc_lo, v26, v22
	v_add_co_ci_u32_e64 v23, null, v27, v23, vcc_lo
	global_store_dword v[22:23], v24, off
.LBB63_342:
	s_or_b32 exec_lo, exec_lo, s4
	v_add_nc_u32_e32 v26, 0x78, v89
	v_mad_i64_i32 v[22:23], null, v26, s6, 0
	v_mad_i64_i32 v[24:25], null, v26, s5, 0
	v_cmp_gt_i32_e64 s4, s9, v26
	v_lshlrev_b64 v[22:23], 2, v[22:23]
	s_and_b32 s5, s0, s4
	v_lshlrev_b64 v[26:27], 2, v[24:25]
	v_add_co_u32 v24, vcc_lo, s12, v22
	v_add_co_ci_u32_e64 v25, null, s13, v23, vcc_lo
	v_add_co_u32 v22, vcc_lo, s10, v26
	v_add_co_ci_u32_e64 v23, null, s11, v27, vcc_lo
	s_and_saveexec_b32 s0, s5
	s_cbranch_execnz .LBB63_347
; %bb.343:
	s_or_b32 exec_lo, exec_lo, s0
	s_and_b32 s1, s1, s4
	s_and_saveexec_b32 s0, s1
	s_cbranch_execnz .LBB63_351
.LBB63_344:
	s_or_b32 exec_lo, exec_lo, s0
	s_and_b32 s1, s2, s4
	s_and_saveexec_b32 s0, s1
	s_cbranch_execnz .LBB63_355
.LBB63_345:
	s_or_b32 exec_lo, exec_lo, s0
	s_and_b32 s0, s3, s4
	s_and_saveexec_b32 s1, s0
	s_cbranch_execnz .LBB63_359
.LBB63_346:
	s_endpgm
.LBB63_347:
	v_cmp_ne_u32_e32 vcc_lo, 1, v88
	v_lshlrev_b64 v[0:1], 2, v[0:1]
	s_cbranch_vccnz .LBB63_349
; %bb.348:
	v_add_co_u32 v26, vcc_lo, v24, v0
	v_add_co_ci_u32_e64 v27, null, v25, v1, vcc_lo
	global_load_dword v26, v[26:27], off
	s_waitcnt vmcnt(0)
	v_mul_f32_e32 v26, s7, v26
	s_branch .LBB63_350
.LBB63_349:
	v_mov_b32_e32 v26, 0
.LBB63_350:
	v_add_f32_e32 v19, v19, v7
	v_add_f32_e32 v18, v18, v6
	;; [unrolled: 1-line block ×4, first 2 shown]
	v_add_co_u32 v0, vcc_lo, v22, v0
	v_min3_f32 v18, v18, v19, v94
	v_add_co_ci_u32_e64 v1, null, v23, v1, vcc_lo
	v_min_f32_e32 v19, v20, v21
	v_min3_f32 v18, v26, v19, v18
	global_store_dword v[0:1], v18, off
	s_or_b32 exec_lo, exec_lo, s0
	s_and_b32 s1, s1, s4
	s_and_saveexec_b32 s0, s1
	s_cbranch_execz .LBB63_344
.LBB63_351:
	v_cmp_ne_u32_e32 vcc_lo, 1, v88
	v_lshlrev_b64 v[0:1], 2, v[82:83]
	s_cbranch_vccnz .LBB63_353
; %bb.352:
	v_add_co_u32 v18, vcc_lo, v24, v0
	v_add_co_ci_u32_e64 v19, null, v25, v1, vcc_lo
	global_load_dword v18, v[18:19], off
	s_waitcnt vmcnt(0)
	v_mul_f32_e32 v18, s7, v18
	s_branch .LBB63_354
.LBB63_353:
	v_mov_b32_e32 v18, 0
.LBB63_354:
	v_add_f32_e32 v15, v15, v7
	v_add_f32_e32 v14, v14, v6
	;; [unrolled: 1-line block ×4, first 2 shown]
	v_add_co_u32 v0, vcc_lo, v22, v0
	v_min3_f32 v14, v14, v15, v93
	v_add_co_ci_u32_e64 v1, null, v23, v1, vcc_lo
	v_min_f32_e32 v15, v16, v17
	v_min3_f32 v14, v18, v15, v14
	global_store_dword v[0:1], v14, off
	s_or_b32 exec_lo, exec_lo, s0
	s_and_b32 s1, s2, s4
	s_and_saveexec_b32 s0, s1
	s_cbranch_execz .LBB63_345
.LBB63_355:
	v_cmp_ne_u32_e32 vcc_lo, 1, v88
	v_lshlrev_b64 v[0:1], 2, v[84:85]
	s_cbranch_vccnz .LBB63_357
; %bb.356:
	v_add_co_u32 v14, vcc_lo, v24, v0
	v_add_co_ci_u32_e64 v15, null, v25, v1, vcc_lo
	global_load_dword v14, v[14:15], off
	s_waitcnt vmcnt(0)
	v_mul_f32_e32 v14, s7, v14
	s_branch .LBB63_358
.LBB63_357:
	v_mov_b32_e32 v14, 0
.LBB63_358:
	v_add_f32_e32 v11, v11, v7
	v_add_f32_e32 v10, v10, v6
	;; [unrolled: 1-line block ×4, first 2 shown]
	v_add_co_u32 v0, vcc_lo, v22, v0
	v_min3_f32 v10, v10, v11, v92
	v_add_co_ci_u32_e64 v1, null, v23, v1, vcc_lo
	v_min_f32_e32 v11, v12, v13
	v_min3_f32 v10, v14, v11, v10
	global_store_dword v[0:1], v10, off
	s_or_b32 exec_lo, exec_lo, s0
	s_and_b32 s0, s3, s4
	s_and_saveexec_b32 s1, s0
	s_cbranch_execz .LBB63_346
.LBB63_359:
	v_cmp_ne_u32_e32 vcc_lo, 1, v88
	v_lshlrev_b64 v[0:1], 2, v[86:87]
	s_cbranch_vccnz .LBB63_361
; %bb.360:
	v_add_co_u32 v10, vcc_lo, v24, v0
	v_add_co_ci_u32_e64 v11, null, v25, v1, vcc_lo
	global_load_dword v10, v[10:11], off
	s_waitcnt vmcnt(0)
	v_mul_f32_e32 v10, s7, v10
	s_branch .LBB63_362
.LBB63_361:
	v_mov_b32_e32 v10, 0
.LBB63_362:
	v_add_f32_e32 v3, v3, v7
	v_add_f32_e32 v2, v2, v6
	;; [unrolled: 1-line block ×4, first 2 shown]
	v_add_co_u32 v0, vcc_lo, v22, v0
	v_min3_f32 v2, v2, v3, v102
	v_add_co_ci_u32_e64 v1, null, v23, v1, vcc_lo
	v_min_f32_e32 v3, v4, v5
	v_min3_f32 v2, v10, v3, v2
	global_store_dword v[0:1], v2, off
	s_endpgm
	.section	.rodata,"a",@progbits
	.p2align	6, 0x0
	.amdhsa_kernel _ZN12_GLOBAL__N_120geam_min_plus_kernelIf15HIP_vector_typeIfLj2EEfLi32ELi8ELi128ELi128ELi4ELi4ELi64ELi4ELi64ELc84ELc78ELb0ELb1ELb1EPKfS3_fEEviiiT16_PT17_ilS7_ilS5_S7_ilPT18_ili26rocblas_geam_ex_operation_
		.amdhsa_group_segment_fixed_size 8192
		.amdhsa_private_segment_fixed_size 0
		.amdhsa_kernarg_size 136
		.amdhsa_user_sgpr_count 6
		.amdhsa_user_sgpr_private_segment_buffer 1
		.amdhsa_user_sgpr_dispatch_ptr 0
		.amdhsa_user_sgpr_queue_ptr 0
		.amdhsa_user_sgpr_kernarg_segment_ptr 1
		.amdhsa_user_sgpr_dispatch_id 0
		.amdhsa_user_sgpr_flat_scratch_init 0
		.amdhsa_user_sgpr_private_segment_size 0
		.amdhsa_wavefront_size32 1
		.amdhsa_uses_dynamic_stack 0
		.amdhsa_system_sgpr_private_segment_wavefront_offset 0
		.amdhsa_system_sgpr_workgroup_id_x 1
		.amdhsa_system_sgpr_workgroup_id_y 0
		.amdhsa_system_sgpr_workgroup_id_z 1
		.amdhsa_system_sgpr_workgroup_info 0
		.amdhsa_system_vgpr_workitem_id 1
		.amdhsa_next_free_vgpr 176
		.amdhsa_next_free_sgpr 29
		.amdhsa_reserve_vcc 1
		.amdhsa_reserve_flat_scratch 0
		.amdhsa_float_round_mode_32 0
		.amdhsa_float_round_mode_16_64 0
		.amdhsa_float_denorm_mode_32 3
		.amdhsa_float_denorm_mode_16_64 3
		.amdhsa_dx10_clamp 1
		.amdhsa_ieee_mode 1
		.amdhsa_fp16_overflow 0
		.amdhsa_workgroup_processor_mode 1
		.amdhsa_memory_ordered 1
		.amdhsa_forward_progress 1
		.amdhsa_shared_vgpr_count 0
		.amdhsa_exception_fp_ieee_invalid_op 0
		.amdhsa_exception_fp_denorm_src 0
		.amdhsa_exception_fp_ieee_div_zero 0
		.amdhsa_exception_fp_ieee_overflow 0
		.amdhsa_exception_fp_ieee_underflow 0
		.amdhsa_exception_fp_ieee_inexact 0
		.amdhsa_exception_int_div_zero 0
	.end_amdhsa_kernel
	.section	.text._ZN12_GLOBAL__N_120geam_min_plus_kernelIf15HIP_vector_typeIfLj2EEfLi32ELi8ELi128ELi128ELi4ELi4ELi64ELi4ELi64ELc84ELc78ELb0ELb1ELb1EPKfS3_fEEviiiT16_PT17_ilS7_ilS5_S7_ilPT18_ili26rocblas_geam_ex_operation_,"axG",@progbits,_ZN12_GLOBAL__N_120geam_min_plus_kernelIf15HIP_vector_typeIfLj2EEfLi32ELi8ELi128ELi128ELi4ELi4ELi64ELi4ELi64ELc84ELc78ELb0ELb1ELb1EPKfS3_fEEviiiT16_PT17_ilS7_ilS5_S7_ilPT18_ili26rocblas_geam_ex_operation_,comdat
.Lfunc_end63:
	.size	_ZN12_GLOBAL__N_120geam_min_plus_kernelIf15HIP_vector_typeIfLj2EEfLi32ELi8ELi128ELi128ELi4ELi4ELi64ELi4ELi64ELc84ELc78ELb0ELb1ELb1EPKfS3_fEEviiiT16_PT17_ilS7_ilS5_S7_ilPT18_ili26rocblas_geam_ex_operation_, .Lfunc_end63-_ZN12_GLOBAL__N_120geam_min_plus_kernelIf15HIP_vector_typeIfLj2EEfLi32ELi8ELi128ELi128ELi4ELi4ELi64ELi4ELi64ELc84ELc78ELb0ELb1ELb1EPKfS3_fEEviiiT16_PT17_ilS7_ilS5_S7_ilPT18_ili26rocblas_geam_ex_operation_
                                        ; -- End function
	.set _ZN12_GLOBAL__N_120geam_min_plus_kernelIf15HIP_vector_typeIfLj2EEfLi32ELi8ELi128ELi128ELi4ELi4ELi64ELi4ELi64ELc84ELc78ELb0ELb1ELb1EPKfS3_fEEviiiT16_PT17_ilS7_ilS5_S7_ilPT18_ili26rocblas_geam_ex_operation_.num_vgpr, 176
	.set _ZN12_GLOBAL__N_120geam_min_plus_kernelIf15HIP_vector_typeIfLj2EEfLi32ELi8ELi128ELi128ELi4ELi4ELi64ELi4ELi64ELc84ELc78ELb0ELb1ELb1EPKfS3_fEEviiiT16_PT17_ilS7_ilS5_S7_ilPT18_ili26rocblas_geam_ex_operation_.num_agpr, 0
	.set _ZN12_GLOBAL__N_120geam_min_plus_kernelIf15HIP_vector_typeIfLj2EEfLi32ELi8ELi128ELi128ELi4ELi4ELi64ELi4ELi64ELc84ELc78ELb0ELb1ELb1EPKfS3_fEEviiiT16_PT17_ilS7_ilS5_S7_ilPT18_ili26rocblas_geam_ex_operation_.numbered_sgpr, 29
	.set _ZN12_GLOBAL__N_120geam_min_plus_kernelIf15HIP_vector_typeIfLj2EEfLi32ELi8ELi128ELi128ELi4ELi4ELi64ELi4ELi64ELc84ELc78ELb0ELb1ELb1EPKfS3_fEEviiiT16_PT17_ilS7_ilS5_S7_ilPT18_ili26rocblas_geam_ex_operation_.num_named_barrier, 0
	.set _ZN12_GLOBAL__N_120geam_min_plus_kernelIf15HIP_vector_typeIfLj2EEfLi32ELi8ELi128ELi128ELi4ELi4ELi64ELi4ELi64ELc84ELc78ELb0ELb1ELb1EPKfS3_fEEviiiT16_PT17_ilS7_ilS5_S7_ilPT18_ili26rocblas_geam_ex_operation_.private_seg_size, 0
	.set _ZN12_GLOBAL__N_120geam_min_plus_kernelIf15HIP_vector_typeIfLj2EEfLi32ELi8ELi128ELi128ELi4ELi4ELi64ELi4ELi64ELc84ELc78ELb0ELb1ELb1EPKfS3_fEEviiiT16_PT17_ilS7_ilS5_S7_ilPT18_ili26rocblas_geam_ex_operation_.uses_vcc, 1
	.set _ZN12_GLOBAL__N_120geam_min_plus_kernelIf15HIP_vector_typeIfLj2EEfLi32ELi8ELi128ELi128ELi4ELi4ELi64ELi4ELi64ELc84ELc78ELb0ELb1ELb1EPKfS3_fEEviiiT16_PT17_ilS7_ilS5_S7_ilPT18_ili26rocblas_geam_ex_operation_.uses_flat_scratch, 0
	.set _ZN12_GLOBAL__N_120geam_min_plus_kernelIf15HIP_vector_typeIfLj2EEfLi32ELi8ELi128ELi128ELi4ELi4ELi64ELi4ELi64ELc84ELc78ELb0ELb1ELb1EPKfS3_fEEviiiT16_PT17_ilS7_ilS5_S7_ilPT18_ili26rocblas_geam_ex_operation_.has_dyn_sized_stack, 0
	.set _ZN12_GLOBAL__N_120geam_min_plus_kernelIf15HIP_vector_typeIfLj2EEfLi32ELi8ELi128ELi128ELi4ELi4ELi64ELi4ELi64ELc84ELc78ELb0ELb1ELb1EPKfS3_fEEviiiT16_PT17_ilS7_ilS5_S7_ilPT18_ili26rocblas_geam_ex_operation_.has_recursion, 0
	.set _ZN12_GLOBAL__N_120geam_min_plus_kernelIf15HIP_vector_typeIfLj2EEfLi32ELi8ELi128ELi128ELi4ELi4ELi64ELi4ELi64ELc84ELc78ELb0ELb1ELb1EPKfS3_fEEviiiT16_PT17_ilS7_ilS5_S7_ilPT18_ili26rocblas_geam_ex_operation_.has_indirect_call, 0
	.section	.AMDGPU.csdata,"",@progbits
; Kernel info:
; codeLenInByte = 20328
; TotalNumSgprs: 31
; NumVgprs: 176
; ScratchSize: 0
; MemoryBound: 0
; FloatMode: 240
; IeeeMode: 1
; LDSByteSize: 8192 bytes/workgroup (compile time only)
; SGPRBlocks: 0
; VGPRBlocks: 21
; NumSGPRsForWavesPerEU: 31
; NumVGPRsForWavesPerEU: 176
; Occupancy: 5
; WaveLimiterHint : 0
; COMPUTE_PGM_RSRC2:SCRATCH_EN: 0
; COMPUTE_PGM_RSRC2:USER_SGPR: 6
; COMPUTE_PGM_RSRC2:TRAP_HANDLER: 0
; COMPUTE_PGM_RSRC2:TGID_X_EN: 1
; COMPUTE_PGM_RSRC2:TGID_Y_EN: 0
; COMPUTE_PGM_RSRC2:TGID_Z_EN: 1
; COMPUTE_PGM_RSRC2:TIDIG_COMP_CNT: 1
	.section	.text._ZN12_GLOBAL__N_120geam_min_plus_kernelIf15HIP_vector_typeIfLj2EEfLi32ELi8ELi128ELi128ELi4ELi4ELi64ELi4ELi64ELc84ELc78ELb1ELb1ELb1EfKffEEviiiT16_PT17_ilS6_ilS4_S6_ilPT18_ili26rocblas_geam_ex_operation_,"axG",@progbits,_ZN12_GLOBAL__N_120geam_min_plus_kernelIf15HIP_vector_typeIfLj2EEfLi32ELi8ELi128ELi128ELi4ELi4ELi64ELi4ELi64ELc84ELc78ELb1ELb1ELb1EfKffEEviiiT16_PT17_ilS6_ilS4_S6_ilPT18_ili26rocblas_geam_ex_operation_,comdat
	.globl	_ZN12_GLOBAL__N_120geam_min_plus_kernelIf15HIP_vector_typeIfLj2EEfLi32ELi8ELi128ELi128ELi4ELi4ELi64ELi4ELi64ELc84ELc78ELb1ELb1ELb1EfKffEEviiiT16_PT17_ilS6_ilS4_S6_ilPT18_ili26rocblas_geam_ex_operation_ ; -- Begin function _ZN12_GLOBAL__N_120geam_min_plus_kernelIf15HIP_vector_typeIfLj2EEfLi32ELi8ELi128ELi128ELi4ELi4ELi64ELi4ELi64ELc84ELc78ELb1ELb1ELb1EfKffEEviiiT16_PT17_ilS6_ilS4_S6_ilPT18_ili26rocblas_geam_ex_operation_
	.p2align	8
	.type	_ZN12_GLOBAL__N_120geam_min_plus_kernelIf15HIP_vector_typeIfLj2EEfLi32ELi8ELi128ELi128ELi4ELi4ELi64ELi4ELi64ELc84ELc78ELb1ELb1ELb1EfKffEEviiiT16_PT17_ilS6_ilS4_S6_ilPT18_ili26rocblas_geam_ex_operation_,@function
_ZN12_GLOBAL__N_120geam_min_plus_kernelIf15HIP_vector_typeIfLj2EEfLi32ELi8ELi128ELi128ELi4ELi4ELi64ELi4ELi64ELc84ELc78ELb1ELb1ELb1EfKffEEviiiT16_PT17_ilS6_ilS4_S6_ilPT18_ili26rocblas_geam_ex_operation_: ; @_ZN12_GLOBAL__N_120geam_min_plus_kernelIf15HIP_vector_typeIfLj2EEfLi32ELi8ELi128ELi128ELi4ELi4ELi64ELi4ELi64ELc84ELc78ELb1ELb1ELb1EfKffEEviiiT16_PT17_ilS6_ilS4_S6_ilPT18_ili26rocblas_geam_ex_operation_
; %bb.0:
	s_clause 0x1
	s_load_dwordx4 s[8:11], s[4:5], 0x0
	s_load_dwordx4 s[0:3], s[4:5], 0x20
	s_waitcnt lgkmcnt(0)
	v_cmp_eq_f32_e64 s11, s11, 0
	s_and_b32 vcc_lo, exec_lo, s11
	s_cbranch_vccnz .LBB64_45
; %bb.1:
	s_load_dwordx2 s[12:13], s[4:5], 0x10
	s_mul_i32 s1, s1, s7
	s_mul_hi_u32 s14, s0, s7
	s_mul_i32 s0, s0, s7
	s_add_i32 s1, s14, s1
	s_lshl_b64 s[0:1], s[0:1], 2
	s_waitcnt lgkmcnt(0)
	s_add_u32 s18, s12, s0
	s_addc_u32 s19, s13, s1
	s_andn2_b32 vcc_lo, exec_lo, s11
	s_mov_b32 s0, -1
	s_cbranch_vccnz .LBB64_3
.LBB64_2:
	s_mov_b32 s0, 0
.LBB64_3:
	s_mov_b64 s[16:17], 0
	s_andn2_b32 vcc_lo, exec_lo, s0
	s_mov_b64 s[20:21], 0
	s_cbranch_vccnz .LBB64_5
; %bb.4:
	s_load_dwordx2 s[0:1], s[4:5], 0x38
	s_waitcnt lgkmcnt(0)
	s_mul_i32 s1, s1, s7
	s_mul_hi_u32 s11, s0, s7
	s_mul_i32 s0, s0, s7
	s_add_i32 s1, s11, s1
	s_lshl_b64 s[0:1], s[0:1], 2
	s_add_u32 s20, s2, s0
	s_addc_u32 s21, s3, s1
.LBB64_5:
	s_clause 0x1
	s_load_dword s11, s[4:5], 0x40
	s_load_dwordx4 s[12:15], s[4:5], 0x58
	s_waitcnt lgkmcnt(0)
	v_cmp_eq_f32_e64 s0, s11, 0
	v_cmp_neq_f32_e64 s22, s11, 0
	s_and_b32 vcc_lo, exec_lo, s0
	s_cbranch_vccnz .LBB64_7
; %bb.6:
	s_load_dwordx2 s[0:1], s[4:5], 0x48
	s_mul_i32 s2, s13, s7
	s_mul_hi_u32 s3, s12, s7
	s_add_i32 s3, s3, s2
	s_mul_i32 s2, s12, s7
	s_lshl_b64 s[2:3], s[2:3], 2
	s_waitcnt lgkmcnt(0)
	s_add_u32 s16, s0, s2
	s_addc_u32 s17, s1, s3
.LBB64_7:
	s_add_i32 s0, s8, -1
	s_load_dword s23, s[4:5], 0x18
	s_ashr_i32 s1, s0, 31
	v_and_b32_e32 v83, 3, v0
	s_lshr_b32 s1, s1, 25
	v_mov_b32_e32 v3, 0x7f7fffff
	s_add_i32 s0, s0, s1
	v_mov_b32_e32 v4, 0x7f7fffff
	s_ashr_i32 s0, s0, 7
	v_lshlrev_b32_e32 v85, 2, v83
	s_add_i32 s1, s0, 1
	s_not_b32 s0, s0
	v_cvt_f32_u32_e32 v2, s1
	v_rcp_iflag_f32_e32 v2, v2
	v_mul_f32_e32 v2, 0x4f7ffffe, v2
	v_cvt_u32_f32_e32 v2, v2
	v_readfirstlane_b32 s2, v2
	v_lshl_add_u32 v2, v1, 5, v0
	s_mul_i32 s0, s0, s2
	v_lshrrev_b32_e32 v2, 2, v2
	s_mul_hi_u32 s0, s2, s0
	s_add_i32 s2, s2, s0
	s_mul_hi_u32 s0, s6, s2
	s_mul_i32 s2, s0, s1
	s_add_i32 s3, s0, 1
	s_sub_i32 s2, s6, s2
	s_sub_i32 s12, s2, s1
	s_cmp_ge_u32 s2, s1
	s_cselect_b32 s0, s3, s0
	s_cselect_b32 s2, s12, s2
	s_add_i32 s3, s0, 1
	s_cmp_ge_u32 s2, s1
	s_cselect_b32 s2, s3, s0
	v_cmp_le_i32_e64 s3, s10, v83
	s_mul_i32 s0, s2, s1
	s_sub_i32 s0, s6, s0
	s_lshl_b32 s12, s0, 7
	v_add_co_u32 v5, s0, s18, v85
	v_add_nc_u32_e32 v126, s12, v2
	v_add_co_ci_u32_e64 v6, null, s19, 0, s0
	v_cmp_le_i32_e32 vcc_lo, s8, v126
	s_nor_b32 s0, s3, vcc_lo
	s_and_saveexec_b32 s1, s0
	s_cbranch_execz .LBB64_9
; %bb.8:
	s_waitcnt lgkmcnt(0)
	v_mad_i64_i32 v[7:8], null, v126, s23, 0
	v_lshlrev_b64 v[7:8], 2, v[7:8]
	v_add_co_u32 v7, s0, v5, v7
	v_add_co_ci_u32_e64 v8, null, v6, v8, s0
	global_load_dword v4, v[7:8], off
.LBB64_9:
	s_or_b32 exec_lo, exec_lo, s1
	v_add_nc_u32_e32 v130, 64, v126
	v_cmp_le_i32_e64 s0, s8, v130
	s_nor_b32 s1, s3, s0
	s_and_saveexec_b32 s6, s1
	s_cbranch_execz .LBB64_11
; %bb.10:
	s_waitcnt lgkmcnt(0)
	v_mad_i64_i32 v[7:8], null, v130, s23, 0
	v_lshlrev_b64 v[7:8], 2, v[7:8]
	v_add_co_u32 v7, s1, v5, v7
	v_add_co_ci_u32_e64 v8, null, v6, v8, s1
	global_load_dword v3, v[7:8], off
.LBB64_11:
	s_or_b32 exec_lo, exec_lo, s6
	s_load_dword s24, s[4:5], 0x30
	s_lshl_b32 s13, s2, 7
	v_add_co_u32 v7, s1, s20, v85
	v_add_nc_u32_e32 v153, s13, v2
	v_add_co_ci_u32_e64 v8, null, s21, 0, s1
	v_mov_b32_e32 v9, 0x7f7fffff
	v_mov_b32_e32 v10, 0x7f7fffff
	v_cmp_le_i32_e64 s1, s9, v153
	s_nor_b32 s2, s3, s1
	s_and_saveexec_b32 s6, s2
	s_cbranch_execz .LBB64_13
; %bb.12:
	s_waitcnt lgkmcnt(0)
	v_mad_i64_i32 v[10:11], null, v153, s24, 0
	v_lshlrev_b64 v[10:11], 2, v[10:11]
	v_add_co_u32 v10, s2, v7, v10
	v_add_co_ci_u32_e64 v11, null, v8, v11, s2
	global_load_dword v10, v[10:11], off
.LBB64_13:
	s_or_b32 exec_lo, exec_lo, s6
	v_add_nc_u32_e32 v154, 64, v153
	v_cmp_le_i32_e64 s2, s9, v154
	s_nor_b32 s3, s3, s2
	s_and_saveexec_b32 s6, s3
	s_cbranch_execz .LBB64_15
; %bb.14:
	s_waitcnt lgkmcnt(0)
	v_mad_i64_i32 v[11:12], null, v154, s24, 0
	v_lshlrev_b64 v[11:12], 2, v[11:12]
	v_add_co_u32 v11, s3, v7, v11
	v_add_co_ci_u32_e64 v12, null, v8, v12, s3
	global_load_dword v9, v[11:12], off
.LBB64_15:
	s_or_b32 exec_lo, exec_lo, s6
	v_or_b32_e32 v11, 4, v83
	v_mov_b32_e32 v155, 0x7f7fffff
	v_mov_b32_e32 v156, 0x7f7fffff
	v_cmp_le_i32_e64 s3, s10, v11
	s_nor_b32 s6, s3, vcc_lo
	s_and_saveexec_b32 s25, s6
	s_cbranch_execz .LBB64_17
; %bb.16:
	s_waitcnt lgkmcnt(0)
	v_mad_i64_i32 v[11:12], null, v126, s23, 0
	v_lshlrev_b64 v[11:12], 2, v[11:12]
	v_add_co_u32 v11, s6, v5, v11
	v_add_co_ci_u32_e64 v12, null, v6, v12, s6
	global_load_dword v156, v[11:12], off offset:16
.LBB64_17:
	s_or_b32 exec_lo, exec_lo, s25
	s_nor_b32 s6, s3, s0
	s_and_saveexec_b32 s25, s6
	s_cbranch_execz .LBB64_19
; %bb.18:
	s_waitcnt lgkmcnt(0)
	v_mad_i64_i32 v[11:12], null, v130, s23, 0
	v_lshlrev_b64 v[11:12], 2, v[11:12]
	v_add_co_u32 v5, s6, v5, v11
	v_add_co_ci_u32_e64 v6, null, v6, v12, s6
	global_load_dword v155, v[5:6], off offset:16
.LBB64_19:
	s_or_b32 exec_lo, exec_lo, s25
	v_mov_b32_e32 v157, 0x7f7fffff
	v_mov_b32_e32 v158, 0x7f7fffff
	s_nor_b32 s6, s3, s1
	s_and_saveexec_b32 s25, s6
	s_cbranch_execz .LBB64_21
; %bb.20:
	s_waitcnt lgkmcnt(0)
	v_mad_i64_i32 v[5:6], null, v153, s24, 0
	v_lshlrev_b64 v[5:6], 2, v[5:6]
	v_add_co_u32 v5, s6, v7, v5
	v_add_co_ci_u32_e64 v6, null, v8, v6, s6
	global_load_dword v158, v[5:6], off offset:16
.LBB64_21:
	s_or_b32 exec_lo, exec_lo, s25
	s_nor_b32 s3, s3, s2
	s_and_saveexec_b32 s6, s3
	s_cbranch_execz .LBB64_23
; %bb.22:
	s_waitcnt lgkmcnt(0)
	v_mad_i64_i32 v[5:6], null, v154, s24, 0
	v_lshlrev_b64 v[5:6], 2, v[5:6]
	v_add_co_u32 v5, s3, v7, v5
	v_add_co_ci_u32_e64 v6, null, v8, v6, s3
	global_load_dword v157, v[5:6], off offset:16
.LBB64_23:
	s_or_b32 exec_lo, exec_lo, s6
	v_lshlrev_b32_e32 v2, 4, v2
	v_lshlrev_b32_e32 v84, 4, v0
	;; [unrolled: 1-line block ×3, first 2 shown]
	s_cmp_lt_i32 s10, 9
	v_lshl_or_b32 v86, v83, 2, v2
	s_waitcnt vmcnt(0)
	ds_write2st64_b32 v86, v4, v3 offset1:4
	ds_write2st64_b32 v86, v10, v9 offset0:16 offset1:20
	s_waitcnt lgkmcnt(0)
	s_barrier
	buffer_gl0_inv
	ds_read_b128 v[14:17], v84
	ds_read_b128 v[10:13], v84 offset:512
	ds_read_b128 v[6:9], v84 offset:1024
	ds_read_b128 v[2:5], v84 offset:1536
	ds_read_b128 v[78:81], v82 offset:4096
	ds_read_b128 v[74:77], v82 offset:4224
	ds_read_b128 v[70:73], v82 offset:4352
	ds_read_b128 v[66:69], v82 offset:4480
	ds_read_b128 v[62:65], v82 offset:4608
	ds_read_b128 v[58:61], v82 offset:4736
	ds_read_b128 v[54:57], v82 offset:4864
	ds_read_b128 v[50:53], v82 offset:4992
	ds_read_b128 v[46:49], v82 offset:5120
	ds_read_b128 v[42:45], v82 offset:5248
	ds_read_b128 v[38:41], v82 offset:5376
	ds_read_b128 v[34:37], v82 offset:5504
	ds_read_b128 v[30:33], v82 offset:5632
	ds_read_b128 v[26:29], v82 offset:5760
	ds_read_b128 v[22:25], v82 offset:5888
	ds_read_b128 v[18:21], v82 offset:6016
	ds_write2st64_b32 v86, v156, v155 offset0:8 offset1:12
	ds_write2st64_b32 v86, v158, v157 offset0:24 offset1:28
	s_waitcnt lgkmcnt(0)
	s_barrier
	buffer_gl0_inv
	v_add_f32_e32 v87, v15, v79
	v_add_f32_e32 v88, v14, v78
	;; [unrolled: 1-line block ×3, first 2 shown]
	v_min3_f32 v87, v88, v87, 0x7f7fffff
	v_add_f32_e32 v88, v11, v79
	v_min3_f32 v115, v89, v88, 0x7f7fffff
	v_add_f32_e32 v88, v7, v79
	v_add_f32_e32 v89, v6, v78
	;; [unrolled: 1-line block ×5, first 2 shown]
	v_min3_f32 v116, v89, v88, 0x7f7fffff
	v_min3_f32 v117, v78, v79, 0x7f7fffff
	v_add_f32_e32 v78, v15, v75
	v_add_f32_e32 v79, v14, v74
	v_min3_f32 v114, v79, v78, 0x7f7fffff
	v_add_f32_e32 v78, v11, v75
	v_add_f32_e32 v79, v10, v74
	v_min3_f32 v113, v79, v78, 0x7f7fffff
	v_add_f32_e32 v78, v7, v75
	v_add_f32_e32 v79, v6, v74
	v_add_f32_e32 v75, v3, v75
	v_add_f32_e32 v74, v2, v74
	v_min3_f32 v112, v79, v78, 0x7f7fffff
	v_min3_f32 v111, v74, v75, 0x7f7fffff
	v_add_f32_e32 v74, v15, v71
	v_add_f32_e32 v75, v14, v70
	v_min3_f32 v110, v75, v74, 0x7f7fffff
	v_add_f32_e32 v74, v11, v71
	v_add_f32_e32 v75, v10, v70
	v_min3_f32 v109, v75, v74, 0x7f7fffff
	v_add_f32_e32 v74, v7, v71
	v_add_f32_e32 v75, v6, v70
	v_add_f32_e32 v71, v3, v71
	v_add_f32_e32 v70, v2, v70
	;; [unrolled: 12-line block ×13, first 2 shown]
	v_add_f32_e32 v6, v6, v18
	v_min3_f32 v34, v31, v30, 0x7f7fffff
	v_min3_f32 v31, v26, v27, 0x7f7fffff
	v_add_f32_e32 v26, v15, v23
	v_add_f32_e32 v27, v14, v22
	;; [unrolled: 1-line block ×4, first 2 shown]
	v_min3_f32 v30, v27, v26, 0x7f7fffff
	v_add_f32_e32 v26, v11, v23
	v_add_f32_e32 v27, v10, v22
	;; [unrolled: 1-line block ×4, first 2 shown]
	v_min3_f32 v14, v14, v15, 0x7f7fffff
	v_add_f32_e32 v11, v11, v19
	v_min3_f32 v27, v27, v26, 0x7f7fffff
	v_add_f32_e32 v26, v7, v23
	v_add_f32_e32 v23, v3, v23
	v_add_f32_e32 v7, v7, v19
	v_add_f32_e32 v3, v3, v19
	v_add_f32_e32 v10, v10, v18
	v_min3_f32 v26, v118, v26, 0x7f7fffff
	v_min3_f32 v22, v22, v23, 0x7f7fffff
	;; [unrolled: 1-line block ×4, first 2 shown]
	v_add_f32_e32 v3, v17, v81
	v_add_f32_e32 v7, v16, v80
	v_min3_f32 v10, v10, v11, 0x7f7fffff
	v_min3_f32 v152, v7, v3, v87
	v_add_f32_e32 v3, v13, v81
	v_add_f32_e32 v7, v12, v80
	v_min3_f32 v151, v7, v3, v115
	v_add_f32_e32 v3, v9, v81
	v_add_f32_e32 v7, v8, v80
	;; [unrolled: 3-line block ×59, first 2 shown]
	v_add_f32_e32 v4, v4, v20
	v_min3_f32 v91, v7, v3, v22
	v_add_f32_e32 v3, v17, v21
	v_add_f32_e32 v7, v16, v20
	v_min3_f32 v90, v7, v3, v14
	v_add_f32_e32 v3, v13, v21
	v_add_f32_e32 v7, v12, v20
	v_min3_f32 v89, v7, v3, v10
	v_add_f32_e32 v3, v9, v21
	v_add_f32_e32 v7, v8, v20
	v_min3_f32 v88, v7, v3, v6
	v_add_f32_e32 v3, v5, v21
	v_min3_f32 v98, v4, v3, v2
	s_cbranch_scc1 .LBB64_42
; %bb.24:
	v_mad_i64_i32 v[2:3], null, s24, v153, 0
	v_mad_i64_i32 v[4:5], null, s24, v154, 0
	;; [unrolled: 1-line block ×4, first 2 shown]
	v_lshlrev_b64 v[2:3], 2, v[2:3]
	v_add_nc_u32_e32 v155, 0x1000, v86
	v_lshlrev_b64 v[4:5], 2, v[4:5]
	v_or_b32_e32 v153, 0x1000, v82
	v_add_nc_u32_e32 v154, 0x800, v86
	v_add_nc_u32_e32 v156, 0x1800, v86
	v_add_co_u32 v126, s3, s20, v2
	v_add_co_ci_u32_e64 v130, null, s21, v3, s3
	v_lshlrev_b64 v[2:3], 2, v[6:7]
	v_add_co_u32 v159, s3, s20, v4
	v_add_co_ci_u32_e64 v160, null, s21, v5, s3
	v_lshlrev_b64 v[4:5], 2, v[8:9]
	v_add_co_u32 v161, s3, s18, v2
	v_add_co_ci_u32_e64 v162, null, s19, v3, s3
	v_lshl_add_u32 v157, v0, 4, 0x800
	v_add_co_u32 v163, s3, s18, v4
	v_lshl_add_u32 v158, v1, 4, 0x1800
	v_add_co_ci_u32_e64 v164, null, s19, v5, s3
	s_add_i32 s18, s10, -8
	s_mov_b32 s19, 0
	s_branch .LBB64_26
.LBB64_25:                              ;   in Loop: Header=BB64_26 Depth=1
	s_or_b32 exec_lo, exec_lo, s6
	v_add_f32_e32 v169, v15, v79
	v_add_f32_e32 v170, v14, v78
	;; [unrolled: 1-line block ×10, first 2 shown]
	v_min3_f32 v152, v170, v169, v152
	v_min3_f32 v151, v172, v171, v151
	;; [unrolled: 1-line block ×3, first 2 shown]
	v_add_f32_e32 v150, v10, v74
	v_min3_f32 v79, v176, v175, v149
	v_add_f32_e32 v149, v11, v75
	v_add_f32_e32 v169, v7, v75
	;; [unrolled: 1-line block ×7, first 2 shown]
	v_min3_f32 v87, v174, v173, v87
	v_add_f32_e32 v173, v11, v71
	v_add_f32_e32 v174, v10, v70
	v_min3_f32 v148, v150, v149, v148
	v_min3_f32 v74, v74, v75, v146
	;; [unrolled: 1-line block ×3, first 2 shown]
	v_add_f32_e32 v145, v7, v71
	v_add_f32_e32 v146, v6, v70
	;; [unrolled: 1-line block ×6, first 2 shown]
	v_min3_f32 v147, v170, v169, v147
	v_add_f32_e32 v169, v11, v67
	v_add_f32_e32 v170, v10, v66
	;; [unrolled: 1-line block ×4, first 2 shown]
	v_min3_f32 v143, v146, v145, v143
	v_min3_f32 v70, v70, v71, v142
	v_min3_f32 v71, v150, v149, v141
	v_add_f32_e32 v67, v3, v67
	v_add_f32_e32 v66, v2, v66
	;; [unrolled: 1-line block ×10, first 2 shown]
	v_min3_f32 v66, v66, v67, v138
	v_min3_f32 v67, v142, v141, v137
	;; [unrolled: 1-line block ×3, first 2 shown]
	v_add_f32_e32 v137, v11, v59
	v_min3_f32 v62, v62, v63, v134
	v_add_f32_e32 v63, v15, v59
	v_add_f32_e32 v134, v14, v58
	;; [unrolled: 1-line block ×9, first 2 shown]
	v_min3_f32 v63, v134, v63, v133
	v_min3_f32 v132, v138, v137, v132
	;; [unrolled: 1-line block ×3, first 2 shown]
	v_add_f32_e32 v129, v10, v54
	v_min3_f32 v59, v146, v145, v128
	v_add_f32_e32 v128, v11, v55
	v_add_f32_e32 v133, v7, v55
	;; [unrolled: 1-line block ×7, first 2 shown]
	v_min3_f32 v131, v142, v141, v131
	v_add_f32_e32 v141, v11, v51
	v_add_f32_e32 v142, v10, v50
	v_min3_f32 v127, v129, v128, v127
	v_min3_f32 v54, v54, v55, v124
	;; [unrolled: 1-line block ×3, first 2 shown]
	v_add_f32_e32 v123, v7, v51
	v_add_f32_e32 v124, v6, v50
	v_add_f32_e32 v51, v3, v51
	v_add_f32_e32 v50, v2, v50
	v_add_f32_e32 v128, v15, v47
	v_add_f32_e32 v129, v14, v46
	v_min3_f32 v125, v134, v133, v125
	v_add_f32_e32 v133, v11, v47
	v_add_f32_e32 v134, v10, v46
	;; [unrolled: 1-line block ×4, first 2 shown]
	v_min3_f32 v121, v124, v123, v121
	v_min3_f32 v50, v50, v51, v120
	;; [unrolled: 1-line block ×3, first 2 shown]
	v_add_f32_e32 v47, v3, v47
	v_add_f32_e32 v46, v2, v46
	;; [unrolled: 1-line block ×10, first 2 shown]
	v_min3_f32 v46, v46, v47, v116
	v_min3_f32 v47, v120, v119, v115
	;; [unrolled: 1-line block ×3, first 2 shown]
	v_add_f32_e32 v115, v11, v39
	v_min3_f32 v42, v42, v43, v112
	v_add_f32_e32 v43, v15, v39
	v_add_f32_e32 v112, v14, v38
	;; [unrolled: 1-line block ×9, first 2 shown]
	v_min3_f32 v43, v112, v43, v111
	v_min3_f32 v110, v116, v115, v110
	;; [unrolled: 1-line block ×3, first 2 shown]
	v_add_f32_e32 v108, v10, v34
	v_min3_f32 v39, v124, v123, v107
	v_add_f32_e32 v107, v11, v35
	v_add_f32_e32 v111, v7, v35
	;; [unrolled: 1-line block ×7, first 2 shown]
	v_min3_f32 v109, v120, v119, v109
	v_add_f32_e32 v119, v11, v31
	v_add_f32_e32 v120, v10, v30
	v_min3_f32 v106, v108, v107, v106
	v_min3_f32 v34, v34, v35, v104
	;; [unrolled: 1-line block ×3, first 2 shown]
	v_add_f32_e32 v103, v7, v31
	v_add_f32_e32 v104, v6, v30
	;; [unrolled: 1-line block ×6, first 2 shown]
	v_min3_f32 v105, v112, v111, v105
	v_add_f32_e32 v111, v11, v27
	v_add_f32_e32 v112, v10, v26
	;; [unrolled: 1-line block ×4, first 2 shown]
	v_min3_f32 v101, v104, v103, v101
	v_min3_f32 v30, v30, v31, v100
	;; [unrolled: 1-line block ×3, first 2 shown]
	v_add_f32_e32 v27, v3, v27
	v_add_f32_e32 v26, v2, v26
	;; [unrolled: 1-line block ×20, first 2 shown]
	v_min3_f32 v22, v22, v23, v91
	v_min3_f32 v14, v14, v15, v90
	;; [unrolled: 1-line block ×6, first 2 shown]
	v_add_f32_e32 v2, v13, v81
	v_add_f32_e32 v3, v12, v80
	;; [unrolled: 1-line block ×8, first 2 shown]
	v_min3_f32 v90, v3, v2, v151
	v_min3_f32 v91, v18, v11, v78
	v_add_f32_e32 v2, v9, v77
	v_add_f32_e32 v3, v8, v76
	;; [unrolled: 1-line block ×4, first 2 shown]
	v_min3_f32 v144, v174, v173, v144
	v_min3_f32 v140, v170, v169, v140
	;; [unrolled: 1-line block ×4, first 2 shown]
	v_add_f32_e32 v89, v12, v76
	v_min3_f32 v87, v7, v6, v87
	v_min3_f32 v94, v80, v19, v79
	v_add_f32_e32 v6, v5, v77
	v_add_f32_e32 v7, v4, v76
	v_add_f32_e32 v19, v13, v73
	v_add_f32_e32 v76, v12, v72
	v_min3_f32 v95, v3, v2, v147
	v_min3_f32 v99, v18, v11, v75
	v_add_f32_e32 v2, v5, v73
	v_add_f32_e32 v3, v4, v72
	;; [unrolled: 1-line block ×4, first 2 shown]
	v_min3_f32 v139, v172, v171, v139
	v_min3_f32 v135, v150, v149, v135
	;; [unrolled: 1-line block ×4, first 2 shown]
	v_add_f32_e32 v78, v8, v72
	v_min3_f32 v98, v7, v6, v74
	v_min3_f32 v100, v76, v19, v144
	v_add_f32_e32 v6, v17, v69
	v_add_f32_e32 v7, v16, v68
	;; [unrolled: 1-line block ×4, first 2 shown]
	v_min3_f32 v104, v3, v2, v70
	v_min3_f32 v108, v18, v11, v140
	v_add_f32_e32 v2, v17, v65
	v_add_f32_e32 v3, v16, v64
	;; [unrolled: 1-line block ×4, first 2 shown]
	v_min3_f32 v102, v120, v119, v102
	v_min3_f32 v97, v112, v111, v97
	;; [unrolled: 1-line block ×3, first 2 shown]
	v_add_f32_e32 v69, v5, v69
	v_add_f32_e32 v68, v4, v68
	v_min3_f32 v107, v7, v6, v71
	v_min3_f32 v111, v72, v19, v139
	v_add_f32_e32 v6, v13, v65
	v_add_f32_e32 v7, v12, v64
	;; [unrolled: 1-line block ×4, first 2 shown]
	v_min3_f32 v115, v3, v2, v67
	v_min3_f32 v119, v18, v11, v135
	v_add_f32_e32 v2, v13, v61
	v_add_f32_e32 v3, v12, v60
	;; [unrolled: 1-line block ×4, first 2 shown]
	v_min3_f32 v113, v129, v128, v113
	v_min3_f32 v112, v68, v69, v66
	v_add_f32_e32 v66, v16, v60
	v_min3_f32 v116, v7, v6, v136
	v_min3_f32 v120, v64, v19, v62
	v_add_f32_e32 v6, v9, v61
	v_add_f32_e32 v7, v8, v60
	;; [unrolled: 1-line block ×4, first 2 shown]
	v_min3_f32 v124, v3, v2, v132
	v_min3_f32 v129, v18, v11, v58
	v_add_f32_e32 v2, v9, v57
	v_add_f32_e32 v3, v8, v56
	;; [unrolled: 1-line block ×4, first 2 shown]
	v_min3_f32 v122, v142, v141, v122
	v_min3_f32 v118, v134, v133, v118
	v_add_f32_e32 v62, v12, v56
	v_min3_f32 v128, v7, v6, v131
	v_min3_f32 v131, v60, v19, v59
	v_add_f32_e32 v6, v5, v57
	v_add_f32_e32 v7, v4, v56
	;; [unrolled: 1-line block ×4, first 2 shown]
	v_min3_f32 v125, v3, v2, v125
	v_min3_f32 v133, v18, v11, v55
	v_add_f32_e32 v2, v5, v53
	v_add_f32_e32 v3, v4, v52
	;; [unrolled: 1-line block ×4, first 2 shown]
	v_min3_f32 v117, v138, v137, v117
	v_add_f32_e32 v58, v8, v52
	v_min3_f32 v132, v7, v6, v54
	v_min3_f32 v122, v56, v19, v122
	v_add_f32_e32 v6, v17, v49
	v_add_f32_e32 v7, v16, v48
	v_add_f32_e32 v19, v9, v49
	v_add_f32_e32 v52, v8, v48
	v_min3_f32 v134, v3, v2, v50
	v_min3_f32 v118, v18, v11, v118
	v_add_f32_e32 v2, v17, v45
	v_add_f32_e32 v3, v16, v44
	;; [unrolled: 1-line block ×6, first 2 shown]
	v_min3_f32 v135, v7, v6, v51
	v_min3_f32 v117, v52, v19, v117
	v_add_f32_e32 v6, v13, v45
	v_add_f32_e32 v7, v12, v44
	v_add_f32_e32 v19, v5, v45
	v_add_f32_e32 v44, v4, v44
	v_min3_f32 v137, v3, v2, v47
	v_min3_f32 v113, v18, v11, v113
	v_add_f32_e32 v2, v13, v41
	v_add_f32_e32 v3, v12, v40
	;; [unrolled: 1-line block ×6, first 2 shown]
	v_min3_f32 v136, v48, v49, v46
	v_add_f32_e32 v46, v16, v40
	v_min3_f32 v114, v7, v6, v114
	v_min3_f32 v138, v44, v19, v42
	v_add_f32_e32 v6, v9, v41
	v_add_f32_e32 v7, v8, v40
	;; [unrolled: 1-line block ×4, first 2 shown]
	v_min3_f32 v110, v3, v2, v110
	v_min3_f32 v140, v18, v11, v38
	v_add_f32_e32 v2, v9, v37
	v_add_f32_e32 v3, v8, v36
	;; [unrolled: 1-line block ×4, first 2 shown]
	v_min3_f32 v103, v78, v77, v143
	v_add_f32_e32 v42, v12, v36
	v_min3_f32 v109, v7, v6, v109
	v_min3_f32 v141, v40, v19, v39
	v_add_f32_e32 v6, v5, v37
	v_add_f32_e32 v7, v4, v36
	;; [unrolled: 1-line block ×4, first 2 shown]
	v_min3_f32 v105, v3, v2, v105
	v_min3_f32 v143, v18, v11, v35
	v_add_f32_e32 v2, v5, v33
	v_add_f32_e32 v3, v4, v32
	;; [unrolled: 1-line block ×7, first 2 shown]
	v_min3_f32 v142, v7, v6, v34
	v_min3_f32 v102, v36, v19, v102
	v_add_f32_e32 v6, v17, v29
	v_add_f32_e32 v7, v16, v28
	v_add_f32_e32 v19, v9, v29
	v_add_f32_e32 v32, v8, v28
	v_min3_f32 v144, v3, v2, v30
	v_min3_f32 v97, v18, v11, v97
	v_add_f32_e32 v2, v17, v25
	v_add_f32_e32 v3, v16, v24
	;; [unrolled: 1-line block ×6, first 2 shown]
	v_min3_f32 v145, v7, v6, v31
	v_min3_f32 v96, v32, v19, v96
	v_add_f32_e32 v6, v13, v25
	v_add_f32_e32 v7, v12, v24
	;; [unrolled: 1-line block ×4, first 2 shown]
	v_min3_f32 v92, v18, v11, v92
	v_min3_f32 v149, v16, v17, v14
	v_add_f32_e32 v11, v13, v21
	v_add_f32_e32 v12, v12, v20
	;; [unrolled: 1-line block ×4, first 2 shown]
	v_min3_f32 v89, v89, v81, v148
	v_add_f32_e32 v61, v13, v57
	v_add_f32_e32 v57, v9, v53
	;; [unrolled: 1-line block ×6, first 2 shown]
	v_min3_f32 v147, v3, v2, v27
	v_min3_f32 v93, v7, v6, v93
	v_min3_f32 v148, v24, v19, v22
	v_add_f32_e32 v18, v5, v21
	v_add_f32_e32 v19, v4, v20
	ds_read_b128 v[2:5], v84
	ds_read_b128 v[6:9], v153
	v_min3_f32 v150, v12, v11, v10
	ds_read_b128 v[10:13], v84 offset:512
	v_min3_f32 v151, v16, v14, v15
	ds_read_b128 v[14:17], v84 offset:1024
	v_min3_f32 v123, v66, v65, v63
	v_min3_f32 v127, v62, v61, v127
	;; [unrolled: 1-line block ×8, first 2 shown]
	ds_read_b128 v[18:21], v84 offset:1536
	ds_read_b128 v[22:25], v153 offset:128
	;; [unrolled: 1-line block ×16, first 2 shown]
	v_add_co_u32 v126, s3, v126, 32
	v_add_co_ci_u32_e64 v130, null, 0, v130, s3
	v_add_co_u32 v159, s3, v159, 32
	s_waitcnt lgkmcnt(18)
	v_add_f32_e32 v169, v3, v7
	v_add_f32_e32 v170, v2, v6
	s_waitcnt lgkmcnt(17)
	v_add_f32_e32 v171, v11, v7
	v_add_f32_e32 v172, v10, v6
	;; [unrolled: 3-line block ×3, first 2 shown]
	v_min3_f32 v88, v170, v169, v88
	s_waitcnt lgkmcnt(15)
	v_add_f32_e32 v7, v19, v7
	v_min3_f32 v90, v172, v171, v90
	v_add_f32_e32 v6, v18, v6
	v_min3_f32 v87, v174, v173, v87
	s_waitcnt lgkmcnt(14)
	v_add_f32_e32 v169, v3, v23
	v_add_f32_e32 v170, v2, v22
	v_add_f32_e32 v171, v11, v23
	v_add_f32_e32 v172, v10, v22
	v_add_f32_e32 v173, v15, v23
	v_add_f32_e32 v174, v14, v22
	v_add_f32_e32 v23, v19, v23
	v_add_f32_e32 v22, v18, v22
	v_min3_f32 v6, v6, v7, v91
	v_min3_f32 v7, v170, v169, v94
	;; [unrolled: 1-line block ×5, first 2 shown]
	s_waitcnt lgkmcnt(13)
	v_add_f32_e32 v23, v3, v27
	v_add_f32_e32 v94, v2, v26
	;; [unrolled: 1-line block ×8, first 2 shown]
	s_waitcnt lgkmcnt(12)
	v_add_f32_e32 v171, v3, v31
	v_add_f32_e32 v172, v2, v30
	v_min3_f32 v23, v94, v23, v99
	v_min3_f32 v94, v98, v95, v100
	;; [unrolled: 1-line block ×5, first 2 shown]
	v_add_f32_e32 v98, v11, v31
	v_add_f32_e32 v99, v10, v30
	;; [unrolled: 1-line block ×6, first 2 shown]
	s_waitcnt lgkmcnt(11)
	v_add_f32_e32 v104, v3, v35
	v_add_f32_e32 v107, v2, v34
	;; [unrolled: 1-line block ×4, first 2 shown]
	v_min3_f32 v98, v99, v98, v108
	v_min3_f32 v99, v103, v100, v111
	;; [unrolled: 1-line block ×5, first 2 shown]
	v_add_f32_e32 v103, v15, v35
	v_add_f32_e32 v104, v14, v34
	v_add_f32_e32 v35, v19, v35
	v_add_f32_e32 v34, v18, v34
	s_waitcnt lgkmcnt(10)
	v_add_f32_e32 v107, v3, v39
	v_add_f32_e32 v108, v2, v38
	;; [unrolled: 1-line block ×6, first 2 shown]
	v_min3_f32 v103, v104, v103, v119
	v_min3_f32 v34, v34, v35, v120
	v_min3_f32 v35, v108, v107, v123
	v_min3_f32 v104, v112, v111, v124
	v_min3_f32 v107, v116, v115, v128
	v_add_f32_e32 v39, v19, v39
	v_add_f32_e32 v38, v18, v38
	s_waitcnt lgkmcnt(9)
	v_add_f32_e32 v108, v3, v43
	v_add_f32_e32 v111, v2, v42
	;; [unrolled: 1-line block ×8, first 2 shown]
	v_min3_f32 v38, v38, v39, v129
	v_min3_f32 v39, v111, v108, v131
	;; [unrolled: 1-line block ×5, first 2 shown]
	s_waitcnt lgkmcnt(8)
	v_add_f32_e32 v43, v3, v47
	v_add_f32_e32 v112, v2, v46
	;; [unrolled: 1-line block ×8, first 2 shown]
	s_waitcnt lgkmcnt(7)
	v_add_f32_e32 v123, v3, v51
	v_add_f32_e32 v124, v2, v50
	v_min3_f32 v43, v112, v43, v133
	v_min3_f32 v112, v116, v115, v122
	;; [unrolled: 1-line block ×5, first 2 shown]
	v_add_f32_e32 v116, v11, v51
	v_add_f32_e32 v119, v10, v50
	;; [unrolled: 1-line block ×6, first 2 shown]
	s_waitcnt lgkmcnt(6)
	v_add_f32_e32 v122, v3, v55
	v_add_f32_e32 v123, v2, v54
	;; [unrolled: 1-line block ×4, first 2 shown]
	v_min3_f32 v116, v119, v116, v118
	v_min3_f32 v117, v121, v120, v117
	;; [unrolled: 1-line block ×4, first 2 shown]
	v_add_f32_e32 v118, v15, v55
	v_add_f32_e32 v119, v14, v54
	;; [unrolled: 1-line block ×4, first 2 shown]
	s_waitcnt lgkmcnt(5)
	v_add_f32_e32 v120, v3, v59
	v_add_f32_e32 v121, v2, v58
	;; [unrolled: 1-line block ×4, first 2 shown]
	v_min3_f32 v114, v125, v124, v114
	v_add_f32_e32 v124, v15, v59
	v_add_f32_e32 v125, v14, v58
	v_min3_f32 v113, v119, v118, v113
	v_min3_f32 v54, v54, v55, v138
	;; [unrolled: 1-line block ×4, first 2 shown]
	v_add_f32_e32 v59, v19, v59
	v_add_f32_e32 v58, v18, v58
	s_waitcnt lgkmcnt(4)
	v_add_f32_e32 v118, v3, v63
	v_add_f32_e32 v119, v2, v62
	;; [unrolled: 1-line block ×8, first 2 shown]
	v_min3_f32 v58, v58, v59, v140
	v_min3_f32 v59, v119, v118, v141
	;; [unrolled: 1-line block ×3, first 2 shown]
	s_waitcnt lgkmcnt(3)
	v_add_f32_e32 v118, v2, v66
	v_min3_f32 v62, v62, v63, v142
	v_add_f32_e32 v63, v3, v67
	v_add_f32_e32 v119, v11, v67
	;; [unrolled: 1-line block ×3, first 2 shown]
	v_min3_f32 v109, v125, v124, v109
	v_min3_f32 v105, v123, v122, v105
	v_add_f32_e32 v121, v15, v67
	v_add_f32_e32 v122, v14, v66
	;; [unrolled: 1-line block ×4, first 2 shown]
	s_waitcnt lgkmcnt(2)
	v_add_f32_e32 v123, v3, v71
	v_add_f32_e32 v124, v2, v70
	v_min3_f32 v63, v118, v63, v143
	v_min3_f32 v102, v120, v119, v102
	v_add_f32_e32 v118, v11, v71
	v_add_f32_e32 v119, v10, v70
	v_min3_f32 v101, v122, v121, v101
	v_min3_f32 v66, v66, v67, v144
	;; [unrolled: 1-line block ×3, first 2 shown]
	v_add_f32_e32 v120, v15, v71
	v_add_f32_e32 v121, v14, v70
	s_waitcnt lgkmcnt(1)
	v_add_f32_e32 v122, v3, v75
	v_add_f32_e32 v123, v2, v74
	;; [unrolled: 1-line block ×4, first 2 shown]
	v_min3_f32 v97, v119, v118, v97
	v_add_f32_e32 v118, v15, v75
	v_add_f32_e32 v119, v14, v74
	;; [unrolled: 1-line block ×4, first 2 shown]
	s_waitcnt lgkmcnt(0)
	v_add_f32_e32 v3, v3, v79
	v_add_f32_e32 v2, v2, v78
	;; [unrolled: 1-line block ×8, first 2 shown]
	v_min3_f32 v74, v74, v75, v148
	v_min3_f32 v2, v2, v3, v149
	;; [unrolled: 1-line block ×4, first 2 shown]
	v_add_f32_e32 v11, v19, v79
	v_add_f32_e32 v14, v18, v78
	;; [unrolled: 1-line block ×10, first 2 shown]
	v_min3_f32 v11, v14, v11, v152
	v_min3_f32 v152, v18, v15, v88
	v_add_f32_e32 v14, v12, v24
	v_add_f32_e32 v15, v17, v25
	v_min3_f32 v150, v8, v9, v6
	v_add_f32_e32 v6, v5, v25
	v_add_f32_e32 v8, v4, v24
	;; [unrolled: 1-line block ×4, first 2 shown]
	v_min3_f32 v70, v70, v71, v146
	v_min3_f32 v71, v123, v122, v147
	;; [unrolled: 1-line block ×3, first 2 shown]
	v_add_f32_e32 v19, v21, v25
	v_add_f32_e32 v24, v20, v24
	v_add_f32_e32 v25, v5, v29
	v_add_f32_e32 v75, v4, v28
	v_min3_f32 v149, v8, v6, v7
	v_min3_f32 v148, v14, v9, v89
	v_min3_f32 v147, v18, v15, v91
	v_add_f32_e32 v6, v13, v29
	v_add_f32_e32 v7, v12, v28
	v_add_f32_e32 v8, v17, v29
	v_add_f32_e32 v9, v16, v28
	v_add_f32_e32 v14, v21, v29
	v_add_f32_e32 v15, v20, v28
	v_min3_f32 v146, v24, v19, v22
	v_min3_f32 v145, v75, v25, v23
	v_add_f32_e32 v18, v5, v33
	v_add_f32_e32 v19, v4, v32
	v_add_f32_e32 v22, v13, v33
	v_add_f32_e32 v23, v12, v32
	v_min3_f32 v144, v7, v6, v94
	v_min3_f32 v143, v9, v8, v95
	v_min3_f32 v142, v15, v14, v26
	v_add_f32_e32 v6, v17, v33
	v_add_f32_e32 v7, v16, v32
	v_add_f32_e32 v8, v21, v33
	v_add_f32_e32 v9, v20, v32
	v_add_f32_e32 v14, v5, v37
	v_add_f32_e32 v15, v4, v36
	v_min3_f32 v141, v19, v18, v27
	v_min3_f32 v140, v23, v22, v98
	v_add_f32_e32 v18, v13, v37
	v_add_f32_e32 v19, v12, v36
	v_add_f32_e32 v22, v17, v37
	v_add_f32_e32 v23, v16, v36
	v_min3_f32 v139, v7, v6, v99
	v_min3_f32 v138, v9, v8, v30
	v_min3_f32 v137, v15, v14, v31
	v_add_f32_e32 v6, v21, v37
	v_add_f32_e32 v7, v20, v36
	v_add_f32_e32 v8, v5, v41
	v_add_f32_e32 v9, v4, v40
	v_add_f32_e32 v14, v13, v41
	v_add_f32_e32 v15, v12, v40
	v_min3_f32 v136, v19, v18, v100
	v_min3_f32 v135, v23, v22, v103
	v_add_f32_e32 v18, v17, v41
	v_add_f32_e32 v19, v16, v40
	v_add_f32_e32 v22, v21, v41
	v_add_f32_e32 v23, v20, v40
	v_min3_f32 v134, v7, v6, v34
	v_min3_f32 v133, v9, v8, v35
	v_min3_f32 v132, v15, v14, v104
	v_add_f32_e32 v6, v5, v45
	v_add_f32_e32 v7, v4, v44
	v_add_f32_e32 v8, v13, v45
	v_add_f32_e32 v9, v12, v44
	v_add_f32_e32 v14, v17, v45
	v_add_f32_e32 v15, v16, v44
	v_min3_f32 v93, v125, v124, v93
	v_min3_f32 v131, v19, v18, v107
	v_min3_f32 v129, v23, v22, v38
	v_add_f32_e32 v18, v21, v45
	v_add_f32_e32 v19, v20, v44
	v_add_f32_e32 v22, v5, v49
	v_add_f32_e32 v23, v4, v48
	v_min3_f32 v128, v7, v6, v39
	v_min3_f32 v127, v9, v8, v108
	v_min3_f32 v125, v15, v14, v111
	v_add_f32_e32 v6, v13, v49
	v_add_f32_e32 v7, v12, v48
	v_add_f32_e32 v8, v17, v49
	v_add_f32_e32 v9, v16, v48
	v_add_f32_e32 v14, v21, v49
	v_add_f32_e32 v15, v20, v48
	v_min3_f32 v96, v121, v120, v96
	v_min3_f32 v124, v19, v18, v42
	v_min3_f32 v123, v23, v22, v43
	v_add_f32_e32 v18, v5, v53
	v_add_f32_e32 v19, v4, v52
	v_add_f32_e32 v22, v13, v53
	v_add_f32_e32 v23, v12, v52
	v_min3_f32 v122, v7, v6, v112
	v_min3_f32 v121, v9, v8, v115
	v_min3_f32 v120, v15, v14, v46
	v_add_f32_e32 v6, v17, v53
	v_add_f32_e32 v7, v16, v52
	v_add_f32_e32 v8, v21, v53
	v_add_f32_e32 v9, v20, v52
	v_add_f32_e32 v14, v5, v57
	v_add_f32_e32 v15, v4, v56
	v_min3_f32 v92, v119, v118, v92
	v_min3_f32 v119, v19, v18, v47
	;; [unrolled: 16-line block ×3, first 2 shown]
	v_add_f32_e32 v18, v17, v61
	v_add_f32_e32 v19, v16, v60
	v_add_f32_e32 v22, v21, v61
	v_add_f32_e32 v23, v20, v60
	v_min3_f32 v112, v7, v6, v54
	v_min3_f32 v111, v9, v8, v55
	v_min3_f32 v110, v15, v14, v110
	v_add_f32_e32 v6, v5, v65
	v_add_f32_e32 v7, v4, v64
	v_add_f32_e32 v8, v13, v65
	v_add_f32_e32 v9, v12, v64
	v_add_f32_e32 v14, v17, v65
	v_add_f32_e32 v15, v16, v64
	v_min3_f32 v109, v19, v18, v109
	v_min3_f32 v108, v23, v22, v58
	v_add_f32_e32 v18, v21, v65
	v_add_f32_e32 v19, v20, v64
	v_add_f32_e32 v22, v5, v69
	v_add_f32_e32 v23, v4, v68
	v_min3_f32 v107, v7, v6, v59
	v_min3_f32 v106, v9, v8, v106
	v_min3_f32 v105, v15, v14, v105
	v_add_f32_e32 v6, v13, v69
	v_add_f32_e32 v7, v12, v68
	v_add_f32_e32 v8, v17, v69
	v_add_f32_e32 v9, v16, v68
	v_add_f32_e32 v14, v21, v69
	v_add_f32_e32 v15, v20, v68
	v_min3_f32 v104, v19, v18, v62
	v_min3_f32 v103, v23, v22, v63
	;; [unrolled: 15-line block ×3, first 2 shown]
	v_add_f32_e32 v18, v13, v77
	v_add_f32_e32 v19, v12, v76
	;; [unrolled: 1-line block ×4, first 2 shown]
	v_min3_f32 v96, v7, v6, v96
	v_min3_f32 v95, v9, v8, v70
	;; [unrolled: 1-line block ×3, first 2 shown]
	v_add_f32_e32 v6, v21, v77
	v_add_f32_e32 v7, v20, v76
	;; [unrolled: 1-line block ×10, first 2 shown]
	v_add_co_ci_u32_e64 v160, null, 0, v160, s3
	v_add_co_u32 v161, s3, v161, 32
	v_add_co_ci_u32_e64 v162, null, 0, v162, s3
	v_add_co_u32 v163, s3, v163, 32
	v_min3_f32 v87, v79, v78, v87
	v_min3_f32 v93, v19, v18, v93
	v_min3_f32 v92, v23, v22, v92
	v_min3_f32 v91, v7, v6, v74
	v_min3_f32 v90, v4, v5, v2
	v_min3_f32 v89, v9, v8, v3
	v_min3_f32 v88, v13, v12, v10
	v_min3_f32 v98, v15, v14, v11
	v_add_co_ci_u32_e64 v164, null, 0, v164, s3
	s_add_i32 s19, s19, 8
	s_waitcnt vmcnt(0)
	ds_write2st64_b32 v154, v166, v165 offset1:4
	ds_write2st64_b32 v156, v168, v167 offset1:4
	s_cmp_ge_i32 s19, s18
	s_waitcnt lgkmcnt(0)
	s_barrier
	buffer_gl0_inv
	s_cbranch_scc1 .LBB64_42
.LBB64_26:                              ; =>This Inner Loop Header: Depth=1
	v_add_nc_u32_e32 v165, s19, v83
	v_mov_b32_e32 v166, 0x7f7fffff
	v_mov_b32_e32 v167, 0x7f7fffff
	v_add_nc_u32_e32 v2, 8, v165
	v_cmp_le_i32_e64 s3, s10, v2
	s_nor_b32 s6, vcc_lo, s3
	s_and_saveexec_b32 s20, s6
	s_cbranch_execz .LBB64_28
; %bb.27:                               ;   in Loop: Header=BB64_26 Depth=1
	v_add_co_u32 v2, s6, v161, v85
	v_add_co_ci_u32_e64 v3, null, 0, v162, s6
	global_load_dword v167, v[2:3], off offset:32
.LBB64_28:                              ;   in Loop: Header=BB64_26 Depth=1
	s_or_b32 exec_lo, exec_lo, s20
	s_nor_b32 s6, s0, s3
	s_and_saveexec_b32 s20, s6
	s_cbranch_execz .LBB64_30
; %bb.29:                               ;   in Loop: Header=BB64_26 Depth=1
	v_add_co_u32 v2, s6, v163, v85
	v_add_co_ci_u32_e64 v3, null, 0, v164, s6
	global_load_dword v166, v[2:3], off offset:32
.LBB64_30:                              ;   in Loop: Header=BB64_26 Depth=1
	s_or_b32 exec_lo, exec_lo, s20
	v_mov_b32_e32 v168, 0x7f7fffff
	v_mov_b32_e32 v169, 0x7f7fffff
	s_nor_b32 s6, s1, s3
	s_and_saveexec_b32 s20, s6
	s_cbranch_execz .LBB64_32
; %bb.31:                               ;   in Loop: Header=BB64_26 Depth=1
	v_add_co_u32 v2, s6, v126, v85
	v_add_co_ci_u32_e64 v3, null, 0, v130, s6
	global_load_dword v169, v[2:3], off offset:32
.LBB64_32:                              ;   in Loop: Header=BB64_26 Depth=1
	s_or_b32 exec_lo, exec_lo, s20
	s_nor_b32 s3, s2, s3
	s_and_saveexec_b32 s6, s3
	s_cbranch_execz .LBB64_34
; %bb.33:                               ;   in Loop: Header=BB64_26 Depth=1
	v_add_co_u32 v2, s3, v159, v85
	v_add_co_ci_u32_e64 v3, null, 0, v160, s3
	global_load_dword v168, v[2:3], off offset:32
.LBB64_34:                              ;   in Loop: Header=BB64_26 Depth=1
	s_or_b32 exec_lo, exec_lo, s6
	ds_read_b128 v[14:17], v157
	ds_read_b128 v[10:13], v157 offset:512
	ds_read_b128 v[6:9], v157 offset:1024
	;; [unrolled: 1-line block ×3, first 2 shown]
	ds_read_b128 v[78:81], v158
	ds_read_b128 v[74:77], v158 offset:128
	ds_read_b128 v[70:73], v158 offset:256
	;; [unrolled: 1-line block ×15, first 2 shown]
	v_add_nc_u32_e32 v165, 12, v165
	s_waitcnt vmcnt(0)
	ds_write2st64_b32 v86, v167, v166 offset1:4
	ds_write2st64_b32 v155, v169, v168 offset1:4
	v_mov_b32_e32 v166, 0x7f7fffff
	s_waitcnt lgkmcnt(0)
	s_barrier
	v_cmp_le_i32_e64 s3, s10, v165
	v_mov_b32_e32 v165, 0x7f7fffff
	buffer_gl0_inv
	s_nor_b32 s6, vcc_lo, s3
	s_and_saveexec_b32 s20, s6
	s_cbranch_execz .LBB64_36
; %bb.35:                               ;   in Loop: Header=BB64_26 Depth=1
	v_add_co_u32 v166, s6, v161, v85
	v_add_co_ci_u32_e64 v167, null, 0, v162, s6
	global_load_dword v166, v[166:167], off offset:48
.LBB64_36:                              ;   in Loop: Header=BB64_26 Depth=1
	s_or_b32 exec_lo, exec_lo, s20
	s_nor_b32 s6, s0, s3
	s_and_saveexec_b32 s20, s6
	s_cbranch_execz .LBB64_38
; %bb.37:                               ;   in Loop: Header=BB64_26 Depth=1
	v_add_co_u32 v167, s6, v163, v85
	v_add_co_ci_u32_e64 v168, null, 0, v164, s6
	global_load_dword v165, v[167:168], off offset:48
.LBB64_38:                              ;   in Loop: Header=BB64_26 Depth=1
	s_or_b32 exec_lo, exec_lo, s20
	v_mov_b32_e32 v167, 0x7f7fffff
	v_mov_b32_e32 v168, 0x7f7fffff
	s_nor_b32 s6, s1, s3
	s_and_saveexec_b32 s20, s6
	s_cbranch_execz .LBB64_40
; %bb.39:                               ;   in Loop: Header=BB64_26 Depth=1
	v_add_co_u32 v168, s6, v126, v85
	v_add_co_ci_u32_e64 v169, null, 0, v130, s6
	global_load_dword v168, v[168:169], off offset:48
.LBB64_40:                              ;   in Loop: Header=BB64_26 Depth=1
	s_or_b32 exec_lo, exec_lo, s20
	s_nor_b32 s3, s2, s3
	s_and_saveexec_b32 s6, s3
	s_cbranch_execz .LBB64_25
; %bb.41:                               ;   in Loop: Header=BB64_26 Depth=1
	v_add_co_u32 v169, s3, v159, v85
	v_add_co_ci_u32_e64 v170, null, 0, v160, s3
	global_load_dword v167, v[169:170], off offset:48
	s_branch .LBB64_25
.LBB64_42:
	s_clause 0x2
	s_load_dwordx2 s[0:1], s[4:5], 0x70
	s_load_dword s6, s[4:5], 0x50
	s_load_dword s5, s[4:5], 0x68
	ds_read_b128 v[18:21], v84 offset:2048
	ds_read_b128 v[14:17], v84 offset:2560
	;; [unrolled: 1-line block ×14, first 2 shown]
	v_add_nc_u32_e32 v130, s13, v1
	ds_read_b128 v[38:41], v82 offset:7424
	ds_read_b128 v[34:37], v82 offset:7552
	;; [unrolled: 1-line block ×6, first 2 shown]
	v_add_nc_u32_e32 v0, s12, v0
	v_cmp_gt_i32_e64 s4, s9, v130
	v_cndmask_b32_e64 v126, 0, 1, s22
	v_ashrrev_i32_e32 v1, 31, v0
	s_waitcnt lgkmcnt(0)
	s_mul_i32 s1, s1, s7
	v_mad_i64_i32 v[83:84], null, v130, s6, 0
	v_mad_i64_i32 v[85:86], null, v130, s5, 0
	s_mul_hi_u32 s2, s0, s7
	s_mul_i32 s0, s0, s7
	s_add_i32 s1, s2, s1
	s_lshl_b64 s[0:1], s[0:1], 2
	v_lshlrev_b64 v[82:83], 2, v[83:84]
	v_lshlrev_b64 v[84:85], 2, v[85:86]
	s_add_u32 s7, s14, s0
	s_addc_u32 s10, s15, s1
	v_cmp_gt_i32_e64 s0, s8, v0
	v_add_co_u32 v155, vcc_lo, s16, v82
	v_add_co_ci_u32_e64 v156, null, s17, v83, vcc_lo
	v_add_co_u32 v153, vcc_lo, s7, v84
	v_add_co_ci_u32_e64 v154, null, s10, v85, vcc_lo
	s_and_b32 s2, s0, s4
	s_and_saveexec_b32 s1, s2
	s_cbranch_execz .LBB64_48
; %bb.43:
	s_andn2_b32 vcc_lo, exec_lo, s22
	s_cbranch_vccnz .LBB64_46
; %bb.44:
	v_lshlrev_b64 v[82:83], 2, v[0:1]
	v_add_co_u32 v82, vcc_lo, v155, v82
	v_add_co_ci_u32_e64 v83, null, v156, v83, vcc_lo
	global_load_dword v82, v[82:83], off
	s_waitcnt vmcnt(0)
	v_mul_f32_e32 v82, s11, v82
	s_branch .LBB64_47
.LBB64_45:
	s_mov_b64 s[18:19], 0
	s_andn2_b32 vcc_lo, exec_lo, s11
	s_mov_b32 s0, -1
	s_cbranch_vccz .LBB64_2
	s_branch .LBB64_3
.LBB64_46:
	v_mov_b32_e32 v82, 0
.LBB64_47:
	v_add_f32_e32 v83, v19, v79
	v_add_f32_e32 v84, v18, v78
	;; [unrolled: 1-line block ×4, first 2 shown]
	v_min3_f32 v152, v84, v83, v152
	v_lshlrev_b64 v[83:84], 2, v[0:1]
	v_min_f32_e32 v85, v86, v85
	v_min3_f32 v85, v82, v85, v152
	v_add_co_u32 v82, vcc_lo, v153, v83
	v_add_co_ci_u32_e64 v83, null, v154, v84, vcc_lo
	global_store_dword v[82:83], v85, off
.LBB64_48:
	s_or_b32 exec_lo, exec_lo, s1
	v_add_nc_u32_e32 v82, 32, v0
	v_cmp_gt_i32_e64 s1, s8, v82
	v_ashrrev_i32_e32 v83, 31, v82
	s_and_b32 s3, s1, s4
	s_and_saveexec_b32 s2, s3
	s_cbranch_execz .LBB64_53
; %bb.49:
	v_cmp_ne_u32_e32 vcc_lo, 1, v126
	s_cbranch_vccnz .LBB64_51
; %bb.50:
	v_lshlrev_b64 v[84:85], 2, v[82:83]
	v_add_co_u32 v84, vcc_lo, v155, v84
	v_add_co_ci_u32_e64 v85, null, v156, v85, vcc_lo
	global_load_dword v84, v[84:85], off
	s_waitcnt vmcnt(0)
	v_mul_f32_e32 v84, s11, v84
	s_branch .LBB64_52
.LBB64_51:
	v_mov_b32_e32 v84, 0
.LBB64_52:
	v_add_f32_e32 v85, v15, v79
	v_add_f32_e32 v86, v14, v78
	v_add_f32_e32 v152, v17, v81
	v_add_f32_e32 v157, v16, v80
	v_min3_f32 v151, v86, v85, v151
	v_lshlrev_b64 v[85:86], 2, v[82:83]
	v_min_f32_e32 v152, v157, v152
	v_min3_f32 v151, v84, v152, v151
	v_add_co_u32 v84, vcc_lo, v153, v85
	v_add_co_ci_u32_e64 v85, null, v154, v86, vcc_lo
	global_store_dword v[84:85], v151, off
.LBB64_53:
	s_or_b32 exec_lo, exec_lo, s2
	v_add_nc_u32_e32 v84, 64, v0
	v_cmp_gt_i32_e64 s2, s8, v84
	v_ashrrev_i32_e32 v85, 31, v84
	s_and_b32 s12, s2, s4
	s_and_saveexec_b32 s3, s12
	s_cbranch_execz .LBB64_58
; %bb.54:
	v_cmp_ne_u32_e32 vcc_lo, 1, v126
	s_cbranch_vccnz .LBB64_56
; %bb.55:
	v_lshlrev_b64 v[151:152], 2, v[84:85]
	v_add_co_u32 v151, vcc_lo, v155, v151
	v_add_co_ci_u32_e64 v152, null, v156, v152, vcc_lo
	global_load_dword v86, v[151:152], off
	s_waitcnt vmcnt(0)
	v_mul_f32_e32 v86, s11, v86
	s_branch .LBB64_57
.LBB64_56:
	v_mov_b32_e32 v86, 0
.LBB64_57:
	v_add_f32_e32 v151, v11, v79
	v_add_f32_e32 v152, v10, v78
	v_add_f32_e32 v157, v13, v81
	v_add_f32_e32 v158, v12, v80
	v_min3_f32 v87, v152, v151, v87
	v_lshlrev_b64 v[151:152], 2, v[84:85]
	v_min_f32_e32 v157, v158, v157
	v_min3_f32 v157, v86, v157, v87
	v_add_co_u32 v86, vcc_lo, v153, v151
	v_add_co_ci_u32_e64 v87, null, v154, v152, vcc_lo
	global_store_dword v[86:87], v157, off
.LBB64_58:
	;; [unrolled: 33-line block ×3, first 2 shown]
	s_or_b32 exec_lo, exec_lo, s4
	v_add_nc_u32_e32 v150, 8, v130
	v_mad_i64_i32 v[78:79], null, v150, s6, 0
	v_mad_i64_i32 v[80:81], null, v150, s5, 0
	v_cmp_gt_i32_e64 s4, s9, v150
	v_lshlrev_b64 v[78:79], 2, v[78:79]
	s_and_b32 s12, s0, s4
	v_lshlrev_b64 v[150:151], 2, v[80:81]
	v_add_co_u32 v80, vcc_lo, s16, v78
	v_add_co_ci_u32_e64 v81, null, s17, v79, vcc_lo
	v_add_co_u32 v78, vcc_lo, s7, v150
	v_add_co_ci_u32_e64 v79, null, s10, v151, vcc_lo
	s_and_saveexec_b32 s8, s12
	s_cbranch_execnz .LBB64_67
; %bb.64:
	s_or_b32 exec_lo, exec_lo, s8
	s_and_b32 s12, s1, s4
	s_and_saveexec_b32 s8, s12
	s_cbranch_execnz .LBB64_71
.LBB64_65:
	s_or_b32 exec_lo, exec_lo, s8
	s_and_b32 s12, s2, s4
	s_and_saveexec_b32 s8, s12
	s_cbranch_execnz .LBB64_75
.LBB64_66:
	s_or_b32 exec_lo, exec_lo, s8
	s_and_b32 s8, s3, s4
	s_and_saveexec_b32 s4, s8
	s_cbranch_execnz .LBB64_79
	s_branch .LBB64_83
.LBB64_67:
	v_cmp_ne_u32_e32 vcc_lo, 1, v126
	s_cbranch_vccnz .LBB64_69
; %bb.68:
	v_lshlrev_b64 v[150:151], 2, v[0:1]
	v_add_co_u32 v150, vcc_lo, v80, v150
	v_add_co_ci_u32_e64 v151, null, v81, v151, vcc_lo
	global_load_dword v150, v[150:151], off
	s_waitcnt vmcnt(0)
	v_mul_f32_e32 v150, s11, v150
	s_branch .LBB64_70
.LBB64_69:
	v_mov_b32_e32 v150, 0
.LBB64_70:
	v_add_f32_e32 v151, v19, v75
	v_add_f32_e32 v152, v18, v74
	;; [unrolled: 1-line block ×4, first 2 shown]
	v_min3_f32 v149, v152, v151, v149
	v_lshlrev_b64 v[151:152], 2, v[0:1]
	v_min_f32_e32 v153, v154, v153
	v_min3_f32 v153, v150, v153, v149
	v_add_co_u32 v149, vcc_lo, v78, v151
	v_add_co_ci_u32_e64 v150, null, v79, v152, vcc_lo
	global_store_dword v[149:150], v153, off
	s_or_b32 exec_lo, exec_lo, s8
	s_and_b32 s12, s1, s4
	s_and_saveexec_b32 s8, s12
	s_cbranch_execz .LBB64_65
.LBB64_71:
	v_cmp_ne_u32_e32 vcc_lo, 1, v126
	s_cbranch_vccnz .LBB64_73
; %bb.72:
	v_lshlrev_b64 v[149:150], 2, v[82:83]
	v_add_co_u32 v149, vcc_lo, v80, v149
	v_add_co_ci_u32_e64 v150, null, v81, v150, vcc_lo
	global_load_dword v149, v[149:150], off
	s_waitcnt vmcnt(0)
	v_mul_f32_e32 v149, s11, v149
	s_branch .LBB64_74
.LBB64_73:
	v_mov_b32_e32 v149, 0
.LBB64_74:
	v_add_f32_e32 v150, v15, v75
	v_add_f32_e32 v151, v14, v74
	;; [unrolled: 1-line block ×4, first 2 shown]
	v_min3_f32 v148, v151, v150, v148
	v_lshlrev_b64 v[150:151], 2, v[82:83]
	v_min_f32_e32 v152, v153, v152
	v_min3_f32 v152, v149, v152, v148
	v_add_co_u32 v148, vcc_lo, v78, v150
	v_add_co_ci_u32_e64 v149, null, v79, v151, vcc_lo
	global_store_dword v[148:149], v152, off
	s_or_b32 exec_lo, exec_lo, s8
	s_and_b32 s12, s2, s4
	s_and_saveexec_b32 s8, s12
	s_cbranch_execz .LBB64_66
.LBB64_75:
	v_cmp_ne_u32_e32 vcc_lo, 1, v126
	s_cbranch_vccnz .LBB64_77
; %bb.76:
	v_lshlrev_b64 v[148:149], 2, v[84:85]
	v_add_co_u32 v148, vcc_lo, v80, v148
	v_add_co_ci_u32_e64 v149, null, v81, v149, vcc_lo
	global_load_dword v148, v[148:149], off
	s_waitcnt vmcnt(0)
	v_mul_f32_e32 v148, s11, v148
	s_branch .LBB64_78
.LBB64_77:
	v_mov_b32_e32 v148, 0
.LBB64_78:
	v_add_f32_e32 v149, v11, v75
	v_add_f32_e32 v150, v10, v74
	;; [unrolled: 1-line block ×4, first 2 shown]
	v_min3_f32 v147, v150, v149, v147
	v_lshlrev_b64 v[149:150], 2, v[84:85]
	v_min_f32_e32 v151, v152, v151
	v_min3_f32 v151, v148, v151, v147
	v_add_co_u32 v147, vcc_lo, v78, v149
	v_add_co_ci_u32_e64 v148, null, v79, v150, vcc_lo
	global_store_dword v[147:148], v151, off
	s_or_b32 exec_lo, exec_lo, s8
	s_and_b32 s8, s3, s4
	s_and_saveexec_b32 s4, s8
	s_cbranch_execz .LBB64_83
.LBB64_79:
	v_cmp_ne_u32_e32 vcc_lo, 1, v126
	s_cbranch_vccnz .LBB64_81
; %bb.80:
	v_lshlrev_b64 v[147:148], 2, v[86:87]
	v_add_co_u32 v80, vcc_lo, v80, v147
	v_add_co_ci_u32_e64 v81, null, v81, v148, vcc_lo
	global_load_dword v80, v[80:81], off
	s_waitcnt vmcnt(0)
	v_mul_f32_e32 v80, s11, v80
	s_branch .LBB64_82
.LBB64_81:
	v_mov_b32_e32 v80, 0
.LBB64_82:
	v_add_f32_e32 v75, v3, v75
	v_add_f32_e32 v74, v2, v74
	;; [unrolled: 1-line block ×4, first 2 shown]
	v_min3_f32 v81, v74, v75, v146
	v_lshlrev_b64 v[74:75], 2, v[86:87]
	v_min_f32_e32 v76, v76, v77
	v_min3_f32 v76, v80, v76, v81
	v_add_co_u32 v74, vcc_lo, v78, v74
	v_add_co_ci_u32_e64 v75, null, v79, v75, vcc_lo
	global_store_dword v[74:75], v76, off
.LBB64_83:
	s_or_b32 exec_lo, exec_lo, s4
	v_add_nc_u32_e32 v78, 16, v130
	v_mad_i64_i32 v[74:75], null, v78, s6, 0
	v_mad_i64_i32 v[76:77], null, v78, s5, 0
	v_cmp_gt_i32_e64 s4, s9, v78
	v_lshlrev_b64 v[74:75], 2, v[74:75]
	s_and_b32 s12, s0, s4
	v_lshlrev_b64 v[78:79], 2, v[76:77]
	v_add_co_u32 v76, vcc_lo, s16, v74
	v_add_co_ci_u32_e64 v77, null, s17, v75, vcc_lo
	v_add_co_u32 v74, vcc_lo, s7, v78
	v_add_co_ci_u32_e64 v75, null, s10, v79, vcc_lo
	s_and_saveexec_b32 s8, s12
	s_cbranch_execnz .LBB64_87
; %bb.84:
	s_or_b32 exec_lo, exec_lo, s8
	s_and_b32 s12, s1, s4
	s_and_saveexec_b32 s8, s12
	s_cbranch_execnz .LBB64_91
.LBB64_85:
	s_or_b32 exec_lo, exec_lo, s8
	s_and_b32 s12, s2, s4
	s_and_saveexec_b32 s8, s12
	s_cbranch_execnz .LBB64_95
.LBB64_86:
	s_or_b32 exec_lo, exec_lo, s8
	s_and_b32 s8, s3, s4
	s_and_saveexec_b32 s4, s8
	s_cbranch_execnz .LBB64_99
	s_branch .LBB64_103
.LBB64_87:
	v_cmp_ne_u32_e32 vcc_lo, 1, v126
	s_cbranch_vccnz .LBB64_89
; %bb.88:
	v_lshlrev_b64 v[78:79], 2, v[0:1]
	v_add_co_u32 v78, vcc_lo, v76, v78
	v_add_co_ci_u32_e64 v79, null, v77, v79, vcc_lo
	global_load_dword v78, v[78:79], off
	s_waitcnt vmcnt(0)
	v_mul_f32_e32 v78, s11, v78
	s_branch .LBB64_90
.LBB64_89:
	v_mov_b32_e32 v78, 0
.LBB64_90:
	v_add_f32_e32 v79, v19, v71
	v_add_f32_e32 v80, v18, v70
	;; [unrolled: 1-line block ×4, first 2 shown]
	v_min3_f32 v145, v80, v79, v145
	v_lshlrev_b64 v[79:80], 2, v[0:1]
	v_min_f32_e32 v81, v146, v81
	v_min3_f32 v81, v78, v81, v145
	v_add_co_u32 v78, vcc_lo, v74, v79
	v_add_co_ci_u32_e64 v79, null, v75, v80, vcc_lo
	global_store_dword v[78:79], v81, off
	s_or_b32 exec_lo, exec_lo, s8
	s_and_b32 s12, s1, s4
	s_and_saveexec_b32 s8, s12
	s_cbranch_execz .LBB64_85
.LBB64_91:
	v_cmp_ne_u32_e32 vcc_lo, 1, v126
	s_cbranch_vccnz .LBB64_93
; %bb.92:
	v_lshlrev_b64 v[78:79], 2, v[82:83]
	v_add_co_u32 v78, vcc_lo, v76, v78
	v_add_co_ci_u32_e64 v79, null, v77, v79, vcc_lo
	global_load_dword v78, v[78:79], off
	s_waitcnt vmcnt(0)
	v_mul_f32_e32 v78, s11, v78
	s_branch .LBB64_94
.LBB64_93:
	v_mov_b32_e32 v78, 0
.LBB64_94:
	v_add_f32_e32 v79, v15, v71
	v_add_f32_e32 v80, v14, v70
	;; [unrolled: 1-line block ×4, first 2 shown]
	v_min3_f32 v144, v80, v79, v144
	v_lshlrev_b64 v[79:80], 2, v[82:83]
	v_min_f32_e32 v81, v145, v81
	v_min3_f32 v81, v78, v81, v144
	v_add_co_u32 v78, vcc_lo, v74, v79
	v_add_co_ci_u32_e64 v79, null, v75, v80, vcc_lo
	global_store_dword v[78:79], v81, off
	s_or_b32 exec_lo, exec_lo, s8
	s_and_b32 s12, s2, s4
	s_and_saveexec_b32 s8, s12
	s_cbranch_execz .LBB64_86
.LBB64_95:
	v_cmp_ne_u32_e32 vcc_lo, 1, v126
	s_cbranch_vccnz .LBB64_97
; %bb.96:
	v_lshlrev_b64 v[78:79], 2, v[84:85]
	v_add_co_u32 v78, vcc_lo, v76, v78
	v_add_co_ci_u32_e64 v79, null, v77, v79, vcc_lo
	global_load_dword v78, v[78:79], off
	s_waitcnt vmcnt(0)
	v_mul_f32_e32 v78, s11, v78
	s_branch .LBB64_98
.LBB64_97:
	v_mov_b32_e32 v78, 0
.LBB64_98:
	v_add_f32_e32 v79, v11, v71
	v_add_f32_e32 v80, v10, v70
	;; [unrolled: 1-line block ×4, first 2 shown]
	v_min3_f32 v143, v80, v79, v143
	v_lshlrev_b64 v[79:80], 2, v[84:85]
	v_min_f32_e32 v81, v144, v81
	v_min3_f32 v81, v78, v81, v143
	v_add_co_u32 v78, vcc_lo, v74, v79
	v_add_co_ci_u32_e64 v79, null, v75, v80, vcc_lo
	global_store_dword v[78:79], v81, off
	s_or_b32 exec_lo, exec_lo, s8
	s_and_b32 s8, s3, s4
	s_and_saveexec_b32 s4, s8
	s_cbranch_execz .LBB64_103
.LBB64_99:
	v_cmp_ne_u32_e32 vcc_lo, 1, v126
	s_cbranch_vccnz .LBB64_101
; %bb.100:
	v_lshlrev_b64 v[78:79], 2, v[86:87]
	v_add_co_u32 v76, vcc_lo, v76, v78
	v_add_co_ci_u32_e64 v77, null, v77, v79, vcc_lo
	global_load_dword v76, v[76:77], off
	s_waitcnt vmcnt(0)
	v_mul_f32_e32 v76, s11, v76
	s_branch .LBB64_102
.LBB64_101:
	v_mov_b32_e32 v76, 0
.LBB64_102:
	v_add_f32_e32 v71, v3, v71
	v_add_f32_e32 v70, v2, v70
	;; [unrolled: 1-line block ×4, first 2 shown]
	v_min3_f32 v77, v70, v71, v142
	v_lshlrev_b64 v[70:71], 2, v[86:87]
	v_min_f32_e32 v72, v72, v73
	v_min3_f32 v72, v76, v72, v77
	v_add_co_u32 v70, vcc_lo, v74, v70
	v_add_co_ci_u32_e64 v71, null, v75, v71, vcc_lo
	global_store_dword v[70:71], v72, off
.LBB64_103:
	s_or_b32 exec_lo, exec_lo, s4
	v_add_nc_u32_e32 v74, 24, v130
	v_mad_i64_i32 v[70:71], null, v74, s6, 0
	v_mad_i64_i32 v[72:73], null, v74, s5, 0
	v_cmp_gt_i32_e64 s4, s9, v74
	v_lshlrev_b64 v[70:71], 2, v[70:71]
	s_and_b32 s12, s0, s4
	v_lshlrev_b64 v[74:75], 2, v[72:73]
	v_add_co_u32 v72, vcc_lo, s16, v70
	v_add_co_ci_u32_e64 v73, null, s17, v71, vcc_lo
	v_add_co_u32 v70, vcc_lo, s7, v74
	v_add_co_ci_u32_e64 v71, null, s10, v75, vcc_lo
	s_and_saveexec_b32 s8, s12
	s_cbranch_execnz .LBB64_107
; %bb.104:
	s_or_b32 exec_lo, exec_lo, s8
	s_and_b32 s12, s1, s4
	s_and_saveexec_b32 s8, s12
	s_cbranch_execnz .LBB64_111
.LBB64_105:
	s_or_b32 exec_lo, exec_lo, s8
	s_and_b32 s12, s2, s4
	s_and_saveexec_b32 s8, s12
	s_cbranch_execnz .LBB64_115
.LBB64_106:
	s_or_b32 exec_lo, exec_lo, s8
	s_and_b32 s8, s3, s4
	s_and_saveexec_b32 s4, s8
	s_cbranch_execnz .LBB64_119
	s_branch .LBB64_123
.LBB64_107:
	v_cmp_ne_u32_e32 vcc_lo, 1, v126
	s_cbranch_vccnz .LBB64_109
; %bb.108:
	v_lshlrev_b64 v[74:75], 2, v[0:1]
	v_add_co_u32 v74, vcc_lo, v72, v74
	v_add_co_ci_u32_e64 v75, null, v73, v75, vcc_lo
	global_load_dword v74, v[74:75], off
	s_waitcnt vmcnt(0)
	v_mul_f32_e32 v74, s11, v74
	s_branch .LBB64_110
.LBB64_109:
	v_mov_b32_e32 v74, 0
.LBB64_110:
	v_add_f32_e32 v75, v19, v67
	v_add_f32_e32 v76, v18, v66
	;; [unrolled: 1-line block ×4, first 2 shown]
	v_min3_f32 v79, v76, v75, v141
	v_lshlrev_b64 v[75:76], 2, v[0:1]
	v_min_f32_e32 v77, v78, v77
	v_min3_f32 v77, v74, v77, v79
	v_add_co_u32 v74, vcc_lo, v70, v75
	v_add_co_ci_u32_e64 v75, null, v71, v76, vcc_lo
	global_store_dword v[74:75], v77, off
	s_or_b32 exec_lo, exec_lo, s8
	s_and_b32 s12, s1, s4
	s_and_saveexec_b32 s8, s12
	s_cbranch_execz .LBB64_105
.LBB64_111:
	v_cmp_ne_u32_e32 vcc_lo, 1, v126
	s_cbranch_vccnz .LBB64_113
; %bb.112:
	v_lshlrev_b64 v[74:75], 2, v[82:83]
	v_add_co_u32 v74, vcc_lo, v72, v74
	v_add_co_ci_u32_e64 v75, null, v73, v75, vcc_lo
	global_load_dword v74, v[74:75], off
	s_waitcnt vmcnt(0)
	v_mul_f32_e32 v74, s11, v74
	s_branch .LBB64_114
.LBB64_113:
	v_mov_b32_e32 v74, 0
.LBB64_114:
	v_add_f32_e32 v75, v15, v67
	v_add_f32_e32 v76, v14, v66
	;; [unrolled: 1-line block ×4, first 2 shown]
	v_min3_f32 v79, v76, v75, v140
	v_lshlrev_b64 v[75:76], 2, v[82:83]
	v_min_f32_e32 v77, v78, v77
	v_min3_f32 v77, v74, v77, v79
	v_add_co_u32 v74, vcc_lo, v70, v75
	v_add_co_ci_u32_e64 v75, null, v71, v76, vcc_lo
	global_store_dword v[74:75], v77, off
	s_or_b32 exec_lo, exec_lo, s8
	s_and_b32 s12, s2, s4
	s_and_saveexec_b32 s8, s12
	s_cbranch_execz .LBB64_106
.LBB64_115:
	v_cmp_ne_u32_e32 vcc_lo, 1, v126
	s_cbranch_vccnz .LBB64_117
; %bb.116:
	v_lshlrev_b64 v[74:75], 2, v[84:85]
	v_add_co_u32 v74, vcc_lo, v72, v74
	v_add_co_ci_u32_e64 v75, null, v73, v75, vcc_lo
	global_load_dword v74, v[74:75], off
	s_waitcnt vmcnt(0)
	v_mul_f32_e32 v74, s11, v74
	s_branch .LBB64_118
.LBB64_117:
	v_mov_b32_e32 v74, 0
.LBB64_118:
	v_add_f32_e32 v75, v11, v67
	v_add_f32_e32 v76, v10, v66
	;; [unrolled: 1-line block ×4, first 2 shown]
	v_min3_f32 v79, v76, v75, v139
	v_lshlrev_b64 v[75:76], 2, v[84:85]
	v_min_f32_e32 v77, v78, v77
	v_min3_f32 v77, v74, v77, v79
	v_add_co_u32 v74, vcc_lo, v70, v75
	v_add_co_ci_u32_e64 v75, null, v71, v76, vcc_lo
	global_store_dword v[74:75], v77, off
	s_or_b32 exec_lo, exec_lo, s8
	s_and_b32 s8, s3, s4
	s_and_saveexec_b32 s4, s8
	s_cbranch_execz .LBB64_123
.LBB64_119:
	v_cmp_ne_u32_e32 vcc_lo, 1, v126
	s_cbranch_vccnz .LBB64_121
; %bb.120:
	v_lshlrev_b64 v[74:75], 2, v[86:87]
	v_add_co_u32 v72, vcc_lo, v72, v74
	v_add_co_ci_u32_e64 v73, null, v73, v75, vcc_lo
	global_load_dword v72, v[72:73], off
	s_waitcnt vmcnt(0)
	v_mul_f32_e32 v72, s11, v72
	s_branch .LBB64_122
.LBB64_121:
	v_mov_b32_e32 v72, 0
.LBB64_122:
	v_add_f32_e32 v67, v3, v67
	v_add_f32_e32 v66, v2, v66
	;; [unrolled: 1-line block ×4, first 2 shown]
	v_min3_f32 v73, v66, v67, v138
	v_lshlrev_b64 v[66:67], 2, v[86:87]
	v_min_f32_e32 v68, v68, v69
	v_min3_f32 v68, v72, v68, v73
	v_add_co_u32 v66, vcc_lo, v70, v66
	v_add_co_ci_u32_e64 v67, null, v71, v67, vcc_lo
	global_store_dword v[66:67], v68, off
.LBB64_123:
	s_or_b32 exec_lo, exec_lo, s4
	v_add_nc_u32_e32 v70, 32, v130
	v_mad_i64_i32 v[66:67], null, v70, s6, 0
	v_mad_i64_i32 v[68:69], null, v70, s5, 0
	v_cmp_gt_i32_e64 s4, s9, v70
	v_lshlrev_b64 v[66:67], 2, v[66:67]
	s_and_b32 s12, s0, s4
	v_lshlrev_b64 v[70:71], 2, v[68:69]
	v_add_co_u32 v68, vcc_lo, s16, v66
	v_add_co_ci_u32_e64 v69, null, s17, v67, vcc_lo
	v_add_co_u32 v66, vcc_lo, s7, v70
	v_add_co_ci_u32_e64 v67, null, s10, v71, vcc_lo
	s_and_saveexec_b32 s8, s12
	s_cbranch_execnz .LBB64_127
; %bb.124:
	s_or_b32 exec_lo, exec_lo, s8
	s_and_b32 s12, s1, s4
	s_and_saveexec_b32 s8, s12
	s_cbranch_execnz .LBB64_131
.LBB64_125:
	s_or_b32 exec_lo, exec_lo, s8
	s_and_b32 s12, s2, s4
	s_and_saveexec_b32 s8, s12
	s_cbranch_execnz .LBB64_135
.LBB64_126:
	s_or_b32 exec_lo, exec_lo, s8
	s_and_b32 s8, s3, s4
	s_and_saveexec_b32 s4, s8
	s_cbranch_execnz .LBB64_139
	s_branch .LBB64_143
.LBB64_127:
	v_cmp_ne_u32_e32 vcc_lo, 1, v126
	s_cbranch_vccnz .LBB64_129
; %bb.128:
	v_lshlrev_b64 v[70:71], 2, v[0:1]
	v_add_co_u32 v70, vcc_lo, v68, v70
	v_add_co_ci_u32_e64 v71, null, v69, v71, vcc_lo
	global_load_dword v70, v[70:71], off
	s_waitcnt vmcnt(0)
	v_mul_f32_e32 v70, s11, v70
	s_branch .LBB64_130
.LBB64_129:
	v_mov_b32_e32 v70, 0
.LBB64_130:
	v_add_f32_e32 v71, v19, v63
	v_add_f32_e32 v72, v18, v62
	;; [unrolled: 1-line block ×4, first 2 shown]
	v_min3_f32 v75, v72, v71, v137
	v_lshlrev_b64 v[71:72], 2, v[0:1]
	v_min_f32_e32 v73, v74, v73
	v_min3_f32 v73, v70, v73, v75
	v_add_co_u32 v70, vcc_lo, v66, v71
	v_add_co_ci_u32_e64 v71, null, v67, v72, vcc_lo
	global_store_dword v[70:71], v73, off
	s_or_b32 exec_lo, exec_lo, s8
	s_and_b32 s12, s1, s4
	s_and_saveexec_b32 s8, s12
	s_cbranch_execz .LBB64_125
.LBB64_131:
	v_cmp_ne_u32_e32 vcc_lo, 1, v126
	s_cbranch_vccnz .LBB64_133
; %bb.132:
	v_lshlrev_b64 v[70:71], 2, v[82:83]
	v_add_co_u32 v70, vcc_lo, v68, v70
	v_add_co_ci_u32_e64 v71, null, v69, v71, vcc_lo
	global_load_dword v70, v[70:71], off
	s_waitcnt vmcnt(0)
	v_mul_f32_e32 v70, s11, v70
	s_branch .LBB64_134
.LBB64_133:
	v_mov_b32_e32 v70, 0
.LBB64_134:
	v_add_f32_e32 v71, v15, v63
	v_add_f32_e32 v72, v14, v62
	;; [unrolled: 1-line block ×4, first 2 shown]
	v_min3_f32 v75, v72, v71, v136
	v_lshlrev_b64 v[71:72], 2, v[82:83]
	v_min_f32_e32 v73, v74, v73
	v_min3_f32 v73, v70, v73, v75
	v_add_co_u32 v70, vcc_lo, v66, v71
	v_add_co_ci_u32_e64 v71, null, v67, v72, vcc_lo
	global_store_dword v[70:71], v73, off
	s_or_b32 exec_lo, exec_lo, s8
	s_and_b32 s12, s2, s4
	s_and_saveexec_b32 s8, s12
	s_cbranch_execz .LBB64_126
.LBB64_135:
	v_cmp_ne_u32_e32 vcc_lo, 1, v126
	s_cbranch_vccnz .LBB64_137
; %bb.136:
	v_lshlrev_b64 v[70:71], 2, v[84:85]
	v_add_co_u32 v70, vcc_lo, v68, v70
	v_add_co_ci_u32_e64 v71, null, v69, v71, vcc_lo
	global_load_dword v70, v[70:71], off
	s_waitcnt vmcnt(0)
	v_mul_f32_e32 v70, s11, v70
	s_branch .LBB64_138
.LBB64_137:
	v_mov_b32_e32 v70, 0
.LBB64_138:
	v_add_f32_e32 v71, v11, v63
	v_add_f32_e32 v72, v10, v62
	v_add_f32_e32 v73, v13, v65
	v_add_f32_e32 v74, v12, v64
	v_min3_f32 v75, v72, v71, v135
	v_lshlrev_b64 v[71:72], 2, v[84:85]
	v_min_f32_e32 v73, v74, v73
	v_min3_f32 v73, v70, v73, v75
	v_add_co_u32 v70, vcc_lo, v66, v71
	v_add_co_ci_u32_e64 v71, null, v67, v72, vcc_lo
	global_store_dword v[70:71], v73, off
	s_or_b32 exec_lo, exec_lo, s8
	s_and_b32 s8, s3, s4
	s_and_saveexec_b32 s4, s8
	s_cbranch_execz .LBB64_143
.LBB64_139:
	v_cmp_ne_u32_e32 vcc_lo, 1, v126
	s_cbranch_vccnz .LBB64_141
; %bb.140:
	v_lshlrev_b64 v[70:71], 2, v[86:87]
	v_add_co_u32 v68, vcc_lo, v68, v70
	v_add_co_ci_u32_e64 v69, null, v69, v71, vcc_lo
	global_load_dword v68, v[68:69], off
	s_waitcnt vmcnt(0)
	v_mul_f32_e32 v68, s11, v68
	s_branch .LBB64_142
.LBB64_141:
	v_mov_b32_e32 v68, 0
.LBB64_142:
	v_add_f32_e32 v63, v3, v63
	v_add_f32_e32 v62, v2, v62
	;; [unrolled: 1-line block ×4, first 2 shown]
	v_min3_f32 v69, v62, v63, v134
	v_lshlrev_b64 v[62:63], 2, v[86:87]
	v_min_f32_e32 v64, v64, v65
	v_min3_f32 v64, v68, v64, v69
	v_add_co_u32 v62, vcc_lo, v66, v62
	v_add_co_ci_u32_e64 v63, null, v67, v63, vcc_lo
	global_store_dword v[62:63], v64, off
.LBB64_143:
	s_or_b32 exec_lo, exec_lo, s4
	v_add_nc_u32_e32 v66, 40, v130
	v_mad_i64_i32 v[62:63], null, v66, s6, 0
	v_mad_i64_i32 v[64:65], null, v66, s5, 0
	v_cmp_gt_i32_e64 s4, s9, v66
	v_lshlrev_b64 v[62:63], 2, v[62:63]
	s_and_b32 s12, s0, s4
	v_lshlrev_b64 v[66:67], 2, v[64:65]
	v_add_co_u32 v64, vcc_lo, s16, v62
	v_add_co_ci_u32_e64 v65, null, s17, v63, vcc_lo
	v_add_co_u32 v62, vcc_lo, s7, v66
	v_add_co_ci_u32_e64 v63, null, s10, v67, vcc_lo
	s_and_saveexec_b32 s8, s12
	s_cbranch_execnz .LBB64_147
; %bb.144:
	s_or_b32 exec_lo, exec_lo, s8
	s_and_b32 s12, s1, s4
	s_and_saveexec_b32 s8, s12
	s_cbranch_execnz .LBB64_151
.LBB64_145:
	s_or_b32 exec_lo, exec_lo, s8
	s_and_b32 s12, s2, s4
	s_and_saveexec_b32 s8, s12
	s_cbranch_execnz .LBB64_155
.LBB64_146:
	s_or_b32 exec_lo, exec_lo, s8
	s_and_b32 s8, s3, s4
	s_and_saveexec_b32 s4, s8
	s_cbranch_execnz .LBB64_159
	s_branch .LBB64_163
.LBB64_147:
	v_cmp_ne_u32_e32 vcc_lo, 1, v126
	s_cbranch_vccnz .LBB64_149
; %bb.148:
	v_lshlrev_b64 v[66:67], 2, v[0:1]
	v_add_co_u32 v66, vcc_lo, v64, v66
	v_add_co_ci_u32_e64 v67, null, v65, v67, vcc_lo
	global_load_dword v66, v[66:67], off
	s_waitcnt vmcnt(0)
	v_mul_f32_e32 v66, s11, v66
	s_branch .LBB64_150
.LBB64_149:
	v_mov_b32_e32 v66, 0
.LBB64_150:
	v_add_f32_e32 v67, v19, v59
	v_add_f32_e32 v68, v18, v58
	;; [unrolled: 1-line block ×4, first 2 shown]
	v_min3_f32 v71, v68, v67, v133
	v_lshlrev_b64 v[67:68], 2, v[0:1]
	v_min_f32_e32 v69, v70, v69
	v_min3_f32 v69, v66, v69, v71
	v_add_co_u32 v66, vcc_lo, v62, v67
	v_add_co_ci_u32_e64 v67, null, v63, v68, vcc_lo
	global_store_dword v[66:67], v69, off
	s_or_b32 exec_lo, exec_lo, s8
	s_and_b32 s12, s1, s4
	s_and_saveexec_b32 s8, s12
	s_cbranch_execz .LBB64_145
.LBB64_151:
	v_cmp_ne_u32_e32 vcc_lo, 1, v126
	s_cbranch_vccnz .LBB64_153
; %bb.152:
	v_lshlrev_b64 v[66:67], 2, v[82:83]
	v_add_co_u32 v66, vcc_lo, v64, v66
	v_add_co_ci_u32_e64 v67, null, v65, v67, vcc_lo
	global_load_dword v66, v[66:67], off
	s_waitcnt vmcnt(0)
	v_mul_f32_e32 v66, s11, v66
	s_branch .LBB64_154
.LBB64_153:
	v_mov_b32_e32 v66, 0
.LBB64_154:
	v_add_f32_e32 v67, v15, v59
	v_add_f32_e32 v68, v14, v58
	;; [unrolled: 1-line block ×4, first 2 shown]
	v_min3_f32 v71, v68, v67, v132
	v_lshlrev_b64 v[67:68], 2, v[82:83]
	v_min_f32_e32 v69, v70, v69
	v_min3_f32 v69, v66, v69, v71
	v_add_co_u32 v66, vcc_lo, v62, v67
	v_add_co_ci_u32_e64 v67, null, v63, v68, vcc_lo
	global_store_dword v[66:67], v69, off
	s_or_b32 exec_lo, exec_lo, s8
	s_and_b32 s12, s2, s4
	s_and_saveexec_b32 s8, s12
	s_cbranch_execz .LBB64_146
.LBB64_155:
	v_cmp_ne_u32_e32 vcc_lo, 1, v126
	s_cbranch_vccnz .LBB64_157
; %bb.156:
	v_lshlrev_b64 v[66:67], 2, v[84:85]
	v_add_co_u32 v66, vcc_lo, v64, v66
	v_add_co_ci_u32_e64 v67, null, v65, v67, vcc_lo
	global_load_dword v66, v[66:67], off
	s_waitcnt vmcnt(0)
	v_mul_f32_e32 v66, s11, v66
	s_branch .LBB64_158
.LBB64_157:
	v_mov_b32_e32 v66, 0
.LBB64_158:
	v_add_f32_e32 v67, v11, v59
	v_add_f32_e32 v68, v10, v58
	;; [unrolled: 1-line block ×4, first 2 shown]
	v_min3_f32 v71, v68, v67, v131
	v_lshlrev_b64 v[67:68], 2, v[84:85]
	v_min_f32_e32 v69, v70, v69
	v_min3_f32 v69, v66, v69, v71
	v_add_co_u32 v66, vcc_lo, v62, v67
	v_add_co_ci_u32_e64 v67, null, v63, v68, vcc_lo
	global_store_dword v[66:67], v69, off
	s_or_b32 exec_lo, exec_lo, s8
	s_and_b32 s8, s3, s4
	s_and_saveexec_b32 s4, s8
	s_cbranch_execz .LBB64_163
.LBB64_159:
	v_cmp_ne_u32_e32 vcc_lo, 1, v126
	s_cbranch_vccnz .LBB64_161
; %bb.160:
	v_lshlrev_b64 v[66:67], 2, v[86:87]
	v_add_co_u32 v64, vcc_lo, v64, v66
	v_add_co_ci_u32_e64 v65, null, v65, v67, vcc_lo
	global_load_dword v64, v[64:65], off
	s_waitcnt vmcnt(0)
	v_mul_f32_e32 v64, s11, v64
	s_branch .LBB64_162
.LBB64_161:
	v_mov_b32_e32 v64, 0
.LBB64_162:
	v_add_f32_e32 v59, v3, v59
	v_add_f32_e32 v58, v2, v58
	;; [unrolled: 1-line block ×4, first 2 shown]
	v_min3_f32 v65, v58, v59, v129
	v_lshlrev_b64 v[58:59], 2, v[86:87]
	v_min_f32_e32 v60, v60, v61
	v_min3_f32 v60, v64, v60, v65
	v_add_co_u32 v58, vcc_lo, v62, v58
	v_add_co_ci_u32_e64 v59, null, v63, v59, vcc_lo
	global_store_dword v[58:59], v60, off
.LBB64_163:
	s_or_b32 exec_lo, exec_lo, s4
	v_add_nc_u32_e32 v62, 48, v130
	v_mad_i64_i32 v[58:59], null, v62, s6, 0
	v_mad_i64_i32 v[60:61], null, v62, s5, 0
	v_cmp_gt_i32_e64 s4, s9, v62
	v_lshlrev_b64 v[58:59], 2, v[58:59]
	s_and_b32 s12, s0, s4
	v_lshlrev_b64 v[62:63], 2, v[60:61]
	v_add_co_u32 v60, vcc_lo, s16, v58
	v_add_co_ci_u32_e64 v61, null, s17, v59, vcc_lo
	v_add_co_u32 v58, vcc_lo, s7, v62
	v_add_co_ci_u32_e64 v59, null, s10, v63, vcc_lo
	s_and_saveexec_b32 s8, s12
	s_cbranch_execnz .LBB64_167
; %bb.164:
	s_or_b32 exec_lo, exec_lo, s8
	s_and_b32 s12, s1, s4
	s_and_saveexec_b32 s8, s12
	s_cbranch_execnz .LBB64_171
.LBB64_165:
	s_or_b32 exec_lo, exec_lo, s8
	s_and_b32 s12, s2, s4
	s_and_saveexec_b32 s8, s12
	s_cbranch_execnz .LBB64_175
.LBB64_166:
	s_or_b32 exec_lo, exec_lo, s8
	s_and_b32 s8, s3, s4
	s_and_saveexec_b32 s4, s8
	s_cbranch_execnz .LBB64_179
	s_branch .LBB64_183
.LBB64_167:
	v_cmp_ne_u32_e32 vcc_lo, 1, v126
	s_cbranch_vccnz .LBB64_169
; %bb.168:
	v_lshlrev_b64 v[62:63], 2, v[0:1]
	v_add_co_u32 v62, vcc_lo, v60, v62
	v_add_co_ci_u32_e64 v63, null, v61, v63, vcc_lo
	global_load_dword v62, v[62:63], off
	s_waitcnt vmcnt(0)
	v_mul_f32_e32 v62, s11, v62
	s_branch .LBB64_170
.LBB64_169:
	v_mov_b32_e32 v62, 0
.LBB64_170:
	v_add_f32_e32 v63, v19, v55
	v_add_f32_e32 v64, v18, v54
	;; [unrolled: 1-line block ×4, first 2 shown]
	v_min3_f32 v67, v64, v63, v128
	v_lshlrev_b64 v[63:64], 2, v[0:1]
	v_min_f32_e32 v65, v66, v65
	v_min3_f32 v65, v62, v65, v67
	v_add_co_u32 v62, vcc_lo, v58, v63
	v_add_co_ci_u32_e64 v63, null, v59, v64, vcc_lo
	global_store_dword v[62:63], v65, off
	s_or_b32 exec_lo, exec_lo, s8
	s_and_b32 s12, s1, s4
	s_and_saveexec_b32 s8, s12
	s_cbranch_execz .LBB64_165
.LBB64_171:
	v_cmp_ne_u32_e32 vcc_lo, 1, v126
	s_cbranch_vccnz .LBB64_173
; %bb.172:
	v_lshlrev_b64 v[62:63], 2, v[82:83]
	v_add_co_u32 v62, vcc_lo, v60, v62
	v_add_co_ci_u32_e64 v63, null, v61, v63, vcc_lo
	global_load_dword v62, v[62:63], off
	s_waitcnt vmcnt(0)
	v_mul_f32_e32 v62, s11, v62
	s_branch .LBB64_174
.LBB64_173:
	v_mov_b32_e32 v62, 0
.LBB64_174:
	v_add_f32_e32 v63, v15, v55
	v_add_f32_e32 v64, v14, v54
	;; [unrolled: 1-line block ×4, first 2 shown]
	v_min3_f32 v67, v64, v63, v127
	v_lshlrev_b64 v[63:64], 2, v[82:83]
	v_min_f32_e32 v65, v66, v65
	v_min3_f32 v65, v62, v65, v67
	v_add_co_u32 v62, vcc_lo, v58, v63
	v_add_co_ci_u32_e64 v63, null, v59, v64, vcc_lo
	global_store_dword v[62:63], v65, off
	s_or_b32 exec_lo, exec_lo, s8
	s_and_b32 s12, s2, s4
	s_and_saveexec_b32 s8, s12
	s_cbranch_execz .LBB64_166
.LBB64_175:
	v_cmp_ne_u32_e32 vcc_lo, 1, v126
	s_cbranch_vccnz .LBB64_177
; %bb.176:
	v_lshlrev_b64 v[62:63], 2, v[84:85]
	v_add_co_u32 v62, vcc_lo, v60, v62
	v_add_co_ci_u32_e64 v63, null, v61, v63, vcc_lo
	global_load_dword v62, v[62:63], off
	s_waitcnt vmcnt(0)
	v_mul_f32_e32 v62, s11, v62
	s_branch .LBB64_178
.LBB64_177:
	v_mov_b32_e32 v62, 0
.LBB64_178:
	v_add_f32_e32 v63, v11, v55
	v_add_f32_e32 v64, v10, v54
	;; [unrolled: 1-line block ×4, first 2 shown]
	v_min3_f32 v67, v64, v63, v125
	v_lshlrev_b64 v[63:64], 2, v[84:85]
	v_min_f32_e32 v65, v66, v65
	v_min3_f32 v65, v62, v65, v67
	v_add_co_u32 v62, vcc_lo, v58, v63
	v_add_co_ci_u32_e64 v63, null, v59, v64, vcc_lo
	global_store_dword v[62:63], v65, off
	s_or_b32 exec_lo, exec_lo, s8
	s_and_b32 s8, s3, s4
	s_and_saveexec_b32 s4, s8
	s_cbranch_execz .LBB64_183
.LBB64_179:
	v_cmp_ne_u32_e32 vcc_lo, 1, v126
	s_cbranch_vccnz .LBB64_181
; %bb.180:
	v_lshlrev_b64 v[62:63], 2, v[86:87]
	v_add_co_u32 v60, vcc_lo, v60, v62
	v_add_co_ci_u32_e64 v61, null, v61, v63, vcc_lo
	global_load_dword v60, v[60:61], off
	s_waitcnt vmcnt(0)
	v_mul_f32_e32 v60, s11, v60
	s_branch .LBB64_182
.LBB64_181:
	v_mov_b32_e32 v60, 0
.LBB64_182:
	v_add_f32_e32 v55, v3, v55
	v_add_f32_e32 v54, v2, v54
	v_add_f32_e32 v57, v5, v57
	v_add_f32_e32 v56, v4, v56
	v_min3_f32 v61, v54, v55, v124
	v_lshlrev_b64 v[54:55], 2, v[86:87]
	v_min_f32_e32 v56, v56, v57
	v_min3_f32 v56, v60, v56, v61
	v_add_co_u32 v54, vcc_lo, v58, v54
	v_add_co_ci_u32_e64 v55, null, v59, v55, vcc_lo
	global_store_dword v[54:55], v56, off
.LBB64_183:
	s_or_b32 exec_lo, exec_lo, s4
	v_add_nc_u32_e32 v58, 56, v130
	v_mad_i64_i32 v[54:55], null, v58, s6, 0
	v_mad_i64_i32 v[56:57], null, v58, s5, 0
	v_cmp_gt_i32_e64 s4, s9, v58
	v_lshlrev_b64 v[54:55], 2, v[54:55]
	s_and_b32 s12, s0, s4
	v_lshlrev_b64 v[58:59], 2, v[56:57]
	v_add_co_u32 v56, vcc_lo, s16, v54
	v_add_co_ci_u32_e64 v57, null, s17, v55, vcc_lo
	v_add_co_u32 v54, vcc_lo, s7, v58
	v_add_co_ci_u32_e64 v55, null, s10, v59, vcc_lo
	s_and_saveexec_b32 s8, s12
	s_cbranch_execnz .LBB64_187
; %bb.184:
	s_or_b32 exec_lo, exec_lo, s8
	s_and_b32 s12, s1, s4
	s_and_saveexec_b32 s8, s12
	s_cbranch_execnz .LBB64_191
.LBB64_185:
	s_or_b32 exec_lo, exec_lo, s8
	s_and_b32 s12, s2, s4
	s_and_saveexec_b32 s8, s12
	s_cbranch_execnz .LBB64_195
.LBB64_186:
	s_or_b32 exec_lo, exec_lo, s8
	s_and_b32 s8, s3, s4
	s_and_saveexec_b32 s4, s8
	s_cbranch_execnz .LBB64_199
	s_branch .LBB64_203
.LBB64_187:
	v_cmp_ne_u32_e32 vcc_lo, 1, v126
	s_cbranch_vccnz .LBB64_189
; %bb.188:
	v_lshlrev_b64 v[58:59], 2, v[0:1]
	v_add_co_u32 v58, vcc_lo, v56, v58
	v_add_co_ci_u32_e64 v59, null, v57, v59, vcc_lo
	global_load_dword v58, v[58:59], off
	s_waitcnt vmcnt(0)
	v_mul_f32_e32 v58, s11, v58
	s_branch .LBB64_190
.LBB64_189:
	v_mov_b32_e32 v58, 0
.LBB64_190:
	v_add_f32_e32 v59, v19, v51
	v_add_f32_e32 v60, v18, v50
	;; [unrolled: 1-line block ×4, first 2 shown]
	v_min3_f32 v63, v60, v59, v123
	v_lshlrev_b64 v[59:60], 2, v[0:1]
	v_min_f32_e32 v61, v62, v61
	v_min3_f32 v61, v58, v61, v63
	v_add_co_u32 v58, vcc_lo, v54, v59
	v_add_co_ci_u32_e64 v59, null, v55, v60, vcc_lo
	global_store_dword v[58:59], v61, off
	s_or_b32 exec_lo, exec_lo, s8
	s_and_b32 s12, s1, s4
	s_and_saveexec_b32 s8, s12
	s_cbranch_execz .LBB64_185
.LBB64_191:
	v_cmp_ne_u32_e32 vcc_lo, 1, v126
	s_cbranch_vccnz .LBB64_193
; %bb.192:
	v_lshlrev_b64 v[58:59], 2, v[82:83]
	v_add_co_u32 v58, vcc_lo, v56, v58
	v_add_co_ci_u32_e64 v59, null, v57, v59, vcc_lo
	global_load_dword v58, v[58:59], off
	s_waitcnt vmcnt(0)
	v_mul_f32_e32 v58, s11, v58
	s_branch .LBB64_194
.LBB64_193:
	v_mov_b32_e32 v58, 0
.LBB64_194:
	v_add_f32_e32 v59, v15, v51
	v_add_f32_e32 v60, v14, v50
	;; [unrolled: 1-line block ×4, first 2 shown]
	v_min3_f32 v63, v60, v59, v122
	v_lshlrev_b64 v[59:60], 2, v[82:83]
	v_min_f32_e32 v61, v62, v61
	v_min3_f32 v61, v58, v61, v63
	v_add_co_u32 v58, vcc_lo, v54, v59
	v_add_co_ci_u32_e64 v59, null, v55, v60, vcc_lo
	global_store_dword v[58:59], v61, off
	s_or_b32 exec_lo, exec_lo, s8
	s_and_b32 s12, s2, s4
	s_and_saveexec_b32 s8, s12
	s_cbranch_execz .LBB64_186
.LBB64_195:
	v_cmp_ne_u32_e32 vcc_lo, 1, v126
	s_cbranch_vccnz .LBB64_197
; %bb.196:
	v_lshlrev_b64 v[58:59], 2, v[84:85]
	v_add_co_u32 v58, vcc_lo, v56, v58
	v_add_co_ci_u32_e64 v59, null, v57, v59, vcc_lo
	global_load_dword v58, v[58:59], off
	s_waitcnt vmcnt(0)
	v_mul_f32_e32 v58, s11, v58
	s_branch .LBB64_198
.LBB64_197:
	v_mov_b32_e32 v58, 0
.LBB64_198:
	v_add_f32_e32 v59, v11, v51
	v_add_f32_e32 v60, v10, v50
	;; [unrolled: 1-line block ×4, first 2 shown]
	v_min3_f32 v63, v60, v59, v121
	v_lshlrev_b64 v[59:60], 2, v[84:85]
	v_min_f32_e32 v61, v62, v61
	v_min3_f32 v61, v58, v61, v63
	v_add_co_u32 v58, vcc_lo, v54, v59
	v_add_co_ci_u32_e64 v59, null, v55, v60, vcc_lo
	global_store_dword v[58:59], v61, off
	s_or_b32 exec_lo, exec_lo, s8
	s_and_b32 s8, s3, s4
	s_and_saveexec_b32 s4, s8
	s_cbranch_execz .LBB64_203
.LBB64_199:
	v_cmp_ne_u32_e32 vcc_lo, 1, v126
	s_cbranch_vccnz .LBB64_201
; %bb.200:
	v_lshlrev_b64 v[58:59], 2, v[86:87]
	v_add_co_u32 v56, vcc_lo, v56, v58
	v_add_co_ci_u32_e64 v57, null, v57, v59, vcc_lo
	global_load_dword v56, v[56:57], off
	s_waitcnt vmcnt(0)
	v_mul_f32_e32 v56, s11, v56
	s_branch .LBB64_202
.LBB64_201:
	v_mov_b32_e32 v56, 0
.LBB64_202:
	v_add_f32_e32 v51, v3, v51
	v_add_f32_e32 v50, v2, v50
	v_add_f32_e32 v53, v5, v53
	v_add_f32_e32 v52, v4, v52
	v_min3_f32 v57, v50, v51, v120
	v_lshlrev_b64 v[50:51], 2, v[86:87]
	v_min_f32_e32 v52, v52, v53
	v_min3_f32 v52, v56, v52, v57
	v_add_co_u32 v50, vcc_lo, v54, v50
	v_add_co_ci_u32_e64 v51, null, v55, v51, vcc_lo
	global_store_dword v[50:51], v52, off
.LBB64_203:
	s_or_b32 exec_lo, exec_lo, s4
	v_add_nc_u32_e32 v54, 64, v130
	v_mad_i64_i32 v[50:51], null, v54, s6, 0
	v_mad_i64_i32 v[52:53], null, v54, s5, 0
	v_cmp_gt_i32_e64 s4, s9, v54
	v_lshlrev_b64 v[50:51], 2, v[50:51]
	s_and_b32 s12, s0, s4
	v_lshlrev_b64 v[54:55], 2, v[52:53]
	v_add_co_u32 v52, vcc_lo, s16, v50
	v_add_co_ci_u32_e64 v53, null, s17, v51, vcc_lo
	v_add_co_u32 v50, vcc_lo, s7, v54
	v_add_co_ci_u32_e64 v51, null, s10, v55, vcc_lo
	s_and_saveexec_b32 s8, s12
	s_cbranch_execnz .LBB64_207
; %bb.204:
	s_or_b32 exec_lo, exec_lo, s8
	s_and_b32 s12, s1, s4
	s_and_saveexec_b32 s8, s12
	s_cbranch_execnz .LBB64_211
.LBB64_205:
	s_or_b32 exec_lo, exec_lo, s8
	s_and_b32 s12, s2, s4
	s_and_saveexec_b32 s8, s12
	s_cbranch_execnz .LBB64_215
.LBB64_206:
	s_or_b32 exec_lo, exec_lo, s8
	s_and_b32 s8, s3, s4
	s_and_saveexec_b32 s4, s8
	s_cbranch_execnz .LBB64_219
	s_branch .LBB64_223
.LBB64_207:
	v_cmp_ne_u32_e32 vcc_lo, 1, v126
	s_cbranch_vccnz .LBB64_209
; %bb.208:
	v_lshlrev_b64 v[54:55], 2, v[0:1]
	v_add_co_u32 v54, vcc_lo, v52, v54
	v_add_co_ci_u32_e64 v55, null, v53, v55, vcc_lo
	global_load_dword v54, v[54:55], off
	s_waitcnt vmcnt(0)
	v_mul_f32_e32 v54, s11, v54
	s_branch .LBB64_210
.LBB64_209:
	v_mov_b32_e32 v54, 0
.LBB64_210:
	v_add_f32_e32 v55, v19, v47
	v_add_f32_e32 v56, v18, v46
	;; [unrolled: 1-line block ×4, first 2 shown]
	v_min3_f32 v59, v56, v55, v119
	v_lshlrev_b64 v[55:56], 2, v[0:1]
	v_min_f32_e32 v57, v58, v57
	v_min3_f32 v57, v54, v57, v59
	v_add_co_u32 v54, vcc_lo, v50, v55
	v_add_co_ci_u32_e64 v55, null, v51, v56, vcc_lo
	global_store_dword v[54:55], v57, off
	s_or_b32 exec_lo, exec_lo, s8
	s_and_b32 s12, s1, s4
	s_and_saveexec_b32 s8, s12
	s_cbranch_execz .LBB64_205
.LBB64_211:
	v_cmp_ne_u32_e32 vcc_lo, 1, v126
	s_cbranch_vccnz .LBB64_213
; %bb.212:
	v_lshlrev_b64 v[54:55], 2, v[82:83]
	v_add_co_u32 v54, vcc_lo, v52, v54
	v_add_co_ci_u32_e64 v55, null, v53, v55, vcc_lo
	global_load_dword v54, v[54:55], off
	s_waitcnt vmcnt(0)
	v_mul_f32_e32 v54, s11, v54
	s_branch .LBB64_214
.LBB64_213:
	v_mov_b32_e32 v54, 0
.LBB64_214:
	v_add_f32_e32 v55, v15, v47
	v_add_f32_e32 v56, v14, v46
	;; [unrolled: 1-line block ×4, first 2 shown]
	v_min3_f32 v59, v56, v55, v118
	v_lshlrev_b64 v[55:56], 2, v[82:83]
	v_min_f32_e32 v57, v58, v57
	v_min3_f32 v57, v54, v57, v59
	v_add_co_u32 v54, vcc_lo, v50, v55
	v_add_co_ci_u32_e64 v55, null, v51, v56, vcc_lo
	global_store_dword v[54:55], v57, off
	s_or_b32 exec_lo, exec_lo, s8
	s_and_b32 s12, s2, s4
	s_and_saveexec_b32 s8, s12
	s_cbranch_execz .LBB64_206
.LBB64_215:
	v_cmp_ne_u32_e32 vcc_lo, 1, v126
	s_cbranch_vccnz .LBB64_217
; %bb.216:
	v_lshlrev_b64 v[54:55], 2, v[84:85]
	v_add_co_u32 v54, vcc_lo, v52, v54
	v_add_co_ci_u32_e64 v55, null, v53, v55, vcc_lo
	global_load_dword v54, v[54:55], off
	s_waitcnt vmcnt(0)
	v_mul_f32_e32 v54, s11, v54
	s_branch .LBB64_218
.LBB64_217:
	v_mov_b32_e32 v54, 0
.LBB64_218:
	v_add_f32_e32 v55, v11, v47
	v_add_f32_e32 v56, v10, v46
	;; [unrolled: 1-line block ×4, first 2 shown]
	v_min3_f32 v59, v56, v55, v117
	v_lshlrev_b64 v[55:56], 2, v[84:85]
	v_min_f32_e32 v57, v58, v57
	v_min3_f32 v57, v54, v57, v59
	v_add_co_u32 v54, vcc_lo, v50, v55
	v_add_co_ci_u32_e64 v55, null, v51, v56, vcc_lo
	global_store_dword v[54:55], v57, off
	s_or_b32 exec_lo, exec_lo, s8
	s_and_b32 s8, s3, s4
	s_and_saveexec_b32 s4, s8
	s_cbranch_execz .LBB64_223
.LBB64_219:
	v_cmp_ne_u32_e32 vcc_lo, 1, v126
	s_cbranch_vccnz .LBB64_221
; %bb.220:
	v_lshlrev_b64 v[54:55], 2, v[86:87]
	v_add_co_u32 v52, vcc_lo, v52, v54
	v_add_co_ci_u32_e64 v53, null, v53, v55, vcc_lo
	global_load_dword v52, v[52:53], off
	s_waitcnt vmcnt(0)
	v_mul_f32_e32 v52, s11, v52
	s_branch .LBB64_222
.LBB64_221:
	v_mov_b32_e32 v52, 0
.LBB64_222:
	v_add_f32_e32 v47, v3, v47
	v_add_f32_e32 v46, v2, v46
	;; [unrolled: 1-line block ×4, first 2 shown]
	v_min3_f32 v53, v46, v47, v116
	v_lshlrev_b64 v[46:47], 2, v[86:87]
	v_min_f32_e32 v48, v48, v49
	v_min3_f32 v48, v52, v48, v53
	v_add_co_u32 v46, vcc_lo, v50, v46
	v_add_co_ci_u32_e64 v47, null, v51, v47, vcc_lo
	global_store_dword v[46:47], v48, off
.LBB64_223:
	s_or_b32 exec_lo, exec_lo, s4
	v_add_nc_u32_e32 v50, 0x48, v130
	v_mad_i64_i32 v[46:47], null, v50, s6, 0
	v_mad_i64_i32 v[48:49], null, v50, s5, 0
	v_cmp_gt_i32_e64 s4, s9, v50
	v_lshlrev_b64 v[46:47], 2, v[46:47]
	s_and_b32 s12, s0, s4
	v_lshlrev_b64 v[50:51], 2, v[48:49]
	v_add_co_u32 v48, vcc_lo, s16, v46
	v_add_co_ci_u32_e64 v49, null, s17, v47, vcc_lo
	v_add_co_u32 v46, vcc_lo, s7, v50
	v_add_co_ci_u32_e64 v47, null, s10, v51, vcc_lo
	s_and_saveexec_b32 s8, s12
	s_cbranch_execnz .LBB64_227
; %bb.224:
	s_or_b32 exec_lo, exec_lo, s8
	s_and_b32 s12, s1, s4
	s_and_saveexec_b32 s8, s12
	s_cbranch_execnz .LBB64_231
.LBB64_225:
	s_or_b32 exec_lo, exec_lo, s8
	s_and_b32 s12, s2, s4
	s_and_saveexec_b32 s8, s12
	s_cbranch_execnz .LBB64_235
.LBB64_226:
	s_or_b32 exec_lo, exec_lo, s8
	s_and_b32 s8, s3, s4
	s_and_saveexec_b32 s4, s8
	s_cbranch_execnz .LBB64_239
	s_branch .LBB64_243
.LBB64_227:
	v_cmp_ne_u32_e32 vcc_lo, 1, v126
	s_cbranch_vccnz .LBB64_229
; %bb.228:
	v_lshlrev_b64 v[50:51], 2, v[0:1]
	v_add_co_u32 v50, vcc_lo, v48, v50
	v_add_co_ci_u32_e64 v51, null, v49, v51, vcc_lo
	global_load_dword v50, v[50:51], off
	s_waitcnt vmcnt(0)
	v_mul_f32_e32 v50, s11, v50
	s_branch .LBB64_230
.LBB64_229:
	v_mov_b32_e32 v50, 0
.LBB64_230:
	v_add_f32_e32 v51, v19, v43
	v_add_f32_e32 v52, v18, v42
	;; [unrolled: 1-line block ×4, first 2 shown]
	v_min3_f32 v55, v52, v51, v115
	v_lshlrev_b64 v[51:52], 2, v[0:1]
	v_min_f32_e32 v53, v54, v53
	v_min3_f32 v53, v50, v53, v55
	v_add_co_u32 v50, vcc_lo, v46, v51
	v_add_co_ci_u32_e64 v51, null, v47, v52, vcc_lo
	global_store_dword v[50:51], v53, off
	s_or_b32 exec_lo, exec_lo, s8
	s_and_b32 s12, s1, s4
	s_and_saveexec_b32 s8, s12
	s_cbranch_execz .LBB64_225
.LBB64_231:
	v_cmp_ne_u32_e32 vcc_lo, 1, v126
	s_cbranch_vccnz .LBB64_233
; %bb.232:
	v_lshlrev_b64 v[50:51], 2, v[82:83]
	v_add_co_u32 v50, vcc_lo, v48, v50
	v_add_co_ci_u32_e64 v51, null, v49, v51, vcc_lo
	global_load_dword v50, v[50:51], off
	s_waitcnt vmcnt(0)
	v_mul_f32_e32 v50, s11, v50
	s_branch .LBB64_234
.LBB64_233:
	v_mov_b32_e32 v50, 0
.LBB64_234:
	v_add_f32_e32 v51, v15, v43
	v_add_f32_e32 v52, v14, v42
	;; [unrolled: 1-line block ×4, first 2 shown]
	v_min3_f32 v55, v52, v51, v114
	v_lshlrev_b64 v[51:52], 2, v[82:83]
	v_min_f32_e32 v53, v54, v53
	v_min3_f32 v53, v50, v53, v55
	v_add_co_u32 v50, vcc_lo, v46, v51
	v_add_co_ci_u32_e64 v51, null, v47, v52, vcc_lo
	global_store_dword v[50:51], v53, off
	s_or_b32 exec_lo, exec_lo, s8
	s_and_b32 s12, s2, s4
	s_and_saveexec_b32 s8, s12
	s_cbranch_execz .LBB64_226
.LBB64_235:
	v_cmp_ne_u32_e32 vcc_lo, 1, v126
	s_cbranch_vccnz .LBB64_237
; %bb.236:
	v_lshlrev_b64 v[50:51], 2, v[84:85]
	v_add_co_u32 v50, vcc_lo, v48, v50
	v_add_co_ci_u32_e64 v51, null, v49, v51, vcc_lo
	global_load_dword v50, v[50:51], off
	s_waitcnt vmcnt(0)
	v_mul_f32_e32 v50, s11, v50
	s_branch .LBB64_238
.LBB64_237:
	v_mov_b32_e32 v50, 0
.LBB64_238:
	v_add_f32_e32 v51, v11, v43
	v_add_f32_e32 v52, v10, v42
	;; [unrolled: 1-line block ×4, first 2 shown]
	v_min3_f32 v55, v52, v51, v113
	v_lshlrev_b64 v[51:52], 2, v[84:85]
	v_min_f32_e32 v53, v54, v53
	v_min3_f32 v53, v50, v53, v55
	v_add_co_u32 v50, vcc_lo, v46, v51
	v_add_co_ci_u32_e64 v51, null, v47, v52, vcc_lo
	global_store_dword v[50:51], v53, off
	s_or_b32 exec_lo, exec_lo, s8
	s_and_b32 s8, s3, s4
	s_and_saveexec_b32 s4, s8
	s_cbranch_execz .LBB64_243
.LBB64_239:
	v_cmp_ne_u32_e32 vcc_lo, 1, v126
	s_cbranch_vccnz .LBB64_241
; %bb.240:
	v_lshlrev_b64 v[50:51], 2, v[86:87]
	v_add_co_u32 v48, vcc_lo, v48, v50
	v_add_co_ci_u32_e64 v49, null, v49, v51, vcc_lo
	global_load_dword v48, v[48:49], off
	s_waitcnt vmcnt(0)
	v_mul_f32_e32 v48, s11, v48
	s_branch .LBB64_242
.LBB64_241:
	v_mov_b32_e32 v48, 0
.LBB64_242:
	v_add_f32_e32 v43, v3, v43
	v_add_f32_e32 v42, v2, v42
	;; [unrolled: 1-line block ×4, first 2 shown]
	v_min3_f32 v49, v42, v43, v112
	v_lshlrev_b64 v[42:43], 2, v[86:87]
	v_min_f32_e32 v44, v44, v45
	v_min3_f32 v44, v48, v44, v49
	v_add_co_u32 v42, vcc_lo, v46, v42
	v_add_co_ci_u32_e64 v43, null, v47, v43, vcc_lo
	global_store_dword v[42:43], v44, off
.LBB64_243:
	s_or_b32 exec_lo, exec_lo, s4
	v_add_nc_u32_e32 v46, 0x50, v130
	v_mad_i64_i32 v[42:43], null, v46, s6, 0
	v_mad_i64_i32 v[44:45], null, v46, s5, 0
	v_cmp_gt_i32_e64 s4, s9, v46
	v_lshlrev_b64 v[42:43], 2, v[42:43]
	s_and_b32 s12, s0, s4
	v_lshlrev_b64 v[46:47], 2, v[44:45]
	v_add_co_u32 v44, vcc_lo, s16, v42
	v_add_co_ci_u32_e64 v45, null, s17, v43, vcc_lo
	v_add_co_u32 v42, vcc_lo, s7, v46
	v_add_co_ci_u32_e64 v43, null, s10, v47, vcc_lo
	s_and_saveexec_b32 s8, s12
	s_cbranch_execnz .LBB64_247
; %bb.244:
	s_or_b32 exec_lo, exec_lo, s8
	s_and_b32 s12, s1, s4
	s_and_saveexec_b32 s8, s12
	s_cbranch_execnz .LBB64_251
.LBB64_245:
	s_or_b32 exec_lo, exec_lo, s8
	s_and_b32 s12, s2, s4
	s_and_saveexec_b32 s8, s12
	s_cbranch_execnz .LBB64_255
.LBB64_246:
	s_or_b32 exec_lo, exec_lo, s8
	s_and_b32 s8, s3, s4
	s_and_saveexec_b32 s4, s8
	s_cbranch_execnz .LBB64_259
	s_branch .LBB64_263
.LBB64_247:
	v_cmp_ne_u32_e32 vcc_lo, 1, v126
	s_cbranch_vccnz .LBB64_249
; %bb.248:
	v_lshlrev_b64 v[46:47], 2, v[0:1]
	v_add_co_u32 v46, vcc_lo, v44, v46
	v_add_co_ci_u32_e64 v47, null, v45, v47, vcc_lo
	global_load_dword v46, v[46:47], off
	s_waitcnt vmcnt(0)
	v_mul_f32_e32 v46, s11, v46
	s_branch .LBB64_250
.LBB64_249:
	v_mov_b32_e32 v46, 0
.LBB64_250:
	v_add_f32_e32 v47, v19, v39
	v_add_f32_e32 v48, v18, v38
	;; [unrolled: 1-line block ×4, first 2 shown]
	v_min3_f32 v51, v48, v47, v111
	v_lshlrev_b64 v[47:48], 2, v[0:1]
	v_min_f32_e32 v49, v50, v49
	v_min3_f32 v49, v46, v49, v51
	v_add_co_u32 v46, vcc_lo, v42, v47
	v_add_co_ci_u32_e64 v47, null, v43, v48, vcc_lo
	global_store_dword v[46:47], v49, off
	s_or_b32 exec_lo, exec_lo, s8
	s_and_b32 s12, s1, s4
	s_and_saveexec_b32 s8, s12
	s_cbranch_execz .LBB64_245
.LBB64_251:
	v_cmp_ne_u32_e32 vcc_lo, 1, v126
	s_cbranch_vccnz .LBB64_253
; %bb.252:
	v_lshlrev_b64 v[46:47], 2, v[82:83]
	v_add_co_u32 v46, vcc_lo, v44, v46
	v_add_co_ci_u32_e64 v47, null, v45, v47, vcc_lo
	global_load_dword v46, v[46:47], off
	s_waitcnt vmcnt(0)
	v_mul_f32_e32 v46, s11, v46
	s_branch .LBB64_254
.LBB64_253:
	v_mov_b32_e32 v46, 0
.LBB64_254:
	v_add_f32_e32 v47, v15, v39
	v_add_f32_e32 v48, v14, v38
	;; [unrolled: 1-line block ×4, first 2 shown]
	v_min3_f32 v51, v48, v47, v110
	v_lshlrev_b64 v[47:48], 2, v[82:83]
	v_min_f32_e32 v49, v50, v49
	v_min3_f32 v49, v46, v49, v51
	v_add_co_u32 v46, vcc_lo, v42, v47
	v_add_co_ci_u32_e64 v47, null, v43, v48, vcc_lo
	global_store_dword v[46:47], v49, off
	s_or_b32 exec_lo, exec_lo, s8
	s_and_b32 s12, s2, s4
	s_and_saveexec_b32 s8, s12
	s_cbranch_execz .LBB64_246
.LBB64_255:
	v_cmp_ne_u32_e32 vcc_lo, 1, v126
	s_cbranch_vccnz .LBB64_257
; %bb.256:
	v_lshlrev_b64 v[46:47], 2, v[84:85]
	v_add_co_u32 v46, vcc_lo, v44, v46
	v_add_co_ci_u32_e64 v47, null, v45, v47, vcc_lo
	global_load_dword v46, v[46:47], off
	s_waitcnt vmcnt(0)
	v_mul_f32_e32 v46, s11, v46
	s_branch .LBB64_258
.LBB64_257:
	v_mov_b32_e32 v46, 0
.LBB64_258:
	v_add_f32_e32 v47, v11, v39
	v_add_f32_e32 v48, v10, v38
	;; [unrolled: 1-line block ×4, first 2 shown]
	v_min3_f32 v51, v48, v47, v109
	v_lshlrev_b64 v[47:48], 2, v[84:85]
	v_min_f32_e32 v49, v50, v49
	v_min3_f32 v49, v46, v49, v51
	v_add_co_u32 v46, vcc_lo, v42, v47
	v_add_co_ci_u32_e64 v47, null, v43, v48, vcc_lo
	global_store_dword v[46:47], v49, off
	s_or_b32 exec_lo, exec_lo, s8
	s_and_b32 s8, s3, s4
	s_and_saveexec_b32 s4, s8
	s_cbranch_execz .LBB64_263
.LBB64_259:
	v_cmp_ne_u32_e32 vcc_lo, 1, v126
	s_cbranch_vccnz .LBB64_261
; %bb.260:
	v_lshlrev_b64 v[46:47], 2, v[86:87]
	v_add_co_u32 v44, vcc_lo, v44, v46
	v_add_co_ci_u32_e64 v45, null, v45, v47, vcc_lo
	global_load_dword v44, v[44:45], off
	s_waitcnt vmcnt(0)
	v_mul_f32_e32 v44, s11, v44
	s_branch .LBB64_262
.LBB64_261:
	v_mov_b32_e32 v44, 0
.LBB64_262:
	v_add_f32_e32 v39, v3, v39
	v_add_f32_e32 v38, v2, v38
	;; [unrolled: 1-line block ×4, first 2 shown]
	v_min3_f32 v45, v38, v39, v108
	v_lshlrev_b64 v[38:39], 2, v[86:87]
	v_min_f32_e32 v40, v40, v41
	v_min3_f32 v40, v44, v40, v45
	v_add_co_u32 v38, vcc_lo, v42, v38
	v_add_co_ci_u32_e64 v39, null, v43, v39, vcc_lo
	global_store_dword v[38:39], v40, off
.LBB64_263:
	s_or_b32 exec_lo, exec_lo, s4
	v_add_nc_u32_e32 v42, 0x58, v130
	v_mad_i64_i32 v[38:39], null, v42, s6, 0
	v_mad_i64_i32 v[40:41], null, v42, s5, 0
	v_cmp_gt_i32_e64 s4, s9, v42
	v_lshlrev_b64 v[38:39], 2, v[38:39]
	s_and_b32 s12, s0, s4
	v_lshlrev_b64 v[42:43], 2, v[40:41]
	v_add_co_u32 v40, vcc_lo, s16, v38
	v_add_co_ci_u32_e64 v41, null, s17, v39, vcc_lo
	v_add_co_u32 v38, vcc_lo, s7, v42
	v_add_co_ci_u32_e64 v39, null, s10, v43, vcc_lo
	s_and_saveexec_b32 s8, s12
	s_cbranch_execnz .LBB64_267
; %bb.264:
	s_or_b32 exec_lo, exec_lo, s8
	s_and_b32 s12, s1, s4
	s_and_saveexec_b32 s8, s12
	s_cbranch_execnz .LBB64_271
.LBB64_265:
	s_or_b32 exec_lo, exec_lo, s8
	s_and_b32 s12, s2, s4
	s_and_saveexec_b32 s8, s12
	s_cbranch_execnz .LBB64_275
.LBB64_266:
	s_or_b32 exec_lo, exec_lo, s8
	s_and_b32 s8, s3, s4
	s_and_saveexec_b32 s4, s8
	s_cbranch_execnz .LBB64_279
	s_branch .LBB64_283
.LBB64_267:
	v_cmp_ne_u32_e32 vcc_lo, 1, v126
	s_cbranch_vccnz .LBB64_269
; %bb.268:
	v_lshlrev_b64 v[42:43], 2, v[0:1]
	v_add_co_u32 v42, vcc_lo, v40, v42
	v_add_co_ci_u32_e64 v43, null, v41, v43, vcc_lo
	global_load_dword v42, v[42:43], off
	s_waitcnt vmcnt(0)
	v_mul_f32_e32 v42, s11, v42
	s_branch .LBB64_270
.LBB64_269:
	v_mov_b32_e32 v42, 0
.LBB64_270:
	v_add_f32_e32 v43, v19, v35
	v_add_f32_e32 v44, v18, v34
	;; [unrolled: 1-line block ×4, first 2 shown]
	v_min3_f32 v47, v44, v43, v107
	v_lshlrev_b64 v[43:44], 2, v[0:1]
	v_min_f32_e32 v45, v46, v45
	v_min3_f32 v45, v42, v45, v47
	v_add_co_u32 v42, vcc_lo, v38, v43
	v_add_co_ci_u32_e64 v43, null, v39, v44, vcc_lo
	global_store_dword v[42:43], v45, off
	s_or_b32 exec_lo, exec_lo, s8
	s_and_b32 s12, s1, s4
	s_and_saveexec_b32 s8, s12
	s_cbranch_execz .LBB64_265
.LBB64_271:
	v_cmp_ne_u32_e32 vcc_lo, 1, v126
	s_cbranch_vccnz .LBB64_273
; %bb.272:
	v_lshlrev_b64 v[42:43], 2, v[82:83]
	v_add_co_u32 v42, vcc_lo, v40, v42
	v_add_co_ci_u32_e64 v43, null, v41, v43, vcc_lo
	global_load_dword v42, v[42:43], off
	s_waitcnt vmcnt(0)
	v_mul_f32_e32 v42, s11, v42
	s_branch .LBB64_274
.LBB64_273:
	v_mov_b32_e32 v42, 0
.LBB64_274:
	v_add_f32_e32 v43, v15, v35
	v_add_f32_e32 v44, v14, v34
	;; [unrolled: 1-line block ×4, first 2 shown]
	v_min3_f32 v47, v44, v43, v106
	v_lshlrev_b64 v[43:44], 2, v[82:83]
	v_min_f32_e32 v45, v46, v45
	v_min3_f32 v45, v42, v45, v47
	v_add_co_u32 v42, vcc_lo, v38, v43
	v_add_co_ci_u32_e64 v43, null, v39, v44, vcc_lo
	global_store_dword v[42:43], v45, off
	s_or_b32 exec_lo, exec_lo, s8
	s_and_b32 s12, s2, s4
	s_and_saveexec_b32 s8, s12
	s_cbranch_execz .LBB64_266
.LBB64_275:
	v_cmp_ne_u32_e32 vcc_lo, 1, v126
	s_cbranch_vccnz .LBB64_277
; %bb.276:
	v_lshlrev_b64 v[42:43], 2, v[84:85]
	v_add_co_u32 v42, vcc_lo, v40, v42
	v_add_co_ci_u32_e64 v43, null, v41, v43, vcc_lo
	global_load_dword v42, v[42:43], off
	s_waitcnt vmcnt(0)
	v_mul_f32_e32 v42, s11, v42
	s_branch .LBB64_278
.LBB64_277:
	v_mov_b32_e32 v42, 0
.LBB64_278:
	v_add_f32_e32 v43, v11, v35
	v_add_f32_e32 v44, v10, v34
	;; [unrolled: 1-line block ×4, first 2 shown]
	v_min3_f32 v47, v44, v43, v105
	v_lshlrev_b64 v[43:44], 2, v[84:85]
	v_min_f32_e32 v45, v46, v45
	v_min3_f32 v45, v42, v45, v47
	v_add_co_u32 v42, vcc_lo, v38, v43
	v_add_co_ci_u32_e64 v43, null, v39, v44, vcc_lo
	global_store_dword v[42:43], v45, off
	s_or_b32 exec_lo, exec_lo, s8
	s_and_b32 s8, s3, s4
	s_and_saveexec_b32 s4, s8
	s_cbranch_execz .LBB64_283
.LBB64_279:
	v_cmp_ne_u32_e32 vcc_lo, 1, v126
	s_cbranch_vccnz .LBB64_281
; %bb.280:
	v_lshlrev_b64 v[42:43], 2, v[86:87]
	v_add_co_u32 v40, vcc_lo, v40, v42
	v_add_co_ci_u32_e64 v41, null, v41, v43, vcc_lo
	global_load_dword v40, v[40:41], off
	s_waitcnt vmcnt(0)
	v_mul_f32_e32 v40, s11, v40
	s_branch .LBB64_282
.LBB64_281:
	v_mov_b32_e32 v40, 0
.LBB64_282:
	v_add_f32_e32 v35, v3, v35
	v_add_f32_e32 v34, v2, v34
	;; [unrolled: 1-line block ×4, first 2 shown]
	v_min3_f32 v41, v34, v35, v104
	v_lshlrev_b64 v[34:35], 2, v[86:87]
	v_min_f32_e32 v36, v36, v37
	v_min3_f32 v36, v40, v36, v41
	v_add_co_u32 v34, vcc_lo, v38, v34
	v_add_co_ci_u32_e64 v35, null, v39, v35, vcc_lo
	global_store_dword v[34:35], v36, off
.LBB64_283:
	s_or_b32 exec_lo, exec_lo, s4
	v_add_nc_u32_e32 v38, 0x60, v130
	v_mad_i64_i32 v[34:35], null, v38, s6, 0
	v_mad_i64_i32 v[36:37], null, v38, s5, 0
	v_cmp_gt_i32_e64 s4, s9, v38
	v_lshlrev_b64 v[34:35], 2, v[34:35]
	s_and_b32 s12, s0, s4
	v_lshlrev_b64 v[38:39], 2, v[36:37]
	v_add_co_u32 v36, vcc_lo, s16, v34
	v_add_co_ci_u32_e64 v37, null, s17, v35, vcc_lo
	v_add_co_u32 v34, vcc_lo, s7, v38
	v_add_co_ci_u32_e64 v35, null, s10, v39, vcc_lo
	s_and_saveexec_b32 s8, s12
	s_cbranch_execnz .LBB64_287
; %bb.284:
	s_or_b32 exec_lo, exec_lo, s8
	s_and_b32 s12, s1, s4
	s_and_saveexec_b32 s8, s12
	s_cbranch_execnz .LBB64_291
.LBB64_285:
	s_or_b32 exec_lo, exec_lo, s8
	s_and_b32 s12, s2, s4
	s_and_saveexec_b32 s8, s12
	s_cbranch_execnz .LBB64_295
.LBB64_286:
	s_or_b32 exec_lo, exec_lo, s8
	s_and_b32 s8, s3, s4
	s_and_saveexec_b32 s4, s8
	s_cbranch_execnz .LBB64_299
	s_branch .LBB64_303
.LBB64_287:
	v_cmp_ne_u32_e32 vcc_lo, 1, v126
	s_cbranch_vccnz .LBB64_289
; %bb.288:
	v_lshlrev_b64 v[38:39], 2, v[0:1]
	v_add_co_u32 v38, vcc_lo, v36, v38
	v_add_co_ci_u32_e64 v39, null, v37, v39, vcc_lo
	global_load_dword v38, v[38:39], off
	s_waitcnt vmcnt(0)
	v_mul_f32_e32 v38, s11, v38
	s_branch .LBB64_290
.LBB64_289:
	v_mov_b32_e32 v38, 0
.LBB64_290:
	v_add_f32_e32 v39, v19, v31
	v_add_f32_e32 v40, v18, v30
	;; [unrolled: 1-line block ×4, first 2 shown]
	v_min3_f32 v43, v40, v39, v103
	v_lshlrev_b64 v[39:40], 2, v[0:1]
	v_min_f32_e32 v41, v42, v41
	v_min3_f32 v41, v38, v41, v43
	v_add_co_u32 v38, vcc_lo, v34, v39
	v_add_co_ci_u32_e64 v39, null, v35, v40, vcc_lo
	global_store_dword v[38:39], v41, off
	s_or_b32 exec_lo, exec_lo, s8
	s_and_b32 s12, s1, s4
	s_and_saveexec_b32 s8, s12
	s_cbranch_execz .LBB64_285
.LBB64_291:
	v_cmp_ne_u32_e32 vcc_lo, 1, v126
	s_cbranch_vccnz .LBB64_293
; %bb.292:
	v_lshlrev_b64 v[38:39], 2, v[82:83]
	v_add_co_u32 v38, vcc_lo, v36, v38
	v_add_co_ci_u32_e64 v39, null, v37, v39, vcc_lo
	global_load_dword v38, v[38:39], off
	s_waitcnt vmcnt(0)
	v_mul_f32_e32 v38, s11, v38
	s_branch .LBB64_294
.LBB64_293:
	v_mov_b32_e32 v38, 0
.LBB64_294:
	v_add_f32_e32 v39, v15, v31
	v_add_f32_e32 v40, v14, v30
	;; [unrolled: 1-line block ×4, first 2 shown]
	v_min3_f32 v43, v40, v39, v102
	v_lshlrev_b64 v[39:40], 2, v[82:83]
	v_min_f32_e32 v41, v42, v41
	v_min3_f32 v41, v38, v41, v43
	v_add_co_u32 v38, vcc_lo, v34, v39
	v_add_co_ci_u32_e64 v39, null, v35, v40, vcc_lo
	global_store_dword v[38:39], v41, off
	s_or_b32 exec_lo, exec_lo, s8
	s_and_b32 s12, s2, s4
	s_and_saveexec_b32 s8, s12
	s_cbranch_execz .LBB64_286
.LBB64_295:
	v_cmp_ne_u32_e32 vcc_lo, 1, v126
	s_cbranch_vccnz .LBB64_297
; %bb.296:
	v_lshlrev_b64 v[38:39], 2, v[84:85]
	v_add_co_u32 v38, vcc_lo, v36, v38
	v_add_co_ci_u32_e64 v39, null, v37, v39, vcc_lo
	global_load_dword v38, v[38:39], off
	s_waitcnt vmcnt(0)
	v_mul_f32_e32 v38, s11, v38
	s_branch .LBB64_298
.LBB64_297:
	v_mov_b32_e32 v38, 0
.LBB64_298:
	v_add_f32_e32 v39, v11, v31
	v_add_f32_e32 v40, v10, v30
	;; [unrolled: 1-line block ×4, first 2 shown]
	v_min3_f32 v43, v40, v39, v101
	v_lshlrev_b64 v[39:40], 2, v[84:85]
	v_min_f32_e32 v41, v42, v41
	v_min3_f32 v41, v38, v41, v43
	v_add_co_u32 v38, vcc_lo, v34, v39
	v_add_co_ci_u32_e64 v39, null, v35, v40, vcc_lo
	global_store_dword v[38:39], v41, off
	s_or_b32 exec_lo, exec_lo, s8
	s_and_b32 s8, s3, s4
	s_and_saveexec_b32 s4, s8
	s_cbranch_execz .LBB64_303
.LBB64_299:
	v_cmp_ne_u32_e32 vcc_lo, 1, v126
	s_cbranch_vccnz .LBB64_301
; %bb.300:
	v_lshlrev_b64 v[38:39], 2, v[86:87]
	v_add_co_u32 v36, vcc_lo, v36, v38
	v_add_co_ci_u32_e64 v37, null, v37, v39, vcc_lo
	global_load_dword v36, v[36:37], off
	s_waitcnt vmcnt(0)
	v_mul_f32_e32 v36, s11, v36
	s_branch .LBB64_302
.LBB64_301:
	v_mov_b32_e32 v36, 0
.LBB64_302:
	v_add_f32_e32 v31, v3, v31
	v_add_f32_e32 v30, v2, v30
	;; [unrolled: 1-line block ×4, first 2 shown]
	v_min3_f32 v37, v30, v31, v100
	v_lshlrev_b64 v[30:31], 2, v[86:87]
	v_min_f32_e32 v32, v32, v33
	v_min3_f32 v32, v36, v32, v37
	v_add_co_u32 v30, vcc_lo, v34, v30
	v_add_co_ci_u32_e64 v31, null, v35, v31, vcc_lo
	global_store_dword v[30:31], v32, off
.LBB64_303:
	s_or_b32 exec_lo, exec_lo, s4
	v_add_nc_u32_e32 v34, 0x68, v130
	v_mad_i64_i32 v[30:31], null, v34, s6, 0
	v_mad_i64_i32 v[32:33], null, v34, s5, 0
	v_cmp_gt_i32_e64 s4, s9, v34
	v_lshlrev_b64 v[30:31], 2, v[30:31]
	s_and_b32 s12, s0, s4
	v_lshlrev_b64 v[34:35], 2, v[32:33]
	v_add_co_u32 v32, vcc_lo, s16, v30
	v_add_co_ci_u32_e64 v33, null, s17, v31, vcc_lo
	v_add_co_u32 v30, vcc_lo, s7, v34
	v_add_co_ci_u32_e64 v31, null, s10, v35, vcc_lo
	s_and_saveexec_b32 s8, s12
	s_cbranch_execnz .LBB64_307
; %bb.304:
	s_or_b32 exec_lo, exec_lo, s8
	s_and_b32 s12, s1, s4
	s_and_saveexec_b32 s8, s12
	s_cbranch_execnz .LBB64_311
.LBB64_305:
	s_or_b32 exec_lo, exec_lo, s8
	s_and_b32 s12, s2, s4
	s_and_saveexec_b32 s8, s12
	s_cbranch_execnz .LBB64_315
.LBB64_306:
	s_or_b32 exec_lo, exec_lo, s8
	s_and_b32 s8, s3, s4
	s_and_saveexec_b32 s4, s8
	s_cbranch_execnz .LBB64_319
	s_branch .LBB64_323
.LBB64_307:
	v_cmp_ne_u32_e32 vcc_lo, 1, v126
	s_cbranch_vccnz .LBB64_309
; %bb.308:
	v_lshlrev_b64 v[34:35], 2, v[0:1]
	v_add_co_u32 v34, vcc_lo, v32, v34
	v_add_co_ci_u32_e64 v35, null, v33, v35, vcc_lo
	global_load_dword v34, v[34:35], off
	s_waitcnt vmcnt(0)
	v_mul_f32_e32 v34, s11, v34
	s_branch .LBB64_310
.LBB64_309:
	v_mov_b32_e32 v34, 0
.LBB64_310:
	v_add_f32_e32 v35, v19, v27
	v_add_f32_e32 v36, v18, v26
	;; [unrolled: 1-line block ×4, first 2 shown]
	v_min3_f32 v39, v36, v35, v99
	v_lshlrev_b64 v[35:36], 2, v[0:1]
	v_min_f32_e32 v37, v38, v37
	v_min3_f32 v37, v34, v37, v39
	v_add_co_u32 v34, vcc_lo, v30, v35
	v_add_co_ci_u32_e64 v35, null, v31, v36, vcc_lo
	global_store_dword v[34:35], v37, off
	s_or_b32 exec_lo, exec_lo, s8
	s_and_b32 s12, s1, s4
	s_and_saveexec_b32 s8, s12
	s_cbranch_execz .LBB64_305
.LBB64_311:
	v_cmp_ne_u32_e32 vcc_lo, 1, v126
	s_cbranch_vccnz .LBB64_313
; %bb.312:
	v_lshlrev_b64 v[34:35], 2, v[82:83]
	v_add_co_u32 v34, vcc_lo, v32, v34
	v_add_co_ci_u32_e64 v35, null, v33, v35, vcc_lo
	global_load_dword v34, v[34:35], off
	s_waitcnt vmcnt(0)
	v_mul_f32_e32 v34, s11, v34
	s_branch .LBB64_314
.LBB64_313:
	v_mov_b32_e32 v34, 0
.LBB64_314:
	v_add_f32_e32 v35, v15, v27
	v_add_f32_e32 v36, v14, v26
	;; [unrolled: 1-line block ×4, first 2 shown]
	v_min3_f32 v39, v36, v35, v97
	v_lshlrev_b64 v[35:36], 2, v[82:83]
	v_min_f32_e32 v37, v38, v37
	v_min3_f32 v37, v34, v37, v39
	v_add_co_u32 v34, vcc_lo, v30, v35
	v_add_co_ci_u32_e64 v35, null, v31, v36, vcc_lo
	global_store_dword v[34:35], v37, off
	s_or_b32 exec_lo, exec_lo, s8
	s_and_b32 s12, s2, s4
	s_and_saveexec_b32 s8, s12
	s_cbranch_execz .LBB64_306
.LBB64_315:
	v_cmp_ne_u32_e32 vcc_lo, 1, v126
	s_cbranch_vccnz .LBB64_317
; %bb.316:
	v_lshlrev_b64 v[34:35], 2, v[84:85]
	v_add_co_u32 v34, vcc_lo, v32, v34
	v_add_co_ci_u32_e64 v35, null, v33, v35, vcc_lo
	global_load_dword v34, v[34:35], off
	s_waitcnt vmcnt(0)
	v_mul_f32_e32 v34, s11, v34
	s_branch .LBB64_318
.LBB64_317:
	v_mov_b32_e32 v34, 0
.LBB64_318:
	v_add_f32_e32 v35, v11, v27
	v_add_f32_e32 v36, v10, v26
	;; [unrolled: 1-line block ×4, first 2 shown]
	v_min3_f32 v39, v36, v35, v96
	v_lshlrev_b64 v[35:36], 2, v[84:85]
	v_min_f32_e32 v37, v38, v37
	v_min3_f32 v37, v34, v37, v39
	v_add_co_u32 v34, vcc_lo, v30, v35
	v_add_co_ci_u32_e64 v35, null, v31, v36, vcc_lo
	global_store_dword v[34:35], v37, off
	s_or_b32 exec_lo, exec_lo, s8
	s_and_b32 s8, s3, s4
	s_and_saveexec_b32 s4, s8
	s_cbranch_execz .LBB64_323
.LBB64_319:
	v_cmp_ne_u32_e32 vcc_lo, 1, v126
	s_cbranch_vccnz .LBB64_321
; %bb.320:
	v_lshlrev_b64 v[34:35], 2, v[86:87]
	v_add_co_u32 v32, vcc_lo, v32, v34
	v_add_co_ci_u32_e64 v33, null, v33, v35, vcc_lo
	global_load_dword v32, v[32:33], off
	s_waitcnt vmcnt(0)
	v_mul_f32_e32 v32, s11, v32
	s_branch .LBB64_322
.LBB64_321:
	v_mov_b32_e32 v32, 0
.LBB64_322:
	v_add_f32_e32 v27, v3, v27
	v_add_f32_e32 v26, v2, v26
	;; [unrolled: 1-line block ×4, first 2 shown]
	v_min3_f32 v33, v26, v27, v95
	v_lshlrev_b64 v[26:27], 2, v[86:87]
	v_min_f32_e32 v28, v28, v29
	v_min3_f32 v28, v32, v28, v33
	v_add_co_u32 v26, vcc_lo, v30, v26
	v_add_co_ci_u32_e64 v27, null, v31, v27, vcc_lo
	global_store_dword v[26:27], v28, off
.LBB64_323:
	s_or_b32 exec_lo, exec_lo, s4
	v_add_nc_u32_e32 v30, 0x70, v130
	v_mad_i64_i32 v[26:27], null, v30, s6, 0
	v_mad_i64_i32 v[28:29], null, v30, s5, 0
	v_cmp_gt_i32_e64 s4, s9, v30
	v_lshlrev_b64 v[26:27], 2, v[26:27]
	s_and_b32 s12, s0, s4
	v_lshlrev_b64 v[30:31], 2, v[28:29]
	v_add_co_u32 v28, vcc_lo, s16, v26
	v_add_co_ci_u32_e64 v29, null, s17, v27, vcc_lo
	v_add_co_u32 v26, vcc_lo, s7, v30
	v_add_co_ci_u32_e64 v27, null, s10, v31, vcc_lo
	s_and_saveexec_b32 s8, s12
	s_cbranch_execnz .LBB64_327
; %bb.324:
	s_or_b32 exec_lo, exec_lo, s8
	s_and_b32 s12, s1, s4
	s_and_saveexec_b32 s8, s12
	s_cbranch_execnz .LBB64_331
.LBB64_325:
	s_or_b32 exec_lo, exec_lo, s8
	s_and_b32 s12, s2, s4
	s_and_saveexec_b32 s8, s12
	s_cbranch_execnz .LBB64_335
.LBB64_326:
	s_or_b32 exec_lo, exec_lo, s8
	s_and_b32 s8, s3, s4
	s_and_saveexec_b32 s4, s8
	s_cbranch_execnz .LBB64_339
	s_branch .LBB64_343
.LBB64_327:
	v_cmp_ne_u32_e32 vcc_lo, 1, v126
	s_cbranch_vccnz .LBB64_329
; %bb.328:
	v_lshlrev_b64 v[30:31], 2, v[0:1]
	v_add_co_u32 v30, vcc_lo, v28, v30
	v_add_co_ci_u32_e64 v31, null, v29, v31, vcc_lo
	global_load_dword v30, v[30:31], off
	s_waitcnt vmcnt(0)
	v_mul_f32_e32 v30, s11, v30
	s_branch .LBB64_330
.LBB64_329:
	v_mov_b32_e32 v30, 0
.LBB64_330:
	v_add_f32_e32 v31, v19, v23
	v_add_f32_e32 v32, v18, v22
	;; [unrolled: 1-line block ×4, first 2 shown]
	v_min3_f32 v35, v32, v31, v94
	v_lshlrev_b64 v[31:32], 2, v[0:1]
	v_min_f32_e32 v33, v34, v33
	v_min3_f32 v33, v30, v33, v35
	v_add_co_u32 v30, vcc_lo, v26, v31
	v_add_co_ci_u32_e64 v31, null, v27, v32, vcc_lo
	global_store_dword v[30:31], v33, off
	s_or_b32 exec_lo, exec_lo, s8
	s_and_b32 s12, s1, s4
	s_and_saveexec_b32 s8, s12
	s_cbranch_execz .LBB64_325
.LBB64_331:
	v_cmp_ne_u32_e32 vcc_lo, 1, v126
	s_cbranch_vccnz .LBB64_333
; %bb.332:
	v_lshlrev_b64 v[30:31], 2, v[82:83]
	v_add_co_u32 v30, vcc_lo, v28, v30
	v_add_co_ci_u32_e64 v31, null, v29, v31, vcc_lo
	global_load_dword v30, v[30:31], off
	s_waitcnt vmcnt(0)
	v_mul_f32_e32 v30, s11, v30
	s_branch .LBB64_334
.LBB64_333:
	v_mov_b32_e32 v30, 0
.LBB64_334:
	v_add_f32_e32 v31, v15, v23
	v_add_f32_e32 v32, v14, v22
	;; [unrolled: 1-line block ×4, first 2 shown]
	v_min3_f32 v35, v32, v31, v93
	v_lshlrev_b64 v[31:32], 2, v[82:83]
	v_min_f32_e32 v33, v34, v33
	v_min3_f32 v33, v30, v33, v35
	v_add_co_u32 v30, vcc_lo, v26, v31
	v_add_co_ci_u32_e64 v31, null, v27, v32, vcc_lo
	global_store_dword v[30:31], v33, off
	s_or_b32 exec_lo, exec_lo, s8
	s_and_b32 s12, s2, s4
	s_and_saveexec_b32 s8, s12
	s_cbranch_execz .LBB64_326
.LBB64_335:
	v_cmp_ne_u32_e32 vcc_lo, 1, v126
	s_cbranch_vccnz .LBB64_337
; %bb.336:
	v_lshlrev_b64 v[30:31], 2, v[84:85]
	v_add_co_u32 v30, vcc_lo, v28, v30
	v_add_co_ci_u32_e64 v31, null, v29, v31, vcc_lo
	global_load_dword v30, v[30:31], off
	s_waitcnt vmcnt(0)
	v_mul_f32_e32 v30, s11, v30
	s_branch .LBB64_338
.LBB64_337:
	v_mov_b32_e32 v30, 0
.LBB64_338:
	v_add_f32_e32 v31, v11, v23
	v_add_f32_e32 v32, v10, v22
	;; [unrolled: 1-line block ×4, first 2 shown]
	v_min3_f32 v35, v32, v31, v92
	v_lshlrev_b64 v[31:32], 2, v[84:85]
	v_min_f32_e32 v33, v34, v33
	v_min3_f32 v33, v30, v33, v35
	v_add_co_u32 v30, vcc_lo, v26, v31
	v_add_co_ci_u32_e64 v31, null, v27, v32, vcc_lo
	global_store_dword v[30:31], v33, off
	s_or_b32 exec_lo, exec_lo, s8
	s_and_b32 s8, s3, s4
	s_and_saveexec_b32 s4, s8
	s_cbranch_execz .LBB64_343
.LBB64_339:
	v_cmp_ne_u32_e32 vcc_lo, 1, v126
	s_cbranch_vccnz .LBB64_341
; %bb.340:
	v_lshlrev_b64 v[30:31], 2, v[86:87]
	v_add_co_u32 v28, vcc_lo, v28, v30
	v_add_co_ci_u32_e64 v29, null, v29, v31, vcc_lo
	global_load_dword v28, v[28:29], off
	s_waitcnt vmcnt(0)
	v_mul_f32_e32 v28, s11, v28
	s_branch .LBB64_342
.LBB64_341:
	v_mov_b32_e32 v28, 0
.LBB64_342:
	v_add_f32_e32 v23, v3, v23
	v_add_f32_e32 v22, v2, v22
	;; [unrolled: 1-line block ×4, first 2 shown]
	v_min3_f32 v29, v22, v23, v91
	v_lshlrev_b64 v[22:23], 2, v[86:87]
	v_min_f32_e32 v24, v24, v25
	v_min3_f32 v24, v28, v24, v29
	v_add_co_u32 v22, vcc_lo, v26, v22
	v_add_co_ci_u32_e64 v23, null, v27, v23, vcc_lo
	global_store_dword v[22:23], v24, off
.LBB64_343:
	s_or_b32 exec_lo, exec_lo, s4
	v_add_nc_u32_e32 v26, 0x78, v130
	v_mad_i64_i32 v[22:23], null, v26, s6, 0
	v_mad_i64_i32 v[24:25], null, v26, s5, 0
	v_cmp_gt_i32_e64 s4, s9, v26
	v_lshlrev_b64 v[22:23], 2, v[22:23]
	s_and_b32 s5, s0, s4
	v_lshlrev_b64 v[26:27], 2, v[24:25]
	v_add_co_u32 v24, vcc_lo, s16, v22
	v_add_co_ci_u32_e64 v25, null, s17, v23, vcc_lo
	v_add_co_u32 v22, vcc_lo, s7, v26
	v_add_co_ci_u32_e64 v23, null, s10, v27, vcc_lo
	s_and_saveexec_b32 s0, s5
	s_cbranch_execnz .LBB64_348
; %bb.344:
	s_or_b32 exec_lo, exec_lo, s0
	s_and_b32 s1, s1, s4
	s_and_saveexec_b32 s0, s1
	s_cbranch_execnz .LBB64_352
.LBB64_345:
	s_or_b32 exec_lo, exec_lo, s0
	s_and_b32 s1, s2, s4
	s_and_saveexec_b32 s0, s1
	s_cbranch_execnz .LBB64_356
.LBB64_346:
	s_or_b32 exec_lo, exec_lo, s0
	s_and_b32 s0, s3, s4
	s_and_saveexec_b32 s1, s0
	s_cbranch_execnz .LBB64_360
.LBB64_347:
	s_endpgm
.LBB64_348:
	v_cmp_ne_u32_e32 vcc_lo, 1, v126
	v_lshlrev_b64 v[0:1], 2, v[0:1]
	s_cbranch_vccnz .LBB64_350
; %bb.349:
	v_add_co_u32 v26, vcc_lo, v24, v0
	v_add_co_ci_u32_e64 v27, null, v25, v1, vcc_lo
	global_load_dword v26, v[26:27], off
	s_waitcnt vmcnt(0)
	v_mul_f32_e32 v26, s11, v26
	s_branch .LBB64_351
.LBB64_350:
	v_mov_b32_e32 v26, 0
.LBB64_351:
	v_add_f32_e32 v19, v19, v7
	v_add_f32_e32 v18, v18, v6
	;; [unrolled: 1-line block ×4, first 2 shown]
	v_add_co_u32 v0, vcc_lo, v22, v0
	v_min3_f32 v18, v18, v19, v90
	v_add_co_ci_u32_e64 v1, null, v23, v1, vcc_lo
	v_min_f32_e32 v19, v20, v21
	v_min3_f32 v18, v26, v19, v18
	global_store_dword v[0:1], v18, off
	s_or_b32 exec_lo, exec_lo, s0
	s_and_b32 s1, s1, s4
	s_and_saveexec_b32 s0, s1
	s_cbranch_execz .LBB64_345
.LBB64_352:
	v_cmp_ne_u32_e32 vcc_lo, 1, v126
	v_lshlrev_b64 v[0:1], 2, v[82:83]
	s_cbranch_vccnz .LBB64_354
; %bb.353:
	v_add_co_u32 v18, vcc_lo, v24, v0
	v_add_co_ci_u32_e64 v19, null, v25, v1, vcc_lo
	global_load_dword v18, v[18:19], off
	s_waitcnt vmcnt(0)
	v_mul_f32_e32 v18, s11, v18
	s_branch .LBB64_355
.LBB64_354:
	v_mov_b32_e32 v18, 0
.LBB64_355:
	v_add_f32_e32 v15, v15, v7
	v_add_f32_e32 v14, v14, v6
	;; [unrolled: 1-line block ×4, first 2 shown]
	v_add_co_u32 v0, vcc_lo, v22, v0
	v_min3_f32 v14, v14, v15, v89
	v_add_co_ci_u32_e64 v1, null, v23, v1, vcc_lo
	v_min_f32_e32 v15, v16, v17
	v_min3_f32 v14, v18, v15, v14
	global_store_dword v[0:1], v14, off
	s_or_b32 exec_lo, exec_lo, s0
	s_and_b32 s1, s2, s4
	s_and_saveexec_b32 s0, s1
	s_cbranch_execz .LBB64_346
.LBB64_356:
	v_cmp_ne_u32_e32 vcc_lo, 1, v126
	v_lshlrev_b64 v[0:1], 2, v[84:85]
	s_cbranch_vccnz .LBB64_358
; %bb.357:
	v_add_co_u32 v14, vcc_lo, v24, v0
	v_add_co_ci_u32_e64 v15, null, v25, v1, vcc_lo
	global_load_dword v14, v[14:15], off
	s_waitcnt vmcnt(0)
	v_mul_f32_e32 v14, s11, v14
	s_branch .LBB64_359
.LBB64_358:
	v_mov_b32_e32 v14, 0
.LBB64_359:
	v_add_f32_e32 v11, v11, v7
	v_add_f32_e32 v10, v10, v6
	;; [unrolled: 1-line block ×4, first 2 shown]
	v_add_co_u32 v0, vcc_lo, v22, v0
	v_min3_f32 v10, v10, v11, v88
	v_add_co_ci_u32_e64 v1, null, v23, v1, vcc_lo
	v_min_f32_e32 v11, v12, v13
	v_min3_f32 v10, v14, v11, v10
	global_store_dword v[0:1], v10, off
	s_or_b32 exec_lo, exec_lo, s0
	s_and_b32 s0, s3, s4
	s_and_saveexec_b32 s1, s0
	s_cbranch_execz .LBB64_347
.LBB64_360:
	v_cmp_ne_u32_e32 vcc_lo, 1, v126
	v_lshlrev_b64 v[0:1], 2, v[86:87]
	s_cbranch_vccnz .LBB64_362
; %bb.361:
	v_add_co_u32 v10, vcc_lo, v24, v0
	v_add_co_ci_u32_e64 v11, null, v25, v1, vcc_lo
	global_load_dword v10, v[10:11], off
	s_waitcnt vmcnt(0)
	v_mul_f32_e32 v10, s11, v10
	s_branch .LBB64_363
.LBB64_362:
	v_mov_b32_e32 v10, 0
.LBB64_363:
	v_add_f32_e32 v3, v3, v7
	v_add_f32_e32 v2, v2, v6
	;; [unrolled: 1-line block ×4, first 2 shown]
	v_add_co_u32 v0, vcc_lo, v22, v0
	v_min3_f32 v2, v2, v3, v98
	v_add_co_ci_u32_e64 v1, null, v23, v1, vcc_lo
	v_min_f32_e32 v3, v4, v5
	v_min3_f32 v2, v10, v3, v2
	global_store_dword v[0:1], v2, off
	s_endpgm
	.section	.rodata,"a",@progbits
	.p2align	6, 0x0
	.amdhsa_kernel _ZN12_GLOBAL__N_120geam_min_plus_kernelIf15HIP_vector_typeIfLj2EEfLi32ELi8ELi128ELi128ELi4ELi4ELi64ELi4ELi64ELc84ELc78ELb1ELb1ELb1EfKffEEviiiT16_PT17_ilS6_ilS4_S6_ilPT18_ili26rocblas_geam_ex_operation_
		.amdhsa_group_segment_fixed_size 8192
		.amdhsa_private_segment_fixed_size 0
		.amdhsa_kernarg_size 128
		.amdhsa_user_sgpr_count 6
		.amdhsa_user_sgpr_private_segment_buffer 1
		.amdhsa_user_sgpr_dispatch_ptr 0
		.amdhsa_user_sgpr_queue_ptr 0
		.amdhsa_user_sgpr_kernarg_segment_ptr 1
		.amdhsa_user_sgpr_dispatch_id 0
		.amdhsa_user_sgpr_flat_scratch_init 0
		.amdhsa_user_sgpr_private_segment_size 0
		.amdhsa_wavefront_size32 1
		.amdhsa_uses_dynamic_stack 0
		.amdhsa_system_sgpr_private_segment_wavefront_offset 0
		.amdhsa_system_sgpr_workgroup_id_x 1
		.amdhsa_system_sgpr_workgroup_id_y 0
		.amdhsa_system_sgpr_workgroup_id_z 1
		.amdhsa_system_sgpr_workgroup_info 0
		.amdhsa_system_vgpr_workitem_id 1
		.amdhsa_next_free_vgpr 177
		.amdhsa_next_free_sgpr 26
		.amdhsa_reserve_vcc 1
		.amdhsa_reserve_flat_scratch 0
		.amdhsa_float_round_mode_32 0
		.amdhsa_float_round_mode_16_64 0
		.amdhsa_float_denorm_mode_32 3
		.amdhsa_float_denorm_mode_16_64 3
		.amdhsa_dx10_clamp 1
		.amdhsa_ieee_mode 1
		.amdhsa_fp16_overflow 0
		.amdhsa_workgroup_processor_mode 1
		.amdhsa_memory_ordered 1
		.amdhsa_forward_progress 1
		.amdhsa_shared_vgpr_count 0
		.amdhsa_exception_fp_ieee_invalid_op 0
		.amdhsa_exception_fp_denorm_src 0
		.amdhsa_exception_fp_ieee_div_zero 0
		.amdhsa_exception_fp_ieee_overflow 0
		.amdhsa_exception_fp_ieee_underflow 0
		.amdhsa_exception_fp_ieee_inexact 0
		.amdhsa_exception_int_div_zero 0
	.end_amdhsa_kernel
	.section	.text._ZN12_GLOBAL__N_120geam_min_plus_kernelIf15HIP_vector_typeIfLj2EEfLi32ELi8ELi128ELi128ELi4ELi4ELi64ELi4ELi64ELc84ELc78ELb1ELb1ELb1EfKffEEviiiT16_PT17_ilS6_ilS4_S6_ilPT18_ili26rocblas_geam_ex_operation_,"axG",@progbits,_ZN12_GLOBAL__N_120geam_min_plus_kernelIf15HIP_vector_typeIfLj2EEfLi32ELi8ELi128ELi128ELi4ELi4ELi64ELi4ELi64ELc84ELc78ELb1ELb1ELb1EfKffEEviiiT16_PT17_ilS6_ilS4_S6_ilPT18_ili26rocblas_geam_ex_operation_,comdat
.Lfunc_end64:
	.size	_ZN12_GLOBAL__N_120geam_min_plus_kernelIf15HIP_vector_typeIfLj2EEfLi32ELi8ELi128ELi128ELi4ELi4ELi64ELi4ELi64ELc84ELc78ELb1ELb1ELb1EfKffEEviiiT16_PT17_ilS6_ilS4_S6_ilPT18_ili26rocblas_geam_ex_operation_, .Lfunc_end64-_ZN12_GLOBAL__N_120geam_min_plus_kernelIf15HIP_vector_typeIfLj2EEfLi32ELi8ELi128ELi128ELi4ELi4ELi64ELi4ELi64ELc84ELc78ELb1ELb1ELb1EfKffEEviiiT16_PT17_ilS6_ilS4_S6_ilPT18_ili26rocblas_geam_ex_operation_
                                        ; -- End function
	.set _ZN12_GLOBAL__N_120geam_min_plus_kernelIf15HIP_vector_typeIfLj2EEfLi32ELi8ELi128ELi128ELi4ELi4ELi64ELi4ELi64ELc84ELc78ELb1ELb1ELb1EfKffEEviiiT16_PT17_ilS6_ilS4_S6_ilPT18_ili26rocblas_geam_ex_operation_.num_vgpr, 177
	.set _ZN12_GLOBAL__N_120geam_min_plus_kernelIf15HIP_vector_typeIfLj2EEfLi32ELi8ELi128ELi128ELi4ELi4ELi64ELi4ELi64ELc84ELc78ELb1ELb1ELb1EfKffEEviiiT16_PT17_ilS6_ilS4_S6_ilPT18_ili26rocblas_geam_ex_operation_.num_agpr, 0
	.set _ZN12_GLOBAL__N_120geam_min_plus_kernelIf15HIP_vector_typeIfLj2EEfLi32ELi8ELi128ELi128ELi4ELi4ELi64ELi4ELi64ELc84ELc78ELb1ELb1ELb1EfKffEEviiiT16_PT17_ilS6_ilS4_S6_ilPT18_ili26rocblas_geam_ex_operation_.numbered_sgpr, 26
	.set _ZN12_GLOBAL__N_120geam_min_plus_kernelIf15HIP_vector_typeIfLj2EEfLi32ELi8ELi128ELi128ELi4ELi4ELi64ELi4ELi64ELc84ELc78ELb1ELb1ELb1EfKffEEviiiT16_PT17_ilS6_ilS4_S6_ilPT18_ili26rocblas_geam_ex_operation_.num_named_barrier, 0
	.set _ZN12_GLOBAL__N_120geam_min_plus_kernelIf15HIP_vector_typeIfLj2EEfLi32ELi8ELi128ELi128ELi4ELi4ELi64ELi4ELi64ELc84ELc78ELb1ELb1ELb1EfKffEEviiiT16_PT17_ilS6_ilS4_S6_ilPT18_ili26rocblas_geam_ex_operation_.private_seg_size, 0
	.set _ZN12_GLOBAL__N_120geam_min_plus_kernelIf15HIP_vector_typeIfLj2EEfLi32ELi8ELi128ELi128ELi4ELi4ELi64ELi4ELi64ELc84ELc78ELb1ELb1ELb1EfKffEEviiiT16_PT17_ilS6_ilS4_S6_ilPT18_ili26rocblas_geam_ex_operation_.uses_vcc, 1
	.set _ZN12_GLOBAL__N_120geam_min_plus_kernelIf15HIP_vector_typeIfLj2EEfLi32ELi8ELi128ELi128ELi4ELi4ELi64ELi4ELi64ELc84ELc78ELb1ELb1ELb1EfKffEEviiiT16_PT17_ilS6_ilS4_S6_ilPT18_ili26rocblas_geam_ex_operation_.uses_flat_scratch, 0
	.set _ZN12_GLOBAL__N_120geam_min_plus_kernelIf15HIP_vector_typeIfLj2EEfLi32ELi8ELi128ELi128ELi4ELi4ELi64ELi4ELi64ELc84ELc78ELb1ELb1ELb1EfKffEEviiiT16_PT17_ilS6_ilS4_S6_ilPT18_ili26rocblas_geam_ex_operation_.has_dyn_sized_stack, 0
	.set _ZN12_GLOBAL__N_120geam_min_plus_kernelIf15HIP_vector_typeIfLj2EEfLi32ELi8ELi128ELi128ELi4ELi4ELi64ELi4ELi64ELc84ELc78ELb1ELb1ELb1EfKffEEviiiT16_PT17_ilS6_ilS4_S6_ilPT18_ili26rocblas_geam_ex_operation_.has_recursion, 0
	.set _ZN12_GLOBAL__N_120geam_min_plus_kernelIf15HIP_vector_typeIfLj2EEfLi32ELi8ELi128ELi128ELi4ELi4ELi64ELi4ELi64ELc84ELc78ELb1ELb1ELb1EfKffEEviiiT16_PT17_ilS6_ilS4_S6_ilPT18_ili26rocblas_geam_ex_operation_.has_indirect_call, 0
	.section	.AMDGPU.csdata,"",@progbits
; Kernel info:
; codeLenInByte = 20120
; TotalNumSgprs: 28
; NumVgprs: 177
; ScratchSize: 0
; MemoryBound: 0
; FloatMode: 240
; IeeeMode: 1
; LDSByteSize: 8192 bytes/workgroup (compile time only)
; SGPRBlocks: 0
; VGPRBlocks: 22
; NumSGPRsForWavesPerEU: 28
; NumVGPRsForWavesPerEU: 177
; Occupancy: 5
; WaveLimiterHint : 0
; COMPUTE_PGM_RSRC2:SCRATCH_EN: 0
; COMPUTE_PGM_RSRC2:USER_SGPR: 6
; COMPUTE_PGM_RSRC2:TRAP_HANDLER: 0
; COMPUTE_PGM_RSRC2:TGID_X_EN: 1
; COMPUTE_PGM_RSRC2:TGID_Y_EN: 0
; COMPUTE_PGM_RSRC2:TGID_Z_EN: 1
; COMPUTE_PGM_RSRC2:TIDIG_COMP_CNT: 1
	.section	.text._ZN12_GLOBAL__N_120geam_min_plus_kernelIf15HIP_vector_typeIfLj2EEfLi32ELi8ELi128ELi128ELi4ELi4ELi64ELi4ELi64ELc84ELc78ELb0ELb1ELb1EfKffEEviiiT16_PT17_ilS6_ilS4_S6_ilPT18_ili26rocblas_geam_ex_operation_,"axG",@progbits,_ZN12_GLOBAL__N_120geam_min_plus_kernelIf15HIP_vector_typeIfLj2EEfLi32ELi8ELi128ELi128ELi4ELi4ELi64ELi4ELi64ELc84ELc78ELb0ELb1ELb1EfKffEEviiiT16_PT17_ilS6_ilS4_S6_ilPT18_ili26rocblas_geam_ex_operation_,comdat
	.globl	_ZN12_GLOBAL__N_120geam_min_plus_kernelIf15HIP_vector_typeIfLj2EEfLi32ELi8ELi128ELi128ELi4ELi4ELi64ELi4ELi64ELc84ELc78ELb0ELb1ELb1EfKffEEviiiT16_PT17_ilS6_ilS4_S6_ilPT18_ili26rocblas_geam_ex_operation_ ; -- Begin function _ZN12_GLOBAL__N_120geam_min_plus_kernelIf15HIP_vector_typeIfLj2EEfLi32ELi8ELi128ELi128ELi4ELi4ELi64ELi4ELi64ELc84ELc78ELb0ELb1ELb1EfKffEEviiiT16_PT17_ilS6_ilS4_S6_ilPT18_ili26rocblas_geam_ex_operation_
	.p2align	8
	.type	_ZN12_GLOBAL__N_120geam_min_plus_kernelIf15HIP_vector_typeIfLj2EEfLi32ELi8ELi128ELi128ELi4ELi4ELi64ELi4ELi64ELc84ELc78ELb0ELb1ELb1EfKffEEviiiT16_PT17_ilS6_ilS4_S6_ilPT18_ili26rocblas_geam_ex_operation_,@function
_ZN12_GLOBAL__N_120geam_min_plus_kernelIf15HIP_vector_typeIfLj2EEfLi32ELi8ELi128ELi128ELi4ELi4ELi64ELi4ELi64ELc84ELc78ELb0ELb1ELb1EfKffEEviiiT16_PT17_ilS6_ilS4_S6_ilPT18_ili26rocblas_geam_ex_operation_: ; @_ZN12_GLOBAL__N_120geam_min_plus_kernelIf15HIP_vector_typeIfLj2EEfLi32ELi8ELi128ELi128ELi4ELi4ELi64ELi4ELi64ELc84ELc78ELb0ELb1ELb1EfKffEEviiiT16_PT17_ilS6_ilS4_S6_ilPT18_ili26rocblas_geam_ex_operation_
; %bb.0:
	s_clause 0x1
	s_load_dwordx4 s[8:11], s[4:5], 0x0
	s_load_dwordx4 s[0:3], s[4:5], 0x20
	s_waitcnt lgkmcnt(0)
	v_cmp_eq_f32_e64 s12, s11, 0
	s_and_b32 vcc_lo, exec_lo, s12
	s_cbranch_vccnz .LBB65_45
; %bb.1:
	s_load_dwordx2 s[14:15], s[4:5], 0x10
	s_mul_i32 s1, s1, s7
	s_mul_hi_u32 s13, s0, s7
	s_mul_i32 s0, s0, s7
	s_add_i32 s1, s13, s1
	s_lshl_b64 s[0:1], s[0:1], 2
	s_waitcnt lgkmcnt(0)
	s_add_u32 s18, s14, s0
	s_addc_u32 s19, s15, s1
	s_andn2_b32 vcc_lo, exec_lo, s12
	s_mov_b32 s0, -1
	s_cbranch_vccnz .LBB65_3
.LBB65_2:
	s_mov_b32 s0, 0
.LBB65_3:
	s_mov_b64 s[16:17], 0
	s_andn2_b32 vcc_lo, exec_lo, s0
	s_mov_b64 s[20:21], 0
	s_cbranch_vccnz .LBB65_5
; %bb.4:
	s_load_dwordx2 s[0:1], s[4:5], 0x38
	s_waitcnt lgkmcnt(0)
	s_mul_i32 s1, s1, s7
	s_mul_hi_u32 s12, s0, s7
	s_mul_i32 s0, s0, s7
	s_add_i32 s1, s12, s1
	s_lshl_b64 s[0:1], s[0:1], 2
	s_add_u32 s20, s2, s0
	s_addc_u32 s21, s3, s1
.LBB65_5:
	s_clause 0x1
	s_load_dword s22, s[4:5], 0x40
	s_load_dwordx4 s[12:15], s[4:5], 0x58
	s_waitcnt lgkmcnt(0)
	v_cmp_eq_f32_e64 s0, s22, 0
	v_cmp_neq_f32_e64 s23, s22, 0
	s_and_b32 vcc_lo, exec_lo, s0
	s_cbranch_vccnz .LBB65_7
; %bb.6:
	s_load_dwordx2 s[0:1], s[4:5], 0x48
	s_mul_i32 s2, s13, s7
	s_mul_hi_u32 s3, s12, s7
	s_add_i32 s3, s3, s2
	s_mul_i32 s2, s12, s7
	s_lshl_b64 s[2:3], s[2:3], 2
	s_waitcnt lgkmcnt(0)
	s_add_u32 s16, s0, s2
	s_addc_u32 s17, s1, s3
.LBB65_7:
	s_add_i32 s0, s8, -1
	v_and_b32_e32 v115, 3, v0
	s_ashr_i32 s1, s0, 31
	v_lshl_add_u32 v3, v1, 5, v0
	s_lshr_b32 s1, s1, 25
	s_load_dword s26, s[4:5], 0x18
	s_add_i32 s0, s0, s1
	v_cmp_eq_f32_e64 s25, s11, 0
	s_ashr_i32 s0, s0, 7
	v_lshrrev_b32_e32 v4, 2, v3
	s_add_i32 s1, s0, 1
	s_not_b32 s0, s0
	v_cvt_f32_u32_e32 v2, s1
	v_rcp_iflag_f32_e32 v2, v2
	v_mul_f32_e32 v2, 0x4f7ffffe, v2
	v_cvt_u32_f32_e32 v2, v2
	v_readfirstlane_b32 s2, v2
	s_mul_i32 s0, s0, s2
	s_mul_hi_u32 s0, s2, s0
	s_add_i32 s2, s2, s0
	s_mul_hi_u32 s0, s6, s2
	s_mul_i32 s2, s0, s1
	s_add_i32 s3, s0, 1
	s_sub_i32 s2, s6, s2
	s_sub_i32 s12, s2, s1
	s_cmp_ge_u32 s2, s1
	s_cselect_b32 s0, s3, s0
	s_cselect_b32 s2, s12, s2
	s_add_i32 s3, s0, 1
	s_cmp_ge_u32 s2, s1
	s_cselect_b32 s2, s3, s0
	s_add_i32 s24, s10, -1
	s_mul_i32 s0, s2, s1
	v_min_i32_e32 v2, s24, v115
	s_sub_i32 s0, s6, s0
	v_cmp_le_i32_e64 s3, s10, v115
	s_lshl_b32 s12, s0, 7
	v_ashrrev_i32_e32 v3, 31, v2
	v_add_nc_u32_e32 v82, s12, v4
	v_lshlrev_b64 v[2:3], 2, v[2:3]
	v_cmp_le_i32_e32 vcc_lo, s8, v82
	v_add_co_u32 v7, s0, s18, v2
	v_add_co_ci_u32_e64 v8, null, s19, v3, s0
	s_or_b32 s0, s3, vcc_lo
	v_cndmask_b32_e64 v5, 0, 0x7f7fffff, s0
	s_nor_b32 s0, s25, s0
	s_and_saveexec_b32 s1, s0
	s_cbranch_execz .LBB65_9
; %bb.8:
	s_waitcnt lgkmcnt(0)
	v_mad_i64_i32 v[5:6], null, v82, s26, 0
	v_lshlrev_b64 v[5:6], 2, v[5:6]
	v_add_co_u32 v5, s0, v7, v5
	v_add_co_ci_u32_e64 v6, null, v8, v6, s0
	global_load_dword v5, v[5:6], off
	s_waitcnt vmcnt(0)
	v_mul_f32_e32 v5, s11, v5
.LBB65_9:
	s_or_b32 exec_lo, exec_lo, s1
	v_add_nc_u32_e32 v83, 64, v82
	v_cmp_le_i32_e64 s0, s8, v83
	s_or_b32 s1, s3, s0
	v_cndmask_b32_e64 v6, 0, 0x7f7fffff, s1
	s_nor_b32 s1, s25, s1
	s_and_saveexec_b32 s6, s1
	s_cbranch_execz .LBB65_11
; %bb.10:
	s_waitcnt lgkmcnt(0)
	v_mad_i64_i32 v[9:10], null, v83, s26, 0
	v_lshlrev_b64 v[9:10], 2, v[9:10]
	v_add_co_u32 v6, s1, v7, v9
	v_add_co_ci_u32_e64 v7, null, v8, v10, s1
	global_load_dword v6, v[6:7], off
	s_waitcnt vmcnt(0)
	v_mul_f32_e32 v6, s11, v6
.LBB65_11:
	s_or_b32 exec_lo, exec_lo, s6
	s_load_dword s27, s[4:5], 0x30
	s_lshl_b32 s13, s2, 7
	v_add_co_u32 v2, s2, s20, v2
	v_add_nc_u32_e32 v84, s13, v4
	v_add_co_ci_u32_e64 v3, null, s21, v3, s2
	v_cmp_le_i32_e64 s1, s9, v84
	s_or_b32 s2, s3, s1
	v_cndmask_b32_e64 v7, 0, 0x7f7fffff, s2
	s_nor_b32 s2, s25, s2
	s_and_saveexec_b32 s6, s2
	s_cbranch_execz .LBB65_13
; %bb.12:
	s_waitcnt lgkmcnt(0)
	v_mad_i64_i32 v[7:8], null, v84, s27, 0
	v_lshlrev_b64 v[7:8], 2, v[7:8]
	v_add_co_u32 v7, s2, v2, v7
	v_add_co_ci_u32_e64 v8, null, v3, v8, s2
	global_load_dword v7, v[7:8], off
	s_waitcnt vmcnt(0)
	v_mul_f32_e32 v7, s11, v7
.LBB65_13:
	s_or_b32 exec_lo, exec_lo, s6
	v_add_nc_u32_e32 v85, 64, v84
	v_cmp_le_i32_e64 s2, s9, v85
	s_or_b32 s3, s3, s2
	v_cndmask_b32_e64 v8, 0, 0x7f7fffff, s3
	s_nor_b32 s3, s25, s3
	s_and_saveexec_b32 s6, s3
	s_cbranch_execz .LBB65_15
; %bb.14:
	s_waitcnt lgkmcnt(0)
	v_mad_i64_i32 v[8:9], null, v85, s27, 0
	v_lshlrev_b64 v[8:9], 2, v[8:9]
	v_add_co_u32 v2, s3, v2, v8
	v_add_co_ci_u32_e64 v3, null, v3, v9, s3
	global_load_dword v2, v[2:3], off
	s_waitcnt vmcnt(0)
	v_mul_f32_e32 v8, s11, v2
.LBB65_15:
	s_or_b32 exec_lo, exec_lo, s6
	v_or_b32_e32 v9, 4, v115
	v_min_i32_e32 v2, s24, v9
	v_cmp_le_i32_e64 s3, s10, v9
	v_ashrrev_i32_e32 v3, 31, v2
	v_lshlrev_b64 v[2:3], 2, v[2:3]
	v_add_co_u32 v9, s6, s18, v2
	v_add_co_ci_u32_e64 v10, null, s19, v3, s6
	s_or_b32 s6, s3, vcc_lo
	v_cndmask_b32_e64 v86, 0, 0x7f7fffff, s6
	s_nor_b32 s6, s25, s6
	s_and_saveexec_b32 s28, s6
	s_cbranch_execz .LBB65_17
; %bb.16:
	s_waitcnt lgkmcnt(0)
	v_mad_i64_i32 v[11:12], null, v82, s26, 0
	v_lshlrev_b64 v[11:12], 2, v[11:12]
	v_add_co_u32 v11, s6, v9, v11
	v_add_co_ci_u32_e64 v12, null, v10, v12, s6
	global_load_dword v11, v[11:12], off
	s_waitcnt vmcnt(0)
	v_mul_f32_e32 v86, s11, v11
.LBB65_17:
	s_or_b32 exec_lo, exec_lo, s28
	s_or_b32 s6, s3, s0
	v_cndmask_b32_e64 v87, 0, 0x7f7fffff, s6
	s_nor_b32 s6, s25, s6
	s_and_saveexec_b32 s28, s6
	s_cbranch_execz .LBB65_19
; %bb.18:
	s_waitcnt lgkmcnt(0)
	v_mad_i64_i32 v[11:12], null, v83, s26, 0
	v_lshlrev_b64 v[11:12], 2, v[11:12]
	v_add_co_u32 v9, s6, v9, v11
	v_add_co_ci_u32_e64 v10, null, v10, v12, s6
	global_load_dword v9, v[9:10], off
	s_waitcnt vmcnt(0)
	v_mul_f32_e32 v87, s11, v9
.LBB65_19:
	s_or_b32 exec_lo, exec_lo, s28
	v_add_co_u32 v2, s6, s20, v2
	v_add_co_ci_u32_e64 v3, null, s21, v3, s6
	s_or_b32 s6, s3, s1
	v_cndmask_b32_e64 v88, 0, 0x7f7fffff, s6
	s_nor_b32 s6, s25, s6
	s_and_saveexec_b32 s28, s6
	s_cbranch_execz .LBB65_21
; %bb.20:
	s_waitcnt lgkmcnt(0)
	v_mad_i64_i32 v[9:10], null, v84, s27, 0
	v_lshlrev_b64 v[9:10], 2, v[9:10]
	v_add_co_u32 v9, s6, v2, v9
	v_add_co_ci_u32_e64 v10, null, v3, v10, s6
	global_load_dword v9, v[9:10], off
	s_waitcnt vmcnt(0)
	v_mul_f32_e32 v88, s11, v9
.LBB65_21:
	s_or_b32 exec_lo, exec_lo, s28
	s_or_b32 s3, s3, s2
	v_cndmask_b32_e64 v89, 0, 0x7f7fffff, s3
	s_nor_b32 s3, s25, s3
	s_and_saveexec_b32 s6, s3
	s_cbranch_execz .LBB65_23
; %bb.22:
	s_waitcnt lgkmcnt(0)
	v_mad_i64_i32 v[9:10], null, v85, s27, 0
	v_lshlrev_b64 v[9:10], 2, v[9:10]
	v_add_co_u32 v2, s3, v2, v9
	v_add_co_ci_u32_e64 v3, null, v3, v10, s3
	global_load_dword v2, v[2:3], off
	s_waitcnt vmcnt(0)
	v_mul_f32_e32 v89, s11, v2
.LBB65_23:
	s_or_b32 exec_lo, exec_lo, s6
	v_lshlrev_b32_e32 v2, 4, v4
	v_lshlrev_b32_e32 v118, 4, v0
	;; [unrolled: 1-line block ×3, first 2 shown]
	s_cmp_lt_i32 s10, 9
	v_lshl_or_b32 v124, v115, 2, v2
	ds_write2st64_b32 v124, v5, v6 offset1:4
	ds_write2st64_b32 v124, v7, v8 offset0:16 offset1:20
	s_waitcnt lgkmcnt(0)
	s_barrier
	buffer_gl0_inv
	ds_read_b128 v[14:17], v118
	ds_read_b128 v[10:13], v118 offset:512
	ds_read_b128 v[6:9], v118 offset:1024
	;; [unrolled: 1-line block ×19, first 2 shown]
	ds_write2st64_b32 v124, v86, v87 offset0:8 offset1:12
	ds_write2st64_b32 v124, v88, v89 offset0:24 offset1:28
	s_waitcnt lgkmcnt(0)
	s_barrier
	buffer_gl0_inv
	v_add_f32_e32 v90, v15, v79
	v_add_f32_e32 v91, v14, v78
	v_min3_f32 v120, v91, v90, 0x7f7fffff
	v_add_f32_e32 v90, v11, v79
	v_add_f32_e32 v91, v10, v78
	v_min3_f32 v121, v91, v90, 0x7f7fffff
	v_add_f32_e32 v90, v7, v79
	v_add_f32_e32 v91, v6, v78
	;; [unrolled: 1-line block ×5, first 2 shown]
	v_min3_f32 v122, v91, v90, 0x7f7fffff
	v_min3_f32 v123, v78, v79, 0x7f7fffff
	v_add_f32_e32 v78, v15, v75
	v_add_f32_e32 v79, v14, v74
	v_min3_f32 v119, v79, v78, 0x7f7fffff
	v_add_f32_e32 v78, v11, v75
	v_add_f32_e32 v79, v10, v74
	v_min3_f32 v117, v79, v78, 0x7f7fffff
	v_add_f32_e32 v78, v7, v75
	v_add_f32_e32 v79, v6, v74
	v_add_f32_e32 v75, v3, v75
	v_add_f32_e32 v74, v2, v74
	v_min3_f32 v114, v79, v78, 0x7f7fffff
	v_min3_f32 v113, v74, v75, 0x7f7fffff
	v_add_f32_e32 v74, v15, v71
	v_add_f32_e32 v75, v14, v70
	v_min3_f32 v112, v75, v74, 0x7f7fffff
	v_add_f32_e32 v74, v11, v71
	v_add_f32_e32 v75, v10, v70
	v_min3_f32 v111, v75, v74, 0x7f7fffff
	v_add_f32_e32 v74, v7, v71
	v_add_f32_e32 v75, v6, v70
	v_add_f32_e32 v71, v3, v71
	v_add_f32_e32 v70, v2, v70
	;; [unrolled: 12-line block ×13, first 2 shown]
	v_add_f32_e32 v6, v6, v18
	v_min3_f32 v34, v31, v30, 0x7f7fffff
	v_min3_f32 v31, v26, v27, 0x7f7fffff
	v_add_f32_e32 v26, v15, v23
	v_add_f32_e32 v27, v14, v22
	v_add_f32_e32 v15, v15, v19
	v_add_f32_e32 v14, v14, v18
	v_min3_f32 v30, v27, v26, 0x7f7fffff
	v_add_f32_e32 v26, v11, v23
	v_add_f32_e32 v27, v10, v22
	;; [unrolled: 1-line block ×4, first 2 shown]
	v_min3_f32 v14, v14, v15, 0x7f7fffff
	v_add_f32_e32 v11, v11, v19
	v_min3_f32 v27, v27, v26, 0x7f7fffff
	v_add_f32_e32 v26, v7, v23
	v_add_f32_e32 v23, v3, v23
	;; [unrolled: 1-line block ×5, first 2 shown]
	v_min3_f32 v26, v125, v26, 0x7f7fffff
	v_min3_f32 v22, v22, v23, 0x7f7fffff
	;; [unrolled: 1-line block ×4, first 2 shown]
	v_add_f32_e32 v3, v17, v81
	v_add_f32_e32 v7, v16, v80
	v_min3_f32 v10, v10, v11, 0x7f7fffff
	v_min3_f32 v159, v7, v3, v120
	v_add_f32_e32 v3, v13, v81
	v_add_f32_e32 v7, v12, v80
	v_min3_f32 v158, v7, v3, v121
	v_add_f32_e32 v3, v9, v81
	v_add_f32_e32 v7, v8, v80
	;; [unrolled: 3-line block ×59, first 2 shown]
	v_add_f32_e32 v4, v4, v20
	v_min3_f32 v95, v7, v3, v22
	v_add_f32_e32 v3, v17, v21
	v_add_f32_e32 v7, v16, v20
	v_min3_f32 v94, v7, v3, v14
	v_add_f32_e32 v3, v13, v21
	;; [unrolled: 3-line block ×4, first 2 shown]
	v_min3_f32 v102, v4, v3, v2
	s_cbranch_scc1 .LBB65_42
; %bb.24:
	v_mad_i64_i32 v[2:3], null, v82, s26, 0
	v_mad_i64_i32 v[4:5], null, v83, s26, 0
	;; [unrolled: 1-line block ×4, first 2 shown]
	v_lshlrev_b64 v[82:83], 2, v[2:3]
	v_add_nc_u32_e32 v160, 0x1000, v124
	v_lshlrev_b64 v[84:85], 2, v[4:5]
	v_or_b32_e32 v161, 0x1000, v116
	v_lshlrev_b64 v[86:87], 2, v[6:7]
	v_add_nc_u32_e32 v162, 0x800, v124
	v_lshlrev_b64 v[88:89], 2, v[8:9]
	v_add_nc_u32_e32 v163, 0x1800, v124
	v_lshl_add_u32 v164, v0, 4, 0x800
	v_lshl_add_u32 v165, v1, 4, 0x1800
	s_add_i32 s26, s10, -8
	s_mov_b32 s27, 0
	s_branch .LBB65_26
.LBB65_25:                              ;   in Loop: Header=BB65_26 Depth=1
	s_or_b32 exec_lo, exec_lo, s6
	v_add_f32_e32 v168, v15, v79
	v_add_f32_e32 v169, v14, v78
	;; [unrolled: 1-line block ×10, first 2 shown]
	v_min3_f32 v159, v169, v168, v159
	v_min3_f32 v158, v171, v170, v158
	;; [unrolled: 1-line block ×3, first 2 shown]
	v_add_f32_e32 v156, v10, v74
	v_min3_f32 v79, v175, v174, v155
	v_add_f32_e32 v155, v11, v75
	v_add_f32_e32 v168, v7, v75
	;; [unrolled: 1-line block ×7, first 2 shown]
	v_min3_f32 v157, v173, v172, v157
	v_add_f32_e32 v172, v11, v71
	v_add_f32_e32 v173, v10, v70
	v_min3_f32 v154, v156, v155, v154
	v_min3_f32 v74, v74, v75, v152
	;; [unrolled: 1-line block ×3, first 2 shown]
	v_add_f32_e32 v151, v7, v71
	v_add_f32_e32 v152, v6, v70
	;; [unrolled: 1-line block ×6, first 2 shown]
	v_min3_f32 v153, v169, v168, v153
	v_add_f32_e32 v168, v11, v67
	v_add_f32_e32 v169, v10, v66
	;; [unrolled: 1-line block ×4, first 2 shown]
	v_min3_f32 v149, v152, v151, v149
	v_min3_f32 v70, v70, v71, v148
	;; [unrolled: 1-line block ×3, first 2 shown]
	v_add_f32_e32 v67, v3, v67
	v_add_f32_e32 v66, v2, v66
	;; [unrolled: 1-line block ×10, first 2 shown]
	v_min3_f32 v66, v66, v67, v144
	v_min3_f32 v67, v148, v147, v143
	;; [unrolled: 1-line block ×3, first 2 shown]
	v_add_f32_e32 v143, v11, v59
	v_min3_f32 v62, v62, v63, v140
	v_add_f32_e32 v63, v15, v59
	v_add_f32_e32 v140, v14, v58
	;; [unrolled: 1-line block ×9, first 2 shown]
	v_min3_f32 v63, v140, v63, v139
	v_min3_f32 v138, v144, v143, v138
	;; [unrolled: 1-line block ×3, first 2 shown]
	v_add_f32_e32 v136, v10, v54
	v_min3_f32 v59, v152, v151, v135
	v_add_f32_e32 v135, v11, v55
	v_add_f32_e32 v139, v7, v55
	;; [unrolled: 1-line block ×7, first 2 shown]
	v_min3_f32 v137, v148, v147, v137
	v_add_f32_e32 v147, v11, v47
	v_add_f32_e32 v148, v10, v46
	v_min3_f32 v134, v136, v135, v134
	v_min3_f32 v54, v54, v55, v132
	v_min3_f32 v55, v144, v143, v131
	v_add_f32_e32 v131, v7, v47
	v_add_f32_e32 v132, v6, v46
	;; [unrolled: 1-line block ×6, first 2 shown]
	v_min3_f32 v133, v140, v139, v133
	v_add_f32_e32 v139, v11, v51
	v_add_f32_e32 v140, v10, v50
	;; [unrolled: 1-line block ×4, first 2 shown]
	v_min3_f32 v129, v132, v131, v129
	v_min3_f32 v46, v46, v47, v128
	;; [unrolled: 1-line block ×3, first 2 shown]
	v_add_f32_e32 v51, v3, v51
	v_add_f32_e32 v50, v2, v50
	;; [unrolled: 1-line block ×10, first 2 shown]
	v_min3_f32 v50, v50, v51, v123
	v_min3_f32 v51, v128, v127, v122
	v_min3_f32 v121, v132, v131, v121
	v_add_f32_e32 v122, v11, v39
	v_min3_f32 v42, v42, v43, v119
	v_add_f32_e32 v43, v15, v39
	v_add_f32_e32 v119, v14, v38
	;; [unrolled: 1-line block ×9, first 2 shown]
	v_min3_f32 v43, v119, v43, v117
	v_min3_f32 v114, v123, v122, v114
	;; [unrolled: 1-line block ×3, first 2 shown]
	v_add_f32_e32 v112, v10, v34
	v_min3_f32 v39, v132, v131, v111
	v_add_f32_e32 v111, v11, v35
	v_add_f32_e32 v117, v7, v35
	;; [unrolled: 1-line block ×7, first 2 shown]
	v_min3_f32 v113, v128, v127, v113
	v_add_f32_e32 v127, v11, v31
	v_add_f32_e32 v128, v10, v30
	v_min3_f32 v110, v112, v111, v110
	v_min3_f32 v34, v34, v35, v108
	;; [unrolled: 1-line block ×3, first 2 shown]
	v_add_f32_e32 v107, v7, v31
	v_add_f32_e32 v108, v6, v30
	;; [unrolled: 1-line block ×6, first 2 shown]
	v_min3_f32 v109, v119, v117, v109
	v_add_f32_e32 v117, v11, v27
	v_add_f32_e32 v119, v10, v26
	;; [unrolled: 1-line block ×4, first 2 shown]
	v_min3_f32 v105, v108, v107, v105
	v_min3_f32 v30, v30, v31, v104
	;; [unrolled: 1-line block ×3, first 2 shown]
	v_add_f32_e32 v27, v3, v27
	v_add_f32_e32 v26, v2, v26
	;; [unrolled: 1-line block ×20, first 2 shown]
	v_min3_f32 v22, v22, v23, v95
	v_min3_f32 v14, v14, v15, v94
	;; [unrolled: 1-line block ×6, first 2 shown]
	v_add_f32_e32 v2, v13, v81
	v_add_f32_e32 v3, v12, v80
	;; [unrolled: 1-line block ×6, first 2 shown]
	v_min3_f32 v26, v26, v27, v99
	v_min3_f32 v27, v104, v103, v98
	v_add_f32_e32 v19, v17, v77
	v_add_f32_e32 v80, v16, v76
	v_min3_f32 v94, v3, v2, v158
	v_min3_f32 v95, v7, v6, v157
	v_min3_f32 v98, v18, v11, v78
	v_add_f32_e32 v2, v9, v77
	v_add_f32_e32 v3, v8, v76
	;; [unrolled: 1-line block ×6, first 2 shown]
	v_min3_f32 v150, v173, v172, v150
	v_min3_f32 v146, v169, v168, v146
	v_add_f32_e32 v93, v12, v76
	v_min3_f32 v99, v80, v19, v79
	v_add_f32_e32 v19, v13, v73
	v_add_f32_e32 v76, v12, v72
	v_min3_f32 v102, v3, v2, v153
	v_min3_f32 v103, v7, v6, v74
	;; [unrolled: 1-line block ×3, first 2 shown]
	v_add_f32_e32 v2, v5, v73
	v_add_f32_e32 v3, v4, v72
	;; [unrolled: 1-line block ×6, first 2 shown]
	v_min3_f32 v145, v171, v170, v145
	v_min3_f32 v141, v156, v155, v141
	;; [unrolled: 1-line block ×5, first 2 shown]
	v_add_f32_e32 v78, v8, v72
	v_min3_f32 v107, v76, v19, v150
	v_add_f32_e32 v19, v9, v69
	v_add_f32_e32 v72, v8, v68
	v_min3_f32 v111, v3, v2, v70
	v_min3_f32 v112, v7, v6, v71
	;; [unrolled: 1-line block ×3, first 2 shown]
	v_add_f32_e32 v2, v17, v65
	v_add_f32_e32 v3, v16, v64
	;; [unrolled: 1-line block ×6, first 2 shown]
	v_min3_f32 v106, v128, v127, v106
	v_min3_f32 v100, v123, v122, v100
	v_add_f32_e32 v69, v5, v69
	v_add_f32_e32 v68, v4, v68
	v_min3_f32 v119, v72, v19, v145
	v_add_f32_e32 v19, v5, v65
	v_add_f32_e32 v64, v4, v64
	v_min3_f32 v123, v3, v2, v67
	v_min3_f32 v127, v7, v6, v142
	;; [unrolled: 1-line block ×3, first 2 shown]
	v_add_f32_e32 v2, v13, v61
	v_add_f32_e32 v3, v12, v60
	;; [unrolled: 1-line block ×6, first 2 shown]
	v_min3_f32 v120, v136, v135, v120
	v_min3_f32 v122, v68, v69, v66
	v_add_f32_e32 v66, v16, v60
	v_min3_f32 v131, v64, v19, v62
	v_add_f32_e32 v19, v17, v57
	v_add_f32_e32 v60, v16, v56
	v_min3_f32 v135, v3, v2, v138
	v_min3_f32 v136, v7, v6, v137
	;; [unrolled: 1-line block ×3, first 2 shown]
	v_add_f32_e32 v2, v9, v57
	v_add_f32_e32 v3, v8, v56
	;; [unrolled: 1-line block ×4, first 2 shown]
	v_min3_f32 v130, v148, v147, v130
	v_min3_f32 v126, v140, v139, v126
	v_add_f32_e32 v62, v12, v56
	v_min3_f32 v138, v60, v19, v59
	v_add_f32_e32 v6, v5, v57
	v_add_f32_e32 v7, v4, v56
	;; [unrolled: 1-line block ×4, first 2 shown]
	v_min3_f32 v133, v3, v2, v133
	v_min3_f32 v140, v18, v11, v55
	v_add_f32_e32 v2, v5, v49
	v_add_f32_e32 v3, v4, v48
	v_add_f32_e32 v11, v13, v53
	v_add_f32_e32 v18, v12, v52
	v_min3_f32 v125, v144, v143, v125
	v_add_f32_e32 v58, v8, v48
	v_min3_f32 v139, v7, v6, v54
	v_min3_f32 v130, v56, v19, v130
	v_add_f32_e32 v6, v17, v53
	v_add_f32_e32 v7, v16, v52
	v_add_f32_e32 v19, v9, v53
	v_add_f32_e32 v48, v8, v52
	v_min3_f32 v141, v3, v2, v46
	v_min3_f32 v126, v18, v11, v126
	v_add_f32_e32 v2, v17, v45
	v_add_f32_e32 v3, v16, v44
	v_add_f32_e32 v11, v9, v45
	;; [unrolled: 6-line block ×4, first 2 shown]
	v_add_f32_e32 v18, v4, v40
	v_add_f32_e32 v46, v16, v40
	v_min3_f32 v121, v7, v6, v121
	v_min3_f32 v145, v44, v19, v42
	v_add_f32_e32 v6, v9, v41
	v_add_f32_e32 v7, v8, v40
	;; [unrolled: 1-line block ×4, first 2 shown]
	v_min3_f32 v114, v3, v2, v114
	v_min3_f32 v147, v18, v11, v38
	v_add_f32_e32 v2, v9, v37
	v_add_f32_e32 v3, v8, v36
	;; [unrolled: 1-line block ×7, first 2 shown]
	v_min3_f32 v113, v7, v6, v113
	v_min3_f32 v148, v40, v19, v39
	v_add_f32_e32 v6, v5, v37
	v_add_f32_e32 v7, v4, v36
	;; [unrolled: 1-line block ×4, first 2 shown]
	v_min3_f32 v109, v3, v2, v109
	v_min3_f32 v150, v18, v11, v35
	v_add_f32_e32 v2, v5, v33
	v_add_f32_e32 v3, v4, v32
	;; [unrolled: 1-line block ×4, first 2 shown]
	v_min3_f32 v108, v78, v77, v149
	v_add_f32_e32 v65, v17, v61
	v_add_f32_e32 v45, v17, v41
	;; [unrolled: 1-line block ×3, first 2 shown]
	v_min3_f32 v149, v7, v6, v34
	v_min3_f32 v106, v36, v19, v106
	v_add_f32_e32 v6, v17, v29
	v_add_f32_e32 v7, v16, v28
	;; [unrolled: 1-line block ×4, first 2 shown]
	v_min3_f32 v151, v3, v2, v30
	v_min3_f32 v101, v18, v11, v101
	v_add_f32_e32 v2, v17, v25
	v_add_f32_e32 v3, v16, v24
	;; [unrolled: 1-line block ×6, first 2 shown]
	v_min3_f32 v152, v7, v6, v31
	v_min3_f32 v100, v32, v19, v100
	v_add_f32_e32 v6, v13, v25
	v_add_f32_e32 v7, v12, v24
	;; [unrolled: 1-line block ×4, first 2 shown]
	v_min3_f32 v96, v18, v11, v96
	v_min3_f32 v156, v16, v17, v14
	v_add_f32_e32 v11, v13, v21
	v_add_f32_e32 v12, v12, v20
	;; [unrolled: 1-line block ×4, first 2 shown]
	v_min3_f32 v93, v93, v81, v154
	v_add_f32_e32 v61, v13, v57
	v_add_f32_e32 v57, v9, v49
	;; [unrolled: 1-line block ×8, first 2 shown]
	v_min3_f32 v154, v3, v2, v27
	v_min3_f32 v97, v7, v6, v97
	;; [unrolled: 1-line block ×3, first 2 shown]
	v_add_f32_e32 v18, v5, v21
	v_add_f32_e32 v19, v4, v20
	ds_read_b128 v[2:5], v118
	ds_read_b128 v[6:9], v161
	v_min3_f32 v157, v12, v11, v10
	ds_read_b128 v[10:13], v118 offset:512
	v_min3_f32 v158, v16, v14, v15
	ds_read_b128 v[14:17], v118 offset:1024
	v_min3_f32 v132, v66, v65, v63
	v_min3_f32 v134, v62, v61, v134
	;; [unrolled: 1-line block ×9, first 2 shown]
	ds_read_b128 v[18:21], v118 offset:1536
	ds_read_b128 v[22:25], v161 offset:128
	;; [unrolled: 1-line block ×16, first 2 shown]
	s_add_i32 s27, s27, 8
	ds_write2st64_b32 v162, v166, v167 offset1:4
	ds_write2st64_b32 v163, v90, v91 offset1:4
	s_cmp_ge_i32 s27, s26
	s_waitcnt lgkmcnt(0)
	v_add_f32_e32 v168, v3, v7
	v_add_f32_e32 v169, v2, v6
	;; [unrolled: 1-line block ×6, first 2 shown]
	v_min3_f32 v92, v169, v168, v92
	v_add_f32_e32 v7, v19, v7
	v_min3_f32 v94, v171, v170, v94
	v_add_f32_e32 v6, v18, v6
	v_min3_f32 v95, v173, v172, v95
	v_add_f32_e32 v168, v3, v23
	v_add_f32_e32 v169, v2, v22
	v_add_f32_e32 v170, v11, v23
	v_add_f32_e32 v171, v10, v22
	v_add_f32_e32 v172, v15, v23
	v_add_f32_e32 v173, v14, v22
	v_add_f32_e32 v23, v19, v23
	v_add_f32_e32 v22, v18, v22
	v_min3_f32 v6, v6, v7, v98
	v_min3_f32 v7, v169, v168, v99
	v_min3_f32 v93, v171, v170, v93
	v_min3_f32 v98, v173, v172, v102
	v_min3_f32 v22, v22, v23, v103
	v_add_f32_e32 v23, v3, v27
	v_add_f32_e32 v99, v2, v26
	v_add_f32_e32 v102, v11, v27
	v_add_f32_e32 v103, v10, v26
	v_add_f32_e32 v168, v15, v27
	v_add_f32_e32 v169, v14, v26
	v_add_f32_e32 v27, v19, v27
	v_add_f32_e32 v26, v18, v26
	v_add_f32_e32 v170, v3, v31
	v_add_f32_e32 v171, v2, v30
	v_min3_f32 v23, v99, v23, v104
	v_min3_f32 v99, v103, v102, v107
	v_min3_f32 v102, v169, v168, v108
	v_min3_f32 v26, v26, v27, v111
	v_min3_f32 v27, v171, v170, v112
	v_add_f32_e32 v103, v11, v31
	v_add_f32_e32 v104, v10, v30
	v_add_f32_e32 v107, v15, v31
	;; [unrolled: 15-line block ×6, first 2 shown]
	v_add_f32_e32 v130, v14, v50
	v_add_f32_e32 v51, v19, v51
	;; [unrolled: 1-line block ×7, first 2 shown]
	v_min3_f32 v126, v128, v127, v126
	v_min3_f32 v125, v130, v129, v125
	;; [unrolled: 1-line block ×4, first 2 shown]
	v_add_f32_e32 v127, v15, v55
	v_add_f32_e32 v128, v14, v54
	;; [unrolled: 1-line block ×8, first 2 shown]
	v_min3_f32 v121, v134, v133, v121
	v_add_f32_e32 v133, v15, v59
	v_add_f32_e32 v134, v14, v58
	v_min3_f32 v120, v128, v127, v120
	v_min3_f32 v54, v54, v55, v145
	;; [unrolled: 1-line block ×4, first 2 shown]
	v_add_f32_e32 v59, v19, v59
	v_add_f32_e32 v58, v18, v58
	;; [unrolled: 1-line block ×10, first 2 shown]
	v_min3_f32 v58, v58, v59, v147
	v_min3_f32 v59, v128, v127, v148
	;; [unrolled: 1-line block ×3, first 2 shown]
	v_add_f32_e32 v127, v2, v66
	v_min3_f32 v62, v62, v63, v149
	v_add_f32_e32 v63, v3, v67
	v_add_f32_e32 v128, v11, v67
	;; [unrolled: 1-line block ×3, first 2 shown]
	v_min3_f32 v113, v134, v133, v113
	v_min3_f32 v109, v132, v131, v109
	v_add_f32_e32 v130, v15, v67
	v_add_f32_e32 v131, v14, v66
	;; [unrolled: 1-line block ×6, first 2 shown]
	v_min3_f32 v63, v127, v63, v150
	v_min3_f32 v106, v129, v128, v106
	v_add_f32_e32 v127, v11, v71
	v_add_f32_e32 v128, v10, v70
	v_min3_f32 v105, v131, v130, v105
	v_min3_f32 v66, v66, v67, v151
	;; [unrolled: 1-line block ×3, first 2 shown]
	v_add_f32_e32 v129, v15, v71
	v_add_f32_e32 v130, v14, v70
	;; [unrolled: 1-line block ×6, first 2 shown]
	v_min3_f32 v101, v128, v127, v101
	v_add_f32_e32 v127, v15, v75
	v_add_f32_e32 v128, v14, v74
	v_add_f32_e32 v75, v19, v75
	v_add_f32_e32 v74, v18, v74
	v_add_f32_e32 v3, v3, v79
	v_add_f32_e32 v2, v2, v78
	v_add_f32_e32 v11, v11, v79
	v_add_f32_e32 v10, v10, v78
	v_add_f32_e32 v15, v15, v79
	v_add_f32_e32 v14, v14, v78
	v_add_f32_e32 v71, v19, v71
	v_add_f32_e32 v70, v18, v70
	v_min3_f32 v74, v74, v75, v155
	v_min3_f32 v2, v2, v3, v156
	;; [unrolled: 1-line block ×4, first 2 shown]
	v_add_f32_e32 v11, v19, v79
	v_add_f32_e32 v14, v18, v78
	;; [unrolled: 1-line block ×10, first 2 shown]
	v_min3_f32 v11, v14, v11, v159
	v_min3_f32 v159, v18, v15, v92
	v_add_f32_e32 v14, v12, v24
	v_add_f32_e32 v15, v17, v25
	v_min3_f32 v156, v8, v9, v6
	v_add_f32_e32 v6, v5, v25
	v_add_f32_e32 v8, v4, v24
	;; [unrolled: 1-line block ×4, first 2 shown]
	v_min3_f32 v70, v70, v71, v153
	v_min3_f32 v71, v132, v131, v154
	;; [unrolled: 1-line block ×3, first 2 shown]
	v_add_f32_e32 v19, v21, v25
	v_add_f32_e32 v24, v20, v24
	v_add_f32_e32 v25, v5, v29
	v_add_f32_e32 v75, v4, v28
	v_min3_f32 v155, v8, v6, v7
	v_min3_f32 v154, v14, v9, v93
	v_min3_f32 v153, v18, v15, v98
	v_add_f32_e32 v6, v13, v29
	v_add_f32_e32 v7, v12, v28
	v_add_f32_e32 v8, v17, v29
	v_add_f32_e32 v9, v16, v28
	v_add_f32_e32 v14, v21, v29
	v_add_f32_e32 v15, v20, v28
	v_min3_f32 v152, v24, v19, v22
	v_min3_f32 v151, v75, v25, v23
	v_add_f32_e32 v18, v5, v33
	v_add_f32_e32 v19, v4, v32
	v_add_f32_e32 v22, v13, v33
	v_add_f32_e32 v23, v12, v32
	v_min3_f32 v150, v7, v6, v99
	v_min3_f32 v149, v9, v8, v102
	v_min3_f32 v148, v15, v14, v26
	v_add_f32_e32 v6, v17, v33
	v_add_f32_e32 v7, v16, v32
	v_add_f32_e32 v8, v21, v33
	v_add_f32_e32 v9, v20, v32
	v_add_f32_e32 v14, v5, v37
	v_add_f32_e32 v15, v4, v36
	v_min3_f32 v147, v19, v18, v27
	v_min3_f32 v146, v23, v22, v103
	v_add_f32_e32 v18, v13, v37
	v_add_f32_e32 v19, v12, v36
	v_add_f32_e32 v22, v17, v37
	v_add_f32_e32 v23, v16, v36
	v_min3_f32 v145, v7, v6, v104
	v_min3_f32 v144, v9, v8, v30
	v_min3_f32 v143, v15, v14, v31
	v_add_f32_e32 v6, v21, v37
	v_add_f32_e32 v7, v20, v36
	v_add_f32_e32 v8, v5, v41
	v_add_f32_e32 v9, v4, v40
	v_add_f32_e32 v14, v13, v41
	v_add_f32_e32 v15, v12, v40
	v_min3_f32 v142, v19, v18, v107
	v_min3_f32 v141, v23, v22, v108
	v_add_f32_e32 v18, v17, v41
	v_add_f32_e32 v19, v16, v40
	v_add_f32_e32 v22, v21, v41
	v_add_f32_e32 v23, v20, v40
	v_min3_f32 v140, v7, v6, v34
	v_min3_f32 v139, v9, v8, v35
	v_min3_f32 v138, v15, v14, v111
	v_add_f32_e32 v6, v5, v45
	v_add_f32_e32 v7, v4, v44
	v_add_f32_e32 v8, v13, v45
	v_add_f32_e32 v9, v12, v44
	v_add_f32_e32 v14, v17, v45
	v_add_f32_e32 v15, v16, v44
	v_min3_f32 v97, v134, v133, v97
	v_min3_f32 v137, v19, v18, v112
	v_min3_f32 v136, v23, v22, v38
	v_add_f32_e32 v18, v21, v45
	v_add_f32_e32 v19, v20, v44
	v_add_f32_e32 v22, v5, v49
	v_add_f32_e32 v23, v4, v48
	v_min3_f32 v135, v7, v6, v39
	v_min3_f32 v134, v9, v8, v117
	;; [unrolled: 1-line block ×3, first 2 shown]
	v_add_f32_e32 v6, v13, v49
	v_add_f32_e32 v7, v12, v48
	;; [unrolled: 1-line block ×6, first 2 shown]
	v_min3_f32 v100, v130, v129, v100
	v_min3_f32 v96, v128, v127, v96
	;; [unrolled: 1-line block ×4, first 2 shown]
	v_add_f32_e32 v18, v5, v53
	v_add_f32_e32 v19, v4, v52
	v_add_f32_e32 v22, v13, v53
	v_add_f32_e32 v23, v12, v52
	v_min3_f32 v130, v7, v6, v122
	v_min3_f32 v129, v9, v8, v123
	v_min3_f32 v128, v15, v14, v46
	v_add_f32_e32 v6, v17, v53
	v_add_f32_e32 v7, v16, v52
	v_add_f32_e32 v8, v21, v53
	v_add_f32_e32 v9, v20, v52
	v_add_f32_e32 v14, v5, v57
	v_add_f32_e32 v15, v4, v56
	v_min3_f32 v127, v19, v18, v47
	v_min3_f32 v126, v23, v22, v126
	v_add_f32_e32 v18, v13, v57
	v_add_f32_e32 v19, v12, v56
	v_add_f32_e32 v22, v17, v57
	v_add_f32_e32 v23, v16, v56
	v_min3_f32 v125, v7, v6, v125
	v_min3_f32 v123, v9, v8, v50
	v_min3_f32 v122, v15, v14, v51
	v_add_f32_e32 v6, v21, v57
	v_add_f32_e32 v7, v20, v56
	v_add_f32_e32 v8, v5, v61
	v_add_f32_e32 v9, v4, v60
	v_add_f32_e32 v14, v13, v61
	v_add_f32_e32 v15, v12, v60
	v_min3_f32 v121, v19, v18, v121
	v_min3_f32 v120, v23, v22, v120
	;; [unrolled: 15-line block ×5, first 2 shown]
	v_add_f32_e32 v18, v13, v77
	v_add_f32_e32 v19, v12, v76
	v_add_f32_e32 v22, v17, v77
	v_add_f32_e32 v23, v16, v76
	v_min3_f32 v100, v7, v6, v100
	v_min3_f32 v99, v9, v8, v70
	;; [unrolled: 1-line block ×3, first 2 shown]
	v_add_f32_e32 v6, v21, v77
	v_add_f32_e32 v7, v20, v76
	;; [unrolled: 1-line block ×10, first 2 shown]
	v_min3_f32 v157, v79, v78, v95
	v_min3_f32 v97, v19, v18, v97
	;; [unrolled: 1-line block ×8, first 2 shown]
	s_barrier
	buffer_gl0_inv
	s_cbranch_scc1 .LBB65_42
.LBB65_26:                              ; =>This Inner Loop Header: Depth=1
	v_add_nc_u32_e32 v18, s27, v115
	v_add_nc_u32_e32 v4, 8, v18
	v_min_i32_e32 v2, s24, v4
	v_cmp_le_i32_e64 s3, s10, v4
	v_ashrrev_i32_e32 v3, 31, v2
	v_lshlrev_b64 v[2:3], 2, v[2:3]
	v_add_co_u32 v4, s6, s18, v2
	v_add_co_ci_u32_e64 v5, null, s19, v3, s6
	s_or_b32 s6, vcc_lo, s3
	v_cndmask_b32_e64 v166, 0, 0x7f7fffff, s6
	s_nor_b32 s6, s25, s6
	s_and_saveexec_b32 s28, s6
	s_cbranch_execz .LBB65_28
; %bb.27:                               ;   in Loop: Header=BB65_26 Depth=1
	v_add_co_u32 v6, s6, v4, v82
	v_add_co_ci_u32_e64 v7, null, v5, v83, s6
	global_load_dword v6, v[6:7], off
	s_waitcnt vmcnt(0)
	v_mul_f32_e32 v166, s11, v6
.LBB65_28:                              ;   in Loop: Header=BB65_26 Depth=1
	s_or_b32 exec_lo, exec_lo, s28
	s_or_b32 s6, s0, s3
	v_cndmask_b32_e64 v167, 0, 0x7f7fffff, s6
	s_nor_b32 s6, s25, s6
	s_and_saveexec_b32 s28, s6
	s_cbranch_execz .LBB65_30
; %bb.29:                               ;   in Loop: Header=BB65_26 Depth=1
	v_add_co_u32 v4, s6, v4, v84
	v_add_co_ci_u32_e64 v5, null, v5, v85, s6
	global_load_dword v4, v[4:5], off
	s_waitcnt vmcnt(0)
	v_mul_f32_e32 v167, s11, v4
.LBB65_30:                              ;   in Loop: Header=BB65_26 Depth=1
	s_or_b32 exec_lo, exec_lo, s28
	v_add_co_u32 v2, s6, s20, v2
	v_add_co_ci_u32_e64 v3, null, s21, v3, s6
	s_or_b32 s6, s1, s3
	v_cndmask_b32_e64 v168, 0, 0x7f7fffff, s6
	s_nor_b32 s6, s25, s6
	s_and_saveexec_b32 s28, s6
	s_cbranch_execz .LBB65_32
; %bb.31:                               ;   in Loop: Header=BB65_26 Depth=1
	v_add_co_u32 v4, s6, v2, v86
	v_add_co_ci_u32_e64 v5, null, v3, v87, s6
	global_load_dword v4, v[4:5], off
	s_waitcnt vmcnt(0)
	v_mul_f32_e32 v168, s11, v4
.LBB65_32:                              ;   in Loop: Header=BB65_26 Depth=1
	s_or_b32 exec_lo, exec_lo, s28
	s_or_b32 s3, s2, s3
	v_cndmask_b32_e64 v169, 0, 0x7f7fffff, s3
	s_nor_b32 s3, s25, s3
	s_and_saveexec_b32 s6, s3
	s_cbranch_execz .LBB65_34
; %bb.33:                               ;   in Loop: Header=BB65_26 Depth=1
	v_add_co_u32 v2, s3, v2, v88
	v_add_co_ci_u32_e64 v3, null, v3, v89, s3
	global_load_dword v2, v[2:3], off
	s_waitcnt vmcnt(0)
	v_mul_f32_e32 v169, s11, v2
.LBB65_34:                              ;   in Loop: Header=BB65_26 Depth=1
	s_or_b32 exec_lo, exec_lo, s6
	ds_read_b128 v[14:17], v164
	ds_read_b128 v[10:13], v164 offset:512
	ds_read_b128 v[6:9], v164 offset:1024
	;; [unrolled: 1-line block ×3, first 2 shown]
	ds_read_b128 v[78:81], v165
	ds_read_b128 v[74:77], v165 offset:128
	ds_read_b128 v[70:73], v165 offset:256
	;; [unrolled: 1-line block ×7, first 2 shown]
	v_add_nc_u32_e32 v170, 12, v18
	ds_read_b128 v[50:53], v165 offset:1024
	ds_read_b128 v[42:45], v165 offset:1152
	;; [unrolled: 1-line block ×8, first 2 shown]
	ds_write2st64_b32 v124, v166, v167 offset1:4
	ds_write2st64_b32 v160, v168, v169 offset1:4
	s_waitcnt lgkmcnt(0)
	v_min_i32_e32 v90, s24, v170
	v_cmp_le_i32_e64 s3, s10, v170
	s_barrier
	buffer_gl0_inv
	v_ashrrev_i32_e32 v91, 31, v90
	s_or_b32 s28, vcc_lo, s3
	v_cndmask_b32_e64 v166, 0, 0x7f7fffff, s28
	v_lshlrev_b64 v[90:91], 2, v[90:91]
	v_add_co_u32 v168, s6, s18, v90
	v_add_co_ci_u32_e64 v169, null, s19, v91, s6
	s_nor_b32 s6, s25, s28
	s_and_saveexec_b32 s28, s6
	s_cbranch_execz .LBB65_36
; %bb.35:                               ;   in Loop: Header=BB65_26 Depth=1
	v_add_co_u32 v166, s6, v168, v82
	v_add_co_ci_u32_e64 v167, null, v169, v83, s6
	global_load_dword v166, v[166:167], off
	s_waitcnt vmcnt(0)
	v_mul_f32_e32 v166, s11, v166
.LBB65_36:                              ;   in Loop: Header=BB65_26 Depth=1
	s_or_b32 exec_lo, exec_lo, s28
	s_or_b32 s6, s0, s3
	v_cndmask_b32_e64 v167, 0, 0x7f7fffff, s6
	s_nor_b32 s6, s25, s6
	s_and_saveexec_b32 s28, s6
	s_cbranch_execz .LBB65_38
; %bb.37:                               ;   in Loop: Header=BB65_26 Depth=1
	v_add_co_u32 v167, s6, v168, v84
	v_add_co_ci_u32_e64 v168, null, v169, v85, s6
	global_load_dword v167, v[167:168], off
	s_waitcnt vmcnt(0)
	v_mul_f32_e32 v167, s11, v167
.LBB65_38:                              ;   in Loop: Header=BB65_26 Depth=1
	s_or_b32 exec_lo, exec_lo, s28
	v_add_co_u32 v168, s6, s20, v90
	v_add_co_ci_u32_e64 v169, null, s21, v91, s6
	s_or_b32 s6, s1, s3
	v_cndmask_b32_e64 v90, 0, 0x7f7fffff, s6
	s_nor_b32 s6, s25, s6
	s_and_saveexec_b32 s28, s6
	s_cbranch_execz .LBB65_40
; %bb.39:                               ;   in Loop: Header=BB65_26 Depth=1
	v_add_co_u32 v90, s6, v168, v86
	v_add_co_ci_u32_e64 v91, null, v169, v87, s6
	global_load_dword v90, v[90:91], off
	s_waitcnt vmcnt(0)
	v_mul_f32_e32 v90, s11, v90
.LBB65_40:                              ;   in Loop: Header=BB65_26 Depth=1
	s_or_b32 exec_lo, exec_lo, s28
	s_or_b32 s3, s2, s3
	v_cndmask_b32_e64 v91, 0, 0x7f7fffff, s3
	s_nor_b32 s3, s25, s3
	s_and_saveexec_b32 s6, s3
	s_cbranch_execz .LBB65_25
; %bb.41:                               ;   in Loop: Header=BB65_26 Depth=1
	v_add_co_u32 v168, s3, v168, v88
	v_add_co_ci_u32_e64 v169, null, v169, v89, s3
	global_load_dword v91, v[168:169], off
	s_waitcnt vmcnt(0)
	v_mul_f32_e32 v91, s11, v91
	s_branch .LBB65_25
.LBB65_42:
	s_clause 0x2
	s_load_dwordx2 s[0:1], s[4:5], 0x70
	s_load_dword s6, s[4:5], 0x50
	s_load_dword s5, s[4:5], 0x68
	ds_read_b128 v[18:21], v118 offset:2048
	ds_read_b128 v[14:17], v118 offset:2560
	;; [unrolled: 1-line block ×14, first 2 shown]
	v_add_nc_u32_e32 v89, s13, v1
	ds_read_b128 v[38:41], v116 offset:7424
	ds_read_b128 v[34:37], v116 offset:7552
	;; [unrolled: 1-line block ×6, first 2 shown]
	v_add_nc_u32_e32 v0, s12, v0
	v_cmp_gt_i32_e64 s4, s9, v89
	v_cndmask_b32_e64 v88, 0, 1, s23
	v_ashrrev_i32_e32 v1, 31, v0
	s_waitcnt lgkmcnt(0)
	s_mul_i32 s1, s1, s7
	v_mad_i64_i32 v[82:83], null, v89, s6, 0
	v_mad_i64_i32 v[84:85], null, v89, s5, 0
	s_mul_hi_u32 s2, s0, s7
	s_mul_i32 s0, s0, s7
	s_add_i32 s1, s2, s1
	s_lshl_b64 s[0:1], s[0:1], 2
	v_lshlrev_b64 v[82:83], 2, v[82:83]
	v_lshlrev_b64 v[84:85], 2, v[84:85]
	s_add_u32 s7, s14, s0
	s_addc_u32 s10, s15, s1
	v_cmp_gt_i32_e64 s0, s8, v0
	v_add_co_u32 v115, vcc_lo, s16, v82
	v_add_co_ci_u32_e64 v116, null, s17, v83, vcc_lo
	v_add_co_u32 v90, vcc_lo, s7, v84
	v_add_co_ci_u32_e64 v91, null, s10, v85, vcc_lo
	s_and_b32 s2, s0, s4
	s_and_saveexec_b32 s1, s2
	s_cbranch_execz .LBB65_48
; %bb.43:
	s_andn2_b32 vcc_lo, exec_lo, s23
	s_cbranch_vccnz .LBB65_46
; %bb.44:
	v_lshlrev_b64 v[82:83], 2, v[0:1]
	v_add_co_u32 v82, vcc_lo, v115, v82
	v_add_co_ci_u32_e64 v83, null, v116, v83, vcc_lo
	global_load_dword v82, v[82:83], off
	s_waitcnt vmcnt(0)
	v_mul_f32_e32 v82, s22, v82
	s_branch .LBB65_47
.LBB65_45:
	s_mov_b64 s[18:19], 0
	s_andn2_b32 vcc_lo, exec_lo, s12
	s_mov_b32 s0, -1
	s_cbranch_vccz .LBB65_2
	s_branch .LBB65_3
.LBB65_46:
	v_mov_b32_e32 v82, 0
.LBB65_47:
	v_add_f32_e32 v83, v19, v79
	v_add_f32_e32 v84, v18, v78
	;; [unrolled: 1-line block ×4, first 2 shown]
	v_min3_f32 v87, v84, v83, v159
	v_lshlrev_b64 v[83:84], 2, v[0:1]
	v_min_f32_e32 v85, v86, v85
	v_min3_f32 v85, v82, v85, v87
	v_add_co_u32 v82, vcc_lo, v90, v83
	v_add_co_ci_u32_e64 v83, null, v91, v84, vcc_lo
	global_store_dword v[82:83], v85, off
.LBB65_48:
	s_or_b32 exec_lo, exec_lo, s1
	v_add_nc_u32_e32 v82, 32, v0
	v_cmp_gt_i32_e64 s1, s8, v82
	v_ashrrev_i32_e32 v83, 31, v82
	s_and_b32 s3, s1, s4
	s_and_saveexec_b32 s2, s3
	s_cbranch_execz .LBB65_53
; %bb.49:
	v_cmp_ne_u32_e32 vcc_lo, 1, v88
	s_cbranch_vccnz .LBB65_51
; %bb.50:
	v_lshlrev_b64 v[84:85], 2, v[82:83]
	v_add_co_u32 v84, vcc_lo, v115, v84
	v_add_co_ci_u32_e64 v85, null, v116, v85, vcc_lo
	global_load_dword v84, v[84:85], off
	s_waitcnt vmcnt(0)
	v_mul_f32_e32 v84, s22, v84
	s_branch .LBB65_52
.LBB65_51:
	v_mov_b32_e32 v84, 0
.LBB65_52:
	v_add_f32_e32 v85, v15, v79
	v_add_f32_e32 v86, v14, v78
	;; [unrolled: 1-line block ×4, first 2 shown]
	v_min3_f32 v124, v86, v85, v158
	v_lshlrev_b64 v[85:86], 2, v[82:83]
	v_min_f32_e32 v87, v118, v87
	v_min3_f32 v87, v84, v87, v124
	v_add_co_u32 v84, vcc_lo, v90, v85
	v_add_co_ci_u32_e64 v85, null, v91, v86, vcc_lo
	global_store_dword v[84:85], v87, off
.LBB65_53:
	s_or_b32 exec_lo, exec_lo, s2
	v_add_nc_u32_e32 v84, 64, v0
	v_cmp_gt_i32_e64 s2, s8, v84
	v_ashrrev_i32_e32 v85, 31, v84
	s_and_b32 s11, s2, s4
	s_and_saveexec_b32 s3, s11
	s_cbranch_execz .LBB65_58
; %bb.54:
	v_cmp_ne_u32_e32 vcc_lo, 1, v88
	s_cbranch_vccnz .LBB65_56
; %bb.55:
	v_lshlrev_b64 v[86:87], 2, v[84:85]
	v_add_co_u32 v86, vcc_lo, v115, v86
	v_add_co_ci_u32_e64 v87, null, v116, v87, vcc_lo
	global_load_dword v86, v[86:87], off
	s_waitcnt vmcnt(0)
	v_mul_f32_e32 v86, s22, v86
	s_branch .LBB65_57
.LBB65_56:
	v_mov_b32_e32 v86, 0
.LBB65_57:
	v_add_f32_e32 v87, v11, v79
	v_add_f32_e32 v118, v10, v78
	;; [unrolled: 1-line block ×4, first 2 shown]
	v_min3_f32 v87, v118, v87, v157
	v_min_f32_e32 v118, v158, v124
	v_lshlrev_b64 v[157:158], 2, v[84:85]
	v_min3_f32 v118, v86, v118, v87
	v_add_co_u32 v86, vcc_lo, v90, v157
	v_add_co_ci_u32_e64 v87, null, v91, v158, vcc_lo
	global_store_dword v[86:87], v118, off
.LBB65_58:
	s_or_b32 exec_lo, exec_lo, s3
	v_add_nc_u32_e32 v86, 0x60, v0
	v_cmp_gt_i32_e64 s3, s8, v86
	v_ashrrev_i32_e32 v87, 31, v86
	s_and_b32 s8, s3, s4
	s_and_saveexec_b32 s4, s8
	s_cbranch_execz .LBB65_63
; %bb.59:
	v_cmp_ne_u32_e32 vcc_lo, 1, v88
	s_cbranch_vccnz .LBB65_61
; %bb.60:
	v_lshlrev_b64 v[157:158], 2, v[86:87]
	v_add_co_u32 v115, vcc_lo, v115, v157
	v_add_co_ci_u32_e64 v116, null, v116, v158, vcc_lo
	global_load_dword v115, v[115:116], off
	s_waitcnt vmcnt(0)
	v_mul_f32_e32 v115, s22, v115
	s_branch .LBB65_62
.LBB65_61:
	v_mov_b32_e32 v115, 0
.LBB65_62:
	v_add_f32_e32 v79, v3, v79
	v_add_f32_e32 v78, v2, v78
	v_add_f32_e32 v81, v5, v81
	v_add_f32_e32 v80, v4, v80
	v_min3_f32 v116, v78, v79, v156
	v_lshlrev_b64 v[78:79], 2, v[86:87]
	v_min_f32_e32 v80, v80, v81
	v_min3_f32 v80, v115, v80, v116
	v_add_co_u32 v78, vcc_lo, v90, v78
	v_add_co_ci_u32_e64 v79, null, v91, v79, vcc_lo
	global_store_dword v[78:79], v80, off
.LBB65_63:
	s_or_b32 exec_lo, exec_lo, s4
	v_add_nc_u32_e32 v90, 8, v89
	v_mad_i64_i32 v[78:79], null, v90, s6, 0
	v_mad_i64_i32 v[80:81], null, v90, s5, 0
	v_cmp_gt_i32_e64 s4, s9, v90
	v_lshlrev_b64 v[78:79], 2, v[78:79]
	s_and_b32 s11, s0, s4
	v_lshlrev_b64 v[90:91], 2, v[80:81]
	v_add_co_u32 v80, vcc_lo, s16, v78
	v_add_co_ci_u32_e64 v81, null, s17, v79, vcc_lo
	v_add_co_u32 v78, vcc_lo, s7, v90
	v_add_co_ci_u32_e64 v79, null, s10, v91, vcc_lo
	s_and_saveexec_b32 s8, s11
	s_cbranch_execnz .LBB65_67
; %bb.64:
	s_or_b32 exec_lo, exec_lo, s8
	s_and_b32 s11, s1, s4
	s_and_saveexec_b32 s8, s11
	s_cbranch_execnz .LBB65_71
.LBB65_65:
	s_or_b32 exec_lo, exec_lo, s8
	s_and_b32 s11, s2, s4
	s_and_saveexec_b32 s8, s11
	s_cbranch_execnz .LBB65_75
.LBB65_66:
	s_or_b32 exec_lo, exec_lo, s8
	s_and_b32 s8, s3, s4
	s_and_saveexec_b32 s4, s8
	s_cbranch_execnz .LBB65_79
	s_branch .LBB65_83
.LBB65_67:
	v_cmp_ne_u32_e32 vcc_lo, 1, v88
	s_cbranch_vccnz .LBB65_69
; %bb.68:
	v_lshlrev_b64 v[90:91], 2, v[0:1]
	v_add_co_u32 v90, vcc_lo, v80, v90
	v_add_co_ci_u32_e64 v91, null, v81, v91, vcc_lo
	global_load_dword v90, v[90:91], off
	s_waitcnt vmcnt(0)
	v_mul_f32_e32 v90, s22, v90
	s_branch .LBB65_70
.LBB65_69:
	v_mov_b32_e32 v90, 0
.LBB65_70:
	v_add_f32_e32 v91, v19, v75
	v_add_f32_e32 v115, v18, v74
	;; [unrolled: 1-line block ×4, first 2 shown]
	v_min3_f32 v91, v115, v91, v155
	v_min_f32_e32 v118, v118, v116
	v_lshlrev_b64 v[115:116], 2, v[0:1]
	v_min3_f32 v118, v90, v118, v91
	v_add_co_u32 v90, vcc_lo, v78, v115
	v_add_co_ci_u32_e64 v91, null, v79, v116, vcc_lo
	global_store_dword v[90:91], v118, off
	s_or_b32 exec_lo, exec_lo, s8
	s_and_b32 s11, s1, s4
	s_and_saveexec_b32 s8, s11
	s_cbranch_execz .LBB65_65
.LBB65_71:
	v_cmp_ne_u32_e32 vcc_lo, 1, v88
	s_cbranch_vccnz .LBB65_73
; %bb.72:
	v_lshlrev_b64 v[90:91], 2, v[82:83]
	v_add_co_u32 v90, vcc_lo, v80, v90
	v_add_co_ci_u32_e64 v91, null, v81, v91, vcc_lo
	global_load_dword v90, v[90:91], off
	s_waitcnt vmcnt(0)
	v_mul_f32_e32 v90, s22, v90
	s_branch .LBB65_74
.LBB65_73:
	v_mov_b32_e32 v90, 0
.LBB65_74:
	v_add_f32_e32 v91, v15, v75
	v_add_f32_e32 v115, v14, v74
	;; [unrolled: 1-line block ×4, first 2 shown]
	v_min3_f32 v91, v115, v91, v154
	v_min_f32_e32 v118, v118, v116
	v_lshlrev_b64 v[115:116], 2, v[82:83]
	v_min3_f32 v118, v90, v118, v91
	v_add_co_u32 v90, vcc_lo, v78, v115
	v_add_co_ci_u32_e64 v91, null, v79, v116, vcc_lo
	global_store_dword v[90:91], v118, off
	s_or_b32 exec_lo, exec_lo, s8
	s_and_b32 s11, s2, s4
	s_and_saveexec_b32 s8, s11
	s_cbranch_execz .LBB65_66
.LBB65_75:
	v_cmp_ne_u32_e32 vcc_lo, 1, v88
	s_cbranch_vccnz .LBB65_77
; %bb.76:
	v_lshlrev_b64 v[90:91], 2, v[84:85]
	v_add_co_u32 v90, vcc_lo, v80, v90
	v_add_co_ci_u32_e64 v91, null, v81, v91, vcc_lo
	global_load_dword v90, v[90:91], off
	s_waitcnt vmcnt(0)
	v_mul_f32_e32 v90, s22, v90
	s_branch .LBB65_78
.LBB65_77:
	v_mov_b32_e32 v90, 0
.LBB65_78:
	v_add_f32_e32 v91, v11, v75
	v_add_f32_e32 v115, v10, v74
	;; [unrolled: 1-line block ×4, first 2 shown]
	v_min3_f32 v91, v115, v91, v153
	v_min_f32_e32 v118, v118, v116
	v_lshlrev_b64 v[115:116], 2, v[84:85]
	v_min3_f32 v118, v90, v118, v91
	v_add_co_u32 v90, vcc_lo, v78, v115
	v_add_co_ci_u32_e64 v91, null, v79, v116, vcc_lo
	global_store_dword v[90:91], v118, off
	s_or_b32 exec_lo, exec_lo, s8
	s_and_b32 s8, s3, s4
	s_and_saveexec_b32 s4, s8
	s_cbranch_execz .LBB65_83
.LBB65_79:
	v_cmp_ne_u32_e32 vcc_lo, 1, v88
	s_cbranch_vccnz .LBB65_81
; %bb.80:
	v_lshlrev_b64 v[90:91], 2, v[86:87]
	v_add_co_u32 v80, vcc_lo, v80, v90
	v_add_co_ci_u32_e64 v81, null, v81, v91, vcc_lo
	global_load_dword v80, v[80:81], off
	s_waitcnt vmcnt(0)
	v_mul_f32_e32 v80, s22, v80
	s_branch .LBB65_82
.LBB65_81:
	v_mov_b32_e32 v80, 0
.LBB65_82:
	v_add_f32_e32 v75, v3, v75
	v_add_f32_e32 v74, v2, v74
	;; [unrolled: 1-line block ×4, first 2 shown]
	v_min3_f32 v81, v74, v75, v152
	v_lshlrev_b64 v[74:75], 2, v[86:87]
	v_min_f32_e32 v76, v76, v77
	v_min3_f32 v76, v80, v76, v81
	v_add_co_u32 v74, vcc_lo, v78, v74
	v_add_co_ci_u32_e64 v75, null, v79, v75, vcc_lo
	global_store_dword v[74:75], v76, off
.LBB65_83:
	s_or_b32 exec_lo, exec_lo, s4
	v_add_nc_u32_e32 v78, 16, v89
	v_mad_i64_i32 v[74:75], null, v78, s6, 0
	v_mad_i64_i32 v[76:77], null, v78, s5, 0
	v_cmp_gt_i32_e64 s4, s9, v78
	v_lshlrev_b64 v[74:75], 2, v[74:75]
	s_and_b32 s11, s0, s4
	v_lshlrev_b64 v[78:79], 2, v[76:77]
	v_add_co_u32 v76, vcc_lo, s16, v74
	v_add_co_ci_u32_e64 v77, null, s17, v75, vcc_lo
	v_add_co_u32 v74, vcc_lo, s7, v78
	v_add_co_ci_u32_e64 v75, null, s10, v79, vcc_lo
	s_and_saveexec_b32 s8, s11
	s_cbranch_execnz .LBB65_87
; %bb.84:
	s_or_b32 exec_lo, exec_lo, s8
	s_and_b32 s11, s1, s4
	s_and_saveexec_b32 s8, s11
	s_cbranch_execnz .LBB65_91
.LBB65_85:
	s_or_b32 exec_lo, exec_lo, s8
	s_and_b32 s11, s2, s4
	s_and_saveexec_b32 s8, s11
	s_cbranch_execnz .LBB65_95
.LBB65_86:
	s_or_b32 exec_lo, exec_lo, s8
	s_and_b32 s8, s3, s4
	s_and_saveexec_b32 s4, s8
	s_cbranch_execnz .LBB65_99
	s_branch .LBB65_103
.LBB65_87:
	v_cmp_ne_u32_e32 vcc_lo, 1, v88
	s_cbranch_vccnz .LBB65_89
; %bb.88:
	v_lshlrev_b64 v[78:79], 2, v[0:1]
	v_add_co_u32 v78, vcc_lo, v76, v78
	v_add_co_ci_u32_e64 v79, null, v77, v79, vcc_lo
	global_load_dword v78, v[78:79], off
	s_waitcnt vmcnt(0)
	v_mul_f32_e32 v78, s22, v78
	s_branch .LBB65_90
.LBB65_89:
	v_mov_b32_e32 v78, 0
.LBB65_90:
	v_add_f32_e32 v79, v19, v71
	v_add_f32_e32 v80, v18, v70
	;; [unrolled: 1-line block ×4, first 2 shown]
	v_min3_f32 v91, v80, v79, v151
	v_lshlrev_b64 v[79:80], 2, v[0:1]
	v_min_f32_e32 v81, v90, v81
	v_min3_f32 v81, v78, v81, v91
	v_add_co_u32 v78, vcc_lo, v74, v79
	v_add_co_ci_u32_e64 v79, null, v75, v80, vcc_lo
	global_store_dword v[78:79], v81, off
	s_or_b32 exec_lo, exec_lo, s8
	s_and_b32 s11, s1, s4
	s_and_saveexec_b32 s8, s11
	s_cbranch_execz .LBB65_85
.LBB65_91:
	v_cmp_ne_u32_e32 vcc_lo, 1, v88
	s_cbranch_vccnz .LBB65_93
; %bb.92:
	v_lshlrev_b64 v[78:79], 2, v[82:83]
	v_add_co_u32 v78, vcc_lo, v76, v78
	v_add_co_ci_u32_e64 v79, null, v77, v79, vcc_lo
	global_load_dword v78, v[78:79], off
	s_waitcnt vmcnt(0)
	v_mul_f32_e32 v78, s22, v78
	s_branch .LBB65_94
.LBB65_93:
	v_mov_b32_e32 v78, 0
.LBB65_94:
	v_add_f32_e32 v79, v15, v71
	v_add_f32_e32 v80, v14, v70
	;; [unrolled: 1-line block ×4, first 2 shown]
	v_min3_f32 v91, v80, v79, v150
	v_lshlrev_b64 v[79:80], 2, v[82:83]
	v_min_f32_e32 v81, v90, v81
	v_min3_f32 v81, v78, v81, v91
	v_add_co_u32 v78, vcc_lo, v74, v79
	v_add_co_ci_u32_e64 v79, null, v75, v80, vcc_lo
	global_store_dword v[78:79], v81, off
	s_or_b32 exec_lo, exec_lo, s8
	s_and_b32 s11, s2, s4
	s_and_saveexec_b32 s8, s11
	s_cbranch_execz .LBB65_86
.LBB65_95:
	v_cmp_ne_u32_e32 vcc_lo, 1, v88
	s_cbranch_vccnz .LBB65_97
; %bb.96:
	v_lshlrev_b64 v[78:79], 2, v[84:85]
	v_add_co_u32 v78, vcc_lo, v76, v78
	v_add_co_ci_u32_e64 v79, null, v77, v79, vcc_lo
	global_load_dword v78, v[78:79], off
	s_waitcnt vmcnt(0)
	v_mul_f32_e32 v78, s22, v78
	s_branch .LBB65_98
.LBB65_97:
	v_mov_b32_e32 v78, 0
.LBB65_98:
	v_add_f32_e32 v79, v11, v71
	v_add_f32_e32 v80, v10, v70
	;; [unrolled: 1-line block ×4, first 2 shown]
	v_min3_f32 v91, v80, v79, v149
	v_lshlrev_b64 v[79:80], 2, v[84:85]
	v_min_f32_e32 v81, v90, v81
	v_min3_f32 v81, v78, v81, v91
	v_add_co_u32 v78, vcc_lo, v74, v79
	v_add_co_ci_u32_e64 v79, null, v75, v80, vcc_lo
	global_store_dword v[78:79], v81, off
	s_or_b32 exec_lo, exec_lo, s8
	s_and_b32 s8, s3, s4
	s_and_saveexec_b32 s4, s8
	s_cbranch_execz .LBB65_103
.LBB65_99:
	v_cmp_ne_u32_e32 vcc_lo, 1, v88
	s_cbranch_vccnz .LBB65_101
; %bb.100:
	v_lshlrev_b64 v[78:79], 2, v[86:87]
	v_add_co_u32 v76, vcc_lo, v76, v78
	v_add_co_ci_u32_e64 v77, null, v77, v79, vcc_lo
	global_load_dword v76, v[76:77], off
	s_waitcnt vmcnt(0)
	v_mul_f32_e32 v76, s22, v76
	s_branch .LBB65_102
.LBB65_101:
	v_mov_b32_e32 v76, 0
.LBB65_102:
	v_add_f32_e32 v71, v3, v71
	v_add_f32_e32 v70, v2, v70
	;; [unrolled: 1-line block ×4, first 2 shown]
	v_min3_f32 v77, v70, v71, v148
	v_lshlrev_b64 v[70:71], 2, v[86:87]
	v_min_f32_e32 v72, v72, v73
	v_min3_f32 v72, v76, v72, v77
	v_add_co_u32 v70, vcc_lo, v74, v70
	v_add_co_ci_u32_e64 v71, null, v75, v71, vcc_lo
	global_store_dword v[70:71], v72, off
.LBB65_103:
	s_or_b32 exec_lo, exec_lo, s4
	v_add_nc_u32_e32 v74, 24, v89
	v_mad_i64_i32 v[70:71], null, v74, s6, 0
	v_mad_i64_i32 v[72:73], null, v74, s5, 0
	v_cmp_gt_i32_e64 s4, s9, v74
	v_lshlrev_b64 v[70:71], 2, v[70:71]
	s_and_b32 s11, s0, s4
	v_lshlrev_b64 v[74:75], 2, v[72:73]
	v_add_co_u32 v72, vcc_lo, s16, v70
	v_add_co_ci_u32_e64 v73, null, s17, v71, vcc_lo
	v_add_co_u32 v70, vcc_lo, s7, v74
	v_add_co_ci_u32_e64 v71, null, s10, v75, vcc_lo
	s_and_saveexec_b32 s8, s11
	s_cbranch_execnz .LBB65_107
; %bb.104:
	s_or_b32 exec_lo, exec_lo, s8
	s_and_b32 s11, s1, s4
	s_and_saveexec_b32 s8, s11
	s_cbranch_execnz .LBB65_111
.LBB65_105:
	s_or_b32 exec_lo, exec_lo, s8
	s_and_b32 s11, s2, s4
	s_and_saveexec_b32 s8, s11
	s_cbranch_execnz .LBB65_115
.LBB65_106:
	s_or_b32 exec_lo, exec_lo, s8
	s_and_b32 s8, s3, s4
	s_and_saveexec_b32 s4, s8
	s_cbranch_execnz .LBB65_119
	s_branch .LBB65_123
.LBB65_107:
	v_cmp_ne_u32_e32 vcc_lo, 1, v88
	s_cbranch_vccnz .LBB65_109
; %bb.108:
	v_lshlrev_b64 v[74:75], 2, v[0:1]
	v_add_co_u32 v74, vcc_lo, v72, v74
	v_add_co_ci_u32_e64 v75, null, v73, v75, vcc_lo
	global_load_dword v74, v[74:75], off
	s_waitcnt vmcnt(0)
	v_mul_f32_e32 v74, s22, v74
	s_branch .LBB65_110
.LBB65_109:
	v_mov_b32_e32 v74, 0
.LBB65_110:
	v_add_f32_e32 v75, v19, v67
	v_add_f32_e32 v76, v18, v66
	;; [unrolled: 1-line block ×4, first 2 shown]
	v_min3_f32 v79, v76, v75, v147
	v_lshlrev_b64 v[75:76], 2, v[0:1]
	v_min_f32_e32 v77, v78, v77
	v_min3_f32 v77, v74, v77, v79
	v_add_co_u32 v74, vcc_lo, v70, v75
	v_add_co_ci_u32_e64 v75, null, v71, v76, vcc_lo
	global_store_dword v[74:75], v77, off
	s_or_b32 exec_lo, exec_lo, s8
	s_and_b32 s11, s1, s4
	s_and_saveexec_b32 s8, s11
	s_cbranch_execz .LBB65_105
.LBB65_111:
	v_cmp_ne_u32_e32 vcc_lo, 1, v88
	s_cbranch_vccnz .LBB65_113
; %bb.112:
	v_lshlrev_b64 v[74:75], 2, v[82:83]
	v_add_co_u32 v74, vcc_lo, v72, v74
	v_add_co_ci_u32_e64 v75, null, v73, v75, vcc_lo
	global_load_dword v74, v[74:75], off
	s_waitcnt vmcnt(0)
	v_mul_f32_e32 v74, s22, v74
	s_branch .LBB65_114
.LBB65_113:
	v_mov_b32_e32 v74, 0
.LBB65_114:
	v_add_f32_e32 v75, v15, v67
	v_add_f32_e32 v76, v14, v66
	;; [unrolled: 1-line block ×4, first 2 shown]
	v_min3_f32 v79, v76, v75, v146
	v_lshlrev_b64 v[75:76], 2, v[82:83]
	v_min_f32_e32 v77, v78, v77
	v_min3_f32 v77, v74, v77, v79
	v_add_co_u32 v74, vcc_lo, v70, v75
	v_add_co_ci_u32_e64 v75, null, v71, v76, vcc_lo
	global_store_dword v[74:75], v77, off
	s_or_b32 exec_lo, exec_lo, s8
	s_and_b32 s11, s2, s4
	s_and_saveexec_b32 s8, s11
	s_cbranch_execz .LBB65_106
.LBB65_115:
	v_cmp_ne_u32_e32 vcc_lo, 1, v88
	s_cbranch_vccnz .LBB65_117
; %bb.116:
	v_lshlrev_b64 v[74:75], 2, v[84:85]
	v_add_co_u32 v74, vcc_lo, v72, v74
	v_add_co_ci_u32_e64 v75, null, v73, v75, vcc_lo
	global_load_dword v74, v[74:75], off
	s_waitcnt vmcnt(0)
	v_mul_f32_e32 v74, s22, v74
	s_branch .LBB65_118
.LBB65_117:
	v_mov_b32_e32 v74, 0
.LBB65_118:
	v_add_f32_e32 v75, v11, v67
	v_add_f32_e32 v76, v10, v66
	;; [unrolled: 1-line block ×4, first 2 shown]
	v_min3_f32 v79, v76, v75, v145
	v_lshlrev_b64 v[75:76], 2, v[84:85]
	v_min_f32_e32 v77, v78, v77
	v_min3_f32 v77, v74, v77, v79
	v_add_co_u32 v74, vcc_lo, v70, v75
	v_add_co_ci_u32_e64 v75, null, v71, v76, vcc_lo
	global_store_dword v[74:75], v77, off
	s_or_b32 exec_lo, exec_lo, s8
	s_and_b32 s8, s3, s4
	s_and_saveexec_b32 s4, s8
	s_cbranch_execz .LBB65_123
.LBB65_119:
	v_cmp_ne_u32_e32 vcc_lo, 1, v88
	s_cbranch_vccnz .LBB65_121
; %bb.120:
	v_lshlrev_b64 v[74:75], 2, v[86:87]
	v_add_co_u32 v72, vcc_lo, v72, v74
	v_add_co_ci_u32_e64 v73, null, v73, v75, vcc_lo
	global_load_dword v72, v[72:73], off
	s_waitcnt vmcnt(0)
	v_mul_f32_e32 v72, s22, v72
	s_branch .LBB65_122
.LBB65_121:
	v_mov_b32_e32 v72, 0
.LBB65_122:
	v_add_f32_e32 v67, v3, v67
	v_add_f32_e32 v66, v2, v66
	;; [unrolled: 1-line block ×4, first 2 shown]
	v_min3_f32 v73, v66, v67, v144
	v_lshlrev_b64 v[66:67], 2, v[86:87]
	v_min_f32_e32 v68, v68, v69
	v_min3_f32 v68, v72, v68, v73
	v_add_co_u32 v66, vcc_lo, v70, v66
	v_add_co_ci_u32_e64 v67, null, v71, v67, vcc_lo
	global_store_dword v[66:67], v68, off
.LBB65_123:
	s_or_b32 exec_lo, exec_lo, s4
	v_add_nc_u32_e32 v70, 32, v89
	v_mad_i64_i32 v[66:67], null, v70, s6, 0
	v_mad_i64_i32 v[68:69], null, v70, s5, 0
	v_cmp_gt_i32_e64 s4, s9, v70
	v_lshlrev_b64 v[66:67], 2, v[66:67]
	s_and_b32 s11, s0, s4
	v_lshlrev_b64 v[70:71], 2, v[68:69]
	v_add_co_u32 v68, vcc_lo, s16, v66
	v_add_co_ci_u32_e64 v69, null, s17, v67, vcc_lo
	v_add_co_u32 v66, vcc_lo, s7, v70
	v_add_co_ci_u32_e64 v67, null, s10, v71, vcc_lo
	s_and_saveexec_b32 s8, s11
	s_cbranch_execnz .LBB65_127
; %bb.124:
	s_or_b32 exec_lo, exec_lo, s8
	s_and_b32 s11, s1, s4
	s_and_saveexec_b32 s8, s11
	s_cbranch_execnz .LBB65_131
.LBB65_125:
	s_or_b32 exec_lo, exec_lo, s8
	s_and_b32 s11, s2, s4
	s_and_saveexec_b32 s8, s11
	s_cbranch_execnz .LBB65_135
.LBB65_126:
	s_or_b32 exec_lo, exec_lo, s8
	s_and_b32 s8, s3, s4
	s_and_saveexec_b32 s4, s8
	s_cbranch_execnz .LBB65_139
	s_branch .LBB65_143
.LBB65_127:
	v_cmp_ne_u32_e32 vcc_lo, 1, v88
	s_cbranch_vccnz .LBB65_129
; %bb.128:
	v_lshlrev_b64 v[70:71], 2, v[0:1]
	v_add_co_u32 v70, vcc_lo, v68, v70
	v_add_co_ci_u32_e64 v71, null, v69, v71, vcc_lo
	global_load_dword v70, v[70:71], off
	s_waitcnt vmcnt(0)
	v_mul_f32_e32 v70, s22, v70
	s_branch .LBB65_130
.LBB65_129:
	v_mov_b32_e32 v70, 0
.LBB65_130:
	v_add_f32_e32 v71, v19, v63
	v_add_f32_e32 v72, v18, v62
	;; [unrolled: 1-line block ×4, first 2 shown]
	v_min3_f32 v75, v72, v71, v143
	v_lshlrev_b64 v[71:72], 2, v[0:1]
	v_min_f32_e32 v73, v74, v73
	v_min3_f32 v73, v70, v73, v75
	v_add_co_u32 v70, vcc_lo, v66, v71
	v_add_co_ci_u32_e64 v71, null, v67, v72, vcc_lo
	global_store_dword v[70:71], v73, off
	s_or_b32 exec_lo, exec_lo, s8
	s_and_b32 s11, s1, s4
	s_and_saveexec_b32 s8, s11
	s_cbranch_execz .LBB65_125
.LBB65_131:
	v_cmp_ne_u32_e32 vcc_lo, 1, v88
	s_cbranch_vccnz .LBB65_133
; %bb.132:
	v_lshlrev_b64 v[70:71], 2, v[82:83]
	v_add_co_u32 v70, vcc_lo, v68, v70
	v_add_co_ci_u32_e64 v71, null, v69, v71, vcc_lo
	global_load_dword v70, v[70:71], off
	s_waitcnt vmcnt(0)
	v_mul_f32_e32 v70, s22, v70
	s_branch .LBB65_134
.LBB65_133:
	v_mov_b32_e32 v70, 0
.LBB65_134:
	v_add_f32_e32 v71, v15, v63
	v_add_f32_e32 v72, v14, v62
	;; [unrolled: 1-line block ×4, first 2 shown]
	v_min3_f32 v75, v72, v71, v142
	v_lshlrev_b64 v[71:72], 2, v[82:83]
	v_min_f32_e32 v73, v74, v73
	v_min3_f32 v73, v70, v73, v75
	v_add_co_u32 v70, vcc_lo, v66, v71
	v_add_co_ci_u32_e64 v71, null, v67, v72, vcc_lo
	global_store_dword v[70:71], v73, off
	s_or_b32 exec_lo, exec_lo, s8
	s_and_b32 s11, s2, s4
	s_and_saveexec_b32 s8, s11
	s_cbranch_execz .LBB65_126
.LBB65_135:
	v_cmp_ne_u32_e32 vcc_lo, 1, v88
	s_cbranch_vccnz .LBB65_137
; %bb.136:
	v_lshlrev_b64 v[70:71], 2, v[84:85]
	v_add_co_u32 v70, vcc_lo, v68, v70
	v_add_co_ci_u32_e64 v71, null, v69, v71, vcc_lo
	global_load_dword v70, v[70:71], off
	s_waitcnt vmcnt(0)
	v_mul_f32_e32 v70, s22, v70
	s_branch .LBB65_138
.LBB65_137:
	v_mov_b32_e32 v70, 0
.LBB65_138:
	v_add_f32_e32 v71, v11, v63
	v_add_f32_e32 v72, v10, v62
	;; [unrolled: 1-line block ×4, first 2 shown]
	v_min3_f32 v75, v72, v71, v141
	v_lshlrev_b64 v[71:72], 2, v[84:85]
	v_min_f32_e32 v73, v74, v73
	v_min3_f32 v73, v70, v73, v75
	v_add_co_u32 v70, vcc_lo, v66, v71
	v_add_co_ci_u32_e64 v71, null, v67, v72, vcc_lo
	global_store_dword v[70:71], v73, off
	s_or_b32 exec_lo, exec_lo, s8
	s_and_b32 s8, s3, s4
	s_and_saveexec_b32 s4, s8
	s_cbranch_execz .LBB65_143
.LBB65_139:
	v_cmp_ne_u32_e32 vcc_lo, 1, v88
	s_cbranch_vccnz .LBB65_141
; %bb.140:
	v_lshlrev_b64 v[70:71], 2, v[86:87]
	v_add_co_u32 v68, vcc_lo, v68, v70
	v_add_co_ci_u32_e64 v69, null, v69, v71, vcc_lo
	global_load_dword v68, v[68:69], off
	s_waitcnt vmcnt(0)
	v_mul_f32_e32 v68, s22, v68
	s_branch .LBB65_142
.LBB65_141:
	v_mov_b32_e32 v68, 0
.LBB65_142:
	v_add_f32_e32 v63, v3, v63
	v_add_f32_e32 v62, v2, v62
	;; [unrolled: 1-line block ×4, first 2 shown]
	v_min3_f32 v69, v62, v63, v140
	v_lshlrev_b64 v[62:63], 2, v[86:87]
	v_min_f32_e32 v64, v64, v65
	v_min3_f32 v64, v68, v64, v69
	v_add_co_u32 v62, vcc_lo, v66, v62
	v_add_co_ci_u32_e64 v63, null, v67, v63, vcc_lo
	global_store_dword v[62:63], v64, off
.LBB65_143:
	s_or_b32 exec_lo, exec_lo, s4
	v_add_nc_u32_e32 v66, 40, v89
	v_mad_i64_i32 v[62:63], null, v66, s6, 0
	v_mad_i64_i32 v[64:65], null, v66, s5, 0
	v_cmp_gt_i32_e64 s4, s9, v66
	v_lshlrev_b64 v[62:63], 2, v[62:63]
	s_and_b32 s11, s0, s4
	v_lshlrev_b64 v[66:67], 2, v[64:65]
	v_add_co_u32 v64, vcc_lo, s16, v62
	v_add_co_ci_u32_e64 v65, null, s17, v63, vcc_lo
	v_add_co_u32 v62, vcc_lo, s7, v66
	v_add_co_ci_u32_e64 v63, null, s10, v67, vcc_lo
	s_and_saveexec_b32 s8, s11
	s_cbranch_execnz .LBB65_147
; %bb.144:
	s_or_b32 exec_lo, exec_lo, s8
	s_and_b32 s11, s1, s4
	s_and_saveexec_b32 s8, s11
	s_cbranch_execnz .LBB65_151
.LBB65_145:
	s_or_b32 exec_lo, exec_lo, s8
	s_and_b32 s11, s2, s4
	s_and_saveexec_b32 s8, s11
	s_cbranch_execnz .LBB65_155
.LBB65_146:
	s_or_b32 exec_lo, exec_lo, s8
	s_and_b32 s8, s3, s4
	s_and_saveexec_b32 s4, s8
	s_cbranch_execnz .LBB65_159
	s_branch .LBB65_163
.LBB65_147:
	v_cmp_ne_u32_e32 vcc_lo, 1, v88
	s_cbranch_vccnz .LBB65_149
; %bb.148:
	v_lshlrev_b64 v[66:67], 2, v[0:1]
	v_add_co_u32 v66, vcc_lo, v64, v66
	v_add_co_ci_u32_e64 v67, null, v65, v67, vcc_lo
	global_load_dword v66, v[66:67], off
	s_waitcnt vmcnt(0)
	v_mul_f32_e32 v66, s22, v66
	s_branch .LBB65_150
.LBB65_149:
	v_mov_b32_e32 v66, 0
.LBB65_150:
	v_add_f32_e32 v67, v19, v59
	v_add_f32_e32 v68, v18, v58
	;; [unrolled: 1-line block ×4, first 2 shown]
	v_min3_f32 v71, v68, v67, v139
	v_lshlrev_b64 v[67:68], 2, v[0:1]
	v_min_f32_e32 v69, v70, v69
	v_min3_f32 v69, v66, v69, v71
	v_add_co_u32 v66, vcc_lo, v62, v67
	v_add_co_ci_u32_e64 v67, null, v63, v68, vcc_lo
	global_store_dword v[66:67], v69, off
	s_or_b32 exec_lo, exec_lo, s8
	s_and_b32 s11, s1, s4
	s_and_saveexec_b32 s8, s11
	s_cbranch_execz .LBB65_145
.LBB65_151:
	v_cmp_ne_u32_e32 vcc_lo, 1, v88
	s_cbranch_vccnz .LBB65_153
; %bb.152:
	v_lshlrev_b64 v[66:67], 2, v[82:83]
	v_add_co_u32 v66, vcc_lo, v64, v66
	v_add_co_ci_u32_e64 v67, null, v65, v67, vcc_lo
	global_load_dword v66, v[66:67], off
	s_waitcnt vmcnt(0)
	v_mul_f32_e32 v66, s22, v66
	s_branch .LBB65_154
.LBB65_153:
	v_mov_b32_e32 v66, 0
.LBB65_154:
	v_add_f32_e32 v67, v15, v59
	v_add_f32_e32 v68, v14, v58
	;; [unrolled: 1-line block ×4, first 2 shown]
	v_min3_f32 v71, v68, v67, v138
	v_lshlrev_b64 v[67:68], 2, v[82:83]
	v_min_f32_e32 v69, v70, v69
	v_min3_f32 v69, v66, v69, v71
	v_add_co_u32 v66, vcc_lo, v62, v67
	v_add_co_ci_u32_e64 v67, null, v63, v68, vcc_lo
	global_store_dword v[66:67], v69, off
	s_or_b32 exec_lo, exec_lo, s8
	s_and_b32 s11, s2, s4
	s_and_saveexec_b32 s8, s11
	s_cbranch_execz .LBB65_146
.LBB65_155:
	v_cmp_ne_u32_e32 vcc_lo, 1, v88
	s_cbranch_vccnz .LBB65_157
; %bb.156:
	v_lshlrev_b64 v[66:67], 2, v[84:85]
	v_add_co_u32 v66, vcc_lo, v64, v66
	v_add_co_ci_u32_e64 v67, null, v65, v67, vcc_lo
	global_load_dword v66, v[66:67], off
	s_waitcnt vmcnt(0)
	v_mul_f32_e32 v66, s22, v66
	s_branch .LBB65_158
.LBB65_157:
	v_mov_b32_e32 v66, 0
.LBB65_158:
	v_add_f32_e32 v67, v11, v59
	v_add_f32_e32 v68, v10, v58
	;; [unrolled: 1-line block ×4, first 2 shown]
	v_min3_f32 v71, v68, v67, v137
	v_lshlrev_b64 v[67:68], 2, v[84:85]
	v_min_f32_e32 v69, v70, v69
	v_min3_f32 v69, v66, v69, v71
	v_add_co_u32 v66, vcc_lo, v62, v67
	v_add_co_ci_u32_e64 v67, null, v63, v68, vcc_lo
	global_store_dword v[66:67], v69, off
	s_or_b32 exec_lo, exec_lo, s8
	s_and_b32 s8, s3, s4
	s_and_saveexec_b32 s4, s8
	s_cbranch_execz .LBB65_163
.LBB65_159:
	v_cmp_ne_u32_e32 vcc_lo, 1, v88
	s_cbranch_vccnz .LBB65_161
; %bb.160:
	v_lshlrev_b64 v[66:67], 2, v[86:87]
	v_add_co_u32 v64, vcc_lo, v64, v66
	v_add_co_ci_u32_e64 v65, null, v65, v67, vcc_lo
	global_load_dword v64, v[64:65], off
	s_waitcnt vmcnt(0)
	v_mul_f32_e32 v64, s22, v64
	s_branch .LBB65_162
.LBB65_161:
	v_mov_b32_e32 v64, 0
.LBB65_162:
	v_add_f32_e32 v59, v3, v59
	v_add_f32_e32 v58, v2, v58
	;; [unrolled: 1-line block ×4, first 2 shown]
	v_min3_f32 v65, v58, v59, v136
	v_lshlrev_b64 v[58:59], 2, v[86:87]
	v_min_f32_e32 v60, v60, v61
	v_min3_f32 v60, v64, v60, v65
	v_add_co_u32 v58, vcc_lo, v62, v58
	v_add_co_ci_u32_e64 v59, null, v63, v59, vcc_lo
	global_store_dword v[58:59], v60, off
.LBB65_163:
	s_or_b32 exec_lo, exec_lo, s4
	v_add_nc_u32_e32 v62, 48, v89
	v_mad_i64_i32 v[58:59], null, v62, s6, 0
	v_mad_i64_i32 v[60:61], null, v62, s5, 0
	v_cmp_gt_i32_e64 s4, s9, v62
	v_lshlrev_b64 v[58:59], 2, v[58:59]
	s_and_b32 s11, s0, s4
	v_lshlrev_b64 v[62:63], 2, v[60:61]
	v_add_co_u32 v60, vcc_lo, s16, v58
	v_add_co_ci_u32_e64 v61, null, s17, v59, vcc_lo
	v_add_co_u32 v58, vcc_lo, s7, v62
	v_add_co_ci_u32_e64 v59, null, s10, v63, vcc_lo
	s_and_saveexec_b32 s8, s11
	s_cbranch_execnz .LBB65_167
; %bb.164:
	s_or_b32 exec_lo, exec_lo, s8
	s_and_b32 s11, s1, s4
	s_and_saveexec_b32 s8, s11
	s_cbranch_execnz .LBB65_171
.LBB65_165:
	s_or_b32 exec_lo, exec_lo, s8
	s_and_b32 s11, s2, s4
	s_and_saveexec_b32 s8, s11
	s_cbranch_execnz .LBB65_175
.LBB65_166:
	s_or_b32 exec_lo, exec_lo, s8
	s_and_b32 s8, s3, s4
	s_and_saveexec_b32 s4, s8
	s_cbranch_execnz .LBB65_179
	s_branch .LBB65_183
.LBB65_167:
	v_cmp_ne_u32_e32 vcc_lo, 1, v88
	s_cbranch_vccnz .LBB65_169
; %bb.168:
	v_lshlrev_b64 v[62:63], 2, v[0:1]
	v_add_co_u32 v62, vcc_lo, v60, v62
	v_add_co_ci_u32_e64 v63, null, v61, v63, vcc_lo
	global_load_dword v62, v[62:63], off
	s_waitcnt vmcnt(0)
	v_mul_f32_e32 v62, s22, v62
	s_branch .LBB65_170
.LBB65_169:
	v_mov_b32_e32 v62, 0
.LBB65_170:
	v_add_f32_e32 v63, v19, v55
	v_add_f32_e32 v64, v18, v54
	v_add_f32_e32 v65, v21, v57
	v_add_f32_e32 v66, v20, v56
	v_min3_f32 v67, v64, v63, v135
	v_lshlrev_b64 v[63:64], 2, v[0:1]
	v_min_f32_e32 v65, v66, v65
	v_min3_f32 v65, v62, v65, v67
	v_add_co_u32 v62, vcc_lo, v58, v63
	v_add_co_ci_u32_e64 v63, null, v59, v64, vcc_lo
	global_store_dword v[62:63], v65, off
	s_or_b32 exec_lo, exec_lo, s8
	s_and_b32 s11, s1, s4
	s_and_saveexec_b32 s8, s11
	s_cbranch_execz .LBB65_165
.LBB65_171:
	v_cmp_ne_u32_e32 vcc_lo, 1, v88
	s_cbranch_vccnz .LBB65_173
; %bb.172:
	v_lshlrev_b64 v[62:63], 2, v[82:83]
	v_add_co_u32 v62, vcc_lo, v60, v62
	v_add_co_ci_u32_e64 v63, null, v61, v63, vcc_lo
	global_load_dword v62, v[62:63], off
	s_waitcnt vmcnt(0)
	v_mul_f32_e32 v62, s22, v62
	s_branch .LBB65_174
.LBB65_173:
	v_mov_b32_e32 v62, 0
.LBB65_174:
	v_add_f32_e32 v63, v15, v55
	v_add_f32_e32 v64, v14, v54
	;; [unrolled: 1-line block ×4, first 2 shown]
	v_min3_f32 v67, v64, v63, v134
	v_lshlrev_b64 v[63:64], 2, v[82:83]
	v_min_f32_e32 v65, v66, v65
	v_min3_f32 v65, v62, v65, v67
	v_add_co_u32 v62, vcc_lo, v58, v63
	v_add_co_ci_u32_e64 v63, null, v59, v64, vcc_lo
	global_store_dword v[62:63], v65, off
	s_or_b32 exec_lo, exec_lo, s8
	s_and_b32 s11, s2, s4
	s_and_saveexec_b32 s8, s11
	s_cbranch_execz .LBB65_166
.LBB65_175:
	v_cmp_ne_u32_e32 vcc_lo, 1, v88
	s_cbranch_vccnz .LBB65_177
; %bb.176:
	v_lshlrev_b64 v[62:63], 2, v[84:85]
	v_add_co_u32 v62, vcc_lo, v60, v62
	v_add_co_ci_u32_e64 v63, null, v61, v63, vcc_lo
	global_load_dword v62, v[62:63], off
	s_waitcnt vmcnt(0)
	v_mul_f32_e32 v62, s22, v62
	s_branch .LBB65_178
.LBB65_177:
	v_mov_b32_e32 v62, 0
.LBB65_178:
	v_add_f32_e32 v63, v11, v55
	v_add_f32_e32 v64, v10, v54
	;; [unrolled: 1-line block ×4, first 2 shown]
	v_min3_f32 v67, v64, v63, v133
	v_lshlrev_b64 v[63:64], 2, v[84:85]
	v_min_f32_e32 v65, v66, v65
	v_min3_f32 v65, v62, v65, v67
	v_add_co_u32 v62, vcc_lo, v58, v63
	v_add_co_ci_u32_e64 v63, null, v59, v64, vcc_lo
	global_store_dword v[62:63], v65, off
	s_or_b32 exec_lo, exec_lo, s8
	s_and_b32 s8, s3, s4
	s_and_saveexec_b32 s4, s8
	s_cbranch_execz .LBB65_183
.LBB65_179:
	v_cmp_ne_u32_e32 vcc_lo, 1, v88
	s_cbranch_vccnz .LBB65_181
; %bb.180:
	v_lshlrev_b64 v[62:63], 2, v[86:87]
	v_add_co_u32 v60, vcc_lo, v60, v62
	v_add_co_ci_u32_e64 v61, null, v61, v63, vcc_lo
	global_load_dword v60, v[60:61], off
	s_waitcnt vmcnt(0)
	v_mul_f32_e32 v60, s22, v60
	s_branch .LBB65_182
.LBB65_181:
	v_mov_b32_e32 v60, 0
.LBB65_182:
	v_add_f32_e32 v55, v3, v55
	v_add_f32_e32 v54, v2, v54
	;; [unrolled: 1-line block ×4, first 2 shown]
	v_min3_f32 v61, v54, v55, v132
	v_lshlrev_b64 v[54:55], 2, v[86:87]
	v_min_f32_e32 v56, v56, v57
	v_min3_f32 v56, v60, v56, v61
	v_add_co_u32 v54, vcc_lo, v58, v54
	v_add_co_ci_u32_e64 v55, null, v59, v55, vcc_lo
	global_store_dword v[54:55], v56, off
.LBB65_183:
	s_or_b32 exec_lo, exec_lo, s4
	v_add_nc_u32_e32 v58, 56, v89
	v_mad_i64_i32 v[54:55], null, v58, s6, 0
	v_mad_i64_i32 v[56:57], null, v58, s5, 0
	v_cmp_gt_i32_e64 s4, s9, v58
	v_lshlrev_b64 v[54:55], 2, v[54:55]
	s_and_b32 s11, s0, s4
	v_lshlrev_b64 v[58:59], 2, v[56:57]
	v_add_co_u32 v56, vcc_lo, s16, v54
	v_add_co_ci_u32_e64 v57, null, s17, v55, vcc_lo
	v_add_co_u32 v54, vcc_lo, s7, v58
	v_add_co_ci_u32_e64 v55, null, s10, v59, vcc_lo
	s_and_saveexec_b32 s8, s11
	s_cbranch_execnz .LBB65_187
; %bb.184:
	s_or_b32 exec_lo, exec_lo, s8
	s_and_b32 s11, s1, s4
	s_and_saveexec_b32 s8, s11
	s_cbranch_execnz .LBB65_191
.LBB65_185:
	s_or_b32 exec_lo, exec_lo, s8
	s_and_b32 s11, s2, s4
	s_and_saveexec_b32 s8, s11
	s_cbranch_execnz .LBB65_195
.LBB65_186:
	s_or_b32 exec_lo, exec_lo, s8
	s_and_b32 s8, s3, s4
	s_and_saveexec_b32 s4, s8
	s_cbranch_execnz .LBB65_199
	s_branch .LBB65_203
.LBB65_187:
	v_cmp_ne_u32_e32 vcc_lo, 1, v88
	s_cbranch_vccnz .LBB65_189
; %bb.188:
	v_lshlrev_b64 v[58:59], 2, v[0:1]
	v_add_co_u32 v58, vcc_lo, v56, v58
	v_add_co_ci_u32_e64 v59, null, v57, v59, vcc_lo
	global_load_dword v58, v[58:59], off
	s_waitcnt vmcnt(0)
	v_mul_f32_e32 v58, s22, v58
	s_branch .LBB65_190
.LBB65_189:
	v_mov_b32_e32 v58, 0
.LBB65_190:
	v_add_f32_e32 v59, v19, v51
	v_add_f32_e32 v60, v18, v50
	;; [unrolled: 1-line block ×4, first 2 shown]
	v_min3_f32 v63, v60, v59, v131
	v_lshlrev_b64 v[59:60], 2, v[0:1]
	v_min_f32_e32 v61, v62, v61
	v_min3_f32 v61, v58, v61, v63
	v_add_co_u32 v58, vcc_lo, v54, v59
	v_add_co_ci_u32_e64 v59, null, v55, v60, vcc_lo
	global_store_dword v[58:59], v61, off
	s_or_b32 exec_lo, exec_lo, s8
	s_and_b32 s11, s1, s4
	s_and_saveexec_b32 s8, s11
	s_cbranch_execz .LBB65_185
.LBB65_191:
	v_cmp_ne_u32_e32 vcc_lo, 1, v88
	s_cbranch_vccnz .LBB65_193
; %bb.192:
	v_lshlrev_b64 v[58:59], 2, v[82:83]
	v_add_co_u32 v58, vcc_lo, v56, v58
	v_add_co_ci_u32_e64 v59, null, v57, v59, vcc_lo
	global_load_dword v58, v[58:59], off
	s_waitcnt vmcnt(0)
	v_mul_f32_e32 v58, s22, v58
	s_branch .LBB65_194
.LBB65_193:
	v_mov_b32_e32 v58, 0
.LBB65_194:
	v_add_f32_e32 v59, v15, v51
	v_add_f32_e32 v60, v14, v50
	;; [unrolled: 1-line block ×4, first 2 shown]
	v_min3_f32 v63, v60, v59, v130
	v_lshlrev_b64 v[59:60], 2, v[82:83]
	v_min_f32_e32 v61, v62, v61
	v_min3_f32 v61, v58, v61, v63
	v_add_co_u32 v58, vcc_lo, v54, v59
	v_add_co_ci_u32_e64 v59, null, v55, v60, vcc_lo
	global_store_dword v[58:59], v61, off
	s_or_b32 exec_lo, exec_lo, s8
	s_and_b32 s11, s2, s4
	s_and_saveexec_b32 s8, s11
	s_cbranch_execz .LBB65_186
.LBB65_195:
	v_cmp_ne_u32_e32 vcc_lo, 1, v88
	s_cbranch_vccnz .LBB65_197
; %bb.196:
	v_lshlrev_b64 v[58:59], 2, v[84:85]
	v_add_co_u32 v58, vcc_lo, v56, v58
	v_add_co_ci_u32_e64 v59, null, v57, v59, vcc_lo
	global_load_dword v58, v[58:59], off
	s_waitcnt vmcnt(0)
	v_mul_f32_e32 v58, s22, v58
	s_branch .LBB65_198
.LBB65_197:
	v_mov_b32_e32 v58, 0
.LBB65_198:
	v_add_f32_e32 v59, v11, v51
	v_add_f32_e32 v60, v10, v50
	;; [unrolled: 1-line block ×4, first 2 shown]
	v_min3_f32 v63, v60, v59, v129
	v_lshlrev_b64 v[59:60], 2, v[84:85]
	v_min_f32_e32 v61, v62, v61
	v_min3_f32 v61, v58, v61, v63
	v_add_co_u32 v58, vcc_lo, v54, v59
	v_add_co_ci_u32_e64 v59, null, v55, v60, vcc_lo
	global_store_dword v[58:59], v61, off
	s_or_b32 exec_lo, exec_lo, s8
	s_and_b32 s8, s3, s4
	s_and_saveexec_b32 s4, s8
	s_cbranch_execz .LBB65_203
.LBB65_199:
	v_cmp_ne_u32_e32 vcc_lo, 1, v88
	s_cbranch_vccnz .LBB65_201
; %bb.200:
	v_lshlrev_b64 v[58:59], 2, v[86:87]
	v_add_co_u32 v56, vcc_lo, v56, v58
	v_add_co_ci_u32_e64 v57, null, v57, v59, vcc_lo
	global_load_dword v56, v[56:57], off
	s_waitcnt vmcnt(0)
	v_mul_f32_e32 v56, s22, v56
	s_branch .LBB65_202
.LBB65_201:
	v_mov_b32_e32 v56, 0
.LBB65_202:
	v_add_f32_e32 v51, v3, v51
	v_add_f32_e32 v50, v2, v50
	;; [unrolled: 1-line block ×4, first 2 shown]
	v_min3_f32 v57, v50, v51, v128
	v_lshlrev_b64 v[50:51], 2, v[86:87]
	v_min_f32_e32 v52, v52, v53
	v_min3_f32 v52, v56, v52, v57
	v_add_co_u32 v50, vcc_lo, v54, v50
	v_add_co_ci_u32_e64 v51, null, v55, v51, vcc_lo
	global_store_dword v[50:51], v52, off
.LBB65_203:
	s_or_b32 exec_lo, exec_lo, s4
	v_add_nc_u32_e32 v54, 64, v89
	v_mad_i64_i32 v[50:51], null, v54, s6, 0
	v_mad_i64_i32 v[52:53], null, v54, s5, 0
	v_cmp_gt_i32_e64 s4, s9, v54
	v_lshlrev_b64 v[50:51], 2, v[50:51]
	s_and_b32 s11, s0, s4
	v_lshlrev_b64 v[54:55], 2, v[52:53]
	v_add_co_u32 v52, vcc_lo, s16, v50
	v_add_co_ci_u32_e64 v53, null, s17, v51, vcc_lo
	v_add_co_u32 v50, vcc_lo, s7, v54
	v_add_co_ci_u32_e64 v51, null, s10, v55, vcc_lo
	s_and_saveexec_b32 s8, s11
	s_cbranch_execnz .LBB65_207
; %bb.204:
	s_or_b32 exec_lo, exec_lo, s8
	s_and_b32 s11, s1, s4
	s_and_saveexec_b32 s8, s11
	s_cbranch_execnz .LBB65_211
.LBB65_205:
	s_or_b32 exec_lo, exec_lo, s8
	s_and_b32 s11, s2, s4
	s_and_saveexec_b32 s8, s11
	s_cbranch_execnz .LBB65_215
.LBB65_206:
	s_or_b32 exec_lo, exec_lo, s8
	s_and_b32 s8, s3, s4
	s_and_saveexec_b32 s4, s8
	s_cbranch_execnz .LBB65_219
	s_branch .LBB65_223
.LBB65_207:
	v_cmp_ne_u32_e32 vcc_lo, 1, v88
	s_cbranch_vccnz .LBB65_209
; %bb.208:
	v_lshlrev_b64 v[54:55], 2, v[0:1]
	v_add_co_u32 v54, vcc_lo, v52, v54
	v_add_co_ci_u32_e64 v55, null, v53, v55, vcc_lo
	global_load_dword v54, v[54:55], off
	s_waitcnt vmcnt(0)
	v_mul_f32_e32 v54, s22, v54
	s_branch .LBB65_210
.LBB65_209:
	v_mov_b32_e32 v54, 0
.LBB65_210:
	v_add_f32_e32 v55, v19, v47
	v_add_f32_e32 v56, v18, v46
	;; [unrolled: 1-line block ×4, first 2 shown]
	v_min3_f32 v59, v56, v55, v127
	v_lshlrev_b64 v[55:56], 2, v[0:1]
	v_min_f32_e32 v57, v58, v57
	v_min3_f32 v57, v54, v57, v59
	v_add_co_u32 v54, vcc_lo, v50, v55
	v_add_co_ci_u32_e64 v55, null, v51, v56, vcc_lo
	global_store_dword v[54:55], v57, off
	s_or_b32 exec_lo, exec_lo, s8
	s_and_b32 s11, s1, s4
	s_and_saveexec_b32 s8, s11
	s_cbranch_execz .LBB65_205
.LBB65_211:
	v_cmp_ne_u32_e32 vcc_lo, 1, v88
	s_cbranch_vccnz .LBB65_213
; %bb.212:
	v_lshlrev_b64 v[54:55], 2, v[82:83]
	v_add_co_u32 v54, vcc_lo, v52, v54
	v_add_co_ci_u32_e64 v55, null, v53, v55, vcc_lo
	global_load_dword v54, v[54:55], off
	s_waitcnt vmcnt(0)
	v_mul_f32_e32 v54, s22, v54
	s_branch .LBB65_214
.LBB65_213:
	v_mov_b32_e32 v54, 0
.LBB65_214:
	v_add_f32_e32 v55, v15, v47
	v_add_f32_e32 v56, v14, v46
	;; [unrolled: 1-line block ×4, first 2 shown]
	v_min3_f32 v59, v56, v55, v126
	v_lshlrev_b64 v[55:56], 2, v[82:83]
	v_min_f32_e32 v57, v58, v57
	v_min3_f32 v57, v54, v57, v59
	v_add_co_u32 v54, vcc_lo, v50, v55
	v_add_co_ci_u32_e64 v55, null, v51, v56, vcc_lo
	global_store_dword v[54:55], v57, off
	s_or_b32 exec_lo, exec_lo, s8
	s_and_b32 s11, s2, s4
	s_and_saveexec_b32 s8, s11
	s_cbranch_execz .LBB65_206
.LBB65_215:
	v_cmp_ne_u32_e32 vcc_lo, 1, v88
	s_cbranch_vccnz .LBB65_217
; %bb.216:
	v_lshlrev_b64 v[54:55], 2, v[84:85]
	v_add_co_u32 v54, vcc_lo, v52, v54
	v_add_co_ci_u32_e64 v55, null, v53, v55, vcc_lo
	global_load_dword v54, v[54:55], off
	s_waitcnt vmcnt(0)
	v_mul_f32_e32 v54, s22, v54
	s_branch .LBB65_218
.LBB65_217:
	v_mov_b32_e32 v54, 0
.LBB65_218:
	v_add_f32_e32 v55, v11, v47
	v_add_f32_e32 v56, v10, v46
	;; [unrolled: 1-line block ×4, first 2 shown]
	v_min3_f32 v59, v56, v55, v125
	v_lshlrev_b64 v[55:56], 2, v[84:85]
	v_min_f32_e32 v57, v58, v57
	v_min3_f32 v57, v54, v57, v59
	v_add_co_u32 v54, vcc_lo, v50, v55
	v_add_co_ci_u32_e64 v55, null, v51, v56, vcc_lo
	global_store_dword v[54:55], v57, off
	s_or_b32 exec_lo, exec_lo, s8
	s_and_b32 s8, s3, s4
	s_and_saveexec_b32 s4, s8
	s_cbranch_execz .LBB65_223
.LBB65_219:
	v_cmp_ne_u32_e32 vcc_lo, 1, v88
	s_cbranch_vccnz .LBB65_221
; %bb.220:
	v_lshlrev_b64 v[54:55], 2, v[86:87]
	v_add_co_u32 v52, vcc_lo, v52, v54
	v_add_co_ci_u32_e64 v53, null, v53, v55, vcc_lo
	global_load_dword v52, v[52:53], off
	s_waitcnt vmcnt(0)
	v_mul_f32_e32 v52, s22, v52
	s_branch .LBB65_222
.LBB65_221:
	v_mov_b32_e32 v52, 0
.LBB65_222:
	v_add_f32_e32 v47, v3, v47
	v_add_f32_e32 v46, v2, v46
	;; [unrolled: 1-line block ×4, first 2 shown]
	v_min3_f32 v53, v46, v47, v123
	v_lshlrev_b64 v[46:47], 2, v[86:87]
	v_min_f32_e32 v48, v48, v49
	v_min3_f32 v48, v52, v48, v53
	v_add_co_u32 v46, vcc_lo, v50, v46
	v_add_co_ci_u32_e64 v47, null, v51, v47, vcc_lo
	global_store_dword v[46:47], v48, off
.LBB65_223:
	s_or_b32 exec_lo, exec_lo, s4
	v_add_nc_u32_e32 v50, 0x48, v89
	v_mad_i64_i32 v[46:47], null, v50, s6, 0
	v_mad_i64_i32 v[48:49], null, v50, s5, 0
	v_cmp_gt_i32_e64 s4, s9, v50
	v_lshlrev_b64 v[46:47], 2, v[46:47]
	s_and_b32 s11, s0, s4
	v_lshlrev_b64 v[50:51], 2, v[48:49]
	v_add_co_u32 v48, vcc_lo, s16, v46
	v_add_co_ci_u32_e64 v49, null, s17, v47, vcc_lo
	v_add_co_u32 v46, vcc_lo, s7, v50
	v_add_co_ci_u32_e64 v47, null, s10, v51, vcc_lo
	s_and_saveexec_b32 s8, s11
	s_cbranch_execnz .LBB65_227
; %bb.224:
	s_or_b32 exec_lo, exec_lo, s8
	s_and_b32 s11, s1, s4
	s_and_saveexec_b32 s8, s11
	s_cbranch_execnz .LBB65_231
.LBB65_225:
	s_or_b32 exec_lo, exec_lo, s8
	s_and_b32 s11, s2, s4
	s_and_saveexec_b32 s8, s11
	s_cbranch_execnz .LBB65_235
.LBB65_226:
	s_or_b32 exec_lo, exec_lo, s8
	s_and_b32 s8, s3, s4
	s_and_saveexec_b32 s4, s8
	s_cbranch_execnz .LBB65_239
	s_branch .LBB65_243
.LBB65_227:
	v_cmp_ne_u32_e32 vcc_lo, 1, v88
	s_cbranch_vccnz .LBB65_229
; %bb.228:
	v_lshlrev_b64 v[50:51], 2, v[0:1]
	v_add_co_u32 v50, vcc_lo, v48, v50
	v_add_co_ci_u32_e64 v51, null, v49, v51, vcc_lo
	global_load_dword v50, v[50:51], off
	s_waitcnt vmcnt(0)
	v_mul_f32_e32 v50, s22, v50
	s_branch .LBB65_230
.LBB65_229:
	v_mov_b32_e32 v50, 0
.LBB65_230:
	v_add_f32_e32 v51, v19, v43
	v_add_f32_e32 v52, v18, v42
	;; [unrolled: 1-line block ×4, first 2 shown]
	v_min3_f32 v55, v52, v51, v122
	v_lshlrev_b64 v[51:52], 2, v[0:1]
	v_min_f32_e32 v53, v54, v53
	v_min3_f32 v53, v50, v53, v55
	v_add_co_u32 v50, vcc_lo, v46, v51
	v_add_co_ci_u32_e64 v51, null, v47, v52, vcc_lo
	global_store_dword v[50:51], v53, off
	s_or_b32 exec_lo, exec_lo, s8
	s_and_b32 s11, s1, s4
	s_and_saveexec_b32 s8, s11
	s_cbranch_execz .LBB65_225
.LBB65_231:
	v_cmp_ne_u32_e32 vcc_lo, 1, v88
	s_cbranch_vccnz .LBB65_233
; %bb.232:
	v_lshlrev_b64 v[50:51], 2, v[82:83]
	v_add_co_u32 v50, vcc_lo, v48, v50
	v_add_co_ci_u32_e64 v51, null, v49, v51, vcc_lo
	global_load_dword v50, v[50:51], off
	s_waitcnt vmcnt(0)
	v_mul_f32_e32 v50, s22, v50
	s_branch .LBB65_234
.LBB65_233:
	v_mov_b32_e32 v50, 0
.LBB65_234:
	v_add_f32_e32 v51, v15, v43
	v_add_f32_e32 v52, v14, v42
	;; [unrolled: 1-line block ×4, first 2 shown]
	v_min3_f32 v55, v52, v51, v121
	v_lshlrev_b64 v[51:52], 2, v[82:83]
	v_min_f32_e32 v53, v54, v53
	v_min3_f32 v53, v50, v53, v55
	v_add_co_u32 v50, vcc_lo, v46, v51
	v_add_co_ci_u32_e64 v51, null, v47, v52, vcc_lo
	global_store_dword v[50:51], v53, off
	s_or_b32 exec_lo, exec_lo, s8
	s_and_b32 s11, s2, s4
	s_and_saveexec_b32 s8, s11
	s_cbranch_execz .LBB65_226
.LBB65_235:
	v_cmp_ne_u32_e32 vcc_lo, 1, v88
	s_cbranch_vccnz .LBB65_237
; %bb.236:
	v_lshlrev_b64 v[50:51], 2, v[84:85]
	v_add_co_u32 v50, vcc_lo, v48, v50
	v_add_co_ci_u32_e64 v51, null, v49, v51, vcc_lo
	global_load_dword v50, v[50:51], off
	s_waitcnt vmcnt(0)
	v_mul_f32_e32 v50, s22, v50
	s_branch .LBB65_238
.LBB65_237:
	v_mov_b32_e32 v50, 0
.LBB65_238:
	v_add_f32_e32 v51, v11, v43
	v_add_f32_e32 v52, v10, v42
	;; [unrolled: 1-line block ×4, first 2 shown]
	v_min3_f32 v55, v52, v51, v120
	v_lshlrev_b64 v[51:52], 2, v[84:85]
	v_min_f32_e32 v53, v54, v53
	v_min3_f32 v53, v50, v53, v55
	v_add_co_u32 v50, vcc_lo, v46, v51
	v_add_co_ci_u32_e64 v51, null, v47, v52, vcc_lo
	global_store_dword v[50:51], v53, off
	s_or_b32 exec_lo, exec_lo, s8
	s_and_b32 s8, s3, s4
	s_and_saveexec_b32 s4, s8
	s_cbranch_execz .LBB65_243
.LBB65_239:
	v_cmp_ne_u32_e32 vcc_lo, 1, v88
	s_cbranch_vccnz .LBB65_241
; %bb.240:
	v_lshlrev_b64 v[50:51], 2, v[86:87]
	v_add_co_u32 v48, vcc_lo, v48, v50
	v_add_co_ci_u32_e64 v49, null, v49, v51, vcc_lo
	global_load_dword v48, v[48:49], off
	s_waitcnt vmcnt(0)
	v_mul_f32_e32 v48, s22, v48
	s_branch .LBB65_242
.LBB65_241:
	v_mov_b32_e32 v48, 0
.LBB65_242:
	v_add_f32_e32 v43, v3, v43
	v_add_f32_e32 v42, v2, v42
	;; [unrolled: 1-line block ×4, first 2 shown]
	v_min3_f32 v49, v42, v43, v119
	v_lshlrev_b64 v[42:43], 2, v[86:87]
	v_min_f32_e32 v44, v44, v45
	v_min3_f32 v44, v48, v44, v49
	v_add_co_u32 v42, vcc_lo, v46, v42
	v_add_co_ci_u32_e64 v43, null, v47, v43, vcc_lo
	global_store_dword v[42:43], v44, off
.LBB65_243:
	s_or_b32 exec_lo, exec_lo, s4
	v_add_nc_u32_e32 v46, 0x50, v89
	v_mad_i64_i32 v[42:43], null, v46, s6, 0
	v_mad_i64_i32 v[44:45], null, v46, s5, 0
	v_cmp_gt_i32_e64 s4, s9, v46
	v_lshlrev_b64 v[42:43], 2, v[42:43]
	s_and_b32 s11, s0, s4
	v_lshlrev_b64 v[46:47], 2, v[44:45]
	v_add_co_u32 v44, vcc_lo, s16, v42
	v_add_co_ci_u32_e64 v45, null, s17, v43, vcc_lo
	v_add_co_u32 v42, vcc_lo, s7, v46
	v_add_co_ci_u32_e64 v43, null, s10, v47, vcc_lo
	s_and_saveexec_b32 s8, s11
	s_cbranch_execnz .LBB65_247
; %bb.244:
	s_or_b32 exec_lo, exec_lo, s8
	s_and_b32 s11, s1, s4
	s_and_saveexec_b32 s8, s11
	s_cbranch_execnz .LBB65_251
.LBB65_245:
	s_or_b32 exec_lo, exec_lo, s8
	s_and_b32 s11, s2, s4
	s_and_saveexec_b32 s8, s11
	s_cbranch_execnz .LBB65_255
.LBB65_246:
	s_or_b32 exec_lo, exec_lo, s8
	s_and_b32 s8, s3, s4
	s_and_saveexec_b32 s4, s8
	s_cbranch_execnz .LBB65_259
	s_branch .LBB65_263
.LBB65_247:
	v_cmp_ne_u32_e32 vcc_lo, 1, v88
	s_cbranch_vccnz .LBB65_249
; %bb.248:
	v_lshlrev_b64 v[46:47], 2, v[0:1]
	v_add_co_u32 v46, vcc_lo, v44, v46
	v_add_co_ci_u32_e64 v47, null, v45, v47, vcc_lo
	global_load_dword v46, v[46:47], off
	s_waitcnt vmcnt(0)
	v_mul_f32_e32 v46, s22, v46
	s_branch .LBB65_250
.LBB65_249:
	v_mov_b32_e32 v46, 0
.LBB65_250:
	v_add_f32_e32 v47, v19, v39
	v_add_f32_e32 v48, v18, v38
	;; [unrolled: 1-line block ×4, first 2 shown]
	v_min3_f32 v51, v48, v47, v117
	v_lshlrev_b64 v[47:48], 2, v[0:1]
	v_min_f32_e32 v49, v50, v49
	v_min3_f32 v49, v46, v49, v51
	v_add_co_u32 v46, vcc_lo, v42, v47
	v_add_co_ci_u32_e64 v47, null, v43, v48, vcc_lo
	global_store_dword v[46:47], v49, off
	s_or_b32 exec_lo, exec_lo, s8
	s_and_b32 s11, s1, s4
	s_and_saveexec_b32 s8, s11
	s_cbranch_execz .LBB65_245
.LBB65_251:
	v_cmp_ne_u32_e32 vcc_lo, 1, v88
	s_cbranch_vccnz .LBB65_253
; %bb.252:
	v_lshlrev_b64 v[46:47], 2, v[82:83]
	v_add_co_u32 v46, vcc_lo, v44, v46
	v_add_co_ci_u32_e64 v47, null, v45, v47, vcc_lo
	global_load_dword v46, v[46:47], off
	s_waitcnt vmcnt(0)
	v_mul_f32_e32 v46, s22, v46
	s_branch .LBB65_254
.LBB65_253:
	v_mov_b32_e32 v46, 0
.LBB65_254:
	v_add_f32_e32 v47, v15, v39
	v_add_f32_e32 v48, v14, v38
	;; [unrolled: 1-line block ×4, first 2 shown]
	v_min3_f32 v51, v48, v47, v114
	v_lshlrev_b64 v[47:48], 2, v[82:83]
	v_min_f32_e32 v49, v50, v49
	v_min3_f32 v49, v46, v49, v51
	v_add_co_u32 v46, vcc_lo, v42, v47
	v_add_co_ci_u32_e64 v47, null, v43, v48, vcc_lo
	global_store_dword v[46:47], v49, off
	s_or_b32 exec_lo, exec_lo, s8
	s_and_b32 s11, s2, s4
	s_and_saveexec_b32 s8, s11
	s_cbranch_execz .LBB65_246
.LBB65_255:
	v_cmp_ne_u32_e32 vcc_lo, 1, v88
	s_cbranch_vccnz .LBB65_257
; %bb.256:
	v_lshlrev_b64 v[46:47], 2, v[84:85]
	v_add_co_u32 v46, vcc_lo, v44, v46
	v_add_co_ci_u32_e64 v47, null, v45, v47, vcc_lo
	global_load_dword v46, v[46:47], off
	s_waitcnt vmcnt(0)
	v_mul_f32_e32 v46, s22, v46
	s_branch .LBB65_258
.LBB65_257:
	v_mov_b32_e32 v46, 0
.LBB65_258:
	v_add_f32_e32 v47, v11, v39
	v_add_f32_e32 v48, v10, v38
	;; [unrolled: 1-line block ×4, first 2 shown]
	v_min3_f32 v51, v48, v47, v113
	v_lshlrev_b64 v[47:48], 2, v[84:85]
	v_min_f32_e32 v49, v50, v49
	v_min3_f32 v49, v46, v49, v51
	v_add_co_u32 v46, vcc_lo, v42, v47
	v_add_co_ci_u32_e64 v47, null, v43, v48, vcc_lo
	global_store_dword v[46:47], v49, off
	s_or_b32 exec_lo, exec_lo, s8
	s_and_b32 s8, s3, s4
	s_and_saveexec_b32 s4, s8
	s_cbranch_execz .LBB65_263
.LBB65_259:
	v_cmp_ne_u32_e32 vcc_lo, 1, v88
	s_cbranch_vccnz .LBB65_261
; %bb.260:
	v_lshlrev_b64 v[46:47], 2, v[86:87]
	v_add_co_u32 v44, vcc_lo, v44, v46
	v_add_co_ci_u32_e64 v45, null, v45, v47, vcc_lo
	global_load_dword v44, v[44:45], off
	s_waitcnt vmcnt(0)
	v_mul_f32_e32 v44, s22, v44
	s_branch .LBB65_262
.LBB65_261:
	v_mov_b32_e32 v44, 0
.LBB65_262:
	v_add_f32_e32 v39, v3, v39
	v_add_f32_e32 v38, v2, v38
	;; [unrolled: 1-line block ×4, first 2 shown]
	v_min3_f32 v45, v38, v39, v112
	v_lshlrev_b64 v[38:39], 2, v[86:87]
	v_min_f32_e32 v40, v40, v41
	v_min3_f32 v40, v44, v40, v45
	v_add_co_u32 v38, vcc_lo, v42, v38
	v_add_co_ci_u32_e64 v39, null, v43, v39, vcc_lo
	global_store_dword v[38:39], v40, off
.LBB65_263:
	s_or_b32 exec_lo, exec_lo, s4
	v_add_nc_u32_e32 v42, 0x58, v89
	v_mad_i64_i32 v[38:39], null, v42, s6, 0
	v_mad_i64_i32 v[40:41], null, v42, s5, 0
	v_cmp_gt_i32_e64 s4, s9, v42
	v_lshlrev_b64 v[38:39], 2, v[38:39]
	s_and_b32 s11, s0, s4
	v_lshlrev_b64 v[42:43], 2, v[40:41]
	v_add_co_u32 v40, vcc_lo, s16, v38
	v_add_co_ci_u32_e64 v41, null, s17, v39, vcc_lo
	v_add_co_u32 v38, vcc_lo, s7, v42
	v_add_co_ci_u32_e64 v39, null, s10, v43, vcc_lo
	s_and_saveexec_b32 s8, s11
	s_cbranch_execnz .LBB65_267
; %bb.264:
	s_or_b32 exec_lo, exec_lo, s8
	s_and_b32 s11, s1, s4
	s_and_saveexec_b32 s8, s11
	s_cbranch_execnz .LBB65_271
.LBB65_265:
	s_or_b32 exec_lo, exec_lo, s8
	s_and_b32 s11, s2, s4
	s_and_saveexec_b32 s8, s11
	s_cbranch_execnz .LBB65_275
.LBB65_266:
	s_or_b32 exec_lo, exec_lo, s8
	s_and_b32 s8, s3, s4
	s_and_saveexec_b32 s4, s8
	s_cbranch_execnz .LBB65_279
	s_branch .LBB65_283
.LBB65_267:
	v_cmp_ne_u32_e32 vcc_lo, 1, v88
	s_cbranch_vccnz .LBB65_269
; %bb.268:
	v_lshlrev_b64 v[42:43], 2, v[0:1]
	v_add_co_u32 v42, vcc_lo, v40, v42
	v_add_co_ci_u32_e64 v43, null, v41, v43, vcc_lo
	global_load_dword v42, v[42:43], off
	s_waitcnt vmcnt(0)
	v_mul_f32_e32 v42, s22, v42
	s_branch .LBB65_270
.LBB65_269:
	v_mov_b32_e32 v42, 0
.LBB65_270:
	v_add_f32_e32 v43, v19, v35
	v_add_f32_e32 v44, v18, v34
	;; [unrolled: 1-line block ×4, first 2 shown]
	v_min3_f32 v47, v44, v43, v111
	v_lshlrev_b64 v[43:44], 2, v[0:1]
	v_min_f32_e32 v45, v46, v45
	v_min3_f32 v45, v42, v45, v47
	v_add_co_u32 v42, vcc_lo, v38, v43
	v_add_co_ci_u32_e64 v43, null, v39, v44, vcc_lo
	global_store_dword v[42:43], v45, off
	s_or_b32 exec_lo, exec_lo, s8
	s_and_b32 s11, s1, s4
	s_and_saveexec_b32 s8, s11
	s_cbranch_execz .LBB65_265
.LBB65_271:
	v_cmp_ne_u32_e32 vcc_lo, 1, v88
	s_cbranch_vccnz .LBB65_273
; %bb.272:
	v_lshlrev_b64 v[42:43], 2, v[82:83]
	v_add_co_u32 v42, vcc_lo, v40, v42
	v_add_co_ci_u32_e64 v43, null, v41, v43, vcc_lo
	global_load_dword v42, v[42:43], off
	s_waitcnt vmcnt(0)
	v_mul_f32_e32 v42, s22, v42
	s_branch .LBB65_274
.LBB65_273:
	v_mov_b32_e32 v42, 0
.LBB65_274:
	v_add_f32_e32 v43, v15, v35
	v_add_f32_e32 v44, v14, v34
	;; [unrolled: 1-line block ×4, first 2 shown]
	v_min3_f32 v47, v44, v43, v110
	v_lshlrev_b64 v[43:44], 2, v[82:83]
	v_min_f32_e32 v45, v46, v45
	v_min3_f32 v45, v42, v45, v47
	v_add_co_u32 v42, vcc_lo, v38, v43
	v_add_co_ci_u32_e64 v43, null, v39, v44, vcc_lo
	global_store_dword v[42:43], v45, off
	s_or_b32 exec_lo, exec_lo, s8
	s_and_b32 s11, s2, s4
	s_and_saveexec_b32 s8, s11
	s_cbranch_execz .LBB65_266
.LBB65_275:
	v_cmp_ne_u32_e32 vcc_lo, 1, v88
	s_cbranch_vccnz .LBB65_277
; %bb.276:
	v_lshlrev_b64 v[42:43], 2, v[84:85]
	v_add_co_u32 v42, vcc_lo, v40, v42
	v_add_co_ci_u32_e64 v43, null, v41, v43, vcc_lo
	global_load_dword v42, v[42:43], off
	s_waitcnt vmcnt(0)
	v_mul_f32_e32 v42, s22, v42
	s_branch .LBB65_278
.LBB65_277:
	v_mov_b32_e32 v42, 0
.LBB65_278:
	v_add_f32_e32 v43, v11, v35
	v_add_f32_e32 v44, v10, v34
	;; [unrolled: 1-line block ×4, first 2 shown]
	v_min3_f32 v47, v44, v43, v109
	v_lshlrev_b64 v[43:44], 2, v[84:85]
	v_min_f32_e32 v45, v46, v45
	v_min3_f32 v45, v42, v45, v47
	v_add_co_u32 v42, vcc_lo, v38, v43
	v_add_co_ci_u32_e64 v43, null, v39, v44, vcc_lo
	global_store_dword v[42:43], v45, off
	s_or_b32 exec_lo, exec_lo, s8
	s_and_b32 s8, s3, s4
	s_and_saveexec_b32 s4, s8
	s_cbranch_execz .LBB65_283
.LBB65_279:
	v_cmp_ne_u32_e32 vcc_lo, 1, v88
	s_cbranch_vccnz .LBB65_281
; %bb.280:
	v_lshlrev_b64 v[42:43], 2, v[86:87]
	v_add_co_u32 v40, vcc_lo, v40, v42
	v_add_co_ci_u32_e64 v41, null, v41, v43, vcc_lo
	global_load_dword v40, v[40:41], off
	s_waitcnt vmcnt(0)
	v_mul_f32_e32 v40, s22, v40
	s_branch .LBB65_282
.LBB65_281:
	v_mov_b32_e32 v40, 0
.LBB65_282:
	v_add_f32_e32 v35, v3, v35
	v_add_f32_e32 v34, v2, v34
	;; [unrolled: 1-line block ×4, first 2 shown]
	v_min3_f32 v41, v34, v35, v108
	v_lshlrev_b64 v[34:35], 2, v[86:87]
	v_min_f32_e32 v36, v36, v37
	v_min3_f32 v36, v40, v36, v41
	v_add_co_u32 v34, vcc_lo, v38, v34
	v_add_co_ci_u32_e64 v35, null, v39, v35, vcc_lo
	global_store_dword v[34:35], v36, off
.LBB65_283:
	s_or_b32 exec_lo, exec_lo, s4
	v_add_nc_u32_e32 v38, 0x60, v89
	v_mad_i64_i32 v[34:35], null, v38, s6, 0
	v_mad_i64_i32 v[36:37], null, v38, s5, 0
	v_cmp_gt_i32_e64 s4, s9, v38
	v_lshlrev_b64 v[34:35], 2, v[34:35]
	s_and_b32 s11, s0, s4
	v_lshlrev_b64 v[38:39], 2, v[36:37]
	v_add_co_u32 v36, vcc_lo, s16, v34
	v_add_co_ci_u32_e64 v37, null, s17, v35, vcc_lo
	v_add_co_u32 v34, vcc_lo, s7, v38
	v_add_co_ci_u32_e64 v35, null, s10, v39, vcc_lo
	s_and_saveexec_b32 s8, s11
	s_cbranch_execnz .LBB65_287
; %bb.284:
	s_or_b32 exec_lo, exec_lo, s8
	s_and_b32 s11, s1, s4
	s_and_saveexec_b32 s8, s11
	s_cbranch_execnz .LBB65_291
.LBB65_285:
	s_or_b32 exec_lo, exec_lo, s8
	s_and_b32 s11, s2, s4
	s_and_saveexec_b32 s8, s11
	s_cbranch_execnz .LBB65_295
.LBB65_286:
	s_or_b32 exec_lo, exec_lo, s8
	s_and_b32 s8, s3, s4
	s_and_saveexec_b32 s4, s8
	s_cbranch_execnz .LBB65_299
	s_branch .LBB65_303
.LBB65_287:
	v_cmp_ne_u32_e32 vcc_lo, 1, v88
	s_cbranch_vccnz .LBB65_289
; %bb.288:
	v_lshlrev_b64 v[38:39], 2, v[0:1]
	v_add_co_u32 v38, vcc_lo, v36, v38
	v_add_co_ci_u32_e64 v39, null, v37, v39, vcc_lo
	global_load_dword v38, v[38:39], off
	s_waitcnt vmcnt(0)
	v_mul_f32_e32 v38, s22, v38
	s_branch .LBB65_290
.LBB65_289:
	v_mov_b32_e32 v38, 0
.LBB65_290:
	v_add_f32_e32 v39, v19, v31
	v_add_f32_e32 v40, v18, v30
	;; [unrolled: 1-line block ×4, first 2 shown]
	v_min3_f32 v43, v40, v39, v107
	v_lshlrev_b64 v[39:40], 2, v[0:1]
	v_min_f32_e32 v41, v42, v41
	v_min3_f32 v41, v38, v41, v43
	v_add_co_u32 v38, vcc_lo, v34, v39
	v_add_co_ci_u32_e64 v39, null, v35, v40, vcc_lo
	global_store_dword v[38:39], v41, off
	s_or_b32 exec_lo, exec_lo, s8
	s_and_b32 s11, s1, s4
	s_and_saveexec_b32 s8, s11
	s_cbranch_execz .LBB65_285
.LBB65_291:
	v_cmp_ne_u32_e32 vcc_lo, 1, v88
	s_cbranch_vccnz .LBB65_293
; %bb.292:
	v_lshlrev_b64 v[38:39], 2, v[82:83]
	v_add_co_u32 v38, vcc_lo, v36, v38
	v_add_co_ci_u32_e64 v39, null, v37, v39, vcc_lo
	global_load_dword v38, v[38:39], off
	s_waitcnt vmcnt(0)
	v_mul_f32_e32 v38, s22, v38
	s_branch .LBB65_294
.LBB65_293:
	v_mov_b32_e32 v38, 0
.LBB65_294:
	v_add_f32_e32 v39, v15, v31
	v_add_f32_e32 v40, v14, v30
	;; [unrolled: 1-line block ×4, first 2 shown]
	v_min3_f32 v43, v40, v39, v106
	v_lshlrev_b64 v[39:40], 2, v[82:83]
	v_min_f32_e32 v41, v42, v41
	v_min3_f32 v41, v38, v41, v43
	v_add_co_u32 v38, vcc_lo, v34, v39
	v_add_co_ci_u32_e64 v39, null, v35, v40, vcc_lo
	global_store_dword v[38:39], v41, off
	s_or_b32 exec_lo, exec_lo, s8
	s_and_b32 s11, s2, s4
	s_and_saveexec_b32 s8, s11
	s_cbranch_execz .LBB65_286
.LBB65_295:
	v_cmp_ne_u32_e32 vcc_lo, 1, v88
	s_cbranch_vccnz .LBB65_297
; %bb.296:
	v_lshlrev_b64 v[38:39], 2, v[84:85]
	v_add_co_u32 v38, vcc_lo, v36, v38
	v_add_co_ci_u32_e64 v39, null, v37, v39, vcc_lo
	global_load_dword v38, v[38:39], off
	s_waitcnt vmcnt(0)
	v_mul_f32_e32 v38, s22, v38
	s_branch .LBB65_298
.LBB65_297:
	v_mov_b32_e32 v38, 0
.LBB65_298:
	v_add_f32_e32 v39, v11, v31
	v_add_f32_e32 v40, v10, v30
	;; [unrolled: 1-line block ×4, first 2 shown]
	v_min3_f32 v43, v40, v39, v105
	v_lshlrev_b64 v[39:40], 2, v[84:85]
	v_min_f32_e32 v41, v42, v41
	v_min3_f32 v41, v38, v41, v43
	v_add_co_u32 v38, vcc_lo, v34, v39
	v_add_co_ci_u32_e64 v39, null, v35, v40, vcc_lo
	global_store_dword v[38:39], v41, off
	s_or_b32 exec_lo, exec_lo, s8
	s_and_b32 s8, s3, s4
	s_and_saveexec_b32 s4, s8
	s_cbranch_execz .LBB65_303
.LBB65_299:
	v_cmp_ne_u32_e32 vcc_lo, 1, v88
	s_cbranch_vccnz .LBB65_301
; %bb.300:
	v_lshlrev_b64 v[38:39], 2, v[86:87]
	v_add_co_u32 v36, vcc_lo, v36, v38
	v_add_co_ci_u32_e64 v37, null, v37, v39, vcc_lo
	global_load_dword v36, v[36:37], off
	s_waitcnt vmcnt(0)
	v_mul_f32_e32 v36, s22, v36
	s_branch .LBB65_302
.LBB65_301:
	v_mov_b32_e32 v36, 0
.LBB65_302:
	v_add_f32_e32 v31, v3, v31
	v_add_f32_e32 v30, v2, v30
	;; [unrolled: 1-line block ×4, first 2 shown]
	v_min3_f32 v37, v30, v31, v104
	v_lshlrev_b64 v[30:31], 2, v[86:87]
	v_min_f32_e32 v32, v32, v33
	v_min3_f32 v32, v36, v32, v37
	v_add_co_u32 v30, vcc_lo, v34, v30
	v_add_co_ci_u32_e64 v31, null, v35, v31, vcc_lo
	global_store_dword v[30:31], v32, off
.LBB65_303:
	s_or_b32 exec_lo, exec_lo, s4
	v_add_nc_u32_e32 v34, 0x68, v89
	v_mad_i64_i32 v[30:31], null, v34, s6, 0
	v_mad_i64_i32 v[32:33], null, v34, s5, 0
	v_cmp_gt_i32_e64 s4, s9, v34
	v_lshlrev_b64 v[30:31], 2, v[30:31]
	s_and_b32 s11, s0, s4
	v_lshlrev_b64 v[34:35], 2, v[32:33]
	v_add_co_u32 v32, vcc_lo, s16, v30
	v_add_co_ci_u32_e64 v33, null, s17, v31, vcc_lo
	v_add_co_u32 v30, vcc_lo, s7, v34
	v_add_co_ci_u32_e64 v31, null, s10, v35, vcc_lo
	s_and_saveexec_b32 s8, s11
	s_cbranch_execnz .LBB65_307
; %bb.304:
	s_or_b32 exec_lo, exec_lo, s8
	s_and_b32 s11, s1, s4
	s_and_saveexec_b32 s8, s11
	s_cbranch_execnz .LBB65_311
.LBB65_305:
	s_or_b32 exec_lo, exec_lo, s8
	s_and_b32 s11, s2, s4
	s_and_saveexec_b32 s8, s11
	s_cbranch_execnz .LBB65_315
.LBB65_306:
	s_or_b32 exec_lo, exec_lo, s8
	s_and_b32 s8, s3, s4
	s_and_saveexec_b32 s4, s8
	s_cbranch_execnz .LBB65_319
	s_branch .LBB65_323
.LBB65_307:
	v_cmp_ne_u32_e32 vcc_lo, 1, v88
	s_cbranch_vccnz .LBB65_309
; %bb.308:
	v_lshlrev_b64 v[34:35], 2, v[0:1]
	v_add_co_u32 v34, vcc_lo, v32, v34
	v_add_co_ci_u32_e64 v35, null, v33, v35, vcc_lo
	global_load_dword v34, v[34:35], off
	s_waitcnt vmcnt(0)
	v_mul_f32_e32 v34, s22, v34
	s_branch .LBB65_310
.LBB65_309:
	v_mov_b32_e32 v34, 0
.LBB65_310:
	v_add_f32_e32 v35, v19, v27
	v_add_f32_e32 v36, v18, v26
	;; [unrolled: 1-line block ×4, first 2 shown]
	v_min3_f32 v39, v36, v35, v103
	v_lshlrev_b64 v[35:36], 2, v[0:1]
	v_min_f32_e32 v37, v38, v37
	v_min3_f32 v37, v34, v37, v39
	v_add_co_u32 v34, vcc_lo, v30, v35
	v_add_co_ci_u32_e64 v35, null, v31, v36, vcc_lo
	global_store_dword v[34:35], v37, off
	s_or_b32 exec_lo, exec_lo, s8
	s_and_b32 s11, s1, s4
	s_and_saveexec_b32 s8, s11
	s_cbranch_execz .LBB65_305
.LBB65_311:
	v_cmp_ne_u32_e32 vcc_lo, 1, v88
	s_cbranch_vccnz .LBB65_313
; %bb.312:
	v_lshlrev_b64 v[34:35], 2, v[82:83]
	v_add_co_u32 v34, vcc_lo, v32, v34
	v_add_co_ci_u32_e64 v35, null, v33, v35, vcc_lo
	global_load_dword v34, v[34:35], off
	s_waitcnt vmcnt(0)
	v_mul_f32_e32 v34, s22, v34
	s_branch .LBB65_314
.LBB65_313:
	v_mov_b32_e32 v34, 0
.LBB65_314:
	v_add_f32_e32 v35, v15, v27
	v_add_f32_e32 v36, v14, v26
	v_add_f32_e32 v37, v17, v29
	v_add_f32_e32 v38, v16, v28
	v_min3_f32 v39, v36, v35, v101
	v_lshlrev_b64 v[35:36], 2, v[82:83]
	v_min_f32_e32 v37, v38, v37
	v_min3_f32 v37, v34, v37, v39
	v_add_co_u32 v34, vcc_lo, v30, v35
	v_add_co_ci_u32_e64 v35, null, v31, v36, vcc_lo
	global_store_dword v[34:35], v37, off
	s_or_b32 exec_lo, exec_lo, s8
	s_and_b32 s11, s2, s4
	s_and_saveexec_b32 s8, s11
	s_cbranch_execz .LBB65_306
.LBB65_315:
	v_cmp_ne_u32_e32 vcc_lo, 1, v88
	s_cbranch_vccnz .LBB65_317
; %bb.316:
	v_lshlrev_b64 v[34:35], 2, v[84:85]
	v_add_co_u32 v34, vcc_lo, v32, v34
	v_add_co_ci_u32_e64 v35, null, v33, v35, vcc_lo
	global_load_dword v34, v[34:35], off
	s_waitcnt vmcnt(0)
	v_mul_f32_e32 v34, s22, v34
	s_branch .LBB65_318
.LBB65_317:
	v_mov_b32_e32 v34, 0
.LBB65_318:
	v_add_f32_e32 v35, v11, v27
	v_add_f32_e32 v36, v10, v26
	;; [unrolled: 1-line block ×4, first 2 shown]
	v_min3_f32 v39, v36, v35, v100
	v_lshlrev_b64 v[35:36], 2, v[84:85]
	v_min_f32_e32 v37, v38, v37
	v_min3_f32 v37, v34, v37, v39
	v_add_co_u32 v34, vcc_lo, v30, v35
	v_add_co_ci_u32_e64 v35, null, v31, v36, vcc_lo
	global_store_dword v[34:35], v37, off
	s_or_b32 exec_lo, exec_lo, s8
	s_and_b32 s8, s3, s4
	s_and_saveexec_b32 s4, s8
	s_cbranch_execz .LBB65_323
.LBB65_319:
	v_cmp_ne_u32_e32 vcc_lo, 1, v88
	s_cbranch_vccnz .LBB65_321
; %bb.320:
	v_lshlrev_b64 v[34:35], 2, v[86:87]
	v_add_co_u32 v32, vcc_lo, v32, v34
	v_add_co_ci_u32_e64 v33, null, v33, v35, vcc_lo
	global_load_dword v32, v[32:33], off
	s_waitcnt vmcnt(0)
	v_mul_f32_e32 v32, s22, v32
	s_branch .LBB65_322
.LBB65_321:
	v_mov_b32_e32 v32, 0
.LBB65_322:
	v_add_f32_e32 v27, v3, v27
	v_add_f32_e32 v26, v2, v26
	;; [unrolled: 1-line block ×4, first 2 shown]
	v_min3_f32 v33, v26, v27, v99
	v_lshlrev_b64 v[26:27], 2, v[86:87]
	v_min_f32_e32 v28, v28, v29
	v_min3_f32 v28, v32, v28, v33
	v_add_co_u32 v26, vcc_lo, v30, v26
	v_add_co_ci_u32_e64 v27, null, v31, v27, vcc_lo
	global_store_dword v[26:27], v28, off
.LBB65_323:
	s_or_b32 exec_lo, exec_lo, s4
	v_add_nc_u32_e32 v30, 0x70, v89
	v_mad_i64_i32 v[26:27], null, v30, s6, 0
	v_mad_i64_i32 v[28:29], null, v30, s5, 0
	v_cmp_gt_i32_e64 s4, s9, v30
	v_lshlrev_b64 v[26:27], 2, v[26:27]
	s_and_b32 s11, s0, s4
	v_lshlrev_b64 v[30:31], 2, v[28:29]
	v_add_co_u32 v28, vcc_lo, s16, v26
	v_add_co_ci_u32_e64 v29, null, s17, v27, vcc_lo
	v_add_co_u32 v26, vcc_lo, s7, v30
	v_add_co_ci_u32_e64 v27, null, s10, v31, vcc_lo
	s_and_saveexec_b32 s8, s11
	s_cbranch_execnz .LBB65_327
; %bb.324:
	s_or_b32 exec_lo, exec_lo, s8
	s_and_b32 s11, s1, s4
	s_and_saveexec_b32 s8, s11
	s_cbranch_execnz .LBB65_331
.LBB65_325:
	s_or_b32 exec_lo, exec_lo, s8
	s_and_b32 s11, s2, s4
	s_and_saveexec_b32 s8, s11
	s_cbranch_execnz .LBB65_335
.LBB65_326:
	s_or_b32 exec_lo, exec_lo, s8
	s_and_b32 s8, s3, s4
	s_and_saveexec_b32 s4, s8
	s_cbranch_execnz .LBB65_339
	s_branch .LBB65_343
.LBB65_327:
	v_cmp_ne_u32_e32 vcc_lo, 1, v88
	s_cbranch_vccnz .LBB65_329
; %bb.328:
	v_lshlrev_b64 v[30:31], 2, v[0:1]
	v_add_co_u32 v30, vcc_lo, v28, v30
	v_add_co_ci_u32_e64 v31, null, v29, v31, vcc_lo
	global_load_dword v30, v[30:31], off
	s_waitcnt vmcnt(0)
	v_mul_f32_e32 v30, s22, v30
	s_branch .LBB65_330
.LBB65_329:
	v_mov_b32_e32 v30, 0
.LBB65_330:
	v_add_f32_e32 v31, v19, v23
	v_add_f32_e32 v32, v18, v22
	;; [unrolled: 1-line block ×4, first 2 shown]
	v_min3_f32 v35, v32, v31, v98
	v_lshlrev_b64 v[31:32], 2, v[0:1]
	v_min_f32_e32 v33, v34, v33
	v_min3_f32 v33, v30, v33, v35
	v_add_co_u32 v30, vcc_lo, v26, v31
	v_add_co_ci_u32_e64 v31, null, v27, v32, vcc_lo
	global_store_dword v[30:31], v33, off
	s_or_b32 exec_lo, exec_lo, s8
	s_and_b32 s11, s1, s4
	s_and_saveexec_b32 s8, s11
	s_cbranch_execz .LBB65_325
.LBB65_331:
	v_cmp_ne_u32_e32 vcc_lo, 1, v88
	s_cbranch_vccnz .LBB65_333
; %bb.332:
	v_lshlrev_b64 v[30:31], 2, v[82:83]
	v_add_co_u32 v30, vcc_lo, v28, v30
	v_add_co_ci_u32_e64 v31, null, v29, v31, vcc_lo
	global_load_dword v30, v[30:31], off
	s_waitcnt vmcnt(0)
	v_mul_f32_e32 v30, s22, v30
	s_branch .LBB65_334
.LBB65_333:
	v_mov_b32_e32 v30, 0
.LBB65_334:
	v_add_f32_e32 v31, v15, v23
	v_add_f32_e32 v32, v14, v22
	;; [unrolled: 1-line block ×4, first 2 shown]
	v_min3_f32 v35, v32, v31, v97
	v_lshlrev_b64 v[31:32], 2, v[82:83]
	v_min_f32_e32 v33, v34, v33
	v_min3_f32 v33, v30, v33, v35
	v_add_co_u32 v30, vcc_lo, v26, v31
	v_add_co_ci_u32_e64 v31, null, v27, v32, vcc_lo
	global_store_dword v[30:31], v33, off
	s_or_b32 exec_lo, exec_lo, s8
	s_and_b32 s11, s2, s4
	s_and_saveexec_b32 s8, s11
	s_cbranch_execz .LBB65_326
.LBB65_335:
	v_cmp_ne_u32_e32 vcc_lo, 1, v88
	s_cbranch_vccnz .LBB65_337
; %bb.336:
	v_lshlrev_b64 v[30:31], 2, v[84:85]
	v_add_co_u32 v30, vcc_lo, v28, v30
	v_add_co_ci_u32_e64 v31, null, v29, v31, vcc_lo
	global_load_dword v30, v[30:31], off
	s_waitcnt vmcnt(0)
	v_mul_f32_e32 v30, s22, v30
	s_branch .LBB65_338
.LBB65_337:
	v_mov_b32_e32 v30, 0
.LBB65_338:
	v_add_f32_e32 v31, v11, v23
	v_add_f32_e32 v32, v10, v22
	;; [unrolled: 1-line block ×4, first 2 shown]
	v_min3_f32 v35, v32, v31, v96
	v_lshlrev_b64 v[31:32], 2, v[84:85]
	v_min_f32_e32 v33, v34, v33
	v_min3_f32 v33, v30, v33, v35
	v_add_co_u32 v30, vcc_lo, v26, v31
	v_add_co_ci_u32_e64 v31, null, v27, v32, vcc_lo
	global_store_dword v[30:31], v33, off
	s_or_b32 exec_lo, exec_lo, s8
	s_and_b32 s8, s3, s4
	s_and_saveexec_b32 s4, s8
	s_cbranch_execz .LBB65_343
.LBB65_339:
	v_cmp_ne_u32_e32 vcc_lo, 1, v88
	s_cbranch_vccnz .LBB65_341
; %bb.340:
	v_lshlrev_b64 v[30:31], 2, v[86:87]
	v_add_co_u32 v28, vcc_lo, v28, v30
	v_add_co_ci_u32_e64 v29, null, v29, v31, vcc_lo
	global_load_dword v28, v[28:29], off
	s_waitcnt vmcnt(0)
	v_mul_f32_e32 v28, s22, v28
	s_branch .LBB65_342
.LBB65_341:
	v_mov_b32_e32 v28, 0
.LBB65_342:
	v_add_f32_e32 v23, v3, v23
	v_add_f32_e32 v22, v2, v22
	;; [unrolled: 1-line block ×4, first 2 shown]
	v_min3_f32 v29, v22, v23, v95
	v_lshlrev_b64 v[22:23], 2, v[86:87]
	v_min_f32_e32 v24, v24, v25
	v_min3_f32 v24, v28, v24, v29
	v_add_co_u32 v22, vcc_lo, v26, v22
	v_add_co_ci_u32_e64 v23, null, v27, v23, vcc_lo
	global_store_dword v[22:23], v24, off
.LBB65_343:
	s_or_b32 exec_lo, exec_lo, s4
	v_add_nc_u32_e32 v26, 0x78, v89
	v_mad_i64_i32 v[22:23], null, v26, s6, 0
	v_mad_i64_i32 v[24:25], null, v26, s5, 0
	v_cmp_gt_i32_e64 s4, s9, v26
	v_lshlrev_b64 v[22:23], 2, v[22:23]
	s_and_b32 s5, s0, s4
	v_lshlrev_b64 v[26:27], 2, v[24:25]
	v_add_co_u32 v24, vcc_lo, s16, v22
	v_add_co_ci_u32_e64 v25, null, s17, v23, vcc_lo
	v_add_co_u32 v22, vcc_lo, s7, v26
	v_add_co_ci_u32_e64 v23, null, s10, v27, vcc_lo
	s_and_saveexec_b32 s0, s5
	s_cbranch_execnz .LBB65_348
; %bb.344:
	s_or_b32 exec_lo, exec_lo, s0
	s_and_b32 s1, s1, s4
	s_and_saveexec_b32 s0, s1
	s_cbranch_execnz .LBB65_352
.LBB65_345:
	s_or_b32 exec_lo, exec_lo, s0
	s_and_b32 s1, s2, s4
	s_and_saveexec_b32 s0, s1
	s_cbranch_execnz .LBB65_356
.LBB65_346:
	s_or_b32 exec_lo, exec_lo, s0
	s_and_b32 s0, s3, s4
	s_and_saveexec_b32 s1, s0
	s_cbranch_execnz .LBB65_360
.LBB65_347:
	s_endpgm
.LBB65_348:
	v_cmp_ne_u32_e32 vcc_lo, 1, v88
	v_lshlrev_b64 v[0:1], 2, v[0:1]
	s_cbranch_vccnz .LBB65_350
; %bb.349:
	v_add_co_u32 v26, vcc_lo, v24, v0
	v_add_co_ci_u32_e64 v27, null, v25, v1, vcc_lo
	global_load_dword v26, v[26:27], off
	s_waitcnt vmcnt(0)
	v_mul_f32_e32 v26, s22, v26
	s_branch .LBB65_351
.LBB65_350:
	v_mov_b32_e32 v26, 0
.LBB65_351:
	v_add_f32_e32 v19, v19, v7
	v_add_f32_e32 v18, v18, v6
	;; [unrolled: 1-line block ×4, first 2 shown]
	v_add_co_u32 v0, vcc_lo, v22, v0
	v_min3_f32 v18, v18, v19, v94
	v_add_co_ci_u32_e64 v1, null, v23, v1, vcc_lo
	v_min_f32_e32 v19, v20, v21
	v_min3_f32 v18, v26, v19, v18
	global_store_dword v[0:1], v18, off
	s_or_b32 exec_lo, exec_lo, s0
	s_and_b32 s1, s1, s4
	s_and_saveexec_b32 s0, s1
	s_cbranch_execz .LBB65_345
.LBB65_352:
	v_cmp_ne_u32_e32 vcc_lo, 1, v88
	v_lshlrev_b64 v[0:1], 2, v[82:83]
	s_cbranch_vccnz .LBB65_354
; %bb.353:
	v_add_co_u32 v18, vcc_lo, v24, v0
	v_add_co_ci_u32_e64 v19, null, v25, v1, vcc_lo
	global_load_dword v18, v[18:19], off
	s_waitcnt vmcnt(0)
	v_mul_f32_e32 v18, s22, v18
	s_branch .LBB65_355
.LBB65_354:
	v_mov_b32_e32 v18, 0
.LBB65_355:
	v_add_f32_e32 v15, v15, v7
	v_add_f32_e32 v14, v14, v6
	v_add_f32_e32 v17, v17, v9
	v_add_f32_e32 v16, v16, v8
	v_add_co_u32 v0, vcc_lo, v22, v0
	v_min3_f32 v14, v14, v15, v93
	v_add_co_ci_u32_e64 v1, null, v23, v1, vcc_lo
	v_min_f32_e32 v15, v16, v17
	v_min3_f32 v14, v18, v15, v14
	global_store_dword v[0:1], v14, off
	s_or_b32 exec_lo, exec_lo, s0
	s_and_b32 s1, s2, s4
	s_and_saveexec_b32 s0, s1
	s_cbranch_execz .LBB65_346
.LBB65_356:
	v_cmp_ne_u32_e32 vcc_lo, 1, v88
	v_lshlrev_b64 v[0:1], 2, v[84:85]
	s_cbranch_vccnz .LBB65_358
; %bb.357:
	v_add_co_u32 v14, vcc_lo, v24, v0
	v_add_co_ci_u32_e64 v15, null, v25, v1, vcc_lo
	global_load_dword v14, v[14:15], off
	s_waitcnt vmcnt(0)
	v_mul_f32_e32 v14, s22, v14
	s_branch .LBB65_359
.LBB65_358:
	v_mov_b32_e32 v14, 0
.LBB65_359:
	v_add_f32_e32 v11, v11, v7
	v_add_f32_e32 v10, v10, v6
	;; [unrolled: 1-line block ×4, first 2 shown]
	v_add_co_u32 v0, vcc_lo, v22, v0
	v_min3_f32 v10, v10, v11, v92
	v_add_co_ci_u32_e64 v1, null, v23, v1, vcc_lo
	v_min_f32_e32 v11, v12, v13
	v_min3_f32 v10, v14, v11, v10
	global_store_dword v[0:1], v10, off
	s_or_b32 exec_lo, exec_lo, s0
	s_and_b32 s0, s3, s4
	s_and_saveexec_b32 s1, s0
	s_cbranch_execz .LBB65_347
.LBB65_360:
	v_cmp_ne_u32_e32 vcc_lo, 1, v88
	v_lshlrev_b64 v[0:1], 2, v[86:87]
	s_cbranch_vccnz .LBB65_362
; %bb.361:
	v_add_co_u32 v10, vcc_lo, v24, v0
	v_add_co_ci_u32_e64 v11, null, v25, v1, vcc_lo
	global_load_dword v10, v[10:11], off
	s_waitcnt vmcnt(0)
	v_mul_f32_e32 v10, s22, v10
	s_branch .LBB65_363
.LBB65_362:
	v_mov_b32_e32 v10, 0
.LBB65_363:
	v_add_f32_e32 v3, v3, v7
	v_add_f32_e32 v2, v2, v6
	;; [unrolled: 1-line block ×4, first 2 shown]
	v_add_co_u32 v0, vcc_lo, v22, v0
	v_min3_f32 v2, v2, v3, v102
	v_add_co_ci_u32_e64 v1, null, v23, v1, vcc_lo
	v_min_f32_e32 v3, v4, v5
	v_min3_f32 v2, v10, v3, v2
	global_store_dword v[0:1], v2, off
	s_endpgm
	.section	.rodata,"a",@progbits
	.p2align	6, 0x0
	.amdhsa_kernel _ZN12_GLOBAL__N_120geam_min_plus_kernelIf15HIP_vector_typeIfLj2EEfLi32ELi8ELi128ELi128ELi4ELi4ELi64ELi4ELi64ELc84ELc78ELb0ELb1ELb1EfKffEEviiiT16_PT17_ilS6_ilS4_S6_ilPT18_ili26rocblas_geam_ex_operation_
		.amdhsa_group_segment_fixed_size 8192
		.amdhsa_private_segment_fixed_size 0
		.amdhsa_kernarg_size 128
		.amdhsa_user_sgpr_count 6
		.amdhsa_user_sgpr_private_segment_buffer 1
		.amdhsa_user_sgpr_dispatch_ptr 0
		.amdhsa_user_sgpr_queue_ptr 0
		.amdhsa_user_sgpr_kernarg_segment_ptr 1
		.amdhsa_user_sgpr_dispatch_id 0
		.amdhsa_user_sgpr_flat_scratch_init 0
		.amdhsa_user_sgpr_private_segment_size 0
		.amdhsa_wavefront_size32 1
		.amdhsa_uses_dynamic_stack 0
		.amdhsa_system_sgpr_private_segment_wavefront_offset 0
		.amdhsa_system_sgpr_workgroup_id_x 1
		.amdhsa_system_sgpr_workgroup_id_y 0
		.amdhsa_system_sgpr_workgroup_id_z 1
		.amdhsa_system_sgpr_workgroup_info 0
		.amdhsa_system_vgpr_workitem_id 1
		.amdhsa_next_free_vgpr 176
		.amdhsa_next_free_sgpr 29
		.amdhsa_reserve_vcc 1
		.amdhsa_reserve_flat_scratch 0
		.amdhsa_float_round_mode_32 0
		.amdhsa_float_round_mode_16_64 0
		.amdhsa_float_denorm_mode_32 3
		.amdhsa_float_denorm_mode_16_64 3
		.amdhsa_dx10_clamp 1
		.amdhsa_ieee_mode 1
		.amdhsa_fp16_overflow 0
		.amdhsa_workgroup_processor_mode 1
		.amdhsa_memory_ordered 1
		.amdhsa_forward_progress 1
		.amdhsa_shared_vgpr_count 0
		.amdhsa_exception_fp_ieee_invalid_op 0
		.amdhsa_exception_fp_denorm_src 0
		.amdhsa_exception_fp_ieee_div_zero 0
		.amdhsa_exception_fp_ieee_overflow 0
		.amdhsa_exception_fp_ieee_underflow 0
		.amdhsa_exception_fp_ieee_inexact 0
		.amdhsa_exception_int_div_zero 0
	.end_amdhsa_kernel
	.section	.text._ZN12_GLOBAL__N_120geam_min_plus_kernelIf15HIP_vector_typeIfLj2EEfLi32ELi8ELi128ELi128ELi4ELi4ELi64ELi4ELi64ELc84ELc78ELb0ELb1ELb1EfKffEEviiiT16_PT17_ilS6_ilS4_S6_ilPT18_ili26rocblas_geam_ex_operation_,"axG",@progbits,_ZN12_GLOBAL__N_120geam_min_plus_kernelIf15HIP_vector_typeIfLj2EEfLi32ELi8ELi128ELi128ELi4ELi4ELi64ELi4ELi64ELc84ELc78ELb0ELb1ELb1EfKffEEviiiT16_PT17_ilS6_ilS4_S6_ilPT18_ili26rocblas_geam_ex_operation_,comdat
.Lfunc_end65:
	.size	_ZN12_GLOBAL__N_120geam_min_plus_kernelIf15HIP_vector_typeIfLj2EEfLi32ELi8ELi128ELi128ELi4ELi4ELi64ELi4ELi64ELc84ELc78ELb0ELb1ELb1EfKffEEviiiT16_PT17_ilS6_ilS4_S6_ilPT18_ili26rocblas_geam_ex_operation_, .Lfunc_end65-_ZN12_GLOBAL__N_120geam_min_plus_kernelIf15HIP_vector_typeIfLj2EEfLi32ELi8ELi128ELi128ELi4ELi4ELi64ELi4ELi64ELc84ELc78ELb0ELb1ELb1EfKffEEviiiT16_PT17_ilS6_ilS4_S6_ilPT18_ili26rocblas_geam_ex_operation_
                                        ; -- End function
	.set _ZN12_GLOBAL__N_120geam_min_plus_kernelIf15HIP_vector_typeIfLj2EEfLi32ELi8ELi128ELi128ELi4ELi4ELi64ELi4ELi64ELc84ELc78ELb0ELb1ELb1EfKffEEviiiT16_PT17_ilS6_ilS4_S6_ilPT18_ili26rocblas_geam_ex_operation_.num_vgpr, 176
	.set _ZN12_GLOBAL__N_120geam_min_plus_kernelIf15HIP_vector_typeIfLj2EEfLi32ELi8ELi128ELi128ELi4ELi4ELi64ELi4ELi64ELc84ELc78ELb0ELb1ELb1EfKffEEviiiT16_PT17_ilS6_ilS4_S6_ilPT18_ili26rocblas_geam_ex_operation_.num_agpr, 0
	.set _ZN12_GLOBAL__N_120geam_min_plus_kernelIf15HIP_vector_typeIfLj2EEfLi32ELi8ELi128ELi128ELi4ELi4ELi64ELi4ELi64ELc84ELc78ELb0ELb1ELb1EfKffEEviiiT16_PT17_ilS6_ilS4_S6_ilPT18_ili26rocblas_geam_ex_operation_.numbered_sgpr, 29
	.set _ZN12_GLOBAL__N_120geam_min_plus_kernelIf15HIP_vector_typeIfLj2EEfLi32ELi8ELi128ELi128ELi4ELi4ELi64ELi4ELi64ELc84ELc78ELb0ELb1ELb1EfKffEEviiiT16_PT17_ilS6_ilS4_S6_ilPT18_ili26rocblas_geam_ex_operation_.num_named_barrier, 0
	.set _ZN12_GLOBAL__N_120geam_min_plus_kernelIf15HIP_vector_typeIfLj2EEfLi32ELi8ELi128ELi128ELi4ELi4ELi64ELi4ELi64ELc84ELc78ELb0ELb1ELb1EfKffEEviiiT16_PT17_ilS6_ilS4_S6_ilPT18_ili26rocblas_geam_ex_operation_.private_seg_size, 0
	.set _ZN12_GLOBAL__N_120geam_min_plus_kernelIf15HIP_vector_typeIfLj2EEfLi32ELi8ELi128ELi128ELi4ELi4ELi64ELi4ELi64ELc84ELc78ELb0ELb1ELb1EfKffEEviiiT16_PT17_ilS6_ilS4_S6_ilPT18_ili26rocblas_geam_ex_operation_.uses_vcc, 1
	.set _ZN12_GLOBAL__N_120geam_min_plus_kernelIf15HIP_vector_typeIfLj2EEfLi32ELi8ELi128ELi128ELi4ELi4ELi64ELi4ELi64ELc84ELc78ELb0ELb1ELb1EfKffEEviiiT16_PT17_ilS6_ilS4_S6_ilPT18_ili26rocblas_geam_ex_operation_.uses_flat_scratch, 0
	.set _ZN12_GLOBAL__N_120geam_min_plus_kernelIf15HIP_vector_typeIfLj2EEfLi32ELi8ELi128ELi128ELi4ELi4ELi64ELi4ELi64ELc84ELc78ELb0ELb1ELb1EfKffEEviiiT16_PT17_ilS6_ilS4_S6_ilPT18_ili26rocblas_geam_ex_operation_.has_dyn_sized_stack, 0
	.set _ZN12_GLOBAL__N_120geam_min_plus_kernelIf15HIP_vector_typeIfLj2EEfLi32ELi8ELi128ELi128ELi4ELi4ELi64ELi4ELi64ELc84ELc78ELb0ELb1ELb1EfKffEEviiiT16_PT17_ilS6_ilS4_S6_ilPT18_ili26rocblas_geam_ex_operation_.has_recursion, 0
	.set _ZN12_GLOBAL__N_120geam_min_plus_kernelIf15HIP_vector_typeIfLj2EEfLi32ELi8ELi128ELi128ELi4ELi4ELi64ELi4ELi64ELc84ELc78ELb0ELb1ELb1EfKffEEviiiT16_PT17_ilS6_ilS4_S6_ilPT18_ili26rocblas_geam_ex_operation_.has_indirect_call, 0
	.section	.AMDGPU.csdata,"",@progbits
; Kernel info:
; codeLenInByte = 20328
; TotalNumSgprs: 31
; NumVgprs: 176
; ScratchSize: 0
; MemoryBound: 0
; FloatMode: 240
; IeeeMode: 1
; LDSByteSize: 8192 bytes/workgroup (compile time only)
; SGPRBlocks: 0
; VGPRBlocks: 21
; NumSGPRsForWavesPerEU: 31
; NumVGPRsForWavesPerEU: 176
; Occupancy: 5
; WaveLimiterHint : 0
; COMPUTE_PGM_RSRC2:SCRATCH_EN: 0
; COMPUTE_PGM_RSRC2:USER_SGPR: 6
; COMPUTE_PGM_RSRC2:TRAP_HANDLER: 0
; COMPUTE_PGM_RSRC2:TGID_X_EN: 1
; COMPUTE_PGM_RSRC2:TGID_Y_EN: 0
; COMPUTE_PGM_RSRC2:TGID_Z_EN: 1
; COMPUTE_PGM_RSRC2:TIDIG_COMP_CNT: 1
	.section	.text._ZN12_GLOBAL__N_120geam_min_plus_kernelIf15HIP_vector_typeIfLj2EEfLi8ELi32ELi64ELi256ELi4ELi64ELi4ELi64ELi4ELc78ELc84ELb0ELb0ELb1EPKfS3_fEEviiiT16_PT17_ilS7_ilS5_S7_ilPT18_ili26rocblas_geam_ex_operation_,"axG",@progbits,_ZN12_GLOBAL__N_120geam_min_plus_kernelIf15HIP_vector_typeIfLj2EEfLi8ELi32ELi64ELi256ELi4ELi64ELi4ELi64ELi4ELc78ELc84ELb0ELb0ELb1EPKfS3_fEEviiiT16_PT17_ilS7_ilS5_S7_ilPT18_ili26rocblas_geam_ex_operation_,comdat
	.globl	_ZN12_GLOBAL__N_120geam_min_plus_kernelIf15HIP_vector_typeIfLj2EEfLi8ELi32ELi64ELi256ELi4ELi64ELi4ELi64ELi4ELc78ELc84ELb0ELb0ELb1EPKfS3_fEEviiiT16_PT17_ilS7_ilS5_S7_ilPT18_ili26rocblas_geam_ex_operation_ ; -- Begin function _ZN12_GLOBAL__N_120geam_min_plus_kernelIf15HIP_vector_typeIfLj2EEfLi8ELi32ELi64ELi256ELi4ELi64ELi4ELi64ELi4ELc78ELc84ELb0ELb0ELb1EPKfS3_fEEviiiT16_PT17_ilS7_ilS5_S7_ilPT18_ili26rocblas_geam_ex_operation_
	.p2align	8
	.type	_ZN12_GLOBAL__N_120geam_min_plus_kernelIf15HIP_vector_typeIfLj2EEfLi8ELi32ELi64ELi256ELi4ELi64ELi4ELi64ELi4ELc78ELc84ELb0ELb0ELb1EPKfS3_fEEviiiT16_PT17_ilS7_ilS5_S7_ilPT18_ili26rocblas_geam_ex_operation_,@function
_ZN12_GLOBAL__N_120geam_min_plus_kernelIf15HIP_vector_typeIfLj2EEfLi8ELi32ELi64ELi256ELi4ELi64ELi4ELi64ELi4ELc78ELc84ELb0ELb0ELb1EPKfS3_fEEviiiT16_PT17_ilS7_ilS5_S7_ilPT18_ili26rocblas_geam_ex_operation_: ; @_ZN12_GLOBAL__N_120geam_min_plus_kernelIf15HIP_vector_typeIfLj2EEfLi8ELi32ELi64ELi256ELi4ELi64ELi4ELi64ELi4ELc78ELc84ELb0ELb0ELb1EPKfS3_fEEviiiT16_PT17_ilS7_ilS5_S7_ilPT18_ili26rocblas_geam_ex_operation_
; %bb.0:
	s_clause 0x1
	s_load_dwordx4 s[0:3], s[4:5], 0x10
	s_load_dwordx4 s[8:11], s[4:5], 0x28
	s_mov_b32 s16, s7
	s_mov_b32 s17, 0
	s_lshl_b64 s[18:19], s[16:17], 2
	s_waitcnt lgkmcnt(0)
	s_add_u32 s0, s0, s18
	s_addc_u32 s1, s1, s19
	s_load_dword s24, s[0:1], 0x0
	s_clause 0x1
	s_load_dwordx4 s[12:15], s[4:5], 0x40
	s_load_dwordx2 s[20:21], s[4:5], 0x50
	s_waitcnt lgkmcnt(0)
	v_cmp_eq_f32_e64 s1, s24, 0
	s_add_u32 s22, s14, s18
	v_cmp_neq_f32_e64 s0, s24, 0
	s_addc_u32 s23, s15, s19
	s_mov_b64 s[14:15], 0
	s_and_b32 s1, exec_lo, s1
	s_mov_b64 s[18:19], 0
	s_mov_b32 vcc_lo, s1
	s_cbranch_vccnz .LBB66_2
; %bb.1:
	s_mul_i32 s7, s9, s16
	s_mul_hi_u32 s9, s8, s16
	s_mul_i32 s8, s8, s16
	s_add_i32 s9, s9, s7
	s_lshl_b64 s[8:9], s[8:9], 2
	s_add_u32 s18, s2, s8
	s_addc_u32 s19, s3, s9
.LBB66_2:
	s_load_dword s3, s[22:23], 0x0
	v_cndmask_b32_e64 v2, 0, 1, s0
	s_andn2_b32 vcc_lo, exec_lo, s0
	v_cmp_ne_u32_e64 s2, 1, v2
	s_cbranch_vccnz .LBB66_4
; %bb.3:
	s_mul_i32 s0, s13, s16
	s_mul_hi_u32 s7, s12, s16
	s_mul_i32 s8, s12, s16
	s_add_i32 s9, s7, s0
	s_lshl_b64 s[8:9], s[8:9], 2
	s_add_u32 s14, s10, s8
	s_addc_u32 s15, s11, s9
.LBB66_4:
	s_load_dwordx4 s[8:11], s[4:5], 0x60
	s_waitcnt lgkmcnt(0)
	v_cmp_eq_f32_e64 s0, s3, 0
	s_and_b32 s0, exec_lo, s0
	s_mov_b32 vcc_lo, s0
	s_cbranch_vccnz .LBB66_6
; %bb.5:
	s_mul_i32 s7, s9, s16
	s_mul_hi_u32 s9, s8, s16
	s_mul_i32 s8, s8, s16
	s_add_i32 s9, s9, s7
	s_lshl_b64 s[8:9], s[8:9], 2
	s_add_u32 s8, s20, s8
	s_addc_u32 s9, s21, s9
	s_branch .LBB66_7
.LBB66_6:
	s_mov_b64 s[8:9], 0
.LBB66_7:
	s_clause 0x1
	s_load_dword s7, s[4:5], 0x0
	s_load_dword s12, s[4:5], 0x20
	v_mov_b32_e32 v6, 0
	v_mov_b32_e32 v7, 0
	s_waitcnt lgkmcnt(0)
	s_add_i32 s7, s7, -1
	s_ashr_i32 s13, s7, 31
	s_lshr_b32 s13, s13, 26
	s_add_i32 s7, s7, s13
	s_ashr_i32 s7, s7, 6
	s_add_i32 s17, s7, 1
	s_not_b32 s7, s7
	v_cvt_f32_u32_e32 v2, s17
	v_rcp_iflag_f32_e32 v2, v2
	v_mul_f32_e32 v2, 0x4f7ffffe, v2
	v_cvt_u32_f32_e32 v2, v2
	v_readfirstlane_b32 s13, v2
	v_lshl_add_u32 v2, v1, 3, v0
	s_mul_i32 s7, s7, s13
	v_and_b32_e32 v66, 63, v2
	s_mul_hi_u32 s7, s13, s7
	v_lshrrev_b32_e32 v67, 6, v2
	s_add_i32 s13, s13, s7
	s_mul_hi_u32 s7, s6, s13
	s_ashr_i32 s13, s12, 31
	s_mul_i32 s20, s7, s17
	s_add_i32 s21, s7, 1
	s_sub_i32 s20, s6, s20
	s_sub_i32 s22, s20, s17
	s_cmp_ge_u32 s20, s17
	s_cselect_b32 s7, s21, s7
	s_cselect_b32 s20, s22, s20
	s_add_i32 s21, s7, 1
	s_cmp_ge_u32 s20, s17
	s_cselect_b32 s21, s21, s7
	s_and_b32 vcc_lo, exec_lo, s2
	s_mul_i32 s7, s21, s17
	s_sub_i32 s17, s6, s7
	s_lshl_b32 s17, s17, 6
	v_or_b32_e32 v4, s17, v66
	v_ashrrev_i32_e32 v5, 31, v4
	s_cbranch_vccnz .LBB66_9
; %bb.8:
	v_mad_i64_i32 v[2:3], null, s12, v67, 0
	v_lshlrev_b64 v[7:8], 2, v[4:5]
	v_lshlrev_b64 v[2:3], 2, v[2:3]
	v_add_co_u32 v2, vcc_lo, s18, v2
	v_add_co_ci_u32_e64 v3, null, s19, v3, vcc_lo
	v_add_co_u32 v2, vcc_lo, v2, v7
	v_add_co_ci_u32_e64 v3, null, v3, v8, vcc_lo
	global_load_dword v2, v[2:3], off
	s_waitcnt vmcnt(0)
	v_mul_f32_e32 v7, s24, v2
.LBB66_9:
	s_load_dword s20, s[4:5], 0x38
	s_lshl_b32 s22, s21, 8
	v_or_b32_e32 v2, s22, v66
	v_ashrrev_i32_e32 v3, 31, v2
	s_waitcnt lgkmcnt(0)
	v_mad_i64_i32 v[8:9], null, v67, s20, 0
	v_lshlrev_b64 v[8:9], 2, v[8:9]
	v_add_co_u32 v11, vcc_lo, s14, v8
	v_add_co_ci_u32_e64 v12, null, s15, v9, vcc_lo
	v_mov_b32_e32 v8, 0
	s_and_b32 vcc_lo, exec_lo, s2
	s_cbranch_vccnz .LBB66_11
; %bb.10:
	v_lshlrev_b64 v[8:9], 2, v[2:3]
	v_add_co_u32 v8, vcc_lo, v11, v8
	v_add_co_ci_u32_e64 v9, null, v12, v9, vcc_lo
	s_clause 0x1
	global_load_dword v6, v[8:9], off
	global_load_dword v9, v[8:9], off offset:256
	s_waitcnt vmcnt(1)
	v_mul_f32_e32 v8, s24, v6
	s_waitcnt vmcnt(0)
	v_mul_f32_e32 v6, s24, v9
.LBB66_11:
	v_mov_b32_e32 v9, 0
	s_ashr_i32 s21, s20, 31
	s_mov_b32 vcc_lo, s1
	s_cbranch_vccz .LBB66_13
; %bb.12:
	s_mov_b32 s23, 0
	v_mov_b32_e32 v10, s23
	s_cbranch_execz .LBB66_14
	s_branch .LBB66_15
.LBB66_13:
                                        ; implicit-def: $vgpr10
.LBB66_14:
	v_lshlrev_b64 v[9:10], 2, v[2:3]
	v_add_co_u32 v9, vcc_lo, v11, v9
	v_add_co_ci_u32_e64 v10, null, v12, v10, vcc_lo
	s_clause 0x1
	global_load_dword v11, v[9:10], off offset:512
	global_load_dword v9, v[9:10], off offset:768
	s_waitcnt vmcnt(1)
	v_mul_f32_e32 v10, s24, v11
	s_waitcnt vmcnt(0)
	v_mul_f32_e32 v9, s24, v9
.LBB66_15:
	v_add_nc_u32_e32 v11, 4, v67
	v_mov_b32_e32 v68, 0
	v_mov_b32_e32 v69, 0
	s_and_b32 vcc_lo, exec_lo, s2
	s_cbranch_vccnz .LBB66_17
; %bb.16:
	v_mad_i64_i32 v[12:13], null, s12, v11, 0
	v_lshlrev_b64 v[4:5], 2, v[4:5]
	v_lshlrev_b64 v[12:13], 2, v[12:13]
	v_add_co_u32 v12, vcc_lo, s18, v12
	v_add_co_ci_u32_e64 v13, null, s19, v13, vcc_lo
	v_add_co_u32 v4, vcc_lo, v12, v4
	v_add_co_ci_u32_e64 v5, null, v13, v5, vcc_lo
	global_load_dword v4, v[4:5], off
	s_waitcnt vmcnt(0)
	v_mul_f32_e32 v69, s24, v4
.LBB66_17:
	v_mad_i64_i32 v[4:5], null, v11, s20, 0
	v_mov_b32_e32 v70, 0
	v_lshlrev_b64 v[4:5], 2, v[4:5]
	v_add_co_u32 v4, vcc_lo, s14, v4
	v_add_co_ci_u32_e64 v5, null, s15, v5, vcc_lo
	s_and_b32 vcc_lo, exec_lo, s2
	s_cbranch_vccnz .LBB66_19
; %bb.18:
	v_lshlrev_b64 v[11:12], 2, v[2:3]
	v_add_co_u32 v11, vcc_lo, v4, v11
	v_add_co_ci_u32_e64 v12, null, v5, v12, vcc_lo
	s_clause 0x1
	global_load_dword v13, v[11:12], off
	global_load_dword v11, v[11:12], off offset:256
	s_waitcnt vmcnt(1)
	v_mul_f32_e32 v70, s24, v13
	s_waitcnt vmcnt(0)
	v_mul_f32_e32 v68, s24, v11
.LBB66_19:
	v_mov_b32_e32 v71, 0
	s_mov_b32 vcc_lo, s1
	s_cbranch_vccz .LBB66_21
; %bb.20:
	s_mov_b32 s23, 0
	v_mov_b32_e32 v72, s23
	s_cbranch_execz .LBB66_22
	s_branch .LBB66_23
.LBB66_21:
                                        ; implicit-def: $vgpr72
.LBB66_22:
	v_lshlrev_b64 v[2:3], 2, v[2:3]
	v_add_co_u32 v2, vcc_lo, v4, v2
	v_add_co_ci_u32_e64 v3, null, v5, v3, vcc_lo
	s_clause 0x1
	global_load_dword v4, v[2:3], off offset:512
	global_load_dword v2, v[2:3], off offset:768
	s_waitcnt vmcnt(1)
	v_mul_f32_e32 v72, s24, v4
	s_waitcnt vmcnt(0)
	v_mul_f32_e32 v71, s24, v2
.LBB66_23:
	v_lshlrev_b32_e32 v2, 4, v66
	v_lshlrev_b32_e32 v79, 4, v0
	;; [unrolled: 1-line block ×3, first 2 shown]
	s_load_dword s23, s[4:5], 0x8
	v_lshl_add_u32 v76, v67, 2, v2
	ds_write_b32 v76, v7 offset:8192
	ds_write2st64_b32 v76, v8, v6 offset1:4
	ds_write2st64_b32 v76, v10, v9 offset0:8 offset1:12
	s_waitcnt lgkmcnt(0)
	s_barrier
	buffer_gl0_inv
	ds_read_b128 v[34:37], v79 offset:8192
	ds_read_b128 v[30:33], v79 offset:8320
	ds_read_b128 v[26:29], v79 offset:8448
	ds_read_b128 v[18:21], v79 offset:8576
	ds_read_b128 v[14:17], v79 offset:8704
	ds_read_b128 v[10:13], v79 offset:8832
	ds_read_b128 v[6:9], v79 offset:8960
	ds_read_b128 v[2:5], v79 offset:9088
	ds_read_b128 v[62:65], v78
	ds_read_b128 v[58:61], v78 offset:512
	ds_read_b128 v[54:57], v78 offset:1024
	;; [unrolled: 1-line block ×7, first 2 shown]
	ds_write_b32 v76, v69 offset:9216
	ds_write2st64_b32 v76, v70, v68 offset0:16 offset1:20
	ds_write2st64_b32 v76, v72, v71 offset0:24 offset1:28
	s_waitcnt lgkmcnt(0)
	s_barrier
	buffer_gl0_inv
	s_cmp_lt_i32 s23, 9
	v_add_f32_e32 v73, v35, v63
	v_add_f32_e32 v74, v34, v62
	v_min3_f32 v111, v74, v73, 0x7f7fffff
	v_add_f32_e32 v73, v31, v63
	v_add_f32_e32 v74, v30, v62
	;; [unrolled: 1-line block ×3, first 2 shown]
	v_min3_f32 v112, v74, v73, 0x7f7fffff
	v_add_f32_e32 v73, v27, v63
	v_add_f32_e32 v74, v26, v62
	v_min3_f32 v113, v74, v73, 0x7f7fffff
	v_add_f32_e32 v73, v19, v63
	v_add_f32_e32 v74, v18, v62
	v_min3_f32 v114, v74, v73, 0x7f7fffff
	v_add_f32_e32 v73, v15, v63
	v_add_f32_e32 v74, v14, v62
	v_min3_f32 v115, v74, v73, 0x7f7fffff
	v_add_f32_e32 v73, v11, v63
	v_add_f32_e32 v74, v10, v62
	v_min3_f32 v116, v74, v73, 0x7f7fffff
	v_add_f32_e32 v73, v7, v63
	v_add_f32_e32 v74, v6, v62
	v_add_f32_e32 v63, v3, v63
	v_add_f32_e32 v62, v2, v62
	v_min3_f32 v117, v74, v73, 0x7f7fffff
	v_min3_f32 v118, v62, v63, 0x7f7fffff
	v_add_f32_e32 v62, v35, v59
	v_add_f32_e32 v63, v34, v58
	v_min3_f32 v110, v63, v62, 0x7f7fffff
	v_add_f32_e32 v62, v31, v59
	v_add_f32_e32 v63, v30, v58
	v_min3_f32 v109, v63, v62, 0x7f7fffff
	v_add_f32_e32 v62, v27, v59
	v_add_f32_e32 v63, v26, v58
	v_min3_f32 v108, v63, v62, 0x7f7fffff
	v_add_f32_e32 v62, v19, v59
	v_add_f32_e32 v63, v18, v58
	v_min3_f32 v107, v63, v62, 0x7f7fffff
	v_add_f32_e32 v62, v15, v59
	v_add_f32_e32 v63, v14, v58
	v_min3_f32 v106, v63, v62, 0x7f7fffff
	v_add_f32_e32 v62, v11, v59
	v_add_f32_e32 v63, v10, v58
	v_min3_f32 v105, v63, v62, 0x7f7fffff
	v_add_f32_e32 v62, v7, v59
	v_add_f32_e32 v63, v6, v58
	v_add_f32_e32 v59, v3, v59
	v_add_f32_e32 v58, v2, v58
	v_min3_f32 v104, v63, v62, 0x7f7fffff
	v_min3_f32 v103, v58, v59, 0x7f7fffff
	v_add_f32_e32 v58, v35, v55
	v_add_f32_e32 v59, v34, v54
	v_min3_f32 v102, v59, v58, 0x7f7fffff
	v_add_f32_e32 v58, v31, v55
	v_add_f32_e32 v59, v30, v54
	;; [unrolled: 24-line block ×5, first 2 shown]
	v_min3_f32 v74, v47, v46, 0x7f7fffff
	v_add_f32_e32 v46, v27, v43
	v_add_f32_e32 v47, v26, v42
	v_min3_f32 v73, v47, v46, 0x7f7fffff
	v_add_f32_e32 v46, v19, v43
	v_add_f32_e32 v47, v18, v42
	;; [unrolled: 3-line block ×5, first 2 shown]
	v_add_f32_e32 v43, v3, v43
	v_add_f32_e32 v42, v2, v42
	;; [unrolled: 1-line block ×3, first 2 shown]
	v_min3_f32 v58, v47, v46, 0x7f7fffff
	v_min3_f32 v55, v42, v43, 0x7f7fffff
	v_add_f32_e32 v42, v35, v39
	v_add_f32_e32 v43, v34, v38
	;; [unrolled: 1-line block ×4, first 2 shown]
	v_min3_f32 v54, v43, v42, 0x7f7fffff
	v_add_f32_e32 v42, v31, v39
	v_add_f32_e32 v43, v30, v38
	v_min3_f32 v34, v34, v35, 0x7f7fffff
	v_add_f32_e32 v31, v31, v23
	v_add_f32_e32 v30, v30, v22
	;; [unrolled: 3-line block ×9, first 2 shown]
	v_add_f32_e32 v38, v2, v38
	v_add_f32_e32 v2, v2, v22
	v_min3_f32 v14, v14, v15, 0x7f7fffff
	v_add_f32_e32 v11, v11, v23
	v_min3_f32 v43, v43, v42, 0x7f7fffff
	v_add_f32_e32 v42, v7, v39
	v_add_f32_e32 v39, v3, v39
	;; [unrolled: 1-line block ×5, first 2 shown]
	v_min3_f32 v42, v119, v42, 0x7f7fffff
	v_min3_f32 v38, v38, v39, 0x7f7fffff
	;; [unrolled: 1-line block ×4, first 2 shown]
	v_add_f32_e32 v3, v37, v65
	v_add_f32_e32 v7, v36, v64
	v_min3_f32 v10, v10, v11, 0x7f7fffff
	v_min3_f32 v144, v7, v3, v111
	v_add_f32_e32 v3, v33, v65
	v_add_f32_e32 v7, v32, v64
	v_min3_f32 v141, v7, v3, v112
	v_add_f32_e32 v3, v29, v65
	v_add_f32_e32 v7, v28, v64
	;; [unrolled: 3-line block ×55, first 2 shown]
	v_add_f32_e32 v4, v4, v24
	v_min3_f32 v87, v7, v3, v38
	v_add_f32_e32 v3, v37, v25
	v_add_f32_e32 v7, v36, v24
	v_min3_f32 v88, v7, v3, v34
	v_add_f32_e32 v3, v33, v25
	v_add_f32_e32 v7, v32, v24
	v_min3_f32 v86, v7, v3, v30
	v_add_f32_e32 v3, v29, v25
	v_add_f32_e32 v7, v28, v24
	v_min3_f32 v85, v7, v3, v26
	v_add_f32_e32 v3, v21, v25
	v_add_f32_e32 v7, v20, v24
	v_min3_f32 v82, v7, v3, v18
	v_add_f32_e32 v3, v17, v25
	v_add_f32_e32 v7, v16, v24
	v_min3_f32 v83, v7, v3, v14
	v_add_f32_e32 v3, v13, v25
	v_add_f32_e32 v7, v12, v24
	v_min3_f32 v80, v7, v3, v10
	v_add_f32_e32 v3, v9, v25
	v_add_f32_e32 v7, v8, v24
	v_min3_f32 v81, v7, v3, v6
	v_add_f32_e32 v3, v5, v25
	v_min3_f32 v84, v4, v3, v2
	s_cbranch_scc1 .LBB66_46
; %bb.24:
	v_lshl_or_b32 v2, s6, 6, v66
	v_add_nc_u32_e32 v6, 12, v67
	s_lshl_b32 s6, s7, 6
	v_add_nc_u32_e32 v10, 8, v67
	v_or_b32_e32 v77, 0x2000, v76
	v_subrev_nc_u32_e32 v2, s6, v2
	v_mad_i64_i32 v[4:5], null, v6, s12, 0
	v_mad_i64_i32 v[6:7], null, v6, s20, 0
	v_ashrrev_i32_e32 v3, 31, v2
	v_mad_i64_i32 v[8:9], null, v10, s20, 0
	v_or_b32_e32 v140, 0x2000, v79
	v_lshlrev_b64 v[70:71], 2, v[4:5]
	v_lshlrev_b64 v[2:3], 2, v[2:3]
	v_add_nc_u32_e32 v4, s22, v66
	v_add_nc_u32_e32 v145, 0x2400, v76
	v_or_b32_e32 v146, 0x1000, v76
	v_lshl_add_u32 v147, v0, 4, 0x2400
	v_lshl_or_b32 v148, v1, 4, 0x1000
	v_ashrrev_i32_e32 v5, 31, v4
	v_add_co_u32 v149, vcc_lo, s18, v2
	v_add_co_ci_u32_e64 v150, null, s19, v3, vcc_lo
	v_lshlrev_b64 v[2:3], 2, v[6:7]
	v_mad_i64_i32 v[6:7], null, v10, s12, 0
	v_lshlrev_b64 v[72:73], 2, v[4:5]
	v_lshlrev_b64 v[4:5], 2, v[8:9]
	s_add_i32 s23, s23, -8
	v_add_co_u32 v151, vcc_lo, s14, v2
	v_add_co_ci_u32_e64 v152, null, s15, v3, vcc_lo
	v_add_co_u32 v153, vcc_lo, s14, v4
	v_lshlrev_b64 v[74:75], 2, v[6:7]
	v_add_co_ci_u32_e64 v154, null, s15, v5, vcc_lo
	s_lshl_b64 s[6:7], s[12:13], 5
	s_lshl_b64 s[12:13], s[20:21], 5
	s_mov_b32 s14, 0
	s_mov_b32 s15, 0
	s_branch .LBB66_26
.LBB66_25:                              ;   in Loop: Header=BB66_26 Depth=1
	v_add_f32_e32 v3, v39, v67
	v_add_f32_e32 v4, v38, v66
	;; [unrolled: 1-line block ×6, first 2 shown]
	v_min3_f32 v144, v4, v3, v144
	v_add_f32_e32 v3, v27, v67
	v_min3_f32 v159, v159, v5, v141
	v_add_f32_e32 v4, v26, v66
	;; [unrolled: 2-line block ×3, first 2 shown]
	v_add_f32_e32 v141, v22, v66
	v_add_f32_e32 v161, v19, v67
	;; [unrolled: 1-line block ×7, first 2 shown]
	v_min3_f32 v165, v4, v3, v137
	v_min3_f32 v142, v141, v5, v143
	;; [unrolled: 1-line block ×3, first 2 shown]
	v_add_f32_e32 v3, v39, v63
	v_min3_f32 v138, v66, v67, v135
	v_add_f32_e32 v4, v38, v62
	v_add_f32_e32 v5, v35, v63
	;; [unrolled: 1-line block ×3, first 2 shown]
	v_min3_f32 v137, v164, v163, v139
	v_add_f32_e32 v67, v31, v63
	v_add_f32_e32 v139, v30, v62
	;; [unrolled: 1-line block ×6, first 2 shown]
	v_min3_f32 v136, v4, v3, v136
	v_min3_f32 v135, v66, v5, v133
	v_add_f32_e32 v3, v19, v63
	v_add_f32_e32 v4, v18, v62
	;; [unrolled: 1-line block ×6, first 2 shown]
	v_min3_f32 v133, v139, v67, v134
	v_min3_f32 v131, v161, v143, v131
	v_add_f32_e32 v67, v39, v59
	v_add_f32_e32 v139, v38, v58
	;; [unrolled: 1-line block ×4, first 2 shown]
	v_min3_f32 v134, v4, v3, v128
	v_min3_f32 v128, v66, v5, v130
	;; [unrolled: 1-line block ×3, first 2 shown]
	v_add_f32_e32 v3, v31, v59
	v_add_f32_e32 v4, v30, v58
	v_add_f32_e32 v5, v27, v59
	v_add_f32_e32 v62, v26, v58
	v_min3_f32 v129, v139, v67, v129
	v_min3_f32 v126, v161, v143, v126
	v_add_f32_e32 v63, v23, v59
	v_add_f32_e32 v66, v22, v58
	v_add_f32_e32 v67, v19, v59
	v_add_f32_e32 v139, v18, v58
	v_add_f32_e32 v143, v15, v59
	v_add_f32_e32 v161, v14, v58
	v_min3_f32 v130, v4, v3, v125
	v_min3_f32 v123, v62, v5, v123
	v_add_f32_e32 v3, v7, v59
	v_add_f32_e32 v4, v6, v58
	v_add_f32_e32 v5, v39, v55
	v_add_f32_e32 v58, v38, v54
	v_add_f32_e32 v59, v35, v55
	v_add_f32_e32 v62, v34, v54
	v_min3_f32 v124, v66, v63, v124
	v_min3_f32 v121, v139, v67, v121
	v_add_f32_e32 v63, v31, v55
	v_add_f32_e32 v66, v30, v54
	v_add_f32_e32 v67, v27, v55
	v_add_f32_e32 v139, v26, v54
	v_min3_f32 v125, v4, v3, v119
	v_min3_f32 v119, v58, v5, v120
	;; [unrolled: 1-line block ×3, first 2 shown]
	v_add_f32_e32 v3, v23, v55
	v_add_f32_e32 v4, v22, v54
	;; [unrolled: 1-line block ×8, first 2 shown]
	v_min3_f32 v118, v66, v63, v118
	v_add_f32_e32 v63, v39, v51
	v_add_f32_e32 v66, v38, v50
	v_min3_f32 v120, v4, v3, v115
	v_min3_f32 v113, v58, v5, v113
	;; [unrolled: 1-line block ×4, first 2 shown]
	v_add_f32_e32 v3, v35, v51
	v_add_f32_e32 v4, v34, v50
	;; [unrolled: 1-line block ×8, first 2 shown]
	v_min3_f32 v116, v139, v67, v116
	v_min3_f32 v112, v66, v63, v112
	v_add_f32_e32 v63, v19, v51
	v_add_f32_e32 v66, v18, v50
	v_min3_f32 v115, v4, v3, v109
	v_min3_f32 v109, v54, v5, v110
	;; [unrolled: 1-line block ×4, first 2 shown]
	v_add_f32_e32 v3, v15, v51
	v_add_f32_e32 v4, v14, v50
	;; [unrolled: 1-line block ×10, first 2 shown]
	v_min3_f32 v106, v66, v63, v106
	v_min3_f32 v105, v4, v3, v105
	;; [unrolled: 1-line block ×6, first 2 shown]
	v_add_f32_e32 v3, v27, v47
	v_add_f32_e32 v4, v26, v46
	;; [unrolled: 1-line block ×10, first 2 shown]
	v_min3_f32 v99, v4, v3, v99
	v_min3_f32 v54, v50, v5, v100
	;; [unrolled: 1-line block ×5, first 2 shown]
	v_add_f32_e32 v3, v39, v43
	v_add_f32_e32 v4, v38, v42
	;; [unrolled: 1-line block ×10, first 2 shown]
	v_min3_f32 v95, v4, v3, v96
	v_min3_f32 v46, v46, v5, v93
	;; [unrolled: 1-line block ×4, first 2 shown]
	v_add_f32_e32 v3, v19, v43
	v_add_f32_e32 v4, v18, v42
	;; [unrolled: 1-line block ×6, first 2 shown]
	v_min3_f32 v51, v100, v98, v92
	v_add_f32_e32 v92, v35, v11
	v_min3_f32 v35, v4, v3, v89
	v_min3_f32 v3, v91, v5, v90
	;; [unrolled: 1-line block ×3, first 2 shown]
	v_add_f32_e32 v31, v31, v11
	v_add_f32_e32 v30, v30, v10
	;; [unrolled: 1-line block ×13, first 2 shown]
	v_min3_f32 v14, v30, v31, v85
	v_min3_f32 v22, v26, v27, v82
	;; [unrolled: 1-line block ×5, first 2 shown]
	v_add_f32_e32 v7, v7, v11
	v_add_f32_e32 v6, v6, v10
	;; [unrolled: 1-line block ×10, first 2 shown]
	v_min3_f32 v4, v42, v43, v87
	v_min3_f32 v7, v6, v7, v84
	;; [unrolled: 1-line block ×6, first 2 shown]
	v_add_f32_e32 v6, v25, v69
	v_add_f32_e32 v10, v24, v68
	;; [unrolled: 1-line block ×10, first 2 shown]
	v_min3_f32 v132, v163, v162, v132
	v_min3_f32 v34, v34, v92, v86
	;; [unrolled: 1-line block ×7, first 2 shown]
	v_add_f32_e32 v6, v37, v65
	v_add_f32_e32 v10, v36, v64
	;; [unrolled: 1-line block ×10, first 2 shown]
	v_min3_f32 v87, v10, v6, v135
	v_min3_f32 v88, v18, v15, v133
	v_min3_f32 v89, v30, v19, v131
	v_min3_f32 v90, v38, v31, v132
	v_min3_f32 v91, v42, v39, v134
	v_add_f32_e32 v6, v17, v65
	v_add_f32_e32 v10, v16, v64
	v_add_f32_e32 v15, v9, v65
	v_add_f32_e32 v18, v8, v64
	v_add_f32_e32 v19, v41, v61
	v_add_f32_e32 v30, v40, v60
	v_add_f32_e32 v31, v37, v61
	v_add_f32_e32 v38, v36, v60
	v_add_f32_e32 v39, v33, v61
	v_add_f32_e32 v42, v32, v60
	v_min3_f32 v122, v161, v143, v122
	v_min3_f32 v92, v10, v6, v128
	;; [unrolled: 1-line block ×6, first 2 shown]
	v_add_f32_e32 v6, v29, v61
	v_add_f32_e32 v10, v28, v60
	v_add_f32_e32 v15, v25, v61
	v_add_f32_e32 v18, v24, v60
	v_add_f32_e32 v19, v21, v61
	v_add_f32_e32 v30, v20, v60
	v_add_f32_e32 v31, v17, v61
	v_add_f32_e32 v38, v16, v60
	v_add_f32_e32 v39, v9, v61
	v_add_f32_e32 v42, v8, v60
	v_min3_f32 v98, v10, v6, v123
	v_min3_f32 v100, v18, v15, v124
	v_min3_f32 v101, v30, v19, v121
	v_min3_f32 v102, v38, v31, v122
	v_min3_f32 v103, v42, v39, v125
	v_add_f32_e32 v6, v41, v57
	v_add_f32_e32 v10, v40, v56
	v_add_f32_e32 v15, v37, v57
	v_add_f32_e32 v18, v36, v56
	v_add_f32_e32 v19, v33, v57
	v_add_f32_e32 v30, v32, v56
	v_add_f32_e32 v31, v29, v57
	v_add_f32_e32 v38, v28, v56
	v_add_f32_e32 v39, v25, v57
	v_add_f32_e32 v42, v24, v56
	v_min3_f32 v104, v10, v6, v119
	v_min3_f32 v110, v18, v15, v117
	v_min3_f32 v117, v30, v19, v118
	v_min3_f32 v116, v38, v31, v116
	v_min3_f32 v118, v42, v39, v120
	;; [unrolled: 15-line block ×8, first 2 shown]
	v_add_f32_e32 v10, v29, v13
	v_add_f32_e32 v25, v25, v13
	v_add_f32_e32 v21, v21, v13
	v_add_f32_e32 v29, v20, v12
	v_add_f32_e32 v30, v17, v13
	v_add_f32_e32 v31, v16, v12
	ds_read_b128 v[3:6], v140
	ds_read_b128 v[61:64], v78
	v_add_f32_e32 v9, v9, v13
	ds_read_b128 v[13:16], v140 offset:128
	ds_read_b128 v[17:20], v140 offset:256
	v_add_f32_e32 v28, v28, v12
	v_add_f32_e32 v24, v24, v12
	;; [unrolled: 1-line block ×3, first 2 shown]
	v_min3_f32 v138, v29, v21, v26
	v_min3_f32 v139, v31, v30, v27
	;; [unrolled: 1-line block ×5, first 2 shown]
	ds_read_b128 v[33:36], v140 offset:384
	ds_read_b128 v[29:32], v140 offset:512
	;; [unrolled: 1-line block ×12, first 2 shown]
	v_add_co_u32 v149, vcc_lo, v149, s6
	v_add_co_ci_u32_e64 v150, null, s7, v150, vcc_lo
	v_add_co_u32 v151, vcc_lo, v151, s12
	s_waitcnt lgkmcnt(14)
	v_add_f32_e32 v142, v4, v62
	v_add_f32_e32 v143, v3, v61
	s_waitcnt lgkmcnt(13)
	v_add_f32_e32 v144, v14, v62
	v_add_f32_e32 v159, v13, v61
	;; [unrolled: 3-line block ×3, first 2 shown]
	v_min3_f32 v11, v143, v142, v11
	s_waitcnt lgkmcnt(11)
	v_add_f32_e32 v142, v34, v62
	v_min3_f32 v80, v159, v144, v80
	v_add_f32_e32 v143, v33, v61
	v_min3_f32 v81, v161, v160, v81
	s_waitcnt lgkmcnt(10)
	v_add_f32_e32 v144, v30, v62
	v_add_f32_e32 v159, v29, v61
	s_waitcnt lgkmcnt(9)
	v_add_f32_e32 v160, v26, v62
	v_add_f32_e32 v161, v25, v61
	;; [unrolled: 3-line block ×4, first 2 shown]
	v_min3_f32 v82, v143, v142, v82
	v_min3_f32 v69, v159, v144, v69
	;; [unrolled: 1-line block ×5, first 2 shown]
	s_waitcnt lgkmcnt(6)
	v_add_f32_e32 v62, v4, v66
	v_add_f32_e32 v85, v3, v65
	;; [unrolled: 1-line block ×10, first 2 shown]
	v_min3_f32 v62, v85, v62, v86
	v_min3_f32 v85, v143, v142, v87
	;; [unrolled: 1-line block ×5, first 2 shown]
	v_add_f32_e32 v89, v26, v66
	v_add_f32_e32 v90, v25, v65
	v_add_f32_e32 v142, v22, v66
	v_add_f32_e32 v143, v21, v65
	v_add_f32_e32 v66, v8, v66
	v_add_f32_e32 v65, v7, v65
	s_waitcnt lgkmcnt(5)
	v_add_f32_e32 v144, v4, v58
	v_add_f32_e32 v159, v3, v57
	v_add_f32_e32 v160, v14, v58
	v_add_f32_e32 v161, v13, v57
	v_min3_f32 v89, v90, v89, v91
	v_min3_f32 v90, v143, v142, v92
	;; [unrolled: 1-line block ×5, first 2 shown]
	v_add_f32_e32 v92, v18, v58
	v_add_f32_e32 v93, v17, v57
	;; [unrolled: 1-line block ×10, first 2 shown]
	v_min3_f32 v92, v93, v92, v97
	v_min3_f32 v93, v96, v94, v98
	;; [unrolled: 1-line block ×5, first 2 shown]
	v_add_f32_e32 v58, v8, v58
	v_add_f32_e32 v57, v7, v57
	s_waitcnt lgkmcnt(4)
	v_add_f32_e32 v98, v4, v54
	v_add_f32_e32 v100, v3, v53
	;; [unrolled: 1-line block ×8, first 2 shown]
	v_min3_f32 v57, v57, v58, v103
	v_min3_f32 v58, v100, v98, v104
	;; [unrolled: 1-line block ×5, first 2 shown]
	v_add_f32_e32 v102, v30, v54
	v_add_f32_e32 v103, v29, v53
	;; [unrolled: 1-line block ×8, first 2 shown]
	s_waitcnt lgkmcnt(3)
	v_add_f32_e32 v142, v4, v50
	v_add_f32_e32 v143, v3, v49
	v_min3_f32 v102, v103, v102, v118
	v_min3_f32 v103, v110, v104, v113
	;; [unrolled: 1-line block ×5, first 2 shown]
	v_add_f32_e32 v110, v14, v50
	v_add_f32_e32 v111, v13, v49
	;; [unrolled: 1-line block ×10, first 2 shown]
	v_min3_f32 v110, v111, v110, v115
	v_min3_f32 v159, v113, v112, v109
	;; [unrolled: 1-line block ×4, first 2 shown]
	v_add_f32_e32 v109, v22, v50
	v_add_f32_e32 v111, v21, v49
	;; [unrolled: 1-line block ×4, first 2 shown]
	s_waitcnt lgkmcnt(2)
	v_add_f32_e32 v112, v4, v46
	v_add_f32_e32 v113, v3, v45
	;; [unrolled: 1-line block ×6, first 2 shown]
	v_min3_f32 v105, v111, v109, v105
	v_min3_f32 v49, v49, v50, v119
	;; [unrolled: 1-line block ×5, first 2 shown]
	v_add_f32_e32 v109, v34, v46
	v_add_f32_e32 v111, v33, v45
	;; [unrolled: 1-line block ×10, first 2 shown]
	v_min3_f32 v99, v111, v109, v99
	v_min3_f32 v162, v113, v112, v123
	s_waitcnt lgkmcnt(1)
	v_add_f32_e32 v109, v3, v41
	v_add_f32_e32 v111, v14, v42
	v_min3_f32 v45, v45, v46, v126
	v_add_f32_e32 v46, v4, v42
	v_add_f32_e32 v112, v13, v41
	s_waitcnt lgkmcnt(0)
	v_add_f32_e32 v4, v4, v38
	v_add_f32_e32 v3, v3, v37
	;; [unrolled: 1-line block ×4, first 2 shown]
	v_min3_f32 v163, v115, v114, v124
	v_add_f32_e32 v113, v18, v42
	v_add_f32_e32 v114, v17, v41
	v_min3_f32 v165, v112, v111, v127
	v_add_f32_e32 v111, v22, v42
	v_add_f32_e32 v112, v21, v41
	v_min3_f32 v3, v3, v4, v134
	v_min3_f32 v4, v13, v14, v135
	v_add_f32_e32 v13, v18, v38
	v_add_f32_e32 v14, v17, v37
	;; [unrolled: 1-line block ×6, first 2 shown]
	v_min3_f32 v164, v117, v116, v125
	v_add_f32_e32 v115, v34, v42
	v_add_f32_e32 v116, v33, v41
	;; [unrolled: 1-line block ×4, first 2 shown]
	v_min3_f32 v46, v109, v46, v95
	v_add_f32_e32 v95, v26, v42
	v_add_f32_e32 v109, v25, v41
	;; [unrolled: 1-line block ×4, first 2 shown]
	v_min3_f32 v12, v18, v17, v12
	v_min3_f32 v18, v21, v22, v139
	v_add_f32_e32 v8, v8, v38
	v_add_f32_e32 v7, v7, v37
	;; [unrolled: 1-line block ×10, first 2 shown]
	v_min3_f32 v7, v7, v8, v141
	v_min3_f32 v144, v22, v21, v11
	v_add_f32_e32 v8, v32, v64
	v_add_f32_e32 v11, v31, v63
	v_min3_f32 v106, v143, v142, v106
	v_min3_f32 v13, v14, v13, v136
	v_min3_f32 v14, v29, v30, v137
	v_min3_f32 v17, v25, v26, v138
	v_add_f32_e32 v25, v16, v64
	v_add_f32_e32 v26, v15, v63
	;; [unrolled: 1-line block ×4, first 2 shown]
	v_min3_f32 v137, v34, v33, v82
	v_add_f32_e32 v21, v28, v64
	v_add_f32_e32 v22, v27, v63
	;; [unrolled: 1-line block ×4, first 2 shown]
	v_min3_f32 v143, v11, v8, v69
	v_add_f32_e32 v8, v16, v68
	v_add_f32_e32 v11, v15, v67
	v_min3_f32 v41, v41, v42, v133
	v_min3_f32 v141, v26, v25, v80
	v_min3_f32 v142, v30, v29, v81
	v_add_f32_e32 v25, v24, v64
	v_add_f32_e32 v26, v23, v63
	v_add_f32_e32 v29, v10, v64
	v_add_f32_e32 v30, v9, v63
	v_min3_f32 v138, v22, v21, v83
	v_min3_f32 v136, v34, v33, v62
	v_add_f32_e32 v21, v20, v68
	v_add_f32_e32 v22, v19, v67
	v_add_f32_e32 v33, v28, v68
	v_add_f32_e32 v34, v27, v67
	v_min3_f32 v133, v11, v8, v85
	v_add_f32_e32 v8, v24, v68
	v_add_f32_e32 v11, v23, v67
	v_min3_f32 v166, v114, v113, v128
	v_min3_f32 v168, v118, v117, v130
	v_min3_f32 v139, v26, v25, v84
	v_min3_f32 v135, v30, v29, v61
	v_add_f32_e32 v25, v36, v68
	v_add_f32_e32 v26, v35, v67
	v_add_f32_e32 v29, v32, v68
	v_add_f32_e32 v30, v31, v67
	v_min3_f32 v134, v22, v21, v86
	v_min3_f32 v128, v34, v33, v89
	v_add_f32_e32 v21, v10, v68
	v_add_f32_e32 v22, v9, v67
	v_add_f32_e32 v33, v20, v60
	v_add_f32_e32 v34, v19, v59
	v_min3_f32 v130, v11, v8, v90
	v_add_f32_e32 v8, v36, v60
	v_add_f32_e32 v11, v35, v59
	v_min3_f32 v169, v109, v95, v131
	v_min3_f32 v170, v112, v111, v132
	v_min3_f32 v131, v26, v25, v87
	v_min3_f32 v132, v30, v29, v88
	v_add_f32_e32 v25, v6, v60
	v_add_f32_e32 v26, v5, v59
	v_add_f32_e32 v29, v16, v60
	v_add_f32_e32 v30, v15, v59
	v_min3_f32 v127, v22, v21, v65
	v_min3_f32 v125, v34, v33, v92
	v_add_f32_e32 v21, v32, v60
	v_add_f32_e32 v22, v31, v59
	v_add_f32_e32 v33, v10, v60
	v_add_f32_e32 v34, v9, v59
	v_min3_f32 v123, v11, v8, v93
	v_add_f32_e32 v8, v6, v56
	v_add_f32_e32 v11, v5, v55
	v_min3_f32 v167, v116, v115, v129
	v_min3_f32 v129, v26, v25, v66
	v_min3_f32 v126, v30, v29, v91
	v_add_f32_e32 v25, v28, v60
	v_add_f32_e32 v26, v27, v59
	;; [unrolled: 1-line block ×4, first 2 shown]
	v_min3_f32 v124, v22, v21, v94
	v_min3_f32 v119, v34, v33, v57
	v_add_f32_e32 v21, v16, v56
	v_add_f32_e32 v22, v15, v55
	;; [unrolled: 1-line block ×4, first 2 shown]
	v_min3_f32 v120, v11, v8, v58
	v_add_f32_e32 v8, v28, v56
	v_add_f32_e32 v11, v27, v55
	v_min3_f32 v121, v26, v25, v96
	v_min3_f32 v122, v30, v29, v97
	v_add_f32_e32 v25, v20, v56
	v_add_f32_e32 v26, v19, v55
	;; [unrolled: 1-line block ×4, first 2 shown]
	v_min3_f32 v117, v22, v21, v98
	v_min3_f32 v115, v34, v33, v102
	v_add_f32_e32 v21, v24, v56
	v_add_f32_e32 v22, v23, v55
	;; [unrolled: 1-line block ×4, first 2 shown]
	v_min3_f32 v113, v11, v8, v103
	v_add_f32_e32 v8, v20, v52
	v_add_f32_e32 v11, v19, v51
	v_min3_f32 v118, v26, v25, v100
	v_min3_f32 v116, v30, v29, v101
	v_add_f32_e32 v25, v10, v56
	v_add_f32_e32 v26, v9, v55
	;; [unrolled: 1-line block ×4, first 2 shown]
	v_min3_f32 v114, v22, v21, v104
	v_min3_f32 v109, v34, v33, v110
	v_add_f32_e32 v21, v36, v52
	v_add_f32_e32 v22, v35, v51
	v_min3_f32 v110, v11, v8, v159
	v_add_f32_e32 v8, v10, v52
	v_add_f32_e32 v11, v9, v51
	v_min3_f32 v111, v26, v25, v53
	v_min3_f32 v112, v30, v29, v54
	v_add_f32_e32 v25, v32, v52
	v_add_f32_e32 v26, v31, v51
	;; [unrolled: 1-line block ×6, first 2 shown]
	v_min3_f32 v107, v22, v21, v107
	v_add_f32_e32 v21, v6, v48
	v_add_f32_e32 v22, v5, v47
	v_min3_f32 v103, v11, v8, v49
	v_add_f32_e32 v8, v32, v48
	v_add_f32_e32 v11, v31, v47
	v_min3_f32 v108, v26, v25, v108
	v_min3_f32 v106, v30, v29, v106
	;; [unrolled: 1-line block ×3, first 2 shown]
	v_add_f32_e32 v25, v16, v48
	v_add_f32_e32 v26, v15, v47
	;; [unrolled: 1-line block ×6, first 2 shown]
	v_min3_f32 v104, v22, v21, v50
	v_add_f32_e32 v21, v28, v48
	v_add_f32_e32 v22, v27, v47
	v_min3_f32 v100, v11, v8, v162
	v_add_f32_e32 v8, v16, v44
	v_add_f32_e32 v11, v15, v43
	v_min3_f32 v101, v26, v25, v160
	v_min3_f32 v102, v30, v29, v161
	;; [unrolled: 1-line block ×3, first 2 shown]
	v_add_f32_e32 v25, v24, v48
	v_add_f32_e32 v26, v23, v47
	;; [unrolled: 1-line block ×6, first 2 shown]
	v_min3_f32 v97, v22, v21, v163
	v_add_f32_e32 v21, v20, v44
	v_add_f32_e32 v22, v19, v43
	v_min3_f32 v93, v11, v8, v165
	v_add_f32_e32 v8, v24, v44
	v_add_f32_e32 v11, v23, v43
	;; [unrolled: 1-line block ×8, first 2 shown]
	v_min3_f32 v98, v26, v25, v164
	v_min3_f32 v95, v30, v29, v45
	;; [unrolled: 1-line block ×3, first 2 shown]
	v_add_f32_e32 v25, v36, v44
	v_add_f32_e32 v26, v35, v43
	;; [unrolled: 1-line block ×6, first 2 shown]
	v_min3_f32 v94, v22, v21, v166
	v_add_f32_e32 v21, v10, v44
	v_add_f32_e32 v22, v9, v43
	v_min3_f32 v90, v11, v8, v170
	v_min3_f32 v88, v5, v6, v3
	v_min3_f32 v86, v15, v16, v4
	v_min3_f32 v85, v19, v20, v13
	v_add_f32_e32 v3, v36, v40
	v_add_f32_e32 v4, v35, v39
	;; [unrolled: 1-line block ×10, first 2 shown]
	v_add_co_ci_u32_e64 v152, null, s13, v152, vcc_lo
	v_add_co_u32 v153, vcc_lo, v153, s12
	v_min3_f32 v91, v26, v25, v167
	v_min3_f32 v92, v30, v29, v168
	;; [unrolled: 1-line block ×9, first 2 shown]
	v_add_co_ci_u32_e64 v154, null, s13, v154, vcc_lo
	s_add_i32 s15, s15, 8
	ds_write_b32 v145, v155
	ds_write2st64_b32 v146, v2, v156 offset1:4
	ds_write2st64_b32 v146, v157, v158 offset0:8 offset1:12
	s_cmp_ge_i32 s15, s23
	s_waitcnt lgkmcnt(0)
	s_barrier
	buffer_gl0_inv
	s_cbranch_scc1 .LBB66_46
.LBB66_26:                              ; =>This Inner Loop Header: Depth=1
	s_and_b32 vcc_lo, exec_lo, s2
	s_cbranch_vccnz .LBB66_45
; %bb.27:                               ;   in Loop: Header=BB66_26 Depth=1
	v_add_co_u32 v2, vcc_lo, v149, v74
	v_add_co_ci_u32_e64 v3, null, v150, v75, vcc_lo
	global_load_dword v2, v[2:3], off
	s_waitcnt vmcnt(0)
	v_mul_f32_e32 v156, s24, v2
	s_mov_b32 s18, -1
	s_mov_b32 vcc_lo, s1
                                        ; implicit-def: $vgpr2_vgpr3_vgpr4_vgpr5
	s_cbranch_vccz .LBB66_29
.LBB66_28:                              ;   in Loop: Header=BB66_26 Depth=1
	v_mov_b32_e32 v2, s14
	s_mov_b32 s18, 0
.LBB66_29:                              ;   in Loop: Header=BB66_26 Depth=1
	v_mov_b32_e32 v3, 0
	s_andn2_b32 vcc_lo, exec_lo, s18
	s_cbranch_vccz .LBB66_39
; %bb.30:                               ;   in Loop: Header=BB66_26 Depth=1
	s_mov_b32 s18, -1
	s_mov_b32 vcc_lo, s1
                                        ; implicit-def: $vgpr4
	s_cbranch_vccnz .LBB66_40
.LBB66_31:                              ;   in Loop: Header=BB66_26 Depth=1
	v_mov_b32_e32 v155, 0
	v_mov_b32_e32 v5, 0
	s_andn2_b32 vcc_lo, exec_lo, s18
	s_cbranch_vccnz .LBB66_33
.LBB66_32:                              ;   in Loop: Header=BB66_26 Depth=1
	v_add_co_u32 v4, vcc_lo, v153, v72
	v_add_co_ci_u32_e64 v5, null, v154, v73, vcc_lo
	s_clause 0x1
	global_load_dword v6, v[4:5], off offset:512
	global_load_dword v5, v[4:5], off offset:768
	s_waitcnt vmcnt(1)
	v_mul_f32_e32 v4, s24, v6
	s_waitcnt vmcnt(0)
	v_mul_f32_e32 v5, s24, v5
.LBB66_33:                              ;   in Loop: Header=BB66_26 Depth=1
	ds_read_b128 v[38:41], v147
	ds_read_b128 v[34:37], v147 offset:128
	ds_read_b128 v[30:33], v147 offset:256
	;; [unrolled: 1-line block ×7, first 2 shown]
	ds_read_b128 v[66:69], v148
	ds_read_b128 v[62:65], v148 offset:512
	ds_read_b128 v[58:61], v148 offset:1024
	;; [unrolled: 1-line block ×7, first 2 shown]
	s_and_b32 vcc_lo, exec_lo, s2
	ds_write_b32 v77, v156
	ds_write2st64_b32 v76, v2, v3 offset1:4
	ds_write2st64_b32 v76, v4, v5 offset0:8 offset1:12
	s_waitcnt lgkmcnt(0)
	s_barrier
	buffer_gl0_inv
	s_cbranch_vccnz .LBB66_35
; %bb.34:                               ;   in Loop: Header=BB66_26 Depth=1
	v_add_co_u32 v2, vcc_lo, v149, v70
	v_add_co_ci_u32_e64 v3, null, v150, v71, vcc_lo
	global_load_dword v2, v[2:3], off
	s_waitcnt vmcnt(0)
	v_mul_f32_e32 v155, s24, v2
.LBB66_35:                              ;   in Loop: Header=BB66_26 Depth=1
	s_mov_b32 s18, -1
	s_mov_b32 vcc_lo, s1
                                        ; implicit-def: $vgpr2_vgpr3_vgpr4_vgpr5
	s_cbranch_vccnz .LBB66_41
; %bb.36:                               ;   in Loop: Header=BB66_26 Depth=1
	v_mov_b32_e32 v156, 0
	s_andn2_b32 vcc_lo, exec_lo, s18
	s_cbranch_vccz .LBB66_42
.LBB66_37:                              ;   in Loop: Header=BB66_26 Depth=1
	s_mov_b32 s18, -1
	s_mov_b32 vcc_lo, s1
                                        ; implicit-def: $vgpr157
	s_cbranch_vccnz .LBB66_43
.LBB66_38:                              ;   in Loop: Header=BB66_26 Depth=1
	v_mov_b32_e32 v158, 0
	s_andn2_b32 vcc_lo, exec_lo, s18
	s_cbranch_vccnz .LBB66_25
	s_branch .LBB66_44
.LBB66_39:                              ;   in Loop: Header=BB66_26 Depth=1
	v_add_co_u32 v2, vcc_lo, v153, v72
	v_add_co_ci_u32_e64 v3, null, v154, v73, vcc_lo
	s_clause 0x1
	global_load_dword v4, v[2:3], off
	global_load_dword v3, v[2:3], off offset:256
	s_waitcnt vmcnt(1)
	v_mul_f32_e32 v2, s24, v4
	s_waitcnt vmcnt(0)
	v_mul_f32_e32 v3, s24, v3
	s_mov_b32 s18, -1
	s_mov_b32 vcc_lo, s1
                                        ; implicit-def: $vgpr4
	s_cbranch_vccz .LBB66_31
.LBB66_40:                              ;   in Loop: Header=BB66_26 Depth=1
	v_mov_b32_e32 v4, s14
	v_mov_b32_e32 v155, 0
	;; [unrolled: 1-line block ×3, first 2 shown]
	s_cbranch_execz .LBB66_32
	s_branch .LBB66_33
.LBB66_41:                              ;   in Loop: Header=BB66_26 Depth=1
	v_mov_b32_e32 v2, s14
	v_mov_b32_e32 v156, 0
	s_cbranch_execnz .LBB66_37
.LBB66_42:                              ;   in Loop: Header=BB66_26 Depth=1
	v_add_co_u32 v2, vcc_lo, v151, v72
	v_add_co_ci_u32_e64 v3, null, v152, v73, vcc_lo
	s_clause 0x1
	global_load_dword v4, v[2:3], off
	global_load_dword v3, v[2:3], off offset:256
	s_waitcnt vmcnt(1)
	v_mul_f32_e32 v2, s24, v4
	s_waitcnt vmcnt(0)
	v_mul_f32_e32 v156, s24, v3
	s_mov_b32 s18, -1
	s_mov_b32 vcc_lo, s1
                                        ; implicit-def: $vgpr157
	s_cbranch_vccz .LBB66_38
.LBB66_43:                              ;   in Loop: Header=BB66_26 Depth=1
	v_mov_b32_e32 v157, s14
	v_mov_b32_e32 v158, 0
	s_cbranch_execnz .LBB66_25
.LBB66_44:                              ;   in Loop: Header=BB66_26 Depth=1
	v_add_co_u32 v3, vcc_lo, v151, v72
	v_add_co_ci_u32_e64 v4, null, v152, v73, vcc_lo
	s_clause 0x1
	global_load_dword v5, v[3:4], off offset:512
	global_load_dword v3, v[3:4], off offset:768
	s_waitcnt vmcnt(1)
	v_mul_f32_e32 v157, s24, v5
	s_waitcnt vmcnt(0)
	v_mul_f32_e32 v158, s24, v3
	s_branch .LBB66_25
.LBB66_45:                              ;   in Loop: Header=BB66_26 Depth=1
	v_mov_b32_e32 v156, 0
	s_mov_b32 s18, -1
	s_mov_b32 vcc_lo, s1
                                        ; implicit-def: $vgpr2_vgpr3_vgpr4_vgpr5
	s_cbranch_vccnz .LBB66_28
	s_branch .LBB66_29
.LBB66_46:
	ds_read_b128 v[32:35], v79 offset:9216
	ds_read_b128 v[60:63], v78 offset:4096
	s_clause 0x2
	s_load_dword s2, s[4:5], 0x70
	s_load_dword s1, s[4:5], 0x58
	s_load_dwordx2 s[6:7], s[4:5], 0x78
	v_add_nc_u32_e32 v140, s22, v1
	v_add_nc_u32_e32 v76, s17, v0
	v_ashrrev_i32_e32 v77, 31, v76
	v_add_nc_u32_e32 v0, 8, v76
	v_lshlrev_b64 v[66:67], 2, v[76:77]
	v_ashrrev_i32_e32 v1, 31, v0
	s_waitcnt lgkmcnt(0)
	v_mad_i64_i32 v[2:3], null, v140, s2, 0
	v_mad_i64_i32 v[4:5], null, v140, s1, 0
	v_add_f32_e32 v6, v33, v61
	v_add_f32_e32 v7, v32, v60
	s_mul_i32 s5, s7, s16
	s_mul_hi_u32 s7, s6, s16
	s_mul_i32 s4, s6, s16
	v_add_f32_e32 v8, v35, v63
	s_add_i32 s5, s7, s5
	v_add_f32_e32 v9, v34, v62
	v_min3_f32 v6, v7, v6, v144
	v_lshlrev_b64 v[2:3], 2, v[2:3]
	s_lshl_b64 s[4:5], s[4:5], 2
	v_lshlrev_b64 v[4:5], 2, v[4:5]
	s_add_u32 s4, s10, s4
	v_min3_f32 v6, v9, v8, v6
	s_addc_u32 s5, s11, s5
	v_add_co_u32 v144, vcc_lo, s4, v2
	v_add_co_ci_u32_e64 v145, null, s5, v3, vcc_lo
	v_add_co_u32 v146, vcc_lo, s8, v4
	v_add_co_ci_u32_e64 v147, null, s9, v5, vcc_lo
	v_max_f32_e32 v2, v6, v6
	s_mov_b32 s6, -1
	s_mov_b32 vcc_lo, s0
	s_cbranch_vccz .LBB66_48
; %bb.47:
	v_add_co_u32 v3, vcc_lo, v144, v66
	v_min_f32_e32 v5, 0, v2
	v_add_co_ci_u32_e64 v4, null, v145, v67, vcc_lo
	s_mov_b32 s6, 0
	global_store_dword v[3:4], v5, off
.LBB66_48:
	ds_read_b128 v[28:31], v79 offset:9344
	ds_read_b128 v[24:27], v79 offset:9472
	v_lshlrev_b64 v[64:65], 2, v[0:1]
	v_mov_b32_e32 v69, 0
	s_andn2_b32 vcc_lo, exec_lo, s6
	s_cbranch_vccnz .LBB66_50
; %bb.49:
	v_add_co_u32 v0, vcc_lo, v146, v66
	v_add_co_ci_u32_e64 v1, null, v147, v67, vcc_lo
	global_load_dword v0, v[0:1], off
	s_waitcnt vmcnt(0)
	v_mul_f32_e32 v3, s3, v0
	v_add_co_u32 v0, vcc_lo, v144, v66
	v_add_co_ci_u32_e64 v1, null, v145, v67, vcc_lo
	v_min_f32_e32 v4, v3, v2
	v_add_co_u32 v2, vcc_lo, v146, v64
	v_add_co_ci_u32_e64 v3, null, v147, v65, vcc_lo
	global_store_dword v[0:1], v4, off
	global_load_dword v0, v[2:3], off
	s_waitcnt vmcnt(0)
	v_mul_f32_e32 v69, s3, v0
.LBB66_50:
	ds_read_b128 v[16:19], v79 offset:9728
	ds_read_b128 v[12:15], v79 offset:9856
	;; [unrolled: 1-line block ×10, first 2 shown]
	s_waitcnt lgkmcnt(11)
	v_add_f32_e32 v68, v29, v61
	v_add_f32_e32 v70, v28, v60
	s_waitcnt lgkmcnt(10)
	v_add_f32_e32 v71, v25, v61
	v_add_f32_e32 v72, v24, v60
	;; [unrolled: 1-line block ×4, first 2 shown]
	ds_read_b128 v[20:23], v79 offset:9600
	ds_read_b128 v[4:7], v78 offset:7680
	v_min3_f32 v75, v70, v68, v141
	v_min3_f32 v77, v72, v71, v142
	v_add_nc_u32_e32 v70, 16, v76
	v_min_f32_e32 v71, v74, v73
	v_add_f32_e32 v74, v27, v63
	v_add_f32_e32 v78, v26, v62
	v_add_co_u32 v72, vcc_lo, v144, v64
	v_min3_f32 v75, v69, v71, v75
	v_ashrrev_i32_e32 v71, 31, v70
	v_add_nc_u32_e32 v68, 24, v76
	v_add_co_ci_u32_e64 v73, null, v145, v65, vcc_lo
	v_min3_f32 v74, v78, v74, v77
	v_lshlrev_b64 v[70:71], 2, v[70:71]
	v_ashrrev_i32_e32 v69, 31, v68
	global_store_dword v[72:73], v75, off
	s_mov_b32 s6, -1
	v_max_f32_e32 v72, v74, v74
	s_mov_b32 vcc_lo, s0
	s_cbranch_vccz .LBB66_52
; %bb.51:
	v_add_co_u32 v73, vcc_lo, v144, v70
	v_min_f32_e32 v75, 0, v72
	v_add_co_ci_u32_e64 v74, null, v145, v71, vcc_lo
	s_mov_b32 s6, 0
	global_store_dword v[73:74], v75, off
.LBB66_52:
	v_lshlrev_b64 v[68:69], 2, v[68:69]
	v_mov_b32_e32 v73, 0
	s_andn2_b32 vcc_lo, exec_lo, s6
	s_cbranch_vccnz .LBB66_54
; %bb.53:
	v_add_co_u32 v73, vcc_lo, v146, v70
	v_add_co_ci_u32_e64 v74, null, v147, v71, vcc_lo
	global_load_dword v73, v[73:74], off
	s_waitcnt vmcnt(0)
	v_mul_f32_e32 v75, s3, v73
	v_add_co_u32 v73, vcc_lo, v144, v70
	v_add_co_ci_u32_e64 v74, null, v145, v71, vcc_lo
	v_add_co_u32 v77, vcc_lo, v146, v68
	v_min_f32_e32 v72, v75, v72
	v_add_co_ci_u32_e64 v78, null, v147, v69, vcc_lo
	global_store_dword v[73:74], v72, off
	global_load_dword v72, v[77:78], off
	s_waitcnt vmcnt(0)
	v_mul_f32_e32 v73, s3, v72
.LBB66_54:
	s_waitcnt lgkmcnt(1)
	v_add_f32_e32 v72, v21, v61
	v_add_f32_e32 v74, v20, v60
	;; [unrolled: 1-line block ×6, first 2 shown]
	v_min3_f32 v137, v74, v72, v137
	v_add_nc_u32_e32 v74, 32, v76
	v_min3_f32 v141, v77, v75, v143
	v_add_f32_e32 v142, v18, v62
	v_min_f32_e32 v75, v79, v78
	v_add_f32_e32 v79, v19, v63
	v_add_co_u32 v77, vcc_lo, v144, v68
	v_add_nc_u32_e32 v72, 40, v76
	v_min3_f32 v137, v73, v75, v137
	v_ashrrev_i32_e32 v75, 31, v74
	v_add_co_ci_u32_e64 v78, null, v145, v69, vcc_lo
	v_min3_f32 v79, v142, v79, v141
	v_ashrrev_i32_e32 v73, 31, v72
	v_lshlrev_b64 v[74:75], 2, v[74:75]
	global_store_dword v[77:78], v137, off
	s_mov_b32 s6, -1
	v_max_f32_e32 v77, v79, v79
	s_mov_b32 vcc_lo, s0
	s_cbranch_vccz .LBB66_56
; %bb.55:
	v_add_co_u32 v78, vcc_lo, v144, v74
	v_min_f32_e32 v137, 0, v77
	v_add_co_ci_u32_e64 v79, null, v145, v75, vcc_lo
	s_mov_b32 s6, 0
	global_store_dword v[78:79], v137, off
.LBB66_56:
	v_lshlrev_b64 v[72:73], 2, v[72:73]
	v_mov_b32_e32 v79, 0
	s_andn2_b32 vcc_lo, exec_lo, s6
	s_cbranch_vccnz .LBB66_58
; %bb.57:
	v_add_co_u32 v78, vcc_lo, v146, v74
	v_add_co_ci_u32_e64 v79, null, v147, v75, vcc_lo
	global_load_dword v78, v[78:79], off
	s_waitcnt vmcnt(0)
	v_mul_f32_e32 v137, s3, v78
	v_add_co_u32 v78, vcc_lo, v144, v74
	v_add_co_ci_u32_e64 v79, null, v145, v75, vcc_lo
	v_add_co_u32 v141, vcc_lo, v146, v72
	v_min_f32_e32 v77, v137, v77
	v_add_co_ci_u32_e64 v142, null, v147, v73, vcc_lo
	global_store_dword v[78:79], v77, off
	global_load_dword v77, v[141:142], off
	s_waitcnt vmcnt(0)
	v_mul_f32_e32 v79, s3, v77
.LBB66_58:
	v_add_f32_e32 v77, v13, v61
	v_add_f32_e32 v78, v12, v60
	;; [unrolled: 1-line block ×6, first 2 shown]
	v_min3_f32 v77, v78, v77, v138
	v_add_nc_u32_e32 v78, 56, v76
	v_min3_f32 v139, v141, v137, v139
	v_add_nc_u32_e32 v137, 48, v76
	v_min_f32_e32 v138, v143, v142
	v_add_f32_e32 v141, v11, v63
	v_add_f32_e32 v142, v10, v62
	v_add_co_u32 v76, vcc_lo, v144, v72
	v_min3_f32 v143, v79, v138, v77
	v_add_co_ci_u32_e64 v77, null, v145, v73, vcc_lo
	v_ashrrev_i32_e32 v138, 31, v137
	v_min3_f32 v139, v142, v141, v139
	v_ashrrev_i32_e32 v79, 31, v78
	global_store_dword v[76:77], v143, off
	s_mov_b32 s6, -1
	v_lshlrev_b64 v[76:77], 2, v[137:138]
	v_max_f32_e32 v137, v139, v139
	s_mov_b32 vcc_lo, s0
	s_cbranch_vccz .LBB66_60
; %bb.59:
	v_add_co_u32 v138, vcc_lo, v144, v76
	v_min_f32_e32 v141, 0, v137
	v_add_co_ci_u32_e64 v139, null, v145, v77, vcc_lo
	s_mov_b32 s6, 0
	global_store_dword v[138:139], v141, off
.LBB66_60:
	v_lshlrev_b64 v[78:79], 2, v[78:79]
	v_mov_b32_e32 v138, 0
	s_andn2_b32 vcc_lo, exec_lo, s6
	s_cbranch_vccnz .LBB66_62
; %bb.61:
	v_add_co_u32 v138, vcc_lo, v146, v76
	v_add_co_ci_u32_e64 v139, null, v147, v77, vcc_lo
	global_load_dword v138, v[138:139], off
	s_waitcnt vmcnt(0)
	v_mul_f32_e32 v141, s3, v138
	v_add_co_u32 v138, vcc_lo, v144, v76
	v_add_co_ci_u32_e64 v139, null, v145, v77, vcc_lo
	v_min_f32_e32 v137, v141, v137
	v_add_co_u32 v141, vcc_lo, v146, v78
	v_add_co_ci_u32_e64 v142, null, v147, v79, vcc_lo
	global_store_dword v[138:139], v137, off
	global_load_dword v137, v[141:142], off
	s_waitcnt vmcnt(0)
	v_mul_f32_e32 v138, s3, v137
.LBB66_62:
	v_add_f32_e32 v61, v1, v61
	v_add_f32_e32 v60, v0, v60
	;; [unrolled: 1-line block ×6, first 2 shown]
	v_min3_f32 v60, v60, v61, v135
	v_add_f32_e32 v141, v34, v58
	v_min_f32_e32 v61, v62, v63
	v_add_nc_u32_e32 v62, 32, v140
	v_min3_f32 v137, v139, v137, v136
	v_add_f32_e32 v139, v35, v59
	v_add_co_u32 v135, vcc_lo, v144, v78
	v_min3_f32 v138, v138, v61, v60
	v_mad_i64_i32 v[60:61], null, v62, s2, 0
	v_mad_i64_i32 v[62:63], null, v62, s1, 0
	v_add_co_ci_u32_e64 v136, null, v145, v79, vcc_lo
	v_min3_f32 v137, v141, v139, v137
	s_mov_b32 s6, -1
	v_lshlrev_b64 v[60:61], 2, v[60:61]
	global_store_dword v[135:136], v138, off
	v_lshlrev_b64 v[62:63], 2, v[62:63]
	v_max_f32_e32 v135, v137, v137
	v_add_co_u32 v60, vcc_lo, s4, v60
	v_add_co_ci_u32_e64 v61, null, s5, v61, vcc_lo
	v_add_co_u32 v62, vcc_lo, s8, v62
	v_add_co_ci_u32_e64 v63, null, s9, v63, vcc_lo
	s_mov_b32 vcc_lo, s0
	s_cbranch_vccz .LBB66_64
; %bb.63:
	v_add_co_u32 v136, vcc_lo, v60, v66
	v_min_f32_e32 v138, 0, v135
	v_add_co_ci_u32_e64 v137, null, v61, v67, vcc_lo
	s_mov_b32 s6, 0
	global_store_dword v[136:137], v138, off
.LBB66_64:
	v_mov_b32_e32 v136, 0
	s_andn2_b32 vcc_lo, exec_lo, s6
	s_cbranch_vccnz .LBB66_66
; %bb.65:
	v_add_co_u32 v136, vcc_lo, v62, v66
	v_add_co_ci_u32_e64 v137, null, v63, v67, vcc_lo
	global_load_dword v136, v[136:137], off
	s_waitcnt vmcnt(0)
	v_mul_f32_e32 v138, s3, v136
	v_add_co_u32 v136, vcc_lo, v60, v66
	v_add_co_ci_u32_e64 v137, null, v61, v67, vcc_lo
	v_min_f32_e32 v135, v138, v135
	v_add_co_u32 v138, vcc_lo, v62, v64
	v_add_co_ci_u32_e64 v139, null, v63, v65, vcc_lo
	global_store_dword v[136:137], v135, off
	global_load_dword v135, v[138:139], off
	s_waitcnt vmcnt(0)
	v_mul_f32_e32 v136, s3, v135
.LBB66_66:
	v_add_f32_e32 v135, v29, v57
	v_add_f32_e32 v137, v28, v56
	;; [unrolled: 1-line block ×6, first 2 shown]
	v_min3_f32 v133, v137, v135, v133
	s_mov_b32 s6, -1
	v_min_f32_e32 v135, v139, v138
	v_add_f32_e32 v138, v27, v59
	v_min3_f32 v137, v142, v141, v134
	v_add_f32_e32 v139, v26, v58
	v_min3_f32 v135, v136, v135, v133
	v_add_co_u32 v133, vcc_lo, v60, v64
	v_add_co_ci_u32_e64 v134, null, v61, v65, vcc_lo
	v_min3_f32 v136, v139, v138, v137
	s_mov_b32 vcc_lo, s0
	global_store_dword v[133:134], v135, off
	v_max_f32_e32 v133, v136, v136
	s_cbranch_vccz .LBB66_68
; %bb.67:
	v_add_co_u32 v134, vcc_lo, v60, v70
	v_min_f32_e32 v136, 0, v133
	v_add_co_ci_u32_e64 v135, null, v61, v71, vcc_lo
	s_mov_b32 s6, 0
	global_store_dword v[134:135], v136, off
.LBB66_68:
	v_mov_b32_e32 v134, 0
	s_andn2_b32 vcc_lo, exec_lo, s6
	s_cbranch_vccnz .LBB66_70
; %bb.69:
	v_add_co_u32 v134, vcc_lo, v62, v70
	v_add_co_ci_u32_e64 v135, null, v63, v71, vcc_lo
	global_load_dword v134, v[134:135], off
	s_waitcnt vmcnt(0)
	v_mul_f32_e32 v136, s3, v134
	v_add_co_u32 v134, vcc_lo, v60, v70
	v_add_co_ci_u32_e64 v135, null, v61, v71, vcc_lo
	v_min_f32_e32 v133, v136, v133
	v_add_co_u32 v136, vcc_lo, v62, v68
	v_add_co_ci_u32_e64 v137, null, v63, v69, vcc_lo
	global_store_dword v[134:135], v133, off
	global_load_dword v133, v[136:137], off
	s_waitcnt vmcnt(0)
	v_mul_f32_e32 v134, s3, v133
.LBB66_70:
	v_add_f32_e32 v133, v21, v57
	v_add_f32_e32 v135, v20, v56
	;; [unrolled: 1-line block ×6, first 2 shown]
	v_min3_f32 v131, v135, v133, v131
	s_mov_b32 s6, -1
	v_min_f32_e32 v133, v137, v136
	v_add_f32_e32 v136, v19, v59
	v_min3_f32 v135, v139, v138, v132
	v_add_f32_e32 v137, v18, v58
	v_min3_f32 v133, v134, v133, v131
	v_add_co_u32 v131, vcc_lo, v60, v68
	v_add_co_ci_u32_e64 v132, null, v61, v69, vcc_lo
	v_min3_f32 v134, v137, v136, v135
	s_mov_b32 vcc_lo, s0
	global_store_dword v[131:132], v133, off
	v_max_f32_e32 v131, v134, v134
	s_cbranch_vccz .LBB66_72
; %bb.71:
	v_add_co_u32 v132, vcc_lo, v60, v74
	v_min_f32_e32 v134, 0, v131
	v_add_co_ci_u32_e64 v133, null, v61, v75, vcc_lo
	s_mov_b32 s6, 0
	global_store_dword v[132:133], v134, off
.LBB66_72:
	v_mov_b32_e32 v132, 0
	s_andn2_b32 vcc_lo, exec_lo, s6
	s_cbranch_vccnz .LBB66_74
; %bb.73:
	v_add_co_u32 v132, vcc_lo, v62, v74
	v_add_co_ci_u32_e64 v133, null, v63, v75, vcc_lo
	global_load_dword v132, v[132:133], off
	s_waitcnt vmcnt(0)
	v_mul_f32_e32 v134, s3, v132
	v_add_co_u32 v132, vcc_lo, v60, v74
	v_add_co_ci_u32_e64 v133, null, v61, v75, vcc_lo
	v_min_f32_e32 v131, v134, v131
	v_add_co_u32 v134, vcc_lo, v62, v72
	v_add_co_ci_u32_e64 v135, null, v63, v73, vcc_lo
	global_store_dword v[132:133], v131, off
	global_load_dword v131, v[134:135], off
	s_waitcnt vmcnt(0)
	v_mul_f32_e32 v132, s3, v131
.LBB66_74:
	v_add_f32_e32 v131, v13, v57
	v_add_f32_e32 v133, v12, v56
	;; [unrolled: 1-line block ×6, first 2 shown]
	v_min3_f32 v128, v133, v131, v128
	s_mov_b32 s6, -1
	v_min_f32_e32 v131, v135, v134
	v_add_f32_e32 v134, v11, v59
	v_min3_f32 v133, v137, v136, v130
	v_add_f32_e32 v135, v10, v58
	v_add_co_u32 v130, vcc_lo, v60, v72
	v_min3_f32 v128, v132, v131, v128
	v_add_co_ci_u32_e64 v131, null, v61, v73, vcc_lo
	v_min3_f32 v132, v135, v134, v133
	s_mov_b32 vcc_lo, s0
	global_store_dword v[130:131], v128, off
	v_max_f32_e32 v128, v132, v132
	s_cbranch_vccz .LBB66_76
; %bb.75:
	v_add_co_u32 v130, vcc_lo, v60, v76
	v_min_f32_e32 v132, 0, v128
	v_add_co_ci_u32_e64 v131, null, v61, v77, vcc_lo
	s_mov_b32 s6, 0
	global_store_dword v[130:131], v132, off
.LBB66_76:
	v_mov_b32_e32 v130, 0
	s_andn2_b32 vcc_lo, exec_lo, s6
	s_cbranch_vccnz .LBB66_78
; %bb.77:
	v_add_co_u32 v130, vcc_lo, v62, v76
	v_add_co_ci_u32_e64 v131, null, v63, v77, vcc_lo
	global_load_dword v130, v[130:131], off
	s_waitcnt vmcnt(0)
	v_mul_f32_e32 v132, s3, v130
	v_add_co_u32 v130, vcc_lo, v60, v76
	v_add_co_ci_u32_e64 v131, null, v61, v77, vcc_lo
	v_add_co_u32 v62, vcc_lo, v62, v78
	v_min_f32_e32 v128, v132, v128
	v_add_co_ci_u32_e64 v63, null, v63, v79, vcc_lo
	global_store_dword v[130:131], v128, off
	global_load_dword v62, v[62:63], off
	s_waitcnt vmcnt(0)
	v_mul_f32_e32 v130, s3, v62
.LBB66_78:
	v_add_f32_e32 v57, v1, v57
	v_add_f32_e32 v56, v0, v56
	;; [unrolled: 1-line block ×6, first 2 shown]
	v_min3_f32 v56, v56, v57, v127
	v_add_f32_e32 v127, v34, v54
	v_min_f32_e32 v57, v58, v59
	v_add_nc_u32_e32 v58, 64, v140
	v_min3_f32 v62, v63, v62, v129
	v_add_f32_e32 v63, v35, v55
	v_add_co_u32 v60, vcc_lo, v60, v78
	v_min3_f32 v128, v130, v57, v56
	v_mad_i64_i32 v[56:57], null, v58, s2, 0
	v_mad_i64_i32 v[58:59], null, v58, s1, 0
	v_add_co_ci_u32_e64 v61, null, v61, v79, vcc_lo
	v_min3_f32 v62, v127, v63, v62
	s_mov_b32 s6, -1
	v_lshlrev_b64 v[56:57], 2, v[56:57]
	global_store_dword v[60:61], v128, off
	v_lshlrev_b64 v[58:59], 2, v[58:59]
	v_max_f32_e32 v60, v62, v62
	v_add_co_u32 v56, vcc_lo, s4, v56
	v_add_co_ci_u32_e64 v57, null, s5, v57, vcc_lo
	v_add_co_u32 v58, vcc_lo, s8, v58
	v_add_co_ci_u32_e64 v59, null, s9, v59, vcc_lo
	s_mov_b32 vcc_lo, s0
	s_cbranch_vccz .LBB66_80
; %bb.79:
	v_add_co_u32 v61, vcc_lo, v56, v66
	v_min_f32_e32 v63, 0, v60
	v_add_co_ci_u32_e64 v62, null, v57, v67, vcc_lo
	s_mov_b32 s6, 0
	global_store_dword v[61:62], v63, off
.LBB66_80:
	v_mov_b32_e32 v61, 0
	s_andn2_b32 vcc_lo, exec_lo, s6
	s_cbranch_vccnz .LBB66_82
; %bb.81:
	v_add_co_u32 v61, vcc_lo, v58, v66
	v_add_co_ci_u32_e64 v62, null, v59, v67, vcc_lo
	global_load_dword v61, v[61:62], off
	s_waitcnt vmcnt(0)
	v_mul_f32_e32 v63, s3, v61
	v_add_co_u32 v61, vcc_lo, v56, v66
	v_add_co_ci_u32_e64 v62, null, v57, v67, vcc_lo
	v_add_co_u32 v127, vcc_lo, v58, v64
	v_min_f32_e32 v60, v63, v60
	v_add_co_ci_u32_e64 v128, null, v59, v65, vcc_lo
	global_store_dword v[61:62], v60, off
	global_load_dword v60, v[127:128], off
	s_waitcnt vmcnt(0)
	v_mul_f32_e32 v61, s3, v60
.LBB66_82:
	v_add_f32_e32 v60, v29, v53
	v_add_f32_e32 v62, v28, v52
	v_add_f32_e32 v63, v31, v55
	v_add_f32_e32 v127, v30, v54
	v_add_f32_e32 v128, v25, v53
	v_add_f32_e32 v129, v24, v52
	v_min3_f32 v60, v62, v60, v126
	v_add_f32_e32 v126, v26, v54
	v_min_f32_e32 v62, v127, v63
	s_mov_b32 s6, -1
	v_min3_f32 v63, v129, v128, v125
	v_add_f32_e32 v125, v27, v55
	v_min3_f32 v62, v61, v62, v60
	v_add_co_u32 v60, vcc_lo, v56, v64
	v_add_co_ci_u32_e64 v61, null, v57, v65, vcc_lo
	v_min3_f32 v63, v126, v125, v63
	s_mov_b32 vcc_lo, s0
	global_store_dword v[60:61], v62, off
	v_max_f32_e32 v60, v63, v63
	s_cbranch_vccz .LBB66_84
; %bb.83:
	v_add_co_u32 v61, vcc_lo, v56, v70
	v_min_f32_e32 v63, 0, v60
	v_add_co_ci_u32_e64 v62, null, v57, v71, vcc_lo
	s_mov_b32 s6, 0
	global_store_dword v[61:62], v63, off
.LBB66_84:
	v_mov_b32_e32 v61, 0
	s_andn2_b32 vcc_lo, exec_lo, s6
	s_cbranch_vccnz .LBB66_86
; %bb.85:
	v_add_co_u32 v61, vcc_lo, v58, v70
	v_add_co_ci_u32_e64 v62, null, v59, v71, vcc_lo
	global_load_dword v61, v[61:62], off
	s_waitcnt vmcnt(0)
	v_mul_f32_e32 v63, s3, v61
	v_add_co_u32 v61, vcc_lo, v56, v70
	v_add_co_ci_u32_e64 v62, null, v57, v71, vcc_lo
	v_add_co_u32 v125, vcc_lo, v58, v68
	v_min_f32_e32 v60, v63, v60
	v_add_co_ci_u32_e64 v126, null, v59, v69, vcc_lo
	global_store_dword v[61:62], v60, off
	global_load_dword v60, v[125:126], off
	s_waitcnt vmcnt(0)
	v_mul_f32_e32 v61, s3, v60
.LBB66_86:
	v_add_f32_e32 v60, v21, v53
	v_add_f32_e32 v62, v20, v52
	v_add_f32_e32 v63, v23, v55
	v_add_f32_e32 v125, v22, v54
	v_add_f32_e32 v126, v17, v53
	v_add_f32_e32 v127, v16, v52
	v_min3_f32 v60, v62, v60, v123
	v_add_f32_e32 v123, v19, v55
	v_min_f32_e32 v62, v125, v63
	s_mov_b32 s6, -1
	v_min3_f32 v63, v127, v126, v124
	v_add_f32_e32 v124, v18, v54
	v_min3_f32 v62, v61, v62, v60
	v_add_co_u32 v60, vcc_lo, v56, v68
	v_add_co_ci_u32_e64 v61, null, v57, v69, vcc_lo
	v_min3_f32 v63, v124, v123, v63
	s_mov_b32 vcc_lo, s0
	global_store_dword v[60:61], v62, off
	v_max_f32_e32 v60, v63, v63
	;; [unrolled: 46-line block ×3, first 2 shown]
	s_cbranch_vccz .LBB66_92
; %bb.91:
	v_add_co_u32 v61, vcc_lo, v56, v76
	v_min_f32_e32 v63, 0, v60
	v_add_co_ci_u32_e64 v62, null, v57, v77, vcc_lo
	s_mov_b32 s6, 0
	global_store_dword v[61:62], v63, off
.LBB66_92:
	v_mov_b32_e32 v61, 0
	s_andn2_b32 vcc_lo, exec_lo, s6
	s_cbranch_vccnz .LBB66_94
; %bb.93:
	v_add_co_u32 v61, vcc_lo, v58, v76
	v_add_co_ci_u32_e64 v62, null, v59, v77, vcc_lo
	global_load_dword v61, v[61:62], off
	s_waitcnt vmcnt(0)
	v_mul_f32_e32 v63, s3, v61
	v_add_co_u32 v61, vcc_lo, v56, v76
	v_add_co_ci_u32_e64 v62, null, v57, v77, vcc_lo
	v_add_co_u32 v58, vcc_lo, v58, v78
	v_min_f32_e32 v60, v63, v60
	v_add_co_ci_u32_e64 v59, null, v59, v79, vcc_lo
	global_store_dword v[61:62], v60, off
	global_load_dword v58, v[58:59], off
	s_waitcnt vmcnt(0)
	v_mul_f32_e32 v61, s3, v58
.LBB66_94:
	v_add_f32_e32 v53, v1, v53
	v_add_f32_e32 v52, v0, v52
	;; [unrolled: 1-line block ×6, first 2 shown]
	v_min3_f32 v52, v52, v53, v119
	v_add_f32_e32 v60, v34, v50
	v_min_f32_e32 v53, v54, v55
	v_add_nc_u32_e32 v54, 0x60, v140
	v_min3_f32 v58, v59, v58, v120
	v_add_f32_e32 v59, v35, v51
	v_add_co_u32 v56, vcc_lo, v56, v78
	v_min3_f32 v61, v61, v53, v52
	v_mad_i64_i32 v[52:53], null, v54, s2, 0
	v_mad_i64_i32 v[54:55], null, v54, s1, 0
	v_add_co_ci_u32_e64 v57, null, v57, v79, vcc_lo
	v_min3_f32 v58, v60, v59, v58
	s_mov_b32 s6, -1
	v_lshlrev_b64 v[52:53], 2, v[52:53]
	global_store_dword v[56:57], v61, off
	v_lshlrev_b64 v[54:55], 2, v[54:55]
	v_max_f32_e32 v56, v58, v58
	v_add_co_u32 v52, vcc_lo, s4, v52
	v_add_co_ci_u32_e64 v53, null, s5, v53, vcc_lo
	v_add_co_u32 v54, vcc_lo, s8, v54
	v_add_co_ci_u32_e64 v55, null, s9, v55, vcc_lo
	s_mov_b32 vcc_lo, s0
	s_cbranch_vccz .LBB66_96
; %bb.95:
	v_add_co_u32 v57, vcc_lo, v52, v66
	v_min_f32_e32 v59, 0, v56
	v_add_co_ci_u32_e64 v58, null, v53, v67, vcc_lo
	s_mov_b32 s6, 0
	global_store_dword v[57:58], v59, off
.LBB66_96:
	v_mov_b32_e32 v57, 0
	s_andn2_b32 vcc_lo, exec_lo, s6
	s_cbranch_vccnz .LBB66_98
; %bb.97:
	v_add_co_u32 v57, vcc_lo, v54, v66
	v_add_co_ci_u32_e64 v58, null, v55, v67, vcc_lo
	global_load_dword v57, v[57:58], off
	s_waitcnt vmcnt(0)
	v_mul_f32_e32 v59, s3, v57
	v_add_co_u32 v57, vcc_lo, v52, v66
	v_add_co_ci_u32_e64 v58, null, v53, v67, vcc_lo
	v_min_f32_e32 v56, v59, v56
	v_add_co_u32 v59, vcc_lo, v54, v64
	v_add_co_ci_u32_e64 v60, null, v55, v65, vcc_lo
	global_store_dword v[57:58], v56, off
	global_load_dword v56, v[59:60], off
	s_waitcnt vmcnt(0)
	v_mul_f32_e32 v57, s3, v56
.LBB66_98:
	v_add_f32_e32 v56, v29, v49
	v_add_f32_e32 v58, v28, v48
	v_add_f32_e32 v59, v31, v51
	v_add_f32_e32 v60, v30, v50
	v_add_f32_e32 v61, v25, v49
	v_add_f32_e32 v62, v24, v48
	v_min3_f32 v56, v58, v56, v117
	s_mov_b32 s6, -1
	v_min_f32_e32 v58, v60, v59
	v_add_f32_e32 v60, v27, v51
	v_min3_f32 v59, v62, v61, v118
	v_add_f32_e32 v61, v26, v50
	v_min3_f32 v58, v57, v58, v56
	v_add_co_u32 v56, vcc_lo, v52, v64
	v_add_co_ci_u32_e64 v57, null, v53, v65, vcc_lo
	v_min3_f32 v59, v61, v60, v59
	s_mov_b32 vcc_lo, s0
	global_store_dword v[56:57], v58, off
	v_max_f32_e32 v56, v59, v59
	s_cbranch_vccz .LBB66_100
; %bb.99:
	v_add_co_u32 v57, vcc_lo, v52, v70
	v_min_f32_e32 v59, 0, v56
	v_add_co_ci_u32_e64 v58, null, v53, v71, vcc_lo
	s_mov_b32 s6, 0
	global_store_dword v[57:58], v59, off
.LBB66_100:
	v_mov_b32_e32 v57, 0
	s_andn2_b32 vcc_lo, exec_lo, s6
	s_cbranch_vccnz .LBB66_102
; %bb.101:
	v_add_co_u32 v57, vcc_lo, v54, v70
	v_add_co_ci_u32_e64 v58, null, v55, v71, vcc_lo
	global_load_dword v57, v[57:58], off
	s_waitcnt vmcnt(0)
	v_mul_f32_e32 v59, s3, v57
	v_add_co_u32 v57, vcc_lo, v52, v70
	v_add_co_ci_u32_e64 v58, null, v53, v71, vcc_lo
	v_min_f32_e32 v56, v59, v56
	v_add_co_u32 v59, vcc_lo, v54, v68
	v_add_co_ci_u32_e64 v60, null, v55, v69, vcc_lo
	global_store_dword v[57:58], v56, off
	global_load_dword v56, v[59:60], off
	s_waitcnt vmcnt(0)
	v_mul_f32_e32 v57, s3, v56
.LBB66_102:
	v_add_f32_e32 v56, v21, v49
	v_add_f32_e32 v58, v20, v48
	v_add_f32_e32 v59, v23, v51
	v_add_f32_e32 v60, v22, v50
	v_add_f32_e32 v61, v17, v49
	v_add_f32_e32 v62, v16, v48
	v_min3_f32 v56, v58, v56, v116
	s_mov_b32 s6, -1
	v_min_f32_e32 v58, v60, v59
	v_add_f32_e32 v60, v19, v51
	v_min3_f32 v59, v62, v61, v115
	v_add_f32_e32 v61, v18, v50
	v_min3_f32 v58, v57, v58, v56
	v_add_co_u32 v56, vcc_lo, v52, v68
	v_add_co_ci_u32_e64 v57, null, v53, v69, vcc_lo
	v_min3_f32 v59, v61, v60, v59
	s_mov_b32 vcc_lo, s0
	global_store_dword v[56:57], v58, off
	v_max_f32_e32 v56, v59, v59
	;; [unrolled: 46-line block ×3, first 2 shown]
	s_cbranch_vccz .LBB66_108
; %bb.107:
	v_add_co_u32 v57, vcc_lo, v52, v76
	v_min_f32_e32 v59, 0, v56
	v_add_co_ci_u32_e64 v58, null, v53, v77, vcc_lo
	s_mov_b32 s6, 0
	global_store_dword v[57:58], v59, off
.LBB66_108:
	v_mov_b32_e32 v57, 0
	s_andn2_b32 vcc_lo, exec_lo, s6
	s_cbranch_vccnz .LBB66_110
; %bb.109:
	v_add_co_u32 v57, vcc_lo, v54, v76
	v_add_co_ci_u32_e64 v58, null, v55, v77, vcc_lo
	global_load_dword v57, v[57:58], off
	s_waitcnt vmcnt(0)
	v_mul_f32_e32 v59, s3, v57
	v_add_co_u32 v57, vcc_lo, v52, v76
	v_add_co_ci_u32_e64 v58, null, v53, v77, vcc_lo
	v_add_co_u32 v54, vcc_lo, v54, v78
	v_min_f32_e32 v56, v59, v56
	v_add_co_ci_u32_e64 v55, null, v55, v79, vcc_lo
	global_store_dword v[57:58], v56, off
	global_load_dword v54, v[54:55], off
	s_waitcnt vmcnt(0)
	v_mul_f32_e32 v57, s3, v54
.LBB66_110:
	v_add_f32_e32 v49, v1, v49
	v_add_f32_e32 v48, v0, v48
	;; [unrolled: 1-line block ×6, first 2 shown]
	v_min3_f32 v48, v48, v49, v111
	v_add_f32_e32 v56, v34, v46
	v_min_f32_e32 v49, v50, v51
	v_add_nc_u32_e32 v50, 0x80, v140
	v_min3_f32 v54, v55, v54, v112
	v_add_f32_e32 v55, v35, v47
	v_add_co_u32 v52, vcc_lo, v52, v78
	v_min3_f32 v57, v57, v49, v48
	v_mad_i64_i32 v[48:49], null, v50, s2, 0
	v_mad_i64_i32 v[50:51], null, v50, s1, 0
	v_add_co_ci_u32_e64 v53, null, v53, v79, vcc_lo
	v_min3_f32 v54, v56, v55, v54
	s_mov_b32 s6, -1
	v_lshlrev_b64 v[48:49], 2, v[48:49]
	global_store_dword v[52:53], v57, off
	v_lshlrev_b64 v[50:51], 2, v[50:51]
	v_max_f32_e32 v52, v54, v54
	v_add_co_u32 v48, vcc_lo, s4, v48
	v_add_co_ci_u32_e64 v49, null, s5, v49, vcc_lo
	v_add_co_u32 v50, vcc_lo, s8, v50
	v_add_co_ci_u32_e64 v51, null, s9, v51, vcc_lo
	s_mov_b32 vcc_lo, s0
	s_cbranch_vccz .LBB66_112
; %bb.111:
	v_add_co_u32 v53, vcc_lo, v48, v66
	v_min_f32_e32 v55, 0, v52
	v_add_co_ci_u32_e64 v54, null, v49, v67, vcc_lo
	s_mov_b32 s6, 0
	global_store_dword v[53:54], v55, off
.LBB66_112:
	v_mov_b32_e32 v53, 0
	s_andn2_b32 vcc_lo, exec_lo, s6
	s_cbranch_vccnz .LBB66_114
; %bb.113:
	v_add_co_u32 v53, vcc_lo, v50, v66
	v_add_co_ci_u32_e64 v54, null, v51, v67, vcc_lo
	global_load_dword v53, v[53:54], off
	s_waitcnt vmcnt(0)
	v_mul_f32_e32 v55, s3, v53
	v_add_co_u32 v53, vcc_lo, v48, v66
	v_add_co_ci_u32_e64 v54, null, v49, v67, vcc_lo
	v_min_f32_e32 v52, v55, v52
	v_add_co_u32 v55, vcc_lo, v50, v64
	v_add_co_ci_u32_e64 v56, null, v51, v65, vcc_lo
	global_store_dword v[53:54], v52, off
	global_load_dword v52, v[55:56], off
	s_waitcnt vmcnt(0)
	v_mul_f32_e32 v53, s3, v52
.LBB66_114:
	v_add_f32_e32 v52, v29, v45
	v_add_f32_e32 v54, v28, v44
	v_add_f32_e32 v55, v31, v47
	v_add_f32_e32 v56, v30, v46
	v_add_f32_e32 v57, v25, v45
	v_add_f32_e32 v58, v24, v44
	v_min3_f32 v52, v54, v52, v109
	s_mov_b32 s6, -1
	v_min_f32_e32 v54, v56, v55
	v_add_f32_e32 v56, v27, v47
	v_min3_f32 v55, v58, v57, v110
	v_add_f32_e32 v57, v26, v46
	v_min3_f32 v54, v53, v54, v52
	v_add_co_u32 v52, vcc_lo, v48, v64
	v_add_co_ci_u32_e64 v53, null, v49, v65, vcc_lo
	v_min3_f32 v55, v57, v56, v55
	s_mov_b32 vcc_lo, s0
	global_store_dword v[52:53], v54, off
	v_max_f32_e32 v52, v55, v55
	s_cbranch_vccz .LBB66_116
; %bb.115:
	v_add_co_u32 v53, vcc_lo, v48, v70
	v_min_f32_e32 v55, 0, v52
	v_add_co_ci_u32_e64 v54, null, v49, v71, vcc_lo
	s_mov_b32 s6, 0
	global_store_dword v[53:54], v55, off
.LBB66_116:
	v_mov_b32_e32 v53, 0
	s_andn2_b32 vcc_lo, exec_lo, s6
	s_cbranch_vccnz .LBB66_118
; %bb.117:
	v_add_co_u32 v53, vcc_lo, v50, v70
	v_add_co_ci_u32_e64 v54, null, v51, v71, vcc_lo
	global_load_dword v53, v[53:54], off
	s_waitcnt vmcnt(0)
	v_mul_f32_e32 v55, s3, v53
	v_add_co_u32 v53, vcc_lo, v48, v70
	v_add_co_ci_u32_e64 v54, null, v49, v71, vcc_lo
	v_min_f32_e32 v52, v55, v52
	v_add_co_u32 v55, vcc_lo, v50, v68
	v_add_co_ci_u32_e64 v56, null, v51, v69, vcc_lo
	global_store_dword v[53:54], v52, off
	global_load_dword v52, v[55:56], off
	s_waitcnt vmcnt(0)
	v_mul_f32_e32 v53, s3, v52
.LBB66_118:
	v_add_f32_e32 v52, v21, v45
	v_add_f32_e32 v54, v20, v44
	v_add_f32_e32 v55, v23, v47
	v_add_f32_e32 v56, v22, v46
	v_add_f32_e32 v57, v17, v45
	v_add_f32_e32 v58, v16, v44
	v_min3_f32 v52, v54, v52, v107
	s_mov_b32 s6, -1
	v_min_f32_e32 v54, v56, v55
	v_add_f32_e32 v56, v19, v47
	v_min3_f32 v55, v58, v57, v108
	v_add_f32_e32 v57, v18, v46
	v_min3_f32 v54, v53, v54, v52
	v_add_co_u32 v52, vcc_lo, v48, v68
	v_add_co_ci_u32_e64 v53, null, v49, v69, vcc_lo
	v_min3_f32 v55, v57, v56, v55
	s_mov_b32 vcc_lo, s0
	global_store_dword v[52:53], v54, off
	v_max_f32_e32 v52, v55, v55
	;; [unrolled: 46-line block ×3, first 2 shown]
	s_cbranch_vccz .LBB66_124
; %bb.123:
	v_add_co_u32 v53, vcc_lo, v48, v76
	v_min_f32_e32 v55, 0, v52
	v_add_co_ci_u32_e64 v54, null, v49, v77, vcc_lo
	s_mov_b32 s6, 0
	global_store_dword v[53:54], v55, off
.LBB66_124:
	v_mov_b32_e32 v53, 0
	s_andn2_b32 vcc_lo, exec_lo, s6
	s_cbranch_vccnz .LBB66_126
; %bb.125:
	v_add_co_u32 v53, vcc_lo, v50, v76
	v_add_co_ci_u32_e64 v54, null, v51, v77, vcc_lo
	global_load_dword v53, v[53:54], off
	s_waitcnt vmcnt(0)
	v_mul_f32_e32 v55, s3, v53
	v_add_co_u32 v53, vcc_lo, v48, v76
	v_add_co_ci_u32_e64 v54, null, v49, v77, vcc_lo
	v_add_co_u32 v50, vcc_lo, v50, v78
	v_min_f32_e32 v52, v55, v52
	v_add_co_ci_u32_e64 v51, null, v51, v79, vcc_lo
	global_store_dword v[53:54], v52, off
	global_load_dword v50, v[50:51], off
	s_waitcnt vmcnt(0)
	v_mul_f32_e32 v53, s3, v50
.LBB66_126:
	v_add_f32_e32 v45, v1, v45
	v_add_f32_e32 v44, v0, v44
	;; [unrolled: 1-line block ×6, first 2 shown]
	v_min3_f32 v44, v44, v45, v103
	v_add_f32_e32 v52, v34, v42
	v_min_f32_e32 v45, v46, v47
	v_add_nc_u32_e32 v46, 0xa0, v140
	v_min3_f32 v50, v51, v50, v104
	v_add_f32_e32 v51, v35, v43
	v_add_co_u32 v48, vcc_lo, v48, v78
	v_min3_f32 v53, v53, v45, v44
	v_mad_i64_i32 v[44:45], null, v46, s2, 0
	v_mad_i64_i32 v[46:47], null, v46, s1, 0
	v_add_co_ci_u32_e64 v49, null, v49, v79, vcc_lo
	v_min3_f32 v50, v52, v51, v50
	s_mov_b32 s6, -1
	v_lshlrev_b64 v[44:45], 2, v[44:45]
	global_store_dword v[48:49], v53, off
	v_lshlrev_b64 v[46:47], 2, v[46:47]
	v_max_f32_e32 v48, v50, v50
	v_add_co_u32 v44, vcc_lo, s4, v44
	v_add_co_ci_u32_e64 v45, null, s5, v45, vcc_lo
	v_add_co_u32 v46, vcc_lo, s8, v46
	v_add_co_ci_u32_e64 v47, null, s9, v47, vcc_lo
	s_mov_b32 vcc_lo, s0
	s_cbranch_vccz .LBB66_128
; %bb.127:
	v_add_co_u32 v49, vcc_lo, v44, v66
	v_min_f32_e32 v51, 0, v48
	v_add_co_ci_u32_e64 v50, null, v45, v67, vcc_lo
	s_mov_b32 s6, 0
	global_store_dword v[49:50], v51, off
.LBB66_128:
	v_mov_b32_e32 v49, 0
	s_andn2_b32 vcc_lo, exec_lo, s6
	s_cbranch_vccnz .LBB66_130
; %bb.129:
	v_add_co_u32 v49, vcc_lo, v46, v66
	v_add_co_ci_u32_e64 v50, null, v47, v67, vcc_lo
	global_load_dword v49, v[49:50], off
	s_waitcnt vmcnt(0)
	v_mul_f32_e32 v51, s3, v49
	v_add_co_u32 v49, vcc_lo, v44, v66
	v_add_co_ci_u32_e64 v50, null, v45, v67, vcc_lo
	v_min_f32_e32 v48, v51, v48
	v_add_co_u32 v51, vcc_lo, v46, v64
	v_add_co_ci_u32_e64 v52, null, v47, v65, vcc_lo
	global_store_dword v[49:50], v48, off
	global_load_dword v48, v[51:52], off
	s_waitcnt vmcnt(0)
	v_mul_f32_e32 v49, s3, v48
.LBB66_130:
	v_add_f32_e32 v48, v29, v41
	v_add_f32_e32 v50, v28, v40
	v_add_f32_e32 v51, v31, v43
	v_add_f32_e32 v52, v30, v42
	v_add_f32_e32 v53, v25, v41
	v_add_f32_e32 v54, v24, v40
	v_min3_f32 v48, v50, v48, v101
	s_mov_b32 s6, -1
	v_min_f32_e32 v50, v52, v51
	v_add_f32_e32 v52, v27, v43
	v_min3_f32 v51, v54, v53, v102
	v_add_f32_e32 v53, v26, v42
	v_min3_f32 v50, v49, v50, v48
	v_add_co_u32 v48, vcc_lo, v44, v64
	v_add_co_ci_u32_e64 v49, null, v45, v65, vcc_lo
	v_min3_f32 v51, v53, v52, v51
	s_mov_b32 vcc_lo, s0
	global_store_dword v[48:49], v50, off
	v_max_f32_e32 v48, v51, v51
	s_cbranch_vccz .LBB66_132
; %bb.131:
	v_add_co_u32 v49, vcc_lo, v44, v70
	v_min_f32_e32 v51, 0, v48
	v_add_co_ci_u32_e64 v50, null, v45, v71, vcc_lo
	s_mov_b32 s6, 0
	global_store_dword v[49:50], v51, off
.LBB66_132:
	v_mov_b32_e32 v49, 0
	s_andn2_b32 vcc_lo, exec_lo, s6
	s_cbranch_vccnz .LBB66_134
; %bb.133:
	v_add_co_u32 v49, vcc_lo, v46, v70
	v_add_co_ci_u32_e64 v50, null, v47, v71, vcc_lo
	global_load_dword v49, v[49:50], off
	s_waitcnt vmcnt(0)
	v_mul_f32_e32 v51, s3, v49
	v_add_co_u32 v49, vcc_lo, v44, v70
	v_add_co_ci_u32_e64 v50, null, v45, v71, vcc_lo
	v_min_f32_e32 v48, v51, v48
	v_add_co_u32 v51, vcc_lo, v46, v68
	v_add_co_ci_u32_e64 v52, null, v47, v69, vcc_lo
	global_store_dword v[49:50], v48, off
	global_load_dword v48, v[51:52], off
	s_waitcnt vmcnt(0)
	v_mul_f32_e32 v49, s3, v48
.LBB66_134:
	v_add_f32_e32 v48, v21, v41
	v_add_f32_e32 v50, v20, v40
	v_add_f32_e32 v51, v23, v43
	v_add_f32_e32 v52, v22, v42
	v_add_f32_e32 v53, v17, v41
	v_add_f32_e32 v54, v16, v40
	v_min3_f32 v48, v50, v48, v99
	s_mov_b32 s6, -1
	v_min_f32_e32 v50, v52, v51
	v_add_f32_e32 v52, v19, v43
	v_min3_f32 v51, v54, v53, v100
	v_add_f32_e32 v53, v18, v42
	v_min3_f32 v50, v49, v50, v48
	v_add_co_u32 v48, vcc_lo, v44, v68
	v_add_co_ci_u32_e64 v49, null, v45, v69, vcc_lo
	v_min3_f32 v51, v53, v52, v51
	s_mov_b32 vcc_lo, s0
	global_store_dword v[48:49], v50, off
	v_max_f32_e32 v48, v51, v51
	;; [unrolled: 46-line block ×3, first 2 shown]
	s_cbranch_vccz .LBB66_140
; %bb.139:
	v_add_co_u32 v49, vcc_lo, v44, v76
	v_min_f32_e32 v51, 0, v48
	v_add_co_ci_u32_e64 v50, null, v45, v77, vcc_lo
	s_mov_b32 s6, 0
	global_store_dword v[49:50], v51, off
.LBB66_140:
	v_mov_b32_e32 v49, 0
	s_andn2_b32 vcc_lo, exec_lo, s6
	s_cbranch_vccnz .LBB66_142
; %bb.141:
	v_add_co_u32 v49, vcc_lo, v46, v76
	v_add_co_ci_u32_e64 v50, null, v47, v77, vcc_lo
	global_load_dword v49, v[49:50], off
	s_waitcnt vmcnt(0)
	v_mul_f32_e32 v51, s3, v49
	v_add_co_u32 v49, vcc_lo, v44, v76
	v_add_co_ci_u32_e64 v50, null, v45, v77, vcc_lo
	v_add_co_u32 v46, vcc_lo, v46, v78
	v_min_f32_e32 v48, v51, v48
	v_add_co_ci_u32_e64 v47, null, v47, v79, vcc_lo
	global_store_dword v[49:50], v48, off
	global_load_dword v46, v[46:47], off
	s_waitcnt vmcnt(0)
	v_mul_f32_e32 v49, s3, v46
.LBB66_142:
	v_add_f32_e32 v41, v1, v41
	v_add_f32_e32 v40, v0, v40
	v_add_f32_e32 v43, v3, v43
	v_add_f32_e32 v42, v2, v42
	v_add_f32_e32 v46, v33, v37
	v_add_f32_e32 v47, v32, v36
	v_min3_f32 v40, v40, v41, v95
	v_add_f32_e32 v48, v34, v38
	v_min_f32_e32 v41, v42, v43
	v_add_nc_u32_e32 v42, 0xc0, v140
	v_min3_f32 v46, v47, v46, v96
	v_add_f32_e32 v47, v35, v39
	v_add_co_u32 v44, vcc_lo, v44, v78
	v_min3_f32 v49, v49, v41, v40
	v_mad_i64_i32 v[40:41], null, v42, s2, 0
	v_mad_i64_i32 v[42:43], null, v42, s1, 0
	v_add_co_ci_u32_e64 v45, null, v45, v79, vcc_lo
	v_min3_f32 v46, v48, v47, v46
	s_mov_b32 s6, -1
	v_lshlrev_b64 v[40:41], 2, v[40:41]
	global_store_dword v[44:45], v49, off
	v_lshlrev_b64 v[42:43], 2, v[42:43]
	v_max_f32_e32 v44, v46, v46
	v_add_co_u32 v40, vcc_lo, s4, v40
	v_add_co_ci_u32_e64 v41, null, s5, v41, vcc_lo
	v_add_co_u32 v42, vcc_lo, s8, v42
	v_add_co_ci_u32_e64 v43, null, s9, v43, vcc_lo
	s_mov_b32 vcc_lo, s0
	s_cbranch_vccz .LBB66_144
; %bb.143:
	v_add_co_u32 v45, vcc_lo, v40, v66
	v_min_f32_e32 v47, 0, v44
	v_add_co_ci_u32_e64 v46, null, v41, v67, vcc_lo
	s_mov_b32 s6, 0
	global_store_dword v[45:46], v47, off
.LBB66_144:
	v_mov_b32_e32 v45, 0
	s_andn2_b32 vcc_lo, exec_lo, s6
	s_cbranch_vccnz .LBB66_146
; %bb.145:
	v_add_co_u32 v45, vcc_lo, v42, v66
	v_add_co_ci_u32_e64 v46, null, v43, v67, vcc_lo
	global_load_dword v45, v[45:46], off
	s_waitcnt vmcnt(0)
	v_mul_f32_e32 v47, s3, v45
	v_add_co_u32 v45, vcc_lo, v40, v66
	v_add_co_ci_u32_e64 v46, null, v41, v67, vcc_lo
	v_min_f32_e32 v44, v47, v44
	v_add_co_u32 v47, vcc_lo, v42, v64
	v_add_co_ci_u32_e64 v48, null, v43, v65, vcc_lo
	global_store_dword v[45:46], v44, off
	global_load_dword v44, v[47:48], off
	s_waitcnt vmcnt(0)
	v_mul_f32_e32 v45, s3, v44
.LBB66_146:
	v_add_f32_e32 v44, v29, v37
	v_add_f32_e32 v46, v28, v36
	v_add_f32_e32 v47, v31, v39
	v_add_f32_e32 v48, v30, v38
	v_add_f32_e32 v49, v25, v37
	v_add_f32_e32 v50, v24, v36
	v_min3_f32 v44, v46, v44, v93
	s_mov_b32 s6, -1
	v_min_f32_e32 v46, v48, v47
	v_add_f32_e32 v48, v27, v39
	v_min3_f32 v47, v50, v49, v94
	v_add_f32_e32 v49, v26, v38
	v_min3_f32 v46, v45, v46, v44
	v_add_co_u32 v44, vcc_lo, v40, v64
	v_add_co_ci_u32_e64 v45, null, v41, v65, vcc_lo
	v_min3_f32 v47, v49, v48, v47
	s_mov_b32 vcc_lo, s0
	global_store_dword v[44:45], v46, off
	v_max_f32_e32 v44, v47, v47
	s_cbranch_vccz .LBB66_148
; %bb.147:
	v_add_co_u32 v45, vcc_lo, v40, v70
	v_min_f32_e32 v47, 0, v44
	v_add_co_ci_u32_e64 v46, null, v41, v71, vcc_lo
	s_mov_b32 s6, 0
	global_store_dword v[45:46], v47, off
.LBB66_148:
	v_mov_b32_e32 v45, 0
	s_andn2_b32 vcc_lo, exec_lo, s6
	s_cbranch_vccnz .LBB66_150
; %bb.149:
	v_add_co_u32 v45, vcc_lo, v42, v70
	v_add_co_ci_u32_e64 v46, null, v43, v71, vcc_lo
	global_load_dword v45, v[45:46], off
	s_waitcnt vmcnt(0)
	v_mul_f32_e32 v47, s3, v45
	v_add_co_u32 v45, vcc_lo, v40, v70
	v_add_co_ci_u32_e64 v46, null, v41, v71, vcc_lo
	v_min_f32_e32 v44, v47, v44
	v_add_co_u32 v47, vcc_lo, v42, v68
	v_add_co_ci_u32_e64 v48, null, v43, v69, vcc_lo
	global_store_dword v[45:46], v44, off
	global_load_dword v44, v[47:48], off
	s_waitcnt vmcnt(0)
	v_mul_f32_e32 v45, s3, v44
.LBB66_150:
	v_add_f32_e32 v44, v21, v37
	v_add_f32_e32 v46, v20, v36
	v_add_f32_e32 v47, v23, v39
	v_add_f32_e32 v48, v22, v38
	v_add_f32_e32 v49, v17, v37
	v_add_f32_e32 v50, v16, v36
	v_min3_f32 v44, v46, v44, v91
	s_mov_b32 s6, -1
	v_min_f32_e32 v46, v48, v47
	v_add_f32_e32 v48, v19, v39
	v_min3_f32 v47, v50, v49, v92
	v_add_f32_e32 v49, v18, v38
	v_min3_f32 v46, v45, v46, v44
	v_add_co_u32 v44, vcc_lo, v40, v68
	v_add_co_ci_u32_e64 v45, null, v41, v69, vcc_lo
	v_min3_f32 v47, v49, v48, v47
	s_mov_b32 vcc_lo, s0
	global_store_dword v[44:45], v46, off
	v_max_f32_e32 v44, v47, v47
	;; [unrolled: 46-line block ×3, first 2 shown]
	s_cbranch_vccz .LBB66_156
; %bb.155:
	v_add_co_u32 v45, vcc_lo, v40, v76
	v_min_f32_e32 v47, 0, v44
	v_add_co_ci_u32_e64 v46, null, v41, v77, vcc_lo
	s_mov_b32 s6, 0
	global_store_dword v[45:46], v47, off
.LBB66_156:
	v_mov_b32_e32 v45, 0
	s_andn2_b32 vcc_lo, exec_lo, s6
	s_cbranch_vccnz .LBB66_158
; %bb.157:
	v_add_co_u32 v45, vcc_lo, v42, v76
	v_add_co_ci_u32_e64 v46, null, v43, v77, vcc_lo
	global_load_dword v45, v[45:46], off
	s_waitcnt vmcnt(0)
	v_mul_f32_e32 v47, s3, v45
	v_add_co_u32 v45, vcc_lo, v40, v76
	v_add_co_ci_u32_e64 v46, null, v41, v77, vcc_lo
	v_add_co_u32 v42, vcc_lo, v42, v78
	v_min_f32_e32 v44, v47, v44
	v_add_co_ci_u32_e64 v43, null, v43, v79, vcc_lo
	global_store_dword v[45:46], v44, off
	global_load_dword v42, v[42:43], off
	s_waitcnt vmcnt(0)
	v_mul_f32_e32 v45, s3, v42
.LBB66_158:
	v_add_f32_e32 v37, v1, v37
	v_add_f32_e32 v36, v0, v36
	;; [unrolled: 1-line block ×4, first 2 shown]
	s_waitcnt lgkmcnt(0)
	v_add_f32_e32 v33, v33, v5
	v_add_f32_e32 v32, v32, v4
	v_min3_f32 v36, v36, v37, v87
	v_add_f32_e32 v42, v35, v7
	v_min_f32_e32 v37, v38, v39
	v_add_nc_u32_e32 v39, 0xe0, v140
	v_min3_f32 v38, v32, v33, v88
	v_add_f32_e32 v43, v34, v6
	v_min3_f32 v44, v45, v37, v36
	v_mad_i64_i32 v[32:33], null, v39, s2, 0
	v_mad_i64_i32 v[34:35], null, v39, s1, 0
	v_add_co_u32 v36, vcc_lo, v40, v78
	v_add_co_ci_u32_e64 v37, null, v41, v79, vcc_lo
	v_lshlrev_b64 v[32:33], 2, v[32:33]
	v_min3_f32 v38, v43, v42, v38
	v_lshlrev_b64 v[34:35], 2, v[34:35]
	global_store_dword v[36:37], v44, off
	s_mov_b32 s1, -1
	v_add_co_u32 v32, vcc_lo, s4, v32
	v_add_co_ci_u32_e64 v33, null, s5, v33, vcc_lo
	v_add_co_u32 v34, vcc_lo, s8, v34
	v_add_co_ci_u32_e64 v35, null, s9, v35, vcc_lo
	v_max_f32_e32 v36, v38, v38
	s_mov_b32 vcc_lo, s0
	s_cbranch_vccz .LBB66_160
; %bb.159:
	v_add_co_u32 v37, vcc_lo, v32, v66
	v_min_f32_e32 v39, 0, v36
	v_add_co_ci_u32_e64 v38, null, v33, v67, vcc_lo
	s_mov_b32 s1, 0
	global_store_dword v[37:38], v39, off
.LBB66_160:
	v_mov_b32_e32 v37, 0
	s_andn2_b32 vcc_lo, exec_lo, s1
	s_cbranch_vccnz .LBB66_162
; %bb.161:
	v_add_co_u32 v37, vcc_lo, v34, v66
	v_add_co_ci_u32_e64 v38, null, v35, v67, vcc_lo
	global_load_dword v37, v[37:38], off
	s_waitcnt vmcnt(0)
	v_mul_f32_e32 v39, s3, v37
	v_add_co_u32 v37, vcc_lo, v32, v66
	v_add_co_ci_u32_e64 v38, null, v33, v67, vcc_lo
	v_min_f32_e32 v36, v39, v36
	v_add_co_u32 v39, vcc_lo, v34, v64
	v_add_co_ci_u32_e64 v40, null, v35, v65, vcc_lo
	global_store_dword v[37:38], v36, off
	global_load_dword v36, v[39:40], off
	s_waitcnt vmcnt(0)
	v_mul_f32_e32 v37, s3, v36
.LBB66_162:
	v_add_f32_e32 v29, v29, v5
	v_add_f32_e32 v28, v28, v4
	v_add_f32_e32 v31, v31, v7
	v_add_f32_e32 v30, v30, v6
	v_add_f32_e32 v25, v25, v5
	v_add_f32_e32 v24, v24, v4
	v_min3_f32 v28, v28, v29, v86
	v_add_f32_e32 v27, v27, v7
	v_min_f32_e32 v29, v30, v31
	v_add_f32_e32 v26, v26, v6
	v_min3_f32 v30, v24, v25, v85
	v_add_co_u32 v24, vcc_lo, v32, v64
	v_min3_f32 v28, v37, v29, v28
	v_add_co_ci_u32_e64 v25, null, v33, v65, vcc_lo
	v_min3_f32 v26, v26, v27, v30
	s_mov_b32 s1, -1
	s_mov_b32 vcc_lo, s0
	global_store_dword v[24:25], v28, off
	v_max_f32_e32 v24, v26, v26
	s_cbranch_vccz .LBB66_164
; %bb.163:
	v_add_co_u32 v25, vcc_lo, v32, v70
	v_min_f32_e32 v27, 0, v24
	v_add_co_ci_u32_e64 v26, null, v33, v71, vcc_lo
	s_mov_b32 s1, 0
	global_store_dword v[25:26], v27, off
.LBB66_164:
	v_mov_b32_e32 v25, 0
	s_andn2_b32 vcc_lo, exec_lo, s1
	s_cbranch_vccnz .LBB66_166
; %bb.165:
	v_add_co_u32 v25, vcc_lo, v34, v70
	v_add_co_ci_u32_e64 v26, null, v35, v71, vcc_lo
	global_load_dword v25, v[25:26], off
	s_waitcnt vmcnt(0)
	v_mul_f32_e32 v27, s3, v25
	v_add_co_u32 v25, vcc_lo, v32, v70
	v_add_co_ci_u32_e64 v26, null, v33, v71, vcc_lo
	v_min_f32_e32 v24, v27, v24
	v_add_co_u32 v27, vcc_lo, v34, v68
	v_add_co_ci_u32_e64 v28, null, v35, v69, vcc_lo
	global_store_dword v[25:26], v24, off
	global_load_dword v24, v[27:28], off
	s_waitcnt vmcnt(0)
	v_mul_f32_e32 v25, s3, v24
.LBB66_166:
	v_add_f32_e32 v21, v21, v5
	v_add_f32_e32 v20, v20, v4
	v_add_f32_e32 v23, v23, v7
	v_add_f32_e32 v22, v22, v6
	v_add_f32_e32 v17, v17, v5
	v_add_f32_e32 v16, v16, v4
	v_min3_f32 v20, v20, v21, v82
	v_add_f32_e32 v19, v19, v7
	v_min_f32_e32 v21, v22, v23
	v_add_f32_e32 v18, v18, v6
	v_min3_f32 v22, v16, v17, v83
	v_add_co_u32 v16, vcc_lo, v32, v68
	v_min3_f32 v20, v25, v21, v20
	v_add_co_ci_u32_e64 v17, null, v33, v69, vcc_lo
	v_min3_f32 v18, v18, v19, v22
	s_mov_b32 s1, -1
	s_mov_b32 vcc_lo, s0
	global_store_dword v[16:17], v20, off
	v_max_f32_e32 v16, v18, v18
	s_cbranch_vccz .LBB66_168
; %bb.167:
	v_add_co_u32 v17, vcc_lo, v32, v74
	v_min_f32_e32 v19, 0, v16
	v_add_co_ci_u32_e64 v18, null, v33, v75, vcc_lo
	s_mov_b32 s1, 0
	global_store_dword v[17:18], v19, off
.LBB66_168:
	v_mov_b32_e32 v17, 0
	s_andn2_b32 vcc_lo, exec_lo, s1
	s_cbranch_vccnz .LBB66_170
; %bb.169:
	v_add_co_u32 v17, vcc_lo, v34, v74
	v_add_co_ci_u32_e64 v18, null, v35, v75, vcc_lo
	global_load_dword v17, v[17:18], off
	s_waitcnt vmcnt(0)
	v_mul_f32_e32 v19, s3, v17
	v_add_co_u32 v17, vcc_lo, v32, v74
	v_add_co_ci_u32_e64 v18, null, v33, v75, vcc_lo
	v_min_f32_e32 v16, v19, v16
	v_add_co_u32 v19, vcc_lo, v34, v72
	v_add_co_ci_u32_e64 v20, null, v35, v73, vcc_lo
	global_store_dword v[17:18], v16, off
	global_load_dword v16, v[19:20], off
	s_waitcnt vmcnt(0)
	v_mul_f32_e32 v17, s3, v16
.LBB66_170:
	v_add_f32_e32 v13, v13, v5
	v_add_f32_e32 v12, v12, v4
	v_add_f32_e32 v15, v15, v7
	v_add_f32_e32 v14, v14, v6
	v_add_f32_e32 v9, v9, v5
	v_add_f32_e32 v8, v8, v4
	v_min3_f32 v12, v12, v13, v80
	v_add_f32_e32 v11, v11, v7
	v_min_f32_e32 v13, v14, v15
	v_add_f32_e32 v10, v10, v6
	v_min3_f32 v14, v8, v9, v81
	v_add_co_u32 v8, vcc_lo, v32, v72
	v_min3_f32 v12, v17, v13, v12
	v_add_co_ci_u32_e64 v9, null, v33, v73, vcc_lo
	v_min3_f32 v10, v10, v11, v14
	s_mov_b32 s1, -1
	s_mov_b32 vcc_lo, s0
	global_store_dword v[8:9], v12, off
	v_max_f32_e32 v8, v10, v10
	s_cbranch_vccz .LBB66_172
; %bb.171:
	v_add_co_u32 v9, vcc_lo, v32, v76
	v_min_f32_e32 v11, 0, v8
	v_add_co_ci_u32_e64 v10, null, v33, v77, vcc_lo
	s_mov_b32 s1, 0
	global_store_dword v[9:10], v11, off
.LBB66_172:
	v_mov_b32_e32 v9, 0
	s_andn2_b32 vcc_lo, exec_lo, s1
	s_cbranch_vccnz .LBB66_174
; %bb.173:
	v_add_co_u32 v9, vcc_lo, v34, v76
	v_add_co_ci_u32_e64 v10, null, v35, v77, vcc_lo
	global_load_dword v9, v[9:10], off
	s_waitcnt vmcnt(0)
	v_mul_f32_e32 v11, s3, v9
	v_add_co_u32 v9, vcc_lo, v32, v76
	v_add_co_ci_u32_e64 v10, null, v33, v77, vcc_lo
	v_min_f32_e32 v8, v11, v8
	v_add_co_u32 v11, vcc_lo, v34, v78
	v_add_co_ci_u32_e64 v12, null, v35, v79, vcc_lo
	global_store_dword v[9:10], v8, off
	global_load_dword v8, v[11:12], off
	s_waitcnt vmcnt(0)
	v_mul_f32_e32 v9, s3, v8
.LBB66_174:
	v_add_f32_e32 v3, v3, v7
	v_add_f32_e32 v2, v2, v6
	;; [unrolled: 1-line block ×4, first 2 shown]
	v_min_f32_e32 v2, v2, v3
	v_min3_f32 v0, v0, v1, v84
	v_min3_f32 v2, v9, v2, v0
	v_add_co_u32 v0, vcc_lo, v32, v78
	v_add_co_ci_u32_e64 v1, null, v33, v79, vcc_lo
	global_store_dword v[0:1], v2, off
	s_endpgm
	.section	.rodata,"a",@progbits
	.p2align	6, 0x0
	.amdhsa_kernel _ZN12_GLOBAL__N_120geam_min_plus_kernelIf15HIP_vector_typeIfLj2EEfLi8ELi32ELi64ELi256ELi4ELi64ELi4ELi64ELi4ELc78ELc84ELb0ELb0ELb1EPKfS3_fEEviiiT16_PT17_ilS7_ilS5_S7_ilPT18_ili26rocblas_geam_ex_operation_
		.amdhsa_group_segment_fixed_size 10240
		.amdhsa_private_segment_fixed_size 0
		.amdhsa_kernarg_size 136
		.amdhsa_user_sgpr_count 6
		.amdhsa_user_sgpr_private_segment_buffer 1
		.amdhsa_user_sgpr_dispatch_ptr 0
		.amdhsa_user_sgpr_queue_ptr 0
		.amdhsa_user_sgpr_kernarg_segment_ptr 1
		.amdhsa_user_sgpr_dispatch_id 0
		.amdhsa_user_sgpr_flat_scratch_init 0
		.amdhsa_user_sgpr_private_segment_size 0
		.amdhsa_wavefront_size32 1
		.amdhsa_uses_dynamic_stack 0
		.amdhsa_system_sgpr_private_segment_wavefront_offset 0
		.amdhsa_system_sgpr_workgroup_id_x 1
		.amdhsa_system_sgpr_workgroup_id_y 0
		.amdhsa_system_sgpr_workgroup_id_z 1
		.amdhsa_system_sgpr_workgroup_info 0
		.amdhsa_system_vgpr_workitem_id 1
		.amdhsa_next_free_vgpr 171
		.amdhsa_next_free_sgpr 25
		.amdhsa_reserve_vcc 1
		.amdhsa_reserve_flat_scratch 0
		.amdhsa_float_round_mode_32 0
		.amdhsa_float_round_mode_16_64 0
		.amdhsa_float_denorm_mode_32 3
		.amdhsa_float_denorm_mode_16_64 3
		.amdhsa_dx10_clamp 1
		.amdhsa_ieee_mode 1
		.amdhsa_fp16_overflow 0
		.amdhsa_workgroup_processor_mode 1
		.amdhsa_memory_ordered 1
		.amdhsa_forward_progress 1
		.amdhsa_shared_vgpr_count 0
		.amdhsa_exception_fp_ieee_invalid_op 0
		.amdhsa_exception_fp_denorm_src 0
		.amdhsa_exception_fp_ieee_div_zero 0
		.amdhsa_exception_fp_ieee_overflow 0
		.amdhsa_exception_fp_ieee_underflow 0
		.amdhsa_exception_fp_ieee_inexact 0
		.amdhsa_exception_int_div_zero 0
	.end_amdhsa_kernel
	.section	.text._ZN12_GLOBAL__N_120geam_min_plus_kernelIf15HIP_vector_typeIfLj2EEfLi8ELi32ELi64ELi256ELi4ELi64ELi4ELi64ELi4ELc78ELc84ELb0ELb0ELb1EPKfS3_fEEviiiT16_PT17_ilS7_ilS5_S7_ilPT18_ili26rocblas_geam_ex_operation_,"axG",@progbits,_ZN12_GLOBAL__N_120geam_min_plus_kernelIf15HIP_vector_typeIfLj2EEfLi8ELi32ELi64ELi256ELi4ELi64ELi4ELi64ELi4ELc78ELc84ELb0ELb0ELb1EPKfS3_fEEviiiT16_PT17_ilS7_ilS5_S7_ilPT18_ili26rocblas_geam_ex_operation_,comdat
.Lfunc_end66:
	.size	_ZN12_GLOBAL__N_120geam_min_plus_kernelIf15HIP_vector_typeIfLj2EEfLi8ELi32ELi64ELi256ELi4ELi64ELi4ELi64ELi4ELc78ELc84ELb0ELb0ELb1EPKfS3_fEEviiiT16_PT17_ilS7_ilS5_S7_ilPT18_ili26rocblas_geam_ex_operation_, .Lfunc_end66-_ZN12_GLOBAL__N_120geam_min_plus_kernelIf15HIP_vector_typeIfLj2EEfLi8ELi32ELi64ELi256ELi4ELi64ELi4ELi64ELi4ELc78ELc84ELb0ELb0ELb1EPKfS3_fEEviiiT16_PT17_ilS7_ilS5_S7_ilPT18_ili26rocblas_geam_ex_operation_
                                        ; -- End function
	.set _ZN12_GLOBAL__N_120geam_min_plus_kernelIf15HIP_vector_typeIfLj2EEfLi8ELi32ELi64ELi256ELi4ELi64ELi4ELi64ELi4ELc78ELc84ELb0ELb0ELb1EPKfS3_fEEviiiT16_PT17_ilS7_ilS5_S7_ilPT18_ili26rocblas_geam_ex_operation_.num_vgpr, 171
	.set _ZN12_GLOBAL__N_120geam_min_plus_kernelIf15HIP_vector_typeIfLj2EEfLi8ELi32ELi64ELi256ELi4ELi64ELi4ELi64ELi4ELc78ELc84ELb0ELb0ELb1EPKfS3_fEEviiiT16_PT17_ilS7_ilS5_S7_ilPT18_ili26rocblas_geam_ex_operation_.num_agpr, 0
	.set _ZN12_GLOBAL__N_120geam_min_plus_kernelIf15HIP_vector_typeIfLj2EEfLi8ELi32ELi64ELi256ELi4ELi64ELi4ELi64ELi4ELc78ELc84ELb0ELb0ELb1EPKfS3_fEEviiiT16_PT17_ilS7_ilS5_S7_ilPT18_ili26rocblas_geam_ex_operation_.numbered_sgpr, 25
	.set _ZN12_GLOBAL__N_120geam_min_plus_kernelIf15HIP_vector_typeIfLj2EEfLi8ELi32ELi64ELi256ELi4ELi64ELi4ELi64ELi4ELc78ELc84ELb0ELb0ELb1EPKfS3_fEEviiiT16_PT17_ilS7_ilS5_S7_ilPT18_ili26rocblas_geam_ex_operation_.num_named_barrier, 0
	.set _ZN12_GLOBAL__N_120geam_min_plus_kernelIf15HIP_vector_typeIfLj2EEfLi8ELi32ELi64ELi256ELi4ELi64ELi4ELi64ELi4ELc78ELc84ELb0ELb0ELb1EPKfS3_fEEviiiT16_PT17_ilS7_ilS5_S7_ilPT18_ili26rocblas_geam_ex_operation_.private_seg_size, 0
	.set _ZN12_GLOBAL__N_120geam_min_plus_kernelIf15HIP_vector_typeIfLj2EEfLi8ELi32ELi64ELi256ELi4ELi64ELi4ELi64ELi4ELc78ELc84ELb0ELb0ELb1EPKfS3_fEEviiiT16_PT17_ilS7_ilS5_S7_ilPT18_ili26rocblas_geam_ex_operation_.uses_vcc, 1
	.set _ZN12_GLOBAL__N_120geam_min_plus_kernelIf15HIP_vector_typeIfLj2EEfLi8ELi32ELi64ELi256ELi4ELi64ELi4ELi64ELi4ELc78ELc84ELb0ELb0ELb1EPKfS3_fEEviiiT16_PT17_ilS7_ilS5_S7_ilPT18_ili26rocblas_geam_ex_operation_.uses_flat_scratch, 0
	.set _ZN12_GLOBAL__N_120geam_min_plus_kernelIf15HIP_vector_typeIfLj2EEfLi8ELi32ELi64ELi256ELi4ELi64ELi4ELi64ELi4ELc78ELc84ELb0ELb0ELb1EPKfS3_fEEviiiT16_PT17_ilS7_ilS5_S7_ilPT18_ili26rocblas_geam_ex_operation_.has_dyn_sized_stack, 0
	.set _ZN12_GLOBAL__N_120geam_min_plus_kernelIf15HIP_vector_typeIfLj2EEfLi8ELi32ELi64ELi256ELi4ELi64ELi4ELi64ELi4ELc78ELc84ELb0ELb0ELb1EPKfS3_fEEviiiT16_PT17_ilS7_ilS5_S7_ilPT18_ili26rocblas_geam_ex_operation_.has_recursion, 0
	.set _ZN12_GLOBAL__N_120geam_min_plus_kernelIf15HIP_vector_typeIfLj2EEfLi8ELi32ELi64ELi256ELi4ELi64ELi4ELi64ELi4ELc78ELc84ELb0ELb0ELb1EPKfS3_fEEviiiT16_PT17_ilS7_ilS5_S7_ilPT18_ili26rocblas_geam_ex_operation_.has_indirect_call, 0
	.section	.AMDGPU.csdata,"",@progbits
; Kernel info:
; codeLenInByte = 17584
; TotalNumSgprs: 27
; NumVgprs: 171
; ScratchSize: 0
; MemoryBound: 0
; FloatMode: 240
; IeeeMode: 1
; LDSByteSize: 10240 bytes/workgroup (compile time only)
; SGPRBlocks: 0
; VGPRBlocks: 21
; NumSGPRsForWavesPerEU: 27
; NumVGPRsForWavesPerEU: 171
; Occupancy: 5
; WaveLimiterHint : 1
; COMPUTE_PGM_RSRC2:SCRATCH_EN: 0
; COMPUTE_PGM_RSRC2:USER_SGPR: 6
; COMPUTE_PGM_RSRC2:TRAP_HANDLER: 0
; COMPUTE_PGM_RSRC2:TGID_X_EN: 1
; COMPUTE_PGM_RSRC2:TGID_Y_EN: 0
; COMPUTE_PGM_RSRC2:TGID_Z_EN: 1
; COMPUTE_PGM_RSRC2:TIDIG_COMP_CNT: 1
	.section	.text._ZN12_GLOBAL__N_120geam_min_plus_kernelIf15HIP_vector_typeIfLj2EEfLi8ELi32ELi64ELi256ELi4ELi64ELi4ELi64ELi4ELc78ELc84ELb1ELb0ELb1EfKffEEviiiT16_PT17_ilS6_ilS4_S6_ilPT18_ili26rocblas_geam_ex_operation_,"axG",@progbits,_ZN12_GLOBAL__N_120geam_min_plus_kernelIf15HIP_vector_typeIfLj2EEfLi8ELi32ELi64ELi256ELi4ELi64ELi4ELi64ELi4ELc78ELc84ELb1ELb0ELb1EfKffEEviiiT16_PT17_ilS6_ilS4_S6_ilPT18_ili26rocblas_geam_ex_operation_,comdat
	.globl	_ZN12_GLOBAL__N_120geam_min_plus_kernelIf15HIP_vector_typeIfLj2EEfLi8ELi32ELi64ELi256ELi4ELi64ELi4ELi64ELi4ELc78ELc84ELb1ELb0ELb1EfKffEEviiiT16_PT17_ilS6_ilS4_S6_ilPT18_ili26rocblas_geam_ex_operation_ ; -- Begin function _ZN12_GLOBAL__N_120geam_min_plus_kernelIf15HIP_vector_typeIfLj2EEfLi8ELi32ELi64ELi256ELi4ELi64ELi4ELi64ELi4ELc78ELc84ELb1ELb0ELb1EfKffEEviiiT16_PT17_ilS6_ilS4_S6_ilPT18_ili26rocblas_geam_ex_operation_
	.p2align	8
	.type	_ZN12_GLOBAL__N_120geam_min_plus_kernelIf15HIP_vector_typeIfLj2EEfLi8ELi32ELi64ELi256ELi4ELi64ELi4ELi64ELi4ELc78ELc84ELb1ELb0ELb1EfKffEEviiiT16_PT17_ilS6_ilS4_S6_ilPT18_ili26rocblas_geam_ex_operation_,@function
_ZN12_GLOBAL__N_120geam_min_plus_kernelIf15HIP_vector_typeIfLj2EEfLi8ELi32ELi64ELi256ELi4ELi64ELi4ELi64ELi4ELc78ELc84ELb1ELb0ELb1EfKffEEviiiT16_PT17_ilS6_ilS4_S6_ilPT18_ili26rocblas_geam_ex_operation_: ; @_ZN12_GLOBAL__N_120geam_min_plus_kernelIf15HIP_vector_typeIfLj2EEfLi8ELi32ELi64ELi256ELi4ELi64ELi4ELi64ELi4ELc78ELc84ELb1ELb0ELb1EfKffEEviiiT16_PT17_ilS6_ilS4_S6_ilPT18_ili26rocblas_geam_ex_operation_
; %bb.0:
	s_clause 0x1
	s_load_dwordx2 s[16:17], s[4:5], 0x8
	s_load_dwordx4 s[0:3], s[4:5], 0x20
	s_waitcnt lgkmcnt(0)
	v_cmp_eq_f32_e64 s8, s17, 0
	s_and_b32 vcc_lo, exec_lo, s8
	s_cbranch_vccnz .LBB67_139
; %bb.1:
	s_load_dwordx2 s[10:11], s[4:5], 0x10
	s_mul_i32 s1, s1, s7
	s_mul_hi_u32 s9, s0, s7
	s_mul_i32 s0, s0, s7
	s_add_i32 s1, s9, s1
	s_lshl_b64 s[0:1], s[0:1], 2
	s_waitcnt lgkmcnt(0)
	s_add_u32 s14, s10, s0
	s_addc_u32 s15, s11, s1
	s_andn2_b32 vcc_lo, exec_lo, s8
	s_mov_b32 s0, -1
	s_cbranch_vccnz .LBB67_3
.LBB67_2:
	s_mov_b32 s0, 0
.LBB67_3:
	s_mov_b64 s[12:13], 0
	s_andn2_b32 vcc_lo, exec_lo, s0
	s_mov_b64 s[18:19], 0
	s_cbranch_vccnz .LBB67_5
; %bb.4:
	s_load_dwordx2 s[0:1], s[4:5], 0x38
	s_waitcnt lgkmcnt(0)
	s_mul_i32 s1, s1, s7
	s_mul_hi_u32 s8, s0, s7
	s_mul_i32 s0, s0, s7
	s_add_i32 s1, s8, s1
	s_lshl_b64 s[0:1], s[0:1], 2
	s_add_u32 s18, s2, s0
	s_addc_u32 s19, s3, s1
.LBB67_5:
	s_clause 0x1
	s_load_dword s1, s[4:5], 0x40
	s_load_dwordx4 s[8:11], s[4:5], 0x58
	s_waitcnt lgkmcnt(0)
	v_cmp_eq_f32_e64 s0, s1, 0
	s_and_b32 s0, exec_lo, s0
	s_mov_b32 vcc_lo, s0
	s_cbranch_vccnz .LBB67_7
; %bb.6:
	s_load_dwordx2 s[2:3], s[4:5], 0x48
	s_mul_i32 s9, s9, s7
	s_mul_hi_u32 s12, s8, s7
	s_mul_i32 s8, s8, s7
	s_add_i32 s9, s12, s9
	s_lshl_b64 s[8:9], s[8:9], 2
	s_waitcnt lgkmcnt(0)
	s_add_u32 s12, s2, s8
	s_addc_u32 s13, s3, s9
.LBB67_7:
	s_clause 0x2
	s_load_dword s3, s[4:5], 0x0
	s_load_dword s2, s[4:5], 0x18
	;; [unrolled: 1-line block ×3, first 2 shown]
	v_lshlrev_b32_e32 v72, 4, v0
	v_lshlrev_b32_e32 v73, 4, v1
	s_waitcnt lgkmcnt(0)
	s_add_i32 s3, s3, -1
	s_ashr_i32 s9, s3, 31
	s_lshr_b32 s9, s9, 26
	s_add_i32 s3, s3, s9
	s_ashr_i32 s3, s3, 6
	s_add_i32 s9, s3, 1
	s_not_b32 s3, s3
	v_cvt_f32_u32_e32 v2, s9
	v_rcp_iflag_f32_e32 v2, v2
	v_mul_f32_e32 v2, 0x4f7ffffe, v2
	v_cvt_u32_f32_e32 v2, v2
	v_readfirstlane_b32 s17, v2
	v_lshl_add_u32 v2, v1, 3, v0
	s_mul_i32 s3, s3, s17
	v_lshrrev_b32_e32 v70, 6, v2
	s_mul_hi_u32 s3, s17, s3
	v_and_b32_e32 v6, 63, v2
	s_add_i32 s17, s17, s3
	v_mad_i64_i32 v[4:5], null, s2, v70, 0
	s_mul_hi_u32 s3, s6, s17
	v_add_nc_u32_e32 v10, 4, v70
	s_mul_i32 s17, s3, s9
	s_add_i32 s20, s3, 1
	s_sub_i32 s17, s6, s17
	s_sub_i32 s21, s17, s9
	s_cmp_ge_u32 s17, s9
	v_lshlrev_b64 v[4:5], 2, v[4:5]
	s_cselect_b32 s3, s20, s3
	s_cselect_b32 s17, s21, s17
	s_add_i32 s20, s3, 1
	s_cmp_ge_u32 s17, s9
	s_cselect_b32 s3, s20, s3
	v_add_co_u32 v4, vcc_lo, s14, v4
	s_mul_i32 s9, s3, s9
	v_add_co_ci_u32_e64 v5, null, s15, v5, vcc_lo
	s_sub_i32 s6, s6, s9
	s_lshl_b32 s17, s6, 6
	s_lshl_b32 s6, s3, 8
	v_or_b32_e32 v2, s17, v6
	s_cmp_lt_i32 s16, 9
	v_ashrrev_i32_e32 v3, 31, v2
	v_lshlrev_b64 v[68:69], 2, v[2:3]
	v_add_co_u32 v2, vcc_lo, v4, v68
	v_add_co_ci_u32_e64 v3, null, v5, v69, vcc_lo
	global_load_dword v5, v[2:3], off
	v_mad_i64_i32 v[3:4], null, s8, v70, 0
	v_or_b32_e32 v2, s6, v6
	v_lshlrev_b64 v[3:4], 2, v[3:4]
	v_add_co_u32 v7, vcc_lo, s18, v3
	v_ashrrev_i32_e32 v3, 31, v2
	v_add_co_ci_u32_e64 v4, null, s19, v4, vcc_lo
	v_lshlrev_b64 v[66:67], 2, v[2:3]
	v_add_co_u32 v2, vcc_lo, v7, v66
	v_add_co_ci_u32_e64 v3, null, v4, v67, vcc_lo
	s_clause 0x3
	global_load_dword v4, v[2:3], off
	global_load_dword v7, v[2:3], off offset:256
	global_load_dword v8, v[2:3], off offset:512
	;; [unrolled: 1-line block ×3, first 2 shown]
	v_mad_i64_i32 v[2:3], null, s2, v10, 0
	v_lshlrev_b64 v[2:3], 2, v[2:3]
	v_add_co_u32 v2, vcc_lo, s14, v2
	v_add_co_ci_u32_e64 v3, null, s15, v3, vcc_lo
	v_add_co_u32 v2, vcc_lo, v2, v68
	v_add_co_ci_u32_e64 v3, null, v3, v69, vcc_lo
	global_load_dword v71, v[2:3], off
	v_mad_i64_i32 v[2:3], null, s8, v10, 0
	v_lshlrev_b64 v[2:3], 2, v[2:3]
	v_add_co_u32 v2, vcc_lo, s18, v2
	v_add_co_ci_u32_e64 v3, null, s19, v3, vcc_lo
	v_add_co_u32 v2, vcc_lo, v2, v66
	v_add_co_ci_u32_e64 v3, null, v3, v67, vcc_lo
	s_clause 0x3
	global_load_dword v75, v[2:3], off
	global_load_dword v76, v[2:3], off offset:256
	global_load_dword v77, v[2:3], off offset:512
	;; [unrolled: 1-line block ×3, first 2 shown]
	v_lshlrev_b32_e32 v2, 4, v6
	v_lshl_add_u32 v74, v70, 2, v2
	s_waitcnt vmcnt(9)
	ds_write_b32 v74, v5 offset:8192
	s_waitcnt vmcnt(7)
	ds_write2st64_b32 v74, v4, v7 offset1:4
	s_waitcnt vmcnt(5)
	ds_write2st64_b32 v74, v8, v9 offset0:8 offset1:12
	s_waitcnt vmcnt(0) lgkmcnt(0)
	s_barrier
	buffer_gl0_inv
	ds_read_b128 v[30:33], v72 offset:8192
	ds_read_b128 v[26:29], v72 offset:8320
	;; [unrolled: 1-line block ×8, first 2 shown]
	ds_read_b128 v[62:65], v73
	ds_read_b128 v[58:61], v73 offset:512
	ds_read_b128 v[54:57], v73 offset:1024
	;; [unrolled: 1-line block ×7, first 2 shown]
	ds_write_b32 v74, v71 offset:9216
	ds_write2st64_b32 v74, v75, v76 offset0:16 offset1:20
	ds_write2st64_b32 v74, v77, v78 offset0:24 offset1:28
	s_waitcnt lgkmcnt(10)
	v_add_f32_e32 v79, v31, v63
	v_add_f32_e32 v80, v30, v62
	s_waitcnt lgkmcnt(4)
	v_add_f32_e32 v122, v6, v38
	s_waitcnt lgkmcnt(0)
	s_barrier
	buffer_gl0_inv
	v_min3_f32 v114, v80, v79, 0x7f7fffff
	v_add_f32_e32 v79, v27, v63
	v_add_f32_e32 v80, v26, v62
	v_min3_f32 v115, v80, v79, 0x7f7fffff
	v_add_f32_e32 v79, v23, v63
	v_add_f32_e32 v80, v22, v62
	v_min3_f32 v116, v80, v79, 0x7f7fffff
	v_add_f32_e32 v79, v19, v63
	v_add_f32_e32 v80, v18, v62
	v_min3_f32 v117, v80, v79, 0x7f7fffff
	v_add_f32_e32 v79, v15, v63
	v_add_f32_e32 v80, v14, v62
	v_min3_f32 v118, v80, v79, 0x7f7fffff
	v_add_f32_e32 v79, v11, v63
	v_add_f32_e32 v80, v10, v62
	v_min3_f32 v119, v80, v79, 0x7f7fffff
	v_add_f32_e32 v79, v7, v63
	v_add_f32_e32 v80, v6, v62
	v_add_f32_e32 v63, v3, v63
	v_add_f32_e32 v62, v2, v62
	v_min3_f32 v120, v80, v79, 0x7f7fffff
	v_min3_f32 v121, v62, v63, 0x7f7fffff
	v_add_f32_e32 v62, v31, v59
	v_add_f32_e32 v63, v30, v58
	v_min3_f32 v113, v63, v62, 0x7f7fffff
	v_add_f32_e32 v62, v27, v59
	v_add_f32_e32 v63, v26, v58
	v_min3_f32 v112, v63, v62, 0x7f7fffff
	v_add_f32_e32 v62, v23, v59
	v_add_f32_e32 v63, v22, v58
	v_min3_f32 v111, v63, v62, 0x7f7fffff
	v_add_f32_e32 v62, v19, v59
	v_add_f32_e32 v63, v18, v58
	v_min3_f32 v110, v63, v62, 0x7f7fffff
	v_add_f32_e32 v62, v15, v59
	v_add_f32_e32 v63, v14, v58
	v_min3_f32 v109, v63, v62, 0x7f7fffff
	v_add_f32_e32 v62, v11, v59
	v_add_f32_e32 v63, v10, v58
	v_min3_f32 v108, v63, v62, 0x7f7fffff
	v_add_f32_e32 v62, v7, v59
	v_add_f32_e32 v63, v6, v58
	v_add_f32_e32 v59, v3, v59
	v_add_f32_e32 v58, v2, v58
	v_min3_f32 v107, v63, v62, 0x7f7fffff
	v_min3_f32 v106, v58, v59, 0x7f7fffff
	v_add_f32_e32 v58, v31, v55
	v_add_f32_e32 v59, v30, v54
	;; [unrolled: 24-line block ×5, first 2 shown]
	v_min3_f32 v81, v47, v46, 0x7f7fffff
	v_add_f32_e32 v46, v27, v43
	v_add_f32_e32 v47, v26, v42
	v_min3_f32 v80, v47, v46, 0x7f7fffff
	v_add_f32_e32 v46, v23, v43
	v_add_f32_e32 v47, v22, v42
	;; [unrolled: 3-line block ×6, first 2 shown]
	v_add_f32_e32 v43, v3, v43
	v_add_f32_e32 v42, v2, v42
	;; [unrolled: 1-line block ×3, first 2 shown]
	v_min3_f32 v58, v47, v46, 0x7f7fffff
	v_min3_f32 v55, v42, v43, 0x7f7fffff
	v_add_f32_e32 v42, v31, v39
	v_add_f32_e32 v43, v30, v38
	;; [unrolled: 1-line block ×4, first 2 shown]
	v_min3_f32 v54, v43, v42, 0x7f7fffff
	v_add_f32_e32 v42, v27, v39
	v_add_f32_e32 v43, v26, v38
	v_min3_f32 v30, v30, v31, 0x7f7fffff
	v_add_f32_e32 v27, v27, v35
	v_add_f32_e32 v26, v26, v34
	;; [unrolled: 3-line block ×9, first 2 shown]
	v_add_f32_e32 v38, v2, v38
	v_add_f32_e32 v2, v2, v34
	v_min3_f32 v14, v14, v15, 0x7f7fffff
	v_add_f32_e32 v11, v11, v35
	v_min3_f32 v43, v43, v42, 0x7f7fffff
	v_add_f32_e32 v42, v7, v39
	v_add_f32_e32 v39, v3, v39
	;; [unrolled: 1-line block ×5, first 2 shown]
	v_min3_f32 v42, v122, v42, 0x7f7fffff
	v_min3_f32 v38, v38, v39, 0x7f7fffff
	;; [unrolled: 1-line block ×4, first 2 shown]
	v_add_f32_e32 v3, v33, v65
	v_add_f32_e32 v7, v32, v64
	v_min3_f32 v10, v10, v11, 0x7f7fffff
	v_min3_f32 v150, v7, v3, v114
	v_add_f32_e32 v3, v29, v65
	v_add_f32_e32 v7, v28, v64
	v_min3_f32 v147, v7, v3, v115
	v_add_f32_e32 v3, v25, v65
	v_add_f32_e32 v7, v24, v64
	;; [unrolled: 3-line block ×55, first 2 shown]
	v_add_f32_e32 v4, v4, v36
	v_min3_f32 v86, v7, v3, v38
	v_add_f32_e32 v3, v33, v37
	v_add_f32_e32 v7, v32, v36
	v_min3_f32 v87, v7, v3, v30
	v_add_f32_e32 v3, v29, v37
	;; [unrolled: 3-line block ×8, first 2 shown]
	v_min3_f32 v127, v4, v3, v2
	s_cbranch_scc1 .LBB67_10
; %bb.8:
	v_add_nc_u32_e32 v8, 8, v70
	v_add_nc_u32_e32 v6, 12, v70
	v_add_co_u32 v79, vcc_lo, s14, v68
	v_add_co_ci_u32_e64 v92, null, s15, v69, vcc_lo
	v_mad_i64_i32 v[4:5], null, v8, s8, 0
	v_mad_i64_i32 v[2:3], null, v6, s2, 0
	;; [unrolled: 1-line block ×4, first 2 shown]
	v_lshlrev_b64 v[4:5], 2, v[4:5]
	v_or_b32_e32 v75, 0x2000, v74
	v_lshlrev_b64 v[68:69], 2, v[2:3]
	v_or_b32_e32 v76, 0x2000, v72
	v_lshlrev_b64 v[2:3], 2, v[6:7]
	v_add_nc_u32_e32 v77, 0x2400, v74
	v_add_co_u32 v96, vcc_lo, s18, v4
	v_add_co_ci_u32_e64 v97, null, s19, v5, vcc_lo
	v_add_co_u32 v98, vcc_lo, s18, v2
	v_lshlrev_b64 v[70:71], 2, v[8:9]
	v_or_b32_e32 v78, 0x1000, v74
	v_lshl_add_u32 v93, v0, 4, 0x2400
	v_lshl_or_b32 v94, v1, 4, 0x1000
	v_add_co_ci_u32_e64 v99, null, s19, v3, vcc_lo
	s_ashr_i32 s3, s2, 31
	s_ashr_i32 s9, s8, 31
	s_add_i32 s16, s16, -8
	s_lshl_b64 s[2:3], s[2:3], 5
	s_lshl_b64 s[8:9], s[8:9], 5
	s_mov_b32 s14, 0
.LBB67_9:                               ; =>This Inner Loop Header: Depth=1
	v_add_co_u32 v2, vcc_lo, v79, v70
	v_add_co_ci_u32_e64 v3, null, v92, v71, vcc_lo
	s_add_i32 s14, s14, 8
	s_cmp_ge_i32 s14, s16
	global_load_dword v155, v[2:3], off
	v_add_co_u32 v2, vcc_lo, v96, v66
	v_add_co_ci_u32_e64 v3, null, v97, v67, vcc_lo
	s_clause 0x3
	global_load_dword v152, v[2:3], off
	global_load_dword v154, v[2:3], off offset:256
	global_load_dword v151, v[2:3], off offset:512
	;; [unrolled: 1-line block ×3, first 2 shown]
	ds_read_b128 v[30:33], v93
	ds_read_b128 v[26:29], v93 offset:128
	ds_read_b128 v[22:25], v93 offset:256
	;; [unrolled: 1-line block ×7, first 2 shown]
	ds_read_b128 v[62:65], v94
	ds_read_b128 v[58:61], v94 offset:512
	ds_read_b128 v[54:57], v94 offset:1024
	;; [unrolled: 1-line block ×7, first 2 shown]
	s_waitcnt vmcnt(4)
	ds_write_b32 v75, v155
	s_waitcnt vmcnt(2)
	ds_write2st64_b32 v74, v152, v154 offset1:4
	s_waitcnt vmcnt(0)
	ds_write2st64_b32 v74, v151, v153 offset0:8 offset1:12
	s_waitcnt lgkmcnt(10)
	v_add_f32_e32 v156, v31, v63
	v_add_f32_e32 v157, v30, v62
	s_waitcnt lgkmcnt(0)
	s_barrier
	buffer_gl0_inv
	v_min3_f32 v150, v157, v156, v150
	v_add_f32_e32 v156, v27, v63
	v_add_f32_e32 v157, v26, v62
	v_min3_f32 v156, v157, v156, v147
	v_add_f32_e32 v147, v23, v63
	v_add_f32_e32 v157, v22, v62
	v_min3_f32 v157, v157, v147, v148
	v_add_f32_e32 v147, v19, v63
	v_add_f32_e32 v148, v18, v62
	v_min3_f32 v158, v148, v147, v144
	v_add_f32_e32 v144, v15, v63
	v_add_f32_e32 v147, v14, v62
	v_min3_f32 v159, v147, v144, v145
	v_add_f32_e32 v144, v11, v63
	v_add_f32_e32 v145, v10, v62
	v_min3_f32 v160, v145, v144, v140
	v_add_f32_e32 v140, v7, v63
	v_add_f32_e32 v144, v6, v62
	v_add_f32_e32 v63, v3, v63
	v_add_f32_e32 v62, v2, v62
	v_min3_f32 v161, v144, v140, v139
	v_min3_f32 v162, v62, v63, v135
	v_add_f32_e32 v62, v31, v59
	v_add_f32_e32 v63, v30, v58
	v_min3_f32 v148, v63, v62, v149
	v_add_f32_e32 v62, v27, v59
	v_add_f32_e32 v63, v26, v58
	v_min3_f32 v147, v63, v62, v143
	v_add_f32_e32 v62, v23, v59
	v_add_f32_e32 v63, v22, v58
	v_min3_f32 v145, v63, v62, v146
	v_add_f32_e32 v62, v19, v59
	v_add_f32_e32 v63, v18, v58
	v_min3_f32 v144, v63, v62, v141
	v_add_f32_e32 v62, v15, v59
	v_add_f32_e32 v63, v14, v58
	v_min3_f32 v143, v63, v62, v142
	v_add_f32_e32 v62, v11, v59
	v_add_f32_e32 v63, v10, v58
	v_min3_f32 v142, v63, v62, v136
	v_add_f32_e32 v62, v7, v59
	v_add_f32_e32 v63, v6, v58
	v_add_f32_e32 v59, v3, v59
	v_add_f32_e32 v58, v2, v58
	v_min3_f32 v141, v63, v62, v137
	v_min3_f32 v140, v58, v59, v133
	v_add_f32_e32 v58, v31, v55
	v_add_f32_e32 v59, v30, v54
	;; [unrolled: 24-line block ×6, first 2 shown]
	v_add_f32_e32 v31, v31, v35
	v_add_f32_e32 v30, v30, v34
	v_min3_f32 v54, v43, v42, v104
	v_add_f32_e32 v42, v27, v39
	v_add_f32_e32 v43, v26, v38
	v_min3_f32 v30, v30, v31, v87
	;; [unrolled: 3-line block ×3, first 2 shown]
	v_add_f32_e32 v42, v23, v39
	v_add_f32_e32 v43, v22, v38
	;; [unrolled: 1-line block ×4, first 2 shown]
	v_min3_f32 v26, v26, v27, v84
	v_min3_f32 v50, v43, v42, v101
	v_add_f32_e32 v42, v19, v39
	v_add_f32_e32 v43, v18, v38
	v_min3_f32 v22, v22, v23, v85
	v_add_f32_e32 v19, v19, v35
	v_add_f32_e32 v18, v18, v34
	;; [unrolled: 3-line block ×3, first 2 shown]
	v_add_f32_e32 v15, v15, v35
	v_add_f32_e32 v14, v14, v34
	v_min3_f32 v18, v18, v19, v82
	v_min3_f32 v46, v43, v42, v91
	v_add_f32_e32 v42, v11, v39
	v_add_f32_e32 v43, v10, v38
	v_min3_f32 v14, v14, v15, v83
	v_add_f32_e32 v11, v11, v35
	v_add_f32_e32 v10, v10, v34
	;; [unrolled: 3-line block ×3, first 2 shown]
	v_add_f32_e32 v39, v3, v39
	v_add_f32_e32 v38, v2, v38
	;; [unrolled: 1-line block ×6, first 2 shown]
	v_min3_f32 v38, v38, v39, v86
	v_min3_f32 v10, v10, v11, v80
	;; [unrolled: 1-line block ×3, first 2 shown]
	v_add_f32_e32 v7, v32, v64
	v_min3_f32 v2, v2, v3, v127
	v_add_f32_e32 v3, v33, v65
	v_min3_f32 v42, v88, v42, v89
	v_min3_f32 v87, v7, v3, v150
	v_add_f32_e32 v3, v29, v65
	v_add_f32_e32 v7, v28, v64
	v_min3_f32 v86, v7, v3, v156
	v_add_f32_e32 v3, v25, v65
	v_add_f32_e32 v7, v24, v64
	;; [unrolled: 3-line block ×55, first 2 shown]
	v_add_f32_e32 v4, v4, v36
	v_min3_f32 v169, v7, v3, v38
	v_add_f32_e32 v3, v33, v37
	v_add_f32_e32 v7, v32, v36
	v_min3_f32 v170, v7, v3, v30
	v_add_f32_e32 v3, v29, v37
	;; [unrolled: 3-line block ×8, first 2 shown]
	v_min3_f32 v177, v4, v3, v2
	v_add_co_u32 v2, vcc_lo, v79, v68
	v_add_co_ci_u32_e64 v3, null, v92, v69, vcc_lo
	global_load_dword v155, v[2:3], off
	v_add_co_u32 v2, vcc_lo, v98, v66
	v_add_co_ci_u32_e64 v3, null, v99, v67, vcc_lo
	s_clause 0x3
	global_load_dword v152, v[2:3], off
	global_load_dword v154, v[2:3], off offset:256
	global_load_dword v151, v[2:3], off offset:512
	;; [unrolled: 1-line block ×3, first 2 shown]
	ds_read_b128 v[34:37], v76
	ds_read_b128 v[30:33], v76 offset:128
	ds_read_b128 v[26:29], v76 offset:256
	;; [unrolled: 1-line block ×7, first 2 shown]
	ds_read_b128 v[62:65], v73
	ds_read_b128 v[58:61], v73 offset:512
	ds_read_b128 v[54:57], v73 offset:1024
	ds_read_b128 v[50:53], v73 offset:1536
	ds_read_b128 v[46:49], v73 offset:2048
	ds_read_b128 v[42:45], v73 offset:2560
	ds_read_b128 v[38:41], v73 offset:3072
	ds_read_b128 v[14:17], v73 offset:3584
	v_add_co_u32 v79, vcc_lo, v79, s2
	v_add_co_ci_u32_e64 v92, null, s3, v92, vcc_lo
	v_add_co_u32 v96, vcc_lo, v96, s8
	v_add_co_ci_u32_e64 v97, null, s9, v97, vcc_lo
	;; [unrolled: 2-line block ×3, first 2 shown]
	s_waitcnt lgkmcnt(7)
	v_add_f32_e32 v107, v35, v63
	v_add_f32_e32 v108, v34, v62
	s_waitcnt vmcnt(4)
	ds_write_b32 v77, v155
	s_waitcnt vmcnt(2)
	ds_write2st64_b32 v78, v152, v154 offset1:4
	s_waitcnt vmcnt(0)
	ds_write2st64_b32 v78, v151, v153 offset0:8 offset1:12
	v_min3_f32 v122, v108, v107, v87
	v_add_f32_e32 v87, v31, v63
	v_add_f32_e32 v107, v30, v62
	s_waitcnt lgkmcnt(0)
	s_barrier
	buffer_gl0_inv
	v_min3_f32 v123, v107, v87, v86
	v_add_f32_e32 v86, v27, v63
	v_add_f32_e32 v87, v26, v62
	v_min3_f32 v124, v87, v86, v85
	v_add_f32_e32 v85, v23, v63
	v_add_f32_e32 v86, v22, v62
	;; [unrolled: 3-line block ×5, first 2 shown]
	v_add_f32_e32 v63, v3, v63
	v_add_f32_e32 v62, v2, v62
	v_min3_f32 v130, v83, v82, v81
	v_min3_f32 v131, v62, v63, v80
	v_add_f32_e32 v62, v35, v59
	v_add_f32_e32 v63, v34, v58
	v_min3_f32 v121, v63, v62, v88
	v_add_f32_e32 v62, v31, v59
	v_add_f32_e32 v63, v30, v58
	v_min3_f32 v120, v63, v62, v89
	v_add_f32_e32 v62, v27, v59
	v_add_f32_e32 v63, v26, v58
	v_min3_f32 v119, v63, v62, v90
	v_add_f32_e32 v62, v23, v59
	v_add_f32_e32 v63, v22, v58
	v_min3_f32 v118, v63, v62, v91
	v_add_f32_e32 v62, v19, v59
	v_add_f32_e32 v63, v18, v58
	v_min3_f32 v117, v63, v62, v95
	v_add_f32_e32 v62, v11, v59
	v_add_f32_e32 v63, v10, v58
	v_min3_f32 v116, v63, v62, v100
	v_add_f32_e32 v62, v7, v59
	v_add_f32_e32 v63, v6, v58
	v_add_f32_e32 v59, v3, v59
	v_add_f32_e32 v58, v2, v58
	v_min3_f32 v115, v63, v62, v101
	v_min3_f32 v114, v58, v59, v102
	v_add_f32_e32 v58, v35, v55
	v_add_f32_e32 v59, v34, v54
	v_min3_f32 v113, v59, v58, v103
	v_add_f32_e32 v58, v31, v55
	v_add_f32_e32 v59, v30, v54
	;; [unrolled: 3-line block ×7, first 2 shown]
	v_add_f32_e32 v55, v3, v55
	v_add_f32_e32 v54, v2, v54
	v_add_f32_e32 v125, v6, v38
	v_min3_f32 v107, v59, v58, v127
	v_min3_f32 v106, v54, v55, v132
	v_add_f32_e32 v54, v35, v51
	v_add_f32_e32 v55, v34, v50
	v_min3_f32 v105, v55, v54, v133
	v_add_f32_e32 v54, v31, v51
	v_add_f32_e32 v55, v30, v50
	v_min3_f32 v104, v55, v54, v134
	v_add_f32_e32 v54, v27, v51
	v_add_f32_e32 v55, v26, v50
	v_min3_f32 v103, v55, v54, v135
	v_add_f32_e32 v54, v23, v51
	v_add_f32_e32 v55, v22, v50
	v_min3_f32 v102, v55, v54, v136
	v_add_f32_e32 v54, v19, v51
	v_add_f32_e32 v55, v18, v50
	v_min3_f32 v101, v55, v54, v137
	v_add_f32_e32 v54, v11, v51
	v_add_f32_e32 v55, v10, v50
	v_min3_f32 v100, v55, v54, v138
	v_add_f32_e32 v54, v7, v51
	v_add_f32_e32 v55, v6, v50
	v_add_f32_e32 v51, v3, v51
	v_add_f32_e32 v50, v2, v50
	v_min3_f32 v95, v55, v54, v139
	v_min3_f32 v91, v50, v51, v140
	v_add_f32_e32 v50, v35, v47
	v_add_f32_e32 v51, v34, v46
	v_min3_f32 v90, v51, v50, v141
	v_add_f32_e32 v50, v31, v47
	v_add_f32_e32 v51, v30, v46
	v_min3_f32 v89, v51, v50, v142
	v_add_f32_e32 v50, v27, v47
	v_add_f32_e32 v51, v26, v46
	v_min3_f32 v88, v51, v50, v143
	v_add_f32_e32 v50, v23, v47
	v_add_f32_e32 v51, v22, v46
	v_min3_f32 v87, v51, v50, v144
	v_add_f32_e32 v50, v19, v47
	v_add_f32_e32 v51, v18, v46
	v_min3_f32 v86, v51, v50, v145
	v_add_f32_e32 v50, v11, v47
	v_add_f32_e32 v51, v10, v46
	v_min3_f32 v85, v51, v50, v146
	v_add_f32_e32 v50, v7, v47
	;; [unrolled: 24-line block ×3, first 2 shown]
	v_add_f32_e32 v47, v6, v42
	v_add_f32_e32 v43, v3, v43
	;; [unrolled: 1-line block ×4, first 2 shown]
	v_min3_f32 v58, v47, v46, v160
	v_min3_f32 v55, v42, v43, v161
	v_add_f32_e32 v42, v35, v39
	v_add_f32_e32 v43, v34, v38
	;; [unrolled: 1-line block ×4, first 2 shown]
	v_min3_f32 v54, v43, v42, v162
	v_add_f32_e32 v42, v31, v39
	v_add_f32_e32 v43, v30, v38
	v_min3_f32 v34, v34, v35, v170
	v_add_f32_e32 v31, v31, v15
	v_add_f32_e32 v30, v30, v14
	;; [unrolled: 3-line block ×9, first 2 shown]
	v_add_f32_e32 v38, v2, v38
	v_add_f32_e32 v2, v2, v14
	v_min3_f32 v18, v18, v19, v174
	v_add_f32_e32 v11, v11, v15
	v_min3_f32 v43, v43, v42, v167
	v_add_f32_e32 v42, v7, v39
	v_add_f32_e32 v39, v3, v39
	;; [unrolled: 1-line block ×5, first 2 shown]
	v_min3_f32 v42, v125, v42, v168
	v_min3_f32 v38, v38, v39, v169
	;; [unrolled: 1-line block ×4, first 2 shown]
	v_add_f32_e32 v3, v37, v65
	v_add_f32_e32 v7, v36, v64
	v_min3_f32 v10, v10, v11, v175
	v_min3_f32 v150, v7, v3, v122
	v_add_f32_e32 v3, v33, v65
	v_add_f32_e32 v7, v32, v64
	v_min3_f32 v147, v7, v3, v123
	v_add_f32_e32 v3, v29, v65
	v_add_f32_e32 v7, v28, v64
	;; [unrolled: 3-line block ×55, first 2 shown]
	v_add_f32_e32 v4, v4, v16
	v_min3_f32 v86, v7, v3, v38
	v_add_f32_e32 v3, v37, v17
	v_add_f32_e32 v7, v36, v16
	v_min3_f32 v87, v7, v3, v34
	v_add_f32_e32 v3, v33, v17
	;; [unrolled: 3-line block ×8, first 2 shown]
	v_min3_f32 v127, v4, v3, v2
	s_cbranch_scc0 .LBB67_9
.LBB67_10:
	ds_read_b128 v[32:35], v72 offset:9216
	ds_read_b128 v[60:63], v73 offset:4096
	s_clause 0x2
	s_load_dword s3, s[4:5], 0x68
	s_load_dword s2, s[4:5], 0x50
	s_load_dwordx2 s[8:9], s[4:5], 0x70
	v_add_nc_u32_e32 v92, s6, v1
	v_add_nc_u32_e32 v76, s17, v0
	v_ashrrev_i32_e32 v77, 31, v76
	v_add_nc_u32_e32 v0, 8, v76
	v_lshlrev_b64 v[66:67], 2, v[76:77]
	v_ashrrev_i32_e32 v1, 31, v0
	s_waitcnt lgkmcnt(0)
	v_mad_i64_i32 v[2:3], null, v92, s3, 0
	v_mad_i64_i32 v[4:5], null, v92, s2, 0
	v_add_f32_e32 v6, v33, v61
	v_add_f32_e32 v7, v32, v60
	s_mul_i32 s5, s9, s7
	s_mul_hi_u32 s6, s8, s7
	s_mul_i32 s4, s8, s7
	v_add_f32_e32 v8, v35, v63
	s_add_i32 s5, s6, s5
	v_add_f32_e32 v9, v34, v62
	v_min3_f32 v6, v7, v6, v150
	v_lshlrev_b64 v[2:3], 2, v[2:3]
	s_lshl_b64 s[4:5], s[4:5], 2
	v_lshlrev_b64 v[4:5], 2, v[4:5]
	s_add_u32 s4, s10, s4
	v_min3_f32 v6, v9, v8, v6
	s_addc_u32 s5, s11, s5
	v_add_co_u32 v93, vcc_lo, s4, v2
	v_add_co_ci_u32_e64 v94, null, s5, v3, vcc_lo
	v_add_co_u32 v96, vcc_lo, s12, v4
	v_add_co_ci_u32_e64 v97, null, s13, v5, vcc_lo
	v_max_f32_e32 v2, v6, v6
	s_mov_b32 s6, -1
	s_mov_b32 vcc_lo, s0
	s_cbranch_vccz .LBB67_12
; %bb.11:
	v_add_co_u32 v3, vcc_lo, v93, v66
	v_min_f32_e32 v5, 0, v2
	v_add_co_ci_u32_e64 v4, null, v94, v67, vcc_lo
	s_mov_b32 s6, 0
	global_store_dword v[3:4], v5, off
.LBB67_12:
	ds_read_b128 v[28:31], v72 offset:9344
	ds_read_b128 v[24:27], v72 offset:9472
	v_lshlrev_b64 v[64:65], 2, v[0:1]
	v_mov_b32_e32 v69, 0
	s_andn2_b32 vcc_lo, exec_lo, s6
	s_cbranch_vccnz .LBB67_14
; %bb.13:
	v_add_co_u32 v0, vcc_lo, v96, v66
	v_add_co_ci_u32_e64 v1, null, v97, v67, vcc_lo
	global_load_dword v0, v[0:1], off
	s_waitcnt vmcnt(0)
	v_mul_f32_e32 v3, s1, v0
	v_add_co_u32 v0, vcc_lo, v93, v66
	v_add_co_ci_u32_e64 v1, null, v94, v67, vcc_lo
	v_min_f32_e32 v4, v3, v2
	v_add_co_u32 v2, vcc_lo, v96, v64
	v_add_co_ci_u32_e64 v3, null, v97, v65, vcc_lo
	global_store_dword v[0:1], v4, off
	global_load_dword v0, v[2:3], off
	s_waitcnt vmcnt(0)
	v_mul_f32_e32 v69, s1, v0
.LBB67_14:
	ds_read_b128 v[16:19], v72 offset:9728
	ds_read_b128 v[12:15], v72 offset:9856
	;; [unrolled: 1-line block ×10, first 2 shown]
	s_waitcnt lgkmcnt(11)
	v_add_f32_e32 v68, v29, v61
	v_add_f32_e32 v70, v28, v60
	s_waitcnt lgkmcnt(10)
	v_add_f32_e32 v71, v25, v61
	v_add_f32_e32 v74, v24, v60
	;; [unrolled: 1-line block ×4, first 2 shown]
	ds_read_b128 v[20:23], v72 offset:9600
	ds_read_b128 v[4:7], v73 offset:7680
	v_min3_f32 v72, v70, v68, v147
	v_min3_f32 v74, v74, v71, v148
	v_add_nc_u32_e32 v70, 16, v76
	v_min_f32_e32 v71, v77, v75
	v_add_f32_e32 v75, v27, v63
	v_add_f32_e32 v77, v26, v62
	v_add_nc_u32_e32 v68, 24, v76
	s_mov_b32 s6, -1
	v_min3_f32 v78, v69, v71, v72
	v_add_co_u32 v72, vcc_lo, v93, v64
	v_ashrrev_i32_e32 v71, 31, v70
	v_add_co_ci_u32_e64 v73, null, v94, v65, vcc_lo
	v_min3_f32 v74, v77, v75, v74
	v_ashrrev_i32_e32 v69, 31, v68
	v_lshlrev_b64 v[70:71], 2, v[70:71]
	global_store_dword v[72:73], v78, off
	s_mov_b32 vcc_lo, s0
	v_max_f32_e32 v72, v74, v74
	s_cbranch_vccz .LBB67_16
; %bb.15:
	v_add_co_u32 v73, vcc_lo, v93, v70
	v_min_f32_e32 v75, 0, v72
	v_add_co_ci_u32_e64 v74, null, v94, v71, vcc_lo
	s_mov_b32 s6, 0
	global_store_dword v[73:74], v75, off
.LBB67_16:
	v_lshlrev_b64 v[68:69], 2, v[68:69]
	v_mov_b32_e32 v73, 0
	s_andn2_b32 vcc_lo, exec_lo, s6
	s_cbranch_vccnz .LBB67_18
; %bb.17:
	v_add_co_u32 v73, vcc_lo, v96, v70
	v_add_co_ci_u32_e64 v74, null, v97, v71, vcc_lo
	global_load_dword v73, v[73:74], off
	s_waitcnt vmcnt(0)
	v_mul_f32_e32 v75, s1, v73
	v_add_co_u32 v73, vcc_lo, v93, v70
	v_add_co_ci_u32_e64 v74, null, v94, v71, vcc_lo
	v_add_co_u32 v77, vcc_lo, v96, v68
	v_min_f32_e32 v72, v75, v72
	v_add_co_ci_u32_e64 v78, null, v97, v69, vcc_lo
	global_store_dword v[73:74], v72, off
	global_load_dword v72, v[77:78], off
	s_waitcnt vmcnt(0)
	v_mul_f32_e32 v73, s1, v72
.LBB67_18:
	s_waitcnt lgkmcnt(1)
	v_add_f32_e32 v72, v21, v61
	v_add_f32_e32 v74, v20, v60
	;; [unrolled: 1-line block ×6, first 2 shown]
	v_min3_f32 v98, v74, v72, v144
	v_add_nc_u32_e32 v74, 32, v76
	v_min3_f32 v99, v77, v75, v145
	v_add_f32_e32 v144, v18, v62
	v_min_f32_e32 v75, v79, v78
	v_add_f32_e32 v79, v19, v63
	v_add_co_u32 v77, vcc_lo, v93, v68
	v_add_nc_u32_e32 v72, 40, v76
	v_min3_f32 v98, v73, v75, v98
	v_ashrrev_i32_e32 v75, 31, v74
	v_add_co_ci_u32_e64 v78, null, v94, v69, vcc_lo
	v_min3_f32 v79, v144, v79, v99
	v_ashrrev_i32_e32 v73, 31, v72
	v_lshlrev_b64 v[74:75], 2, v[74:75]
	global_store_dword v[77:78], v98, off
	s_mov_b32 s6, -1
	v_max_f32_e32 v77, v79, v79
	s_mov_b32 vcc_lo, s0
	s_cbranch_vccz .LBB67_20
; %bb.19:
	v_add_co_u32 v78, vcc_lo, v93, v74
	v_min_f32_e32 v98, 0, v77
	v_add_co_ci_u32_e64 v79, null, v94, v75, vcc_lo
	s_mov_b32 s6, 0
	global_store_dword v[78:79], v98, off
.LBB67_20:
	v_lshlrev_b64 v[72:73], 2, v[72:73]
	v_mov_b32_e32 v79, 0
	s_andn2_b32 vcc_lo, exec_lo, s6
	s_cbranch_vccnz .LBB67_22
; %bb.21:
	v_add_co_u32 v78, vcc_lo, v96, v74
	v_add_co_ci_u32_e64 v79, null, v97, v75, vcc_lo
	global_load_dword v78, v[78:79], off
	s_waitcnt vmcnt(0)
	v_mul_f32_e32 v98, s1, v78
	v_add_co_u32 v78, vcc_lo, v93, v74
	v_add_co_ci_u32_e64 v79, null, v94, v75, vcc_lo
	v_min_f32_e32 v77, v98, v77
	v_add_co_u32 v98, vcc_lo, v96, v72
	v_add_co_ci_u32_e64 v99, null, v97, v73, vcc_lo
	global_store_dword v[78:79], v77, off
	global_load_dword v77, v[98:99], off
	s_waitcnt vmcnt(0)
	v_mul_f32_e32 v79, s1, v77
.LBB67_22:
	v_add_f32_e32 v77, v13, v61
	v_add_f32_e32 v78, v12, v60
	v_add_f32_e32 v98, v9, v61
	v_add_f32_e32 v99, v8, v60
	v_add_f32_e32 v144, v15, v63
	v_add_f32_e32 v145, v14, v62
	v_min3_f32 v77, v78, v77, v140
	v_add_f32_e32 v140, v11, v63
	v_min3_f32 v139, v99, v98, v139
	v_add_nc_u32_e32 v98, 48, v76
	v_min_f32_e32 v99, v145, v144
	v_add_f32_e32 v144, v10, v62
	v_add_nc_u32_e32 v78, 56, v76
	v_add_co_u32 v76, vcc_lo, v93, v72
	v_min3_f32 v145, v79, v99, v77
	v_add_co_ci_u32_e64 v77, null, v94, v73, vcc_lo
	v_ashrrev_i32_e32 v99, 31, v98
	v_min3_f32 v139, v144, v140, v139
	v_ashrrev_i32_e32 v79, 31, v78
	global_store_dword v[76:77], v145, off
	s_mov_b32 s6, -1
	v_lshlrev_b64 v[76:77], 2, v[98:99]
	v_max_f32_e32 v98, v139, v139
	s_mov_b32 vcc_lo, s0
	s_cbranch_vccz .LBB67_24
; %bb.23:
	v_add_co_u32 v139, vcc_lo, v93, v76
	v_min_f32_e32 v99, 0, v98
	v_add_co_ci_u32_e64 v140, null, v94, v77, vcc_lo
	s_mov_b32 s6, 0
	global_store_dword v[139:140], v99, off
.LBB67_24:
	v_lshlrev_b64 v[78:79], 2, v[78:79]
	v_mov_b32_e32 v99, 0
	s_andn2_b32 vcc_lo, exec_lo, s6
	s_cbranch_vccnz .LBB67_26
; %bb.25:
	v_add_co_u32 v139, vcc_lo, v96, v76
	v_add_co_ci_u32_e64 v140, null, v97, v77, vcc_lo
	global_load_dword v99, v[139:140], off
	v_add_co_u32 v139, vcc_lo, v93, v76
	v_add_co_ci_u32_e64 v140, null, v94, v77, vcc_lo
	v_add_co_u32 v96, vcc_lo, v96, v78
	v_add_co_ci_u32_e64 v97, null, v97, v79, vcc_lo
	s_waitcnt vmcnt(0)
	v_mul_f32_e32 v99, s1, v99
	v_min_f32_e32 v98, v99, v98
	global_store_dword v[139:140], v98, off
	global_load_dword v96, v[96:97], off
	s_waitcnt vmcnt(0)
	v_mul_f32_e32 v99, s1, v96
.LBB67_26:
	v_add_f32_e32 v61, v1, v61
	v_add_f32_e32 v60, v0, v60
	;; [unrolled: 1-line block ×6, first 2 shown]
	v_min3_f32 v60, v60, v61, v135
	v_add_f32_e32 v98, v34, v58
	v_min_f32_e32 v61, v62, v63
	v_add_nc_u32_e32 v62, 32, v92
	v_min3_f32 v96, v97, v96, v149
	v_add_f32_e32 v97, v35, v59
	v_add_co_u32 v93, vcc_lo, v93, v78
	v_min3_f32 v99, v99, v61, v60
	v_mad_i64_i32 v[60:61], null, v62, s3, 0
	v_mad_i64_i32 v[62:63], null, v62, s2, 0
	v_add_co_ci_u32_e64 v94, null, v94, v79, vcc_lo
	v_min3_f32 v96, v98, v97, v96
	s_mov_b32 s6, -1
	v_lshlrev_b64 v[60:61], 2, v[60:61]
	global_store_dword v[93:94], v99, off
	v_lshlrev_b64 v[62:63], 2, v[62:63]
	v_max_f32_e32 v93, v96, v96
	v_add_co_u32 v60, vcc_lo, s4, v60
	v_add_co_ci_u32_e64 v61, null, s5, v61, vcc_lo
	v_add_co_u32 v62, vcc_lo, s12, v62
	v_add_co_ci_u32_e64 v63, null, s13, v63, vcc_lo
	s_mov_b32 vcc_lo, s0
	s_cbranch_vccz .LBB67_28
; %bb.27:
	v_add_co_u32 v96, vcc_lo, v60, v66
	v_min_f32_e32 v94, 0, v93
	v_add_co_ci_u32_e64 v97, null, v61, v67, vcc_lo
	s_mov_b32 s6, 0
	global_store_dword v[96:97], v94, off
.LBB67_28:
	v_mov_b32_e32 v94, 0
	s_andn2_b32 vcc_lo, exec_lo, s6
	s_cbranch_vccnz .LBB67_30
; %bb.29:
	v_add_co_u32 v96, vcc_lo, v62, v66
	v_add_co_ci_u32_e64 v97, null, v63, v67, vcc_lo
	global_load_dword v94, v[96:97], off
	v_add_co_u32 v96, vcc_lo, v60, v66
	v_add_co_ci_u32_e64 v97, null, v61, v67, vcc_lo
	s_waitcnt vmcnt(0)
	v_mul_f32_e32 v94, s1, v94
	v_min_f32_e32 v98, v94, v93
	v_add_co_u32 v93, vcc_lo, v62, v64
	v_add_co_ci_u32_e64 v94, null, v63, v65, vcc_lo
	global_store_dword v[96:97], v98, off
	global_load_dword v93, v[93:94], off
	s_waitcnt vmcnt(0)
	v_mul_f32_e32 v94, s1, v93
.LBB67_30:
	v_add_f32_e32 v93, v29, v57
	v_add_f32_e32 v96, v28, v56
	v_add_f32_e32 v97, v31, v59
	v_add_f32_e32 v98, v30, v58
	v_add_f32_e32 v99, v25, v57
	v_add_f32_e32 v135, v24, v56
	v_min3_f32 v93, v96, v93, v143
	s_mov_b32 s6, -1
	v_min_f32_e32 v96, v98, v97
	v_add_f32_e32 v98, v27, v59
	v_min3_f32 v97, v135, v99, v146
	v_add_f32_e32 v99, v26, v58
	v_min3_f32 v96, v94, v96, v93
	v_add_co_u32 v93, vcc_lo, v60, v64
	v_add_co_ci_u32_e64 v94, null, v61, v65, vcc_lo
	v_min3_f32 v97, v99, v98, v97
	s_mov_b32 vcc_lo, s0
	global_store_dword v[93:94], v96, off
	v_max_f32_e32 v93, v97, v97
	s_cbranch_vccz .LBB67_32
; %bb.31:
	v_add_co_u32 v96, vcc_lo, v60, v70
	v_min_f32_e32 v94, 0, v93
	v_add_co_ci_u32_e64 v97, null, v61, v71, vcc_lo
	s_mov_b32 s6, 0
	global_store_dword v[96:97], v94, off
.LBB67_32:
	v_mov_b32_e32 v94, 0
	s_andn2_b32 vcc_lo, exec_lo, s6
	s_cbranch_vccnz .LBB67_34
; %bb.33:
	v_add_co_u32 v96, vcc_lo, v62, v70
	v_add_co_ci_u32_e64 v97, null, v63, v71, vcc_lo
	global_load_dword v94, v[96:97], off
	v_add_co_u32 v96, vcc_lo, v60, v70
	v_add_co_ci_u32_e64 v97, null, v61, v71, vcc_lo
	s_waitcnt vmcnt(0)
	v_mul_f32_e32 v94, s1, v94
	v_min_f32_e32 v98, v94, v93
	v_add_co_u32 v93, vcc_lo, v62, v68
	v_add_co_ci_u32_e64 v94, null, v63, v69, vcc_lo
	global_store_dword v[96:97], v98, off
	global_load_dword v93, v[93:94], off
	s_waitcnt vmcnt(0)
	v_mul_f32_e32 v94, s1, v93
.LBB67_34:
	v_add_f32_e32 v93, v21, v57
	v_add_f32_e32 v96, v20, v56
	v_add_f32_e32 v97, v23, v59
	v_add_f32_e32 v98, v22, v58
	v_add_f32_e32 v99, v17, v57
	v_add_f32_e32 v135, v16, v56
	v_min3_f32 v93, v96, v93, v141
	s_mov_b32 s6, -1
	v_min_f32_e32 v96, v98, v97
	v_add_f32_e32 v98, v19, v59
	v_min3_f32 v97, v135, v99, v142
	v_add_f32_e32 v99, v18, v58
	v_min3_f32 v96, v94, v96, v93
	v_add_co_u32 v93, vcc_lo, v60, v68
	v_add_co_ci_u32_e64 v94, null, v61, v69, vcc_lo
	v_min3_f32 v97, v99, v98, v97
	s_mov_b32 vcc_lo, s0
	global_store_dword v[93:94], v96, off
	v_max_f32_e32 v93, v97, v97
	;; [unrolled: 46-line block ×3, first 2 shown]
	s_cbranch_vccz .LBB67_40
; %bb.39:
	v_add_co_u32 v96, vcc_lo, v60, v76
	v_min_f32_e32 v94, 0, v93
	v_add_co_ci_u32_e64 v97, null, v61, v77, vcc_lo
	s_mov_b32 s6, 0
	global_store_dword v[96:97], v94, off
.LBB67_40:
	v_mov_b32_e32 v94, 0
	s_andn2_b32 vcc_lo, exec_lo, s6
	s_cbranch_vccnz .LBB67_42
; %bb.41:
	v_add_co_u32 v96, vcc_lo, v62, v76
	v_add_co_ci_u32_e64 v97, null, v63, v77, vcc_lo
	global_load_dword v94, v[96:97], off
	v_add_co_u32 v96, vcc_lo, v60, v76
	v_add_co_ci_u32_e64 v97, null, v61, v77, vcc_lo
	v_add_co_u32 v62, vcc_lo, v62, v78
	v_add_co_ci_u32_e64 v63, null, v63, v79, vcc_lo
	s_waitcnt vmcnt(0)
	v_mul_f32_e32 v94, s1, v94
	v_min_f32_e32 v93, v94, v93
	global_store_dword v[96:97], v93, off
	global_load_dword v62, v[62:63], off
	s_waitcnt vmcnt(0)
	v_mul_f32_e32 v94, s1, v62
.LBB67_42:
	v_add_f32_e32 v57, v1, v57
	v_add_f32_e32 v56, v0, v56
	;; [unrolled: 1-line block ×6, first 2 shown]
	v_min3_f32 v56, v56, v57, v133
	v_add_f32_e32 v93, v34, v54
	v_min_f32_e32 v57, v58, v59
	v_add_nc_u32_e32 v58, 64, v92
	v_min3_f32 v62, v63, v62, v138
	v_add_f32_e32 v63, v35, v55
	v_add_co_u32 v60, vcc_lo, v60, v78
	v_min3_f32 v94, v94, v57, v56
	v_mad_i64_i32 v[56:57], null, v58, s3, 0
	v_mad_i64_i32 v[58:59], null, v58, s2, 0
	v_add_co_ci_u32_e64 v61, null, v61, v79, vcc_lo
	v_min3_f32 v62, v93, v63, v62
	s_mov_b32 s6, -1
	v_lshlrev_b64 v[56:57], 2, v[56:57]
	global_store_dword v[60:61], v94, off
	v_lshlrev_b64 v[58:59], 2, v[58:59]
	v_max_f32_e32 v60, v62, v62
	v_add_co_u32 v56, vcc_lo, s4, v56
	v_add_co_ci_u32_e64 v57, null, s5, v57, vcc_lo
	v_add_co_u32 v58, vcc_lo, s12, v58
	v_add_co_ci_u32_e64 v59, null, s13, v59, vcc_lo
	s_mov_b32 vcc_lo, s0
	s_cbranch_vccz .LBB67_44
; %bb.43:
	v_add_co_u32 v61, vcc_lo, v56, v66
	v_min_f32_e32 v63, 0, v60
	v_add_co_ci_u32_e64 v62, null, v57, v67, vcc_lo
	s_mov_b32 s6, 0
	global_store_dword v[61:62], v63, off
.LBB67_44:
	v_mov_b32_e32 v61, 0
	s_andn2_b32 vcc_lo, exec_lo, s6
	s_cbranch_vccnz .LBB67_46
; %bb.45:
	v_add_co_u32 v61, vcc_lo, v58, v66
	v_add_co_ci_u32_e64 v62, null, v59, v67, vcc_lo
	global_load_dword v61, v[61:62], off
	s_waitcnt vmcnt(0)
	v_mul_f32_e32 v63, s1, v61
	v_add_co_u32 v61, vcc_lo, v56, v66
	v_add_co_ci_u32_e64 v62, null, v57, v67, vcc_lo
	v_add_co_u32 v93, vcc_lo, v58, v64
	v_min_f32_e32 v60, v63, v60
	v_add_co_ci_u32_e64 v94, null, v59, v65, vcc_lo
	global_store_dword v[61:62], v60, off
	global_load_dword v60, v[93:94], off
	s_waitcnt vmcnt(0)
	v_mul_f32_e32 v61, s1, v60
.LBB67_46:
	v_add_f32_e32 v60, v29, v53
	v_add_f32_e32 v62, v28, v52
	v_add_f32_e32 v63, v31, v55
	v_add_f32_e32 v93, v30, v54
	v_add_f32_e32 v94, v25, v53
	v_add_f32_e32 v96, v24, v52
	v_min3_f32 v60, v62, v60, v132
	s_mov_b32 s6, -1
	v_min_f32_e32 v62, v93, v63
	v_add_f32_e32 v93, v27, v55
	v_min3_f32 v63, v96, v94, v134
	v_add_f32_e32 v94, v26, v54
	v_min3_f32 v62, v61, v62, v60
	v_add_co_u32 v60, vcc_lo, v56, v64
	v_add_co_ci_u32_e64 v61, null, v57, v65, vcc_lo
	v_min3_f32 v63, v94, v93, v63
	s_mov_b32 vcc_lo, s0
	global_store_dword v[60:61], v62, off
	v_max_f32_e32 v60, v63, v63
	s_cbranch_vccz .LBB67_48
; %bb.47:
	v_add_co_u32 v61, vcc_lo, v56, v70
	v_min_f32_e32 v63, 0, v60
	v_add_co_ci_u32_e64 v62, null, v57, v71, vcc_lo
	s_mov_b32 s6, 0
	global_store_dword v[61:62], v63, off
.LBB67_48:
	v_mov_b32_e32 v61, 0
	s_andn2_b32 vcc_lo, exec_lo, s6
	s_cbranch_vccnz .LBB67_50
; %bb.49:
	v_add_co_u32 v61, vcc_lo, v58, v70
	v_add_co_ci_u32_e64 v62, null, v59, v71, vcc_lo
	global_load_dword v61, v[61:62], off
	s_waitcnt vmcnt(0)
	v_mul_f32_e32 v63, s1, v61
	v_add_co_u32 v61, vcc_lo, v56, v70
	v_add_co_ci_u32_e64 v62, null, v57, v71, vcc_lo
	v_add_co_u32 v93, vcc_lo, v58, v68
	v_min_f32_e32 v60, v63, v60
	v_add_co_ci_u32_e64 v94, null, v59, v69, vcc_lo
	global_store_dword v[61:62], v60, off
	global_load_dword v60, v[93:94], off
	s_waitcnt vmcnt(0)
	v_mul_f32_e32 v61, s1, v60
.LBB67_50:
	v_add_f32_e32 v60, v21, v53
	v_add_f32_e32 v62, v20, v52
	v_add_f32_e32 v63, v23, v55
	v_add_f32_e32 v93, v22, v54
	v_add_f32_e32 v94, v17, v53
	v_add_f32_e32 v96, v16, v52
	v_min3_f32 v60, v62, v60, v130
	s_mov_b32 s6, -1
	v_min_f32_e32 v62, v93, v63
	v_add_f32_e32 v93, v19, v55
	v_min3_f32 v63, v96, v94, v131
	v_add_f32_e32 v94, v18, v54
	v_min3_f32 v62, v61, v62, v60
	v_add_co_u32 v60, vcc_lo, v56, v68
	v_add_co_ci_u32_e64 v61, null, v57, v69, vcc_lo
	v_min3_f32 v63, v94, v93, v63
	s_mov_b32 vcc_lo, s0
	global_store_dword v[60:61], v62, off
	v_max_f32_e32 v60, v63, v63
	;; [unrolled: 46-line block ×3, first 2 shown]
	s_cbranch_vccz .LBB67_56
; %bb.55:
	v_add_co_u32 v61, vcc_lo, v56, v76
	v_min_f32_e32 v63, 0, v60
	v_add_co_ci_u32_e64 v62, null, v57, v77, vcc_lo
	s_mov_b32 s6, 0
	global_store_dword v[61:62], v63, off
.LBB67_56:
	v_mov_b32_e32 v61, 0
	s_andn2_b32 vcc_lo, exec_lo, s6
	s_cbranch_vccnz .LBB67_58
; %bb.57:
	v_add_co_u32 v61, vcc_lo, v58, v76
	v_add_co_ci_u32_e64 v62, null, v59, v77, vcc_lo
	global_load_dword v61, v[61:62], off
	s_waitcnt vmcnt(0)
	v_mul_f32_e32 v63, s1, v61
	v_add_co_u32 v61, vcc_lo, v56, v76
	v_add_co_ci_u32_e64 v62, null, v57, v77, vcc_lo
	v_add_co_u32 v58, vcc_lo, v58, v78
	v_min_f32_e32 v60, v63, v60
	v_add_co_ci_u32_e64 v59, null, v59, v79, vcc_lo
	global_store_dword v[61:62], v60, off
	global_load_dword v58, v[58:59], off
	s_waitcnt vmcnt(0)
	v_mul_f32_e32 v61, s1, v58
.LBB67_58:
	v_add_f32_e32 v53, v1, v53
	v_add_f32_e32 v52, v0, v52
	;; [unrolled: 1-line block ×6, first 2 shown]
	v_min3_f32 v52, v52, v53, v123
	v_add_f32_e32 v60, v34, v50
	v_min_f32_e32 v53, v54, v55
	v_add_nc_u32_e32 v54, 0x60, v92
	v_min3_f32 v58, v59, v58, v129
	v_add_f32_e32 v59, v35, v51
	v_add_co_u32 v56, vcc_lo, v56, v78
	v_min3_f32 v61, v61, v53, v52
	v_mad_i64_i32 v[52:53], null, v54, s3, 0
	v_mad_i64_i32 v[54:55], null, v54, s2, 0
	v_add_co_ci_u32_e64 v57, null, v57, v79, vcc_lo
	v_min3_f32 v58, v60, v59, v58
	s_mov_b32 s6, -1
	v_lshlrev_b64 v[52:53], 2, v[52:53]
	global_store_dword v[56:57], v61, off
	v_lshlrev_b64 v[54:55], 2, v[54:55]
	v_max_f32_e32 v56, v58, v58
	v_add_co_u32 v52, vcc_lo, s4, v52
	v_add_co_ci_u32_e64 v53, null, s5, v53, vcc_lo
	v_add_co_u32 v54, vcc_lo, s12, v54
	v_add_co_ci_u32_e64 v55, null, s13, v55, vcc_lo
	s_mov_b32 vcc_lo, s0
	s_cbranch_vccz .LBB67_60
; %bb.59:
	v_add_co_u32 v57, vcc_lo, v52, v66
	v_min_f32_e32 v59, 0, v56
	v_add_co_ci_u32_e64 v58, null, v53, v67, vcc_lo
	s_mov_b32 s6, 0
	global_store_dword v[57:58], v59, off
.LBB67_60:
	v_mov_b32_e32 v57, 0
	s_andn2_b32 vcc_lo, exec_lo, s6
	s_cbranch_vccnz .LBB67_62
; %bb.61:
	v_add_co_u32 v57, vcc_lo, v54, v66
	v_add_co_ci_u32_e64 v58, null, v55, v67, vcc_lo
	global_load_dword v57, v[57:58], off
	s_waitcnt vmcnt(0)
	v_mul_f32_e32 v59, s1, v57
	v_add_co_u32 v57, vcc_lo, v52, v66
	v_add_co_ci_u32_e64 v58, null, v53, v67, vcc_lo
	v_min_f32_e32 v56, v59, v56
	v_add_co_u32 v59, vcc_lo, v54, v64
	v_add_co_ci_u32_e64 v60, null, v55, v65, vcc_lo
	global_store_dword v[57:58], v56, off
	global_load_dword v56, v[59:60], off
	s_waitcnt vmcnt(0)
	v_mul_f32_e32 v57, s1, v56
.LBB67_62:
	v_add_f32_e32 v56, v29, v49
	v_add_f32_e32 v58, v28, v48
	v_add_f32_e32 v59, v31, v51
	v_add_f32_e32 v60, v30, v50
	v_add_f32_e32 v61, v25, v49
	v_add_f32_e32 v62, v24, v48
	v_min3_f32 v56, v58, v56, v122
	s_mov_b32 s6, -1
	v_min_f32_e32 v58, v60, v59
	v_add_f32_e32 v60, v27, v51
	v_min3_f32 v59, v62, v61, v124
	v_add_f32_e32 v61, v26, v50
	v_min3_f32 v58, v57, v58, v56
	v_add_co_u32 v56, vcc_lo, v52, v64
	v_add_co_ci_u32_e64 v57, null, v53, v65, vcc_lo
	v_min3_f32 v59, v61, v60, v59
	s_mov_b32 vcc_lo, s0
	global_store_dword v[56:57], v58, off
	v_max_f32_e32 v56, v59, v59
	s_cbranch_vccz .LBB67_64
; %bb.63:
	v_add_co_u32 v57, vcc_lo, v52, v70
	v_min_f32_e32 v59, 0, v56
	v_add_co_ci_u32_e64 v58, null, v53, v71, vcc_lo
	s_mov_b32 s6, 0
	global_store_dword v[57:58], v59, off
.LBB67_64:
	v_mov_b32_e32 v57, 0
	s_andn2_b32 vcc_lo, exec_lo, s6
	s_cbranch_vccnz .LBB67_66
; %bb.65:
	v_add_co_u32 v57, vcc_lo, v54, v70
	v_add_co_ci_u32_e64 v58, null, v55, v71, vcc_lo
	global_load_dword v57, v[57:58], off
	s_waitcnt vmcnt(0)
	v_mul_f32_e32 v59, s1, v57
	v_add_co_u32 v57, vcc_lo, v52, v70
	v_add_co_ci_u32_e64 v58, null, v53, v71, vcc_lo
	v_min_f32_e32 v56, v59, v56
	v_add_co_u32 v59, vcc_lo, v54, v68
	v_add_co_ci_u32_e64 v60, null, v55, v69, vcc_lo
	global_store_dword v[57:58], v56, off
	global_load_dword v56, v[59:60], off
	s_waitcnt vmcnt(0)
	v_mul_f32_e32 v57, s1, v56
.LBB67_66:
	v_add_f32_e32 v56, v21, v49
	v_add_f32_e32 v58, v20, v48
	v_add_f32_e32 v59, v23, v51
	v_add_f32_e32 v60, v22, v50
	v_add_f32_e32 v61, v17, v49
	v_add_f32_e32 v62, v16, v48
	v_min3_f32 v56, v58, v56, v118
	s_mov_b32 s6, -1
	v_min_f32_e32 v58, v60, v59
	v_add_f32_e32 v60, v19, v51
	v_min3_f32 v59, v62, v61, v120
	v_add_f32_e32 v61, v18, v50
	v_min3_f32 v58, v57, v58, v56
	v_add_co_u32 v56, vcc_lo, v52, v68
	v_add_co_ci_u32_e64 v57, null, v53, v69, vcc_lo
	v_min3_f32 v59, v61, v60, v59
	s_mov_b32 vcc_lo, s0
	global_store_dword v[56:57], v58, off
	v_max_f32_e32 v56, v59, v59
	;; [unrolled: 46-line block ×3, first 2 shown]
	s_cbranch_vccz .LBB67_72
; %bb.71:
	v_add_co_u32 v57, vcc_lo, v52, v76
	v_min_f32_e32 v59, 0, v56
	v_add_co_ci_u32_e64 v58, null, v53, v77, vcc_lo
	s_mov_b32 s6, 0
	global_store_dword v[57:58], v59, off
.LBB67_72:
	v_mov_b32_e32 v57, 0
	s_andn2_b32 vcc_lo, exec_lo, s6
	s_cbranch_vccnz .LBB67_74
; %bb.73:
	v_add_co_u32 v57, vcc_lo, v54, v76
	v_add_co_ci_u32_e64 v58, null, v55, v77, vcc_lo
	global_load_dword v57, v[57:58], off
	s_waitcnt vmcnt(0)
	v_mul_f32_e32 v59, s1, v57
	v_add_co_u32 v57, vcc_lo, v52, v76
	v_add_co_ci_u32_e64 v58, null, v53, v77, vcc_lo
	v_add_co_u32 v54, vcc_lo, v54, v78
	v_min_f32_e32 v56, v59, v56
	v_add_co_ci_u32_e64 v55, null, v55, v79, vcc_lo
	global_store_dword v[57:58], v56, off
	global_load_dword v54, v[54:55], off
	s_waitcnt vmcnt(0)
	v_mul_f32_e32 v57, s1, v54
.LBB67_74:
	v_add_f32_e32 v49, v1, v49
	v_add_f32_e32 v48, v0, v48
	;; [unrolled: 1-line block ×6, first 2 shown]
	v_min3_f32 v48, v48, v49, v110
	v_add_f32_e32 v56, v34, v46
	v_min_f32_e32 v49, v50, v51
	v_add_nc_u32_e32 v50, 0x80, v92
	v_min3_f32 v54, v55, v54, v125
	v_add_f32_e32 v55, v35, v47
	v_add_co_u32 v52, vcc_lo, v52, v78
	v_min3_f32 v57, v57, v49, v48
	v_mad_i64_i32 v[48:49], null, v50, s3, 0
	v_mad_i64_i32 v[50:51], null, v50, s2, 0
	v_add_co_ci_u32_e64 v53, null, v53, v79, vcc_lo
	v_min3_f32 v54, v56, v55, v54
	s_mov_b32 s6, -1
	v_lshlrev_b64 v[48:49], 2, v[48:49]
	global_store_dword v[52:53], v57, off
	v_lshlrev_b64 v[50:51], 2, v[50:51]
	v_max_f32_e32 v52, v54, v54
	v_add_co_u32 v48, vcc_lo, s4, v48
	v_add_co_ci_u32_e64 v49, null, s5, v49, vcc_lo
	v_add_co_u32 v50, vcc_lo, s12, v50
	v_add_co_ci_u32_e64 v51, null, s13, v51, vcc_lo
	s_mov_b32 vcc_lo, s0
	s_cbranch_vccz .LBB67_76
; %bb.75:
	v_add_co_u32 v53, vcc_lo, v48, v66
	v_min_f32_e32 v55, 0, v52
	v_add_co_ci_u32_e64 v54, null, v49, v67, vcc_lo
	s_mov_b32 s6, 0
	global_store_dword v[53:54], v55, off
.LBB67_76:
	v_mov_b32_e32 v53, 0
	s_andn2_b32 vcc_lo, exec_lo, s6
	s_cbranch_vccnz .LBB67_78
; %bb.77:
	v_add_co_u32 v53, vcc_lo, v50, v66
	v_add_co_ci_u32_e64 v54, null, v51, v67, vcc_lo
	global_load_dword v53, v[53:54], off
	s_waitcnt vmcnt(0)
	v_mul_f32_e32 v55, s1, v53
	v_add_co_u32 v53, vcc_lo, v48, v66
	v_add_co_ci_u32_e64 v54, null, v49, v67, vcc_lo
	v_min_f32_e32 v52, v55, v52
	v_add_co_u32 v55, vcc_lo, v50, v64
	v_add_co_ci_u32_e64 v56, null, v51, v65, vcc_lo
	global_store_dword v[53:54], v52, off
	global_load_dword v52, v[55:56], off
	s_waitcnt vmcnt(0)
	v_mul_f32_e32 v53, s1, v52
.LBB67_78:
	v_add_f32_e32 v52, v29, v45
	v_add_f32_e32 v54, v28, v44
	v_add_f32_e32 v55, v31, v47
	v_add_f32_e32 v56, v30, v46
	v_add_f32_e32 v57, v25, v45
	v_add_f32_e32 v58, v24, v44
	v_min3_f32 v52, v54, v52, v119
	s_mov_b32 s6, -1
	v_min_f32_e32 v54, v56, v55
	v_add_f32_e32 v56, v27, v47
	v_min3_f32 v55, v58, v57, v121
	v_add_f32_e32 v57, v26, v46
	v_min3_f32 v54, v53, v54, v52
	v_add_co_u32 v52, vcc_lo, v48, v64
	v_add_co_ci_u32_e64 v53, null, v49, v65, vcc_lo
	v_min3_f32 v55, v57, v56, v55
	s_mov_b32 vcc_lo, s0
	global_store_dword v[52:53], v54, off
	v_max_f32_e32 v52, v55, v55
	s_cbranch_vccz .LBB67_80
; %bb.79:
	v_add_co_u32 v53, vcc_lo, v48, v70
	v_min_f32_e32 v55, 0, v52
	v_add_co_ci_u32_e64 v54, null, v49, v71, vcc_lo
	s_mov_b32 s6, 0
	global_store_dword v[53:54], v55, off
.LBB67_80:
	v_mov_b32_e32 v53, 0
	s_andn2_b32 vcc_lo, exec_lo, s6
	s_cbranch_vccnz .LBB67_82
; %bb.81:
	v_add_co_u32 v53, vcc_lo, v50, v70
	v_add_co_ci_u32_e64 v54, null, v51, v71, vcc_lo
	global_load_dword v53, v[53:54], off
	s_waitcnt vmcnt(0)
	v_mul_f32_e32 v55, s1, v53
	v_add_co_u32 v53, vcc_lo, v48, v70
	v_add_co_ci_u32_e64 v54, null, v49, v71, vcc_lo
	v_min_f32_e32 v52, v55, v52
	v_add_co_u32 v55, vcc_lo, v50, v68
	v_add_co_ci_u32_e64 v56, null, v51, v69, vcc_lo
	global_store_dword v[53:54], v52, off
	global_load_dword v52, v[55:56], off
	s_waitcnt vmcnt(0)
	v_mul_f32_e32 v53, s1, v52
.LBB67_82:
	v_add_f32_e32 v52, v21, v45
	v_add_f32_e32 v54, v20, v44
	v_add_f32_e32 v55, v23, v47
	v_add_f32_e32 v56, v22, v46
	v_add_f32_e32 v57, v17, v45
	v_add_f32_e32 v58, v16, v44
	v_min3_f32 v52, v54, v52, v115
	s_mov_b32 s6, -1
	v_min_f32_e32 v54, v56, v55
	v_add_f32_e32 v56, v19, v47
	v_min3_f32 v55, v58, v57, v117
	v_add_f32_e32 v57, v18, v46
	v_min3_f32 v54, v53, v54, v52
	v_add_co_u32 v52, vcc_lo, v48, v68
	v_add_co_ci_u32_e64 v53, null, v49, v69, vcc_lo
	v_min3_f32 v55, v57, v56, v55
	s_mov_b32 vcc_lo, s0
	global_store_dword v[52:53], v54, off
	v_max_f32_e32 v52, v55, v55
	;; [unrolled: 46-line block ×3, first 2 shown]
	s_cbranch_vccz .LBB67_88
; %bb.87:
	v_add_co_u32 v53, vcc_lo, v48, v76
	v_min_f32_e32 v55, 0, v52
	v_add_co_ci_u32_e64 v54, null, v49, v77, vcc_lo
	s_mov_b32 s6, 0
	global_store_dword v[53:54], v55, off
.LBB67_88:
	v_mov_b32_e32 v53, 0
	s_andn2_b32 vcc_lo, exec_lo, s6
	s_cbranch_vccnz .LBB67_90
; %bb.89:
	v_add_co_u32 v53, vcc_lo, v50, v76
	v_add_co_ci_u32_e64 v54, null, v51, v77, vcc_lo
	global_load_dword v53, v[53:54], off
	s_waitcnt vmcnt(0)
	v_mul_f32_e32 v55, s1, v53
	v_add_co_u32 v53, vcc_lo, v48, v76
	v_add_co_ci_u32_e64 v54, null, v49, v77, vcc_lo
	v_add_co_u32 v50, vcc_lo, v50, v78
	v_min_f32_e32 v52, v55, v52
	v_add_co_ci_u32_e64 v51, null, v51, v79, vcc_lo
	global_store_dword v[53:54], v52, off
	global_load_dword v50, v[50:51], off
	s_waitcnt vmcnt(0)
	v_mul_f32_e32 v53, s1, v50
.LBB67_90:
	v_add_f32_e32 v45, v1, v45
	v_add_f32_e32 v44, v0, v44
	;; [unrolled: 1-line block ×6, first 2 shown]
	v_min3_f32 v44, v44, v45, v107
	v_add_f32_e32 v52, v34, v42
	v_min_f32_e32 v45, v46, v47
	v_add_nc_u32_e32 v46, 0xa0, v92
	v_min3_f32 v50, v51, v50, v113
	v_add_f32_e32 v51, v35, v43
	v_add_co_u32 v48, vcc_lo, v48, v78
	v_min3_f32 v53, v53, v45, v44
	v_mad_i64_i32 v[44:45], null, v46, s3, 0
	v_mad_i64_i32 v[46:47], null, v46, s2, 0
	v_add_co_ci_u32_e64 v49, null, v49, v79, vcc_lo
	v_min3_f32 v50, v52, v51, v50
	s_mov_b32 s6, -1
	v_lshlrev_b64 v[44:45], 2, v[44:45]
	global_store_dword v[48:49], v53, off
	v_lshlrev_b64 v[46:47], 2, v[46:47]
	v_max_f32_e32 v48, v50, v50
	v_add_co_u32 v44, vcc_lo, s4, v44
	v_add_co_ci_u32_e64 v45, null, s5, v45, vcc_lo
	v_add_co_u32 v46, vcc_lo, s12, v46
	v_add_co_ci_u32_e64 v47, null, s13, v47, vcc_lo
	s_mov_b32 vcc_lo, s0
	s_cbranch_vccz .LBB67_92
; %bb.91:
	v_add_co_u32 v49, vcc_lo, v44, v66
	v_min_f32_e32 v51, 0, v48
	v_add_co_ci_u32_e64 v50, null, v45, v67, vcc_lo
	s_mov_b32 s6, 0
	global_store_dword v[49:50], v51, off
.LBB67_92:
	v_mov_b32_e32 v49, 0
	s_andn2_b32 vcc_lo, exec_lo, s6
	s_cbranch_vccnz .LBB67_94
; %bb.93:
	v_add_co_u32 v49, vcc_lo, v46, v66
	v_add_co_ci_u32_e64 v50, null, v47, v67, vcc_lo
	global_load_dword v49, v[49:50], off
	s_waitcnt vmcnt(0)
	v_mul_f32_e32 v51, s1, v49
	v_add_co_u32 v49, vcc_lo, v44, v66
	v_add_co_ci_u32_e64 v50, null, v45, v67, vcc_lo
	v_min_f32_e32 v48, v51, v48
	v_add_co_u32 v51, vcc_lo, v46, v64
	v_add_co_ci_u32_e64 v52, null, v47, v65, vcc_lo
	global_store_dword v[49:50], v48, off
	global_load_dword v48, v[51:52], off
	s_waitcnt vmcnt(0)
	v_mul_f32_e32 v49, s1, v48
.LBB67_94:
	v_add_f32_e32 v48, v29, v41
	v_add_f32_e32 v50, v28, v40
	v_add_f32_e32 v51, v31, v43
	v_add_f32_e32 v52, v30, v42
	v_add_f32_e32 v53, v25, v41
	v_add_f32_e32 v54, v24, v40
	v_min3_f32 v48, v50, v48, v108
	s_mov_b32 s6, -1
	v_min_f32_e32 v50, v52, v51
	v_add_f32_e32 v52, v27, v43
	v_min3_f32 v51, v54, v53, v109
	v_add_f32_e32 v53, v26, v42
	v_min3_f32 v50, v49, v50, v48
	v_add_co_u32 v48, vcc_lo, v44, v64
	v_add_co_ci_u32_e64 v49, null, v45, v65, vcc_lo
	v_min3_f32 v51, v53, v52, v51
	s_mov_b32 vcc_lo, s0
	global_store_dword v[48:49], v50, off
	v_max_f32_e32 v48, v51, v51
	s_cbranch_vccz .LBB67_96
; %bb.95:
	v_add_co_u32 v49, vcc_lo, v44, v70
	v_min_f32_e32 v51, 0, v48
	v_add_co_ci_u32_e64 v50, null, v45, v71, vcc_lo
	s_mov_b32 s6, 0
	global_store_dword v[49:50], v51, off
.LBB67_96:
	v_mov_b32_e32 v49, 0
	s_andn2_b32 vcc_lo, exec_lo, s6
	s_cbranch_vccnz .LBB67_98
; %bb.97:
	v_add_co_u32 v49, vcc_lo, v46, v70
	v_add_co_ci_u32_e64 v50, null, v47, v71, vcc_lo
	global_load_dword v49, v[49:50], off
	s_waitcnt vmcnt(0)
	v_mul_f32_e32 v51, s1, v49
	v_add_co_u32 v49, vcc_lo, v44, v70
	v_add_co_ci_u32_e64 v50, null, v45, v71, vcc_lo
	v_min_f32_e32 v48, v51, v48
	v_add_co_u32 v51, vcc_lo, v46, v68
	v_add_co_ci_u32_e64 v52, null, v47, v69, vcc_lo
	global_store_dword v[49:50], v48, off
	global_load_dword v48, v[51:52], off
	s_waitcnt vmcnt(0)
	v_mul_f32_e32 v49, s1, v48
.LBB67_98:
	v_add_f32_e32 v48, v21, v41
	v_add_f32_e32 v50, v20, v40
	v_add_f32_e32 v51, v23, v43
	v_add_f32_e32 v52, v22, v42
	v_add_f32_e32 v53, v17, v41
	v_add_f32_e32 v54, v16, v40
	v_min3_f32 v48, v50, v48, v105
	s_mov_b32 s6, -1
	v_min_f32_e32 v50, v52, v51
	v_add_f32_e32 v52, v19, v43
	v_min3_f32 v51, v54, v53, v106
	v_add_f32_e32 v53, v18, v42
	v_min3_f32 v50, v49, v50, v48
	v_add_co_u32 v48, vcc_lo, v44, v68
	v_add_co_ci_u32_e64 v49, null, v45, v69, vcc_lo
	v_min3_f32 v51, v53, v52, v51
	s_mov_b32 vcc_lo, s0
	global_store_dword v[48:49], v50, off
	v_max_f32_e32 v48, v51, v51
	;; [unrolled: 46-line block ×3, first 2 shown]
	s_cbranch_vccz .LBB67_104
; %bb.103:
	v_add_co_u32 v49, vcc_lo, v44, v76
	v_min_f32_e32 v51, 0, v48
	v_add_co_ci_u32_e64 v50, null, v45, v77, vcc_lo
	s_mov_b32 s6, 0
	global_store_dword v[49:50], v51, off
.LBB67_104:
	v_mov_b32_e32 v49, 0
	s_andn2_b32 vcc_lo, exec_lo, s6
	s_cbranch_vccnz .LBB67_106
; %bb.105:
	v_add_co_u32 v49, vcc_lo, v46, v76
	v_add_co_ci_u32_e64 v50, null, v47, v77, vcc_lo
	global_load_dword v49, v[49:50], off
	s_waitcnt vmcnt(0)
	v_mul_f32_e32 v51, s1, v49
	v_add_co_u32 v49, vcc_lo, v44, v76
	v_add_co_ci_u32_e64 v50, null, v45, v77, vcc_lo
	v_add_co_u32 v46, vcc_lo, v46, v78
	v_min_f32_e32 v48, v51, v48
	v_add_co_ci_u32_e64 v47, null, v47, v79, vcc_lo
	global_store_dword v[49:50], v48, off
	global_load_dword v46, v[46:47], off
	s_waitcnt vmcnt(0)
	v_mul_f32_e32 v49, s1, v46
.LBB67_106:
	v_add_f32_e32 v41, v1, v41
	v_add_f32_e32 v40, v0, v40
	;; [unrolled: 1-line block ×6, first 2 shown]
	v_min3_f32 v40, v40, v41, v95
	v_add_f32_e32 v48, v34, v38
	v_min_f32_e32 v41, v42, v43
	v_add_nc_u32_e32 v42, 0xc0, v92
	v_min3_f32 v46, v47, v46, v104
	v_add_f32_e32 v47, v35, v39
	v_add_co_u32 v44, vcc_lo, v44, v78
	v_min3_f32 v49, v49, v41, v40
	v_mad_i64_i32 v[40:41], null, v42, s3, 0
	v_mad_i64_i32 v[42:43], null, v42, s2, 0
	v_add_co_ci_u32_e64 v45, null, v45, v79, vcc_lo
	v_min3_f32 v46, v48, v47, v46
	s_mov_b32 s6, -1
	v_lshlrev_b64 v[40:41], 2, v[40:41]
	global_store_dword v[44:45], v49, off
	v_lshlrev_b64 v[42:43], 2, v[42:43]
	v_max_f32_e32 v44, v46, v46
	v_add_co_u32 v40, vcc_lo, s4, v40
	v_add_co_ci_u32_e64 v41, null, s5, v41, vcc_lo
	v_add_co_u32 v42, vcc_lo, s12, v42
	v_add_co_ci_u32_e64 v43, null, s13, v43, vcc_lo
	s_mov_b32 vcc_lo, s0
	s_cbranch_vccz .LBB67_108
; %bb.107:
	v_add_co_u32 v45, vcc_lo, v40, v66
	v_min_f32_e32 v47, 0, v44
	v_add_co_ci_u32_e64 v46, null, v41, v67, vcc_lo
	s_mov_b32 s6, 0
	global_store_dword v[45:46], v47, off
.LBB67_108:
	v_mov_b32_e32 v45, 0
	s_andn2_b32 vcc_lo, exec_lo, s6
	s_cbranch_vccnz .LBB67_110
; %bb.109:
	v_add_co_u32 v45, vcc_lo, v42, v66
	v_add_co_ci_u32_e64 v46, null, v43, v67, vcc_lo
	global_load_dword v45, v[45:46], off
	s_waitcnt vmcnt(0)
	v_mul_f32_e32 v47, s1, v45
	v_add_co_u32 v45, vcc_lo, v40, v66
	v_add_co_ci_u32_e64 v46, null, v41, v67, vcc_lo
	v_min_f32_e32 v44, v47, v44
	v_add_co_u32 v47, vcc_lo, v42, v64
	v_add_co_ci_u32_e64 v48, null, v43, v65, vcc_lo
	global_store_dword v[45:46], v44, off
	global_load_dword v44, v[47:48], off
	s_waitcnt vmcnt(0)
	v_mul_f32_e32 v45, s1, v44
.LBB67_110:
	v_add_f32_e32 v44, v29, v37
	v_add_f32_e32 v46, v28, v36
	v_add_f32_e32 v47, v31, v39
	v_add_f32_e32 v48, v30, v38
	v_add_f32_e32 v49, v25, v37
	v_add_f32_e32 v50, v24, v36
	v_min3_f32 v44, v46, v44, v100
	s_mov_b32 s6, -1
	v_min_f32_e32 v46, v48, v47
	v_add_f32_e32 v48, v27, v39
	v_min3_f32 v47, v50, v49, v101
	v_add_f32_e32 v49, v26, v38
	v_min3_f32 v46, v45, v46, v44
	v_add_co_u32 v44, vcc_lo, v40, v64
	v_add_co_ci_u32_e64 v45, null, v41, v65, vcc_lo
	v_min3_f32 v47, v49, v48, v47
	s_mov_b32 vcc_lo, s0
	global_store_dword v[44:45], v46, off
	v_max_f32_e32 v44, v47, v47
	s_cbranch_vccz .LBB67_112
; %bb.111:
	v_add_co_u32 v45, vcc_lo, v40, v70
	v_min_f32_e32 v47, 0, v44
	v_add_co_ci_u32_e64 v46, null, v41, v71, vcc_lo
	s_mov_b32 s6, 0
	global_store_dword v[45:46], v47, off
.LBB67_112:
	v_mov_b32_e32 v45, 0
	s_andn2_b32 vcc_lo, exec_lo, s6
	s_cbranch_vccnz .LBB67_114
; %bb.113:
	v_add_co_u32 v45, vcc_lo, v42, v70
	v_add_co_ci_u32_e64 v46, null, v43, v71, vcc_lo
	global_load_dword v45, v[45:46], off
	s_waitcnt vmcnt(0)
	v_mul_f32_e32 v47, s1, v45
	v_add_co_u32 v45, vcc_lo, v40, v70
	v_add_co_ci_u32_e64 v46, null, v41, v71, vcc_lo
	v_min_f32_e32 v44, v47, v44
	v_add_co_u32 v47, vcc_lo, v42, v68
	v_add_co_ci_u32_e64 v48, null, v43, v69, vcc_lo
	global_store_dword v[45:46], v44, off
	global_load_dword v44, v[47:48], off
	s_waitcnt vmcnt(0)
	v_mul_f32_e32 v45, s1, v44
.LBB67_114:
	v_add_f32_e32 v44, v21, v37
	v_add_f32_e32 v46, v20, v36
	v_add_f32_e32 v47, v23, v39
	v_add_f32_e32 v48, v22, v38
	v_add_f32_e32 v49, v17, v37
	v_add_f32_e32 v50, v16, v36
	v_min3_f32 v44, v46, v44, v90
	s_mov_b32 s6, -1
	v_min_f32_e32 v46, v48, v47
	v_add_f32_e32 v48, v19, v39
	v_min3_f32 v47, v50, v49, v91
	v_add_f32_e32 v49, v18, v38
	v_min3_f32 v46, v45, v46, v44
	v_add_co_u32 v44, vcc_lo, v40, v68
	v_add_co_ci_u32_e64 v45, null, v41, v69, vcc_lo
	v_min3_f32 v47, v49, v48, v47
	s_mov_b32 vcc_lo, s0
	global_store_dword v[44:45], v46, off
	v_max_f32_e32 v44, v47, v47
	;; [unrolled: 46-line block ×3, first 2 shown]
	s_cbranch_vccz .LBB67_120
; %bb.119:
	v_add_co_u32 v45, vcc_lo, v40, v76
	v_min_f32_e32 v47, 0, v44
	v_add_co_ci_u32_e64 v46, null, v41, v77, vcc_lo
	s_mov_b32 s6, 0
	global_store_dword v[45:46], v47, off
.LBB67_120:
	v_mov_b32_e32 v45, 0
	s_andn2_b32 vcc_lo, exec_lo, s6
	s_cbranch_vccnz .LBB67_122
; %bb.121:
	v_add_co_u32 v45, vcc_lo, v42, v76
	v_add_co_ci_u32_e64 v46, null, v43, v77, vcc_lo
	global_load_dword v45, v[45:46], off
	s_waitcnt vmcnt(0)
	v_mul_f32_e32 v47, s1, v45
	v_add_co_u32 v45, vcc_lo, v40, v76
	v_add_co_ci_u32_e64 v46, null, v41, v77, vcc_lo
	v_add_co_u32 v42, vcc_lo, v42, v78
	v_min_f32_e32 v44, v47, v44
	v_add_co_ci_u32_e64 v43, null, v43, v79, vcc_lo
	global_store_dword v[45:46], v44, off
	global_load_dword v42, v[42:43], off
	s_waitcnt vmcnt(0)
	v_mul_f32_e32 v45, s1, v42
.LBB67_122:
	v_add_f32_e32 v37, v1, v37
	v_add_f32_e32 v36, v0, v36
	;; [unrolled: 1-line block ×4, first 2 shown]
	s_waitcnt lgkmcnt(0)
	v_add_f32_e32 v33, v33, v5
	v_add_f32_e32 v32, v32, v4
	v_min3_f32 v36, v36, v37, v86
	v_add_f32_e32 v42, v35, v7
	v_min_f32_e32 v37, v38, v39
	v_add_nc_u32_e32 v39, 0xe0, v92
	v_min3_f32 v38, v32, v33, v87
	v_add_f32_e32 v43, v34, v6
	v_min3_f32 v44, v45, v37, v36
	v_mad_i64_i32 v[32:33], null, v39, s3, 0
	v_mad_i64_i32 v[34:35], null, v39, s2, 0
	v_add_co_u32 v36, vcc_lo, v40, v78
	v_add_co_ci_u32_e64 v37, null, v41, v79, vcc_lo
	v_lshlrev_b64 v[32:33], 2, v[32:33]
	v_min3_f32 v38, v43, v42, v38
	v_lshlrev_b64 v[34:35], 2, v[34:35]
	global_store_dword v[36:37], v44, off
	s_mov_b32 s2, -1
	v_add_co_u32 v32, vcc_lo, s4, v32
	v_add_co_ci_u32_e64 v33, null, s5, v33, vcc_lo
	v_add_co_u32 v34, vcc_lo, s12, v34
	v_add_co_ci_u32_e64 v35, null, s13, v35, vcc_lo
	v_max_f32_e32 v36, v38, v38
	s_mov_b32 vcc_lo, s0
	s_cbranch_vccz .LBB67_124
; %bb.123:
	v_add_co_u32 v37, vcc_lo, v32, v66
	v_min_f32_e32 v39, 0, v36
	v_add_co_ci_u32_e64 v38, null, v33, v67, vcc_lo
	s_mov_b32 s2, 0
	global_store_dword v[37:38], v39, off
.LBB67_124:
	v_mov_b32_e32 v37, 0
	s_andn2_b32 vcc_lo, exec_lo, s2
	s_cbranch_vccnz .LBB67_126
; %bb.125:
	v_add_co_u32 v37, vcc_lo, v34, v66
	v_add_co_ci_u32_e64 v38, null, v35, v67, vcc_lo
	global_load_dword v37, v[37:38], off
	s_waitcnt vmcnt(0)
	v_mul_f32_e32 v39, s1, v37
	v_add_co_u32 v37, vcc_lo, v32, v66
	v_add_co_ci_u32_e64 v38, null, v33, v67, vcc_lo
	v_min_f32_e32 v36, v39, v36
	v_add_co_u32 v39, vcc_lo, v34, v64
	v_add_co_ci_u32_e64 v40, null, v35, v65, vcc_lo
	global_store_dword v[37:38], v36, off
	global_load_dword v36, v[39:40], off
	s_waitcnt vmcnt(0)
	v_mul_f32_e32 v37, s1, v36
.LBB67_126:
	v_add_f32_e32 v29, v29, v5
	v_add_f32_e32 v28, v28, v4
	v_add_f32_e32 v31, v31, v7
	v_add_f32_e32 v30, v30, v6
	v_add_f32_e32 v25, v25, v5
	v_add_f32_e32 v24, v24, v4
	v_min3_f32 v28, v28, v29, v84
	v_add_f32_e32 v27, v27, v7
	v_min_f32_e32 v29, v30, v31
	v_add_f32_e32 v26, v26, v6
	v_min3_f32 v30, v24, v25, v85
	v_add_co_u32 v24, vcc_lo, v32, v64
	v_min3_f32 v28, v37, v29, v28
	v_add_co_ci_u32_e64 v25, null, v33, v65, vcc_lo
	v_min3_f32 v26, v26, v27, v30
	s_mov_b32 s2, -1
	s_mov_b32 vcc_lo, s0
	global_store_dword v[24:25], v28, off
	v_max_f32_e32 v24, v26, v26
	s_cbranch_vccz .LBB67_128
; %bb.127:
	v_add_co_u32 v25, vcc_lo, v32, v70
	v_min_f32_e32 v27, 0, v24
	v_add_co_ci_u32_e64 v26, null, v33, v71, vcc_lo
	s_mov_b32 s2, 0
	global_store_dword v[25:26], v27, off
.LBB67_128:
	v_mov_b32_e32 v25, 0
	s_andn2_b32 vcc_lo, exec_lo, s2
	s_cbranch_vccnz .LBB67_130
; %bb.129:
	v_add_co_u32 v25, vcc_lo, v34, v70
	v_add_co_ci_u32_e64 v26, null, v35, v71, vcc_lo
	global_load_dword v25, v[25:26], off
	s_waitcnt vmcnt(0)
	v_mul_f32_e32 v27, s1, v25
	v_add_co_u32 v25, vcc_lo, v32, v70
	v_add_co_ci_u32_e64 v26, null, v33, v71, vcc_lo
	v_min_f32_e32 v24, v27, v24
	v_add_co_u32 v27, vcc_lo, v34, v68
	v_add_co_ci_u32_e64 v28, null, v35, v69, vcc_lo
	global_store_dword v[25:26], v24, off
	global_load_dword v24, v[27:28], off
	s_waitcnt vmcnt(0)
	v_mul_f32_e32 v25, s1, v24
.LBB67_130:
	v_add_f32_e32 v21, v21, v5
	v_add_f32_e32 v20, v20, v4
	v_add_f32_e32 v23, v23, v7
	v_add_f32_e32 v22, v22, v6
	v_add_f32_e32 v17, v17, v5
	v_add_f32_e32 v16, v16, v4
	v_min3_f32 v20, v20, v21, v82
	v_add_f32_e32 v19, v19, v7
	v_min_f32_e32 v21, v22, v23
	v_add_f32_e32 v18, v18, v6
	v_min3_f32 v22, v16, v17, v83
	v_add_co_u32 v16, vcc_lo, v32, v68
	v_min3_f32 v20, v25, v21, v20
	v_add_co_ci_u32_e64 v17, null, v33, v69, vcc_lo
	v_min3_f32 v18, v18, v19, v22
	s_mov_b32 s2, -1
	s_mov_b32 vcc_lo, s0
	global_store_dword v[16:17], v20, off
	v_max_f32_e32 v16, v18, v18
	;; [unrolled: 46-line block ×3, first 2 shown]
	s_cbranch_vccz .LBB67_136
; %bb.135:
	v_add_co_u32 v9, vcc_lo, v32, v76
	v_min_f32_e32 v11, 0, v8
	v_add_co_ci_u32_e64 v10, null, v33, v77, vcc_lo
	s_mov_b32 s2, 0
	global_store_dword v[9:10], v11, off
.LBB67_136:
	v_mov_b32_e32 v9, 0
	s_andn2_b32 vcc_lo, exec_lo, s2
	s_cbranch_vccnz .LBB67_138
; %bb.137:
	v_add_co_u32 v9, vcc_lo, v34, v76
	v_add_co_ci_u32_e64 v10, null, v35, v77, vcc_lo
	global_load_dword v9, v[9:10], off
	s_waitcnt vmcnt(0)
	v_mul_f32_e32 v11, s1, v9
	v_add_co_u32 v9, vcc_lo, v32, v76
	v_add_co_ci_u32_e64 v10, null, v33, v77, vcc_lo
	v_min_f32_e32 v8, v11, v8
	v_add_co_u32 v11, vcc_lo, v34, v78
	v_add_co_ci_u32_e64 v12, null, v35, v79, vcc_lo
	global_store_dword v[9:10], v8, off
	global_load_dword v8, v[11:12], off
	s_waitcnt vmcnt(0)
	v_mul_f32_e32 v9, s1, v8
.LBB67_138:
	v_add_f32_e32 v3, v3, v7
	v_add_f32_e32 v2, v2, v6
	;; [unrolled: 1-line block ×4, first 2 shown]
	v_min_f32_e32 v2, v2, v3
	v_min3_f32 v0, v0, v1, v127
	v_min3_f32 v2, v9, v2, v0
	v_add_co_u32 v0, vcc_lo, v32, v78
	v_add_co_ci_u32_e64 v1, null, v33, v79, vcc_lo
	global_store_dword v[0:1], v2, off
	s_endpgm
.LBB67_139:
	s_mov_b64 s[14:15], 0
	s_andn2_b32 vcc_lo, exec_lo, s8
	s_mov_b32 s0, -1
	s_cbranch_vccz .LBB67_2
	s_branch .LBB67_3
	.section	.rodata,"a",@progbits
	.p2align	6, 0x0
	.amdhsa_kernel _ZN12_GLOBAL__N_120geam_min_plus_kernelIf15HIP_vector_typeIfLj2EEfLi8ELi32ELi64ELi256ELi4ELi64ELi4ELi64ELi4ELc78ELc84ELb1ELb0ELb1EfKffEEviiiT16_PT17_ilS6_ilS4_S6_ilPT18_ili26rocblas_geam_ex_operation_
		.amdhsa_group_segment_fixed_size 10240
		.amdhsa_private_segment_fixed_size 0
		.amdhsa_kernarg_size 128
		.amdhsa_user_sgpr_count 6
		.amdhsa_user_sgpr_private_segment_buffer 1
		.amdhsa_user_sgpr_dispatch_ptr 0
		.amdhsa_user_sgpr_queue_ptr 0
		.amdhsa_user_sgpr_kernarg_segment_ptr 1
		.amdhsa_user_sgpr_dispatch_id 0
		.amdhsa_user_sgpr_flat_scratch_init 0
		.amdhsa_user_sgpr_private_segment_size 0
		.amdhsa_wavefront_size32 1
		.amdhsa_uses_dynamic_stack 0
		.amdhsa_system_sgpr_private_segment_wavefront_offset 0
		.amdhsa_system_sgpr_workgroup_id_x 1
		.amdhsa_system_sgpr_workgroup_id_y 0
		.amdhsa_system_sgpr_workgroup_id_z 1
		.amdhsa_system_sgpr_workgroup_info 0
		.amdhsa_system_vgpr_workitem_id 1
		.amdhsa_next_free_vgpr 178
		.amdhsa_next_free_sgpr 22
		.amdhsa_reserve_vcc 1
		.amdhsa_reserve_flat_scratch 0
		.amdhsa_float_round_mode_32 0
		.amdhsa_float_round_mode_16_64 0
		.amdhsa_float_denorm_mode_32 3
		.amdhsa_float_denorm_mode_16_64 3
		.amdhsa_dx10_clamp 1
		.amdhsa_ieee_mode 1
		.amdhsa_fp16_overflow 0
		.amdhsa_workgroup_processor_mode 1
		.amdhsa_memory_ordered 1
		.amdhsa_forward_progress 1
		.amdhsa_shared_vgpr_count 0
		.amdhsa_exception_fp_ieee_invalid_op 0
		.amdhsa_exception_fp_denorm_src 0
		.amdhsa_exception_fp_ieee_div_zero 0
		.amdhsa_exception_fp_ieee_overflow 0
		.amdhsa_exception_fp_ieee_underflow 0
		.amdhsa_exception_fp_ieee_inexact 0
		.amdhsa_exception_int_div_zero 0
	.end_amdhsa_kernel
	.section	.text._ZN12_GLOBAL__N_120geam_min_plus_kernelIf15HIP_vector_typeIfLj2EEfLi8ELi32ELi64ELi256ELi4ELi64ELi4ELi64ELi4ELc78ELc84ELb1ELb0ELb1EfKffEEviiiT16_PT17_ilS6_ilS4_S6_ilPT18_ili26rocblas_geam_ex_operation_,"axG",@progbits,_ZN12_GLOBAL__N_120geam_min_plus_kernelIf15HIP_vector_typeIfLj2EEfLi8ELi32ELi64ELi256ELi4ELi64ELi4ELi64ELi4ELc78ELc84ELb1ELb0ELb1EfKffEEviiiT16_PT17_ilS6_ilS4_S6_ilPT18_ili26rocblas_geam_ex_operation_,comdat
.Lfunc_end67:
	.size	_ZN12_GLOBAL__N_120geam_min_plus_kernelIf15HIP_vector_typeIfLj2EEfLi8ELi32ELi64ELi256ELi4ELi64ELi4ELi64ELi4ELc78ELc84ELb1ELb0ELb1EfKffEEviiiT16_PT17_ilS6_ilS4_S6_ilPT18_ili26rocblas_geam_ex_operation_, .Lfunc_end67-_ZN12_GLOBAL__N_120geam_min_plus_kernelIf15HIP_vector_typeIfLj2EEfLi8ELi32ELi64ELi256ELi4ELi64ELi4ELi64ELi4ELc78ELc84ELb1ELb0ELb1EfKffEEviiiT16_PT17_ilS6_ilS4_S6_ilPT18_ili26rocblas_geam_ex_operation_
                                        ; -- End function
	.set _ZN12_GLOBAL__N_120geam_min_plus_kernelIf15HIP_vector_typeIfLj2EEfLi8ELi32ELi64ELi256ELi4ELi64ELi4ELi64ELi4ELc78ELc84ELb1ELb0ELb1EfKffEEviiiT16_PT17_ilS6_ilS4_S6_ilPT18_ili26rocblas_geam_ex_operation_.num_vgpr, 178
	.set _ZN12_GLOBAL__N_120geam_min_plus_kernelIf15HIP_vector_typeIfLj2EEfLi8ELi32ELi64ELi256ELi4ELi64ELi4ELi64ELi4ELc78ELc84ELb1ELb0ELb1EfKffEEviiiT16_PT17_ilS6_ilS4_S6_ilPT18_ili26rocblas_geam_ex_operation_.num_agpr, 0
	.set _ZN12_GLOBAL__N_120geam_min_plus_kernelIf15HIP_vector_typeIfLj2EEfLi8ELi32ELi64ELi256ELi4ELi64ELi4ELi64ELi4ELc78ELc84ELb1ELb0ELb1EfKffEEviiiT16_PT17_ilS6_ilS4_S6_ilPT18_ili26rocblas_geam_ex_operation_.numbered_sgpr, 22
	.set _ZN12_GLOBAL__N_120geam_min_plus_kernelIf15HIP_vector_typeIfLj2EEfLi8ELi32ELi64ELi256ELi4ELi64ELi4ELi64ELi4ELc78ELc84ELb1ELb0ELb1EfKffEEviiiT16_PT17_ilS6_ilS4_S6_ilPT18_ili26rocblas_geam_ex_operation_.num_named_barrier, 0
	.set _ZN12_GLOBAL__N_120geam_min_plus_kernelIf15HIP_vector_typeIfLj2EEfLi8ELi32ELi64ELi256ELi4ELi64ELi4ELi64ELi4ELc78ELc84ELb1ELb0ELb1EfKffEEviiiT16_PT17_ilS6_ilS4_S6_ilPT18_ili26rocblas_geam_ex_operation_.private_seg_size, 0
	.set _ZN12_GLOBAL__N_120geam_min_plus_kernelIf15HIP_vector_typeIfLj2EEfLi8ELi32ELi64ELi256ELi4ELi64ELi4ELi64ELi4ELc78ELc84ELb1ELb0ELb1EfKffEEviiiT16_PT17_ilS6_ilS4_S6_ilPT18_ili26rocblas_geam_ex_operation_.uses_vcc, 1
	.set _ZN12_GLOBAL__N_120geam_min_plus_kernelIf15HIP_vector_typeIfLj2EEfLi8ELi32ELi64ELi256ELi4ELi64ELi4ELi64ELi4ELc78ELc84ELb1ELb0ELb1EfKffEEviiiT16_PT17_ilS6_ilS4_S6_ilPT18_ili26rocblas_geam_ex_operation_.uses_flat_scratch, 0
	.set _ZN12_GLOBAL__N_120geam_min_plus_kernelIf15HIP_vector_typeIfLj2EEfLi8ELi32ELi64ELi256ELi4ELi64ELi4ELi64ELi4ELc78ELc84ELb1ELb0ELb1EfKffEEviiiT16_PT17_ilS6_ilS4_S6_ilPT18_ili26rocblas_geam_ex_operation_.has_dyn_sized_stack, 0
	.set _ZN12_GLOBAL__N_120geam_min_plus_kernelIf15HIP_vector_typeIfLj2EEfLi8ELi32ELi64ELi256ELi4ELi64ELi4ELi64ELi4ELc78ELc84ELb1ELb0ELb1EfKffEEviiiT16_PT17_ilS6_ilS4_S6_ilPT18_ili26rocblas_geam_ex_operation_.has_recursion, 0
	.set _ZN12_GLOBAL__N_120geam_min_plus_kernelIf15HIP_vector_typeIfLj2EEfLi8ELi32ELi64ELi256ELi4ELi64ELi4ELi64ELi4ELc78ELc84ELb1ELb0ELb1EfKffEEviiiT16_PT17_ilS6_ilS4_S6_ilPT18_ili26rocblas_geam_ex_operation_.has_indirect_call, 0
	.section	.AMDGPU.csdata,"",@progbits
; Kernel info:
; codeLenInByte = 16888
; TotalNumSgprs: 24
; NumVgprs: 178
; ScratchSize: 0
; MemoryBound: 0
; FloatMode: 240
; IeeeMode: 1
; LDSByteSize: 10240 bytes/workgroup (compile time only)
; SGPRBlocks: 0
; VGPRBlocks: 22
; NumSGPRsForWavesPerEU: 24
; NumVGPRsForWavesPerEU: 178
; Occupancy: 5
; WaveLimiterHint : 1
; COMPUTE_PGM_RSRC2:SCRATCH_EN: 0
; COMPUTE_PGM_RSRC2:USER_SGPR: 6
; COMPUTE_PGM_RSRC2:TRAP_HANDLER: 0
; COMPUTE_PGM_RSRC2:TGID_X_EN: 1
; COMPUTE_PGM_RSRC2:TGID_Y_EN: 0
; COMPUTE_PGM_RSRC2:TGID_Z_EN: 1
; COMPUTE_PGM_RSRC2:TIDIG_COMP_CNT: 1
	.section	.text._ZN12_GLOBAL__N_120geam_min_plus_kernelIf15HIP_vector_typeIfLj2EEfLi8ELi32ELi64ELi256ELi4ELi64ELi4ELi64ELi4ELc78ELc84ELb0ELb0ELb1EfKffEEviiiT16_PT17_ilS6_ilS4_S6_ilPT18_ili26rocblas_geam_ex_operation_,"axG",@progbits,_ZN12_GLOBAL__N_120geam_min_plus_kernelIf15HIP_vector_typeIfLj2EEfLi8ELi32ELi64ELi256ELi4ELi64ELi4ELi64ELi4ELc78ELc84ELb0ELb0ELb1EfKffEEviiiT16_PT17_ilS6_ilS4_S6_ilPT18_ili26rocblas_geam_ex_operation_,comdat
	.globl	_ZN12_GLOBAL__N_120geam_min_plus_kernelIf15HIP_vector_typeIfLj2EEfLi8ELi32ELi64ELi256ELi4ELi64ELi4ELi64ELi4ELc78ELc84ELb0ELb0ELb1EfKffEEviiiT16_PT17_ilS6_ilS4_S6_ilPT18_ili26rocblas_geam_ex_operation_ ; -- Begin function _ZN12_GLOBAL__N_120geam_min_plus_kernelIf15HIP_vector_typeIfLj2EEfLi8ELi32ELi64ELi256ELi4ELi64ELi4ELi64ELi4ELc78ELc84ELb0ELb0ELb1EfKffEEviiiT16_PT17_ilS6_ilS4_S6_ilPT18_ili26rocblas_geam_ex_operation_
	.p2align	8
	.type	_ZN12_GLOBAL__N_120geam_min_plus_kernelIf15HIP_vector_typeIfLj2EEfLi8ELi32ELi64ELi256ELi4ELi64ELi4ELi64ELi4ELc78ELc84ELb0ELb0ELb1EfKffEEviiiT16_PT17_ilS6_ilS4_S6_ilPT18_ili26rocblas_geam_ex_operation_,@function
_ZN12_GLOBAL__N_120geam_min_plus_kernelIf15HIP_vector_typeIfLj2EEfLi8ELi32ELi64ELi256ELi4ELi64ELi4ELi64ELi4ELc78ELc84ELb0ELb0ELb1EfKffEEviiiT16_PT17_ilS6_ilS4_S6_ilPT18_ili26rocblas_geam_ex_operation_: ; @_ZN12_GLOBAL__N_120geam_min_plus_kernelIf15HIP_vector_typeIfLj2EEfLi8ELi32ELi64ELi256ELi4ELi64ELi4ELi64ELi4ELc78ELc84ELb0ELb0ELb1EfKffEEviiiT16_PT17_ilS6_ilS4_S6_ilPT18_ili26rocblas_geam_ex_operation_
; %bb.0:
	s_clause 0x1
	s_load_dwordx2 s[14:15], s[4:5], 0x8
	s_load_dwordx4 s[8:11], s[4:5], 0x20
	s_waitcnt lgkmcnt(0)
	v_cmp_eq_f32_e64 s0, s15, 0
	s_and_b32 s1, exec_lo, s0
	s_mov_b32 vcc_lo, s1
	s_cbranch_vccnz .LBB68_175
; %bb.1:
	s_load_dwordx2 s[2:3], s[4:5], 0x10
	s_mul_i32 s9, s9, s7
	s_mul_hi_u32 s12, s8, s7
	s_mul_i32 s8, s8, s7
	s_add_i32 s9, s12, s9
	s_lshl_b64 s[8:9], s[8:9], 2
	s_waitcnt lgkmcnt(0)
	s_add_u32 s16, s2, s8
	s_addc_u32 s17, s3, s9
	s_andn2_b32 vcc_lo, exec_lo, s0
	s_mov_b32 s0, -1
	s_cbranch_vccnz .LBB68_3
.LBB68_2:
	s_mov_b32 s0, 0
.LBB68_3:
	s_mov_b64 s[12:13], 0
	s_andn2_b32 vcc_lo, exec_lo, s0
	s_mov_b64 s[18:19], 0
	s_cbranch_vccnz .LBB68_5
; %bb.4:
	s_load_dwordx2 s[2:3], s[4:5], 0x38
	s_waitcnt lgkmcnt(0)
	s_mul_i32 s0, s3, s7
	s_mul_hi_u32 s3, s2, s7
	s_mul_i32 s2, s2, s7
	s_add_i32 s3, s3, s0
	s_lshl_b64 s[2:3], s[2:3], 2
	s_add_u32 s18, s10, s2
	s_addc_u32 s19, s11, s3
.LBB68_5:
	s_clause 0x1
	s_load_dword s3, s[4:5], 0x40
	s_load_dwordx4 s[8:11], s[4:5], 0x58
	v_cmp_neq_f32_e64 s20, s15, 0
	s_waitcnt lgkmcnt(0)
	v_cmp_eq_f32_e64 s0, s3, 0
	s_and_b32 s0, exec_lo, s0
	s_mov_b32 vcc_lo, s0
	s_cbranch_vccnz .LBB68_7
; %bb.6:
	s_load_dwordx2 s[12:13], s[4:5], 0x48
	s_mul_i32 s2, s9, s7
	s_mul_hi_u32 s9, s8, s7
	s_mul_i32 s8, s8, s7
	s_add_i32 s9, s9, s2
	s_lshl_b64 s[8:9], s[8:9], 2
	s_waitcnt lgkmcnt(0)
	s_add_u32 s12, s12, s8
	s_addc_u32 s13, s13, s9
.LBB68_7:
	s_clause 0x1
	s_load_dword s2, s[4:5], 0x0
	s_load_dword s8, s[4:5], 0x18
	v_cndmask_b32_e64 v3, 0, 1, s20
	v_mov_b32_e32 v6, 0
	v_mov_b32_e32 v7, 0
	s_waitcnt lgkmcnt(0)
	s_add_i32 s2, s2, -1
	s_ashr_i32 s9, s2, 31
	s_lshr_b32 s9, s9, 26
	s_add_i32 s2, s2, s9
	s_ashr_i32 s2, s2, 6
	s_add_i32 s22, s2, 1
	s_not_b32 s2, s2
	v_cvt_f32_u32_e32 v2, s22
	v_rcp_iflag_f32_e32 v2, v2
	v_mul_f32_e32 v2, 0x4f7ffffe, v2
	v_cvt_u32_f32_e32 v2, v2
	v_readfirstlane_b32 s9, v2
	v_lshl_add_u32 v2, v1, 3, v0
	s_mul_i32 s2, s2, s9
	v_and_b32_e32 v66, 63, v2
	s_mul_hi_u32 s2, s9, s2
	v_lshrrev_b32_e32 v67, 6, v2
	s_add_i32 s9, s9, s2
	s_mul_hi_u32 s2, s6, s9
	s_ashr_i32 s9, s8, 31
	s_mul_i32 s21, s2, s22
	s_add_i32 s23, s2, 1
	s_sub_i32 s21, s6, s21
	s_sub_i32 s24, s21, s22
	s_cmp_ge_u32 s21, s22
	s_cselect_b32 s2, s23, s2
	s_cselect_b32 s21, s24, s21
	s_add_i32 s23, s2, 1
	s_cmp_ge_u32 s21, s22
	s_cselect_b32 s21, s23, s2
	s_andn2_b32 vcc_lo, exec_lo, s20
	s_mul_i32 s24, s21, s22
	s_sub_i32 s2, s6, s24
	s_lshl_b32 s22, s2, 6
	v_cmp_ne_u32_e64 s2, 1, v3
	v_or_b32_e32 v4, s22, v66
	v_ashrrev_i32_e32 v5, 31, v4
	s_cbranch_vccnz .LBB68_9
; %bb.8:
	v_mad_i64_i32 v[2:3], null, s8, v67, 0
	v_lshlrev_b64 v[7:8], 2, v[4:5]
	v_lshlrev_b64 v[2:3], 2, v[2:3]
	v_add_co_u32 v2, vcc_lo, s16, v2
	v_add_co_ci_u32_e64 v3, null, s17, v3, vcc_lo
	v_add_co_u32 v2, vcc_lo, v2, v7
	v_add_co_ci_u32_e64 v3, null, v3, v8, vcc_lo
	global_load_dword v2, v[2:3], off
	s_waitcnt vmcnt(0)
	v_mul_f32_e32 v7, s15, v2
.LBB68_9:
	s_load_dword s20, s[4:5], 0x30
	s_lshl_b32 s23, s21, 8
	v_or_b32_e32 v2, s23, v66
	v_ashrrev_i32_e32 v3, 31, v2
	s_waitcnt lgkmcnt(0)
	v_mad_i64_i32 v[8:9], null, v67, s20, 0
	v_lshlrev_b64 v[8:9], 2, v[8:9]
	v_add_co_u32 v11, vcc_lo, s18, v8
	v_add_co_ci_u32_e64 v12, null, s19, v9, vcc_lo
	v_mov_b32_e32 v8, 0
	s_and_b32 vcc_lo, exec_lo, s2
	s_cbranch_vccnz .LBB68_11
; %bb.10:
	v_lshlrev_b64 v[8:9], 2, v[2:3]
	v_add_co_u32 v8, vcc_lo, v11, v8
	v_add_co_ci_u32_e64 v9, null, v12, v9, vcc_lo
	s_clause 0x1
	global_load_dword v6, v[8:9], off
	global_load_dword v9, v[8:9], off offset:256
	s_waitcnt vmcnt(1)
	v_mul_f32_e32 v8, s15, v6
	s_waitcnt vmcnt(0)
	v_mul_f32_e32 v6, s15, v9
.LBB68_11:
	v_mov_b32_e32 v9, 0
	s_ashr_i32 s21, s20, 31
	s_mov_b32 vcc_lo, s1
	s_cbranch_vccz .LBB68_13
; %bb.12:
	s_mov_b32 s25, 0
	v_mov_b32_e32 v10, s25
	s_cbranch_execz .LBB68_14
	s_branch .LBB68_15
.LBB68_13:
                                        ; implicit-def: $vgpr10
.LBB68_14:
	v_lshlrev_b64 v[9:10], 2, v[2:3]
	v_add_co_u32 v9, vcc_lo, v11, v9
	v_add_co_ci_u32_e64 v10, null, v12, v10, vcc_lo
	s_clause 0x1
	global_load_dword v11, v[9:10], off offset:512
	global_load_dword v9, v[9:10], off offset:768
	s_waitcnt vmcnt(1)
	v_mul_f32_e32 v10, s15, v11
	s_waitcnt vmcnt(0)
	v_mul_f32_e32 v9, s15, v9
.LBB68_15:
	v_add_nc_u32_e32 v11, 4, v67
	v_mov_b32_e32 v68, 0
	v_mov_b32_e32 v69, 0
	s_and_b32 vcc_lo, exec_lo, s2
	s_cbranch_vccnz .LBB68_17
; %bb.16:
	v_mad_i64_i32 v[12:13], null, s8, v11, 0
	v_lshlrev_b64 v[4:5], 2, v[4:5]
	v_lshlrev_b64 v[12:13], 2, v[12:13]
	v_add_co_u32 v12, vcc_lo, s16, v12
	v_add_co_ci_u32_e64 v13, null, s17, v13, vcc_lo
	v_add_co_u32 v4, vcc_lo, v12, v4
	v_add_co_ci_u32_e64 v5, null, v13, v5, vcc_lo
	global_load_dword v4, v[4:5], off
	s_waitcnt vmcnt(0)
	v_mul_f32_e32 v69, s15, v4
.LBB68_17:
	v_mad_i64_i32 v[4:5], null, v11, s20, 0
	v_mov_b32_e32 v70, 0
	v_lshlrev_b64 v[4:5], 2, v[4:5]
	v_add_co_u32 v4, vcc_lo, s18, v4
	v_add_co_ci_u32_e64 v5, null, s19, v5, vcc_lo
	s_and_b32 vcc_lo, exec_lo, s2
	s_cbranch_vccnz .LBB68_19
; %bb.18:
	v_lshlrev_b64 v[11:12], 2, v[2:3]
	v_add_co_u32 v11, vcc_lo, v4, v11
	v_add_co_ci_u32_e64 v12, null, v5, v12, vcc_lo
	s_clause 0x1
	global_load_dword v13, v[11:12], off
	global_load_dword v11, v[11:12], off offset:256
	s_waitcnt vmcnt(1)
	v_mul_f32_e32 v70, s15, v13
	s_waitcnt vmcnt(0)
	v_mul_f32_e32 v68, s15, v11
.LBB68_19:
	v_mov_b32_e32 v71, 0
	s_mov_b32 vcc_lo, s1
	s_cbranch_vccz .LBB68_21
; %bb.20:
	s_mov_b32 s25, 0
	v_mov_b32_e32 v72, s25
	s_cbranch_execz .LBB68_22
	s_branch .LBB68_23
.LBB68_21:
                                        ; implicit-def: $vgpr72
.LBB68_22:
	v_lshlrev_b64 v[2:3], 2, v[2:3]
	v_add_co_u32 v2, vcc_lo, v4, v2
	v_add_co_ci_u32_e64 v3, null, v5, v3, vcc_lo
	s_clause 0x1
	global_load_dword v4, v[2:3], off offset:512
	global_load_dword v2, v[2:3], off offset:768
	s_waitcnt vmcnt(1)
	v_mul_f32_e32 v72, s15, v4
	s_waitcnt vmcnt(0)
	v_mul_f32_e32 v71, s15, v2
.LBB68_23:
	v_lshlrev_b32_e32 v2, 4, v66
	v_lshlrev_b32_e32 v79, 4, v0
	;; [unrolled: 1-line block ×3, first 2 shown]
	s_cmp_lt_i32 s14, 9
	v_lshl_add_u32 v76, v67, 2, v2
	ds_write_b32 v76, v7 offset:8192
	ds_write2st64_b32 v76, v8, v6 offset1:4
	ds_write2st64_b32 v76, v10, v9 offset0:8 offset1:12
	s_waitcnt lgkmcnt(0)
	s_barrier
	buffer_gl0_inv
	ds_read_b128 v[34:37], v79 offset:8192
	ds_read_b128 v[30:33], v79 offset:8320
	;; [unrolled: 1-line block ×8, first 2 shown]
	ds_read_b128 v[62:65], v78
	ds_read_b128 v[58:61], v78 offset:512
	ds_read_b128 v[54:57], v78 offset:1024
	;; [unrolled: 1-line block ×7, first 2 shown]
	ds_write_b32 v76, v69 offset:9216
	ds_write2st64_b32 v76, v70, v68 offset0:16 offset1:20
	ds_write2st64_b32 v76, v72, v71 offset0:24 offset1:28
	s_waitcnt lgkmcnt(0)
	s_barrier
	buffer_gl0_inv
	v_add_f32_e32 v73, v35, v63
	v_add_f32_e32 v74, v34, v62
	v_min3_f32 v111, v74, v73, 0x7f7fffff
	v_add_f32_e32 v73, v31, v63
	v_add_f32_e32 v74, v30, v62
	v_add_f32_e32 v119, v6, v38
	v_min3_f32 v112, v74, v73, 0x7f7fffff
	v_add_f32_e32 v73, v27, v63
	v_add_f32_e32 v74, v26, v62
	v_min3_f32 v113, v74, v73, 0x7f7fffff
	v_add_f32_e32 v73, v19, v63
	v_add_f32_e32 v74, v18, v62
	v_min3_f32 v114, v74, v73, 0x7f7fffff
	v_add_f32_e32 v73, v15, v63
	v_add_f32_e32 v74, v14, v62
	v_min3_f32 v115, v74, v73, 0x7f7fffff
	v_add_f32_e32 v73, v11, v63
	v_add_f32_e32 v74, v10, v62
	v_min3_f32 v116, v74, v73, 0x7f7fffff
	v_add_f32_e32 v73, v7, v63
	v_add_f32_e32 v74, v6, v62
	v_add_f32_e32 v63, v3, v63
	v_add_f32_e32 v62, v2, v62
	v_min3_f32 v117, v74, v73, 0x7f7fffff
	v_min3_f32 v118, v62, v63, 0x7f7fffff
	v_add_f32_e32 v62, v35, v59
	v_add_f32_e32 v63, v34, v58
	v_min3_f32 v110, v63, v62, 0x7f7fffff
	v_add_f32_e32 v62, v31, v59
	v_add_f32_e32 v63, v30, v58
	v_min3_f32 v109, v63, v62, 0x7f7fffff
	v_add_f32_e32 v62, v27, v59
	v_add_f32_e32 v63, v26, v58
	v_min3_f32 v108, v63, v62, 0x7f7fffff
	v_add_f32_e32 v62, v19, v59
	v_add_f32_e32 v63, v18, v58
	v_min3_f32 v107, v63, v62, 0x7f7fffff
	v_add_f32_e32 v62, v15, v59
	v_add_f32_e32 v63, v14, v58
	v_min3_f32 v106, v63, v62, 0x7f7fffff
	v_add_f32_e32 v62, v11, v59
	v_add_f32_e32 v63, v10, v58
	v_min3_f32 v105, v63, v62, 0x7f7fffff
	v_add_f32_e32 v62, v7, v59
	v_add_f32_e32 v63, v6, v58
	v_add_f32_e32 v59, v3, v59
	v_add_f32_e32 v58, v2, v58
	v_min3_f32 v104, v63, v62, 0x7f7fffff
	v_min3_f32 v103, v58, v59, 0x7f7fffff
	v_add_f32_e32 v58, v35, v55
	v_add_f32_e32 v59, v34, v54
	v_min3_f32 v102, v59, v58, 0x7f7fffff
	v_add_f32_e32 v58, v31, v55
	v_add_f32_e32 v59, v30, v54
	;; [unrolled: 24-line block ×5, first 2 shown]
	v_min3_f32 v74, v47, v46, 0x7f7fffff
	v_add_f32_e32 v46, v27, v43
	v_add_f32_e32 v47, v26, v42
	v_min3_f32 v73, v47, v46, 0x7f7fffff
	v_add_f32_e32 v46, v19, v43
	v_add_f32_e32 v47, v18, v42
	;; [unrolled: 3-line block ×5, first 2 shown]
	v_add_f32_e32 v43, v3, v43
	v_add_f32_e32 v42, v2, v42
	;; [unrolled: 1-line block ×3, first 2 shown]
	v_min3_f32 v58, v47, v46, 0x7f7fffff
	v_min3_f32 v55, v42, v43, 0x7f7fffff
	v_add_f32_e32 v42, v35, v39
	v_add_f32_e32 v43, v34, v38
	;; [unrolled: 1-line block ×4, first 2 shown]
	v_min3_f32 v54, v43, v42, 0x7f7fffff
	v_add_f32_e32 v42, v31, v39
	v_add_f32_e32 v43, v30, v38
	v_min3_f32 v34, v34, v35, 0x7f7fffff
	v_add_f32_e32 v31, v31, v23
	v_add_f32_e32 v30, v30, v22
	;; [unrolled: 3-line block ×9, first 2 shown]
	v_add_f32_e32 v38, v2, v38
	v_add_f32_e32 v2, v2, v22
	v_min3_f32 v14, v14, v15, 0x7f7fffff
	v_add_f32_e32 v11, v11, v23
	v_min3_f32 v43, v43, v42, 0x7f7fffff
	v_add_f32_e32 v42, v7, v39
	v_add_f32_e32 v39, v3, v39
	;; [unrolled: 1-line block ×5, first 2 shown]
	v_min3_f32 v42, v119, v42, 0x7f7fffff
	v_min3_f32 v38, v38, v39, 0x7f7fffff
	;; [unrolled: 1-line block ×4, first 2 shown]
	v_add_f32_e32 v3, v37, v65
	v_add_f32_e32 v7, v36, v64
	v_min3_f32 v10, v10, v11, 0x7f7fffff
	v_min3_f32 v144, v7, v3, v111
	v_add_f32_e32 v3, v33, v65
	v_add_f32_e32 v7, v32, v64
	v_min3_f32 v141, v7, v3, v112
	v_add_f32_e32 v3, v29, v65
	v_add_f32_e32 v7, v28, v64
	;; [unrolled: 3-line block ×55, first 2 shown]
	v_add_f32_e32 v4, v4, v24
	v_min3_f32 v87, v7, v3, v38
	v_add_f32_e32 v3, v37, v25
	v_add_f32_e32 v7, v36, v24
	v_min3_f32 v88, v7, v3, v34
	v_add_f32_e32 v3, v33, v25
	;; [unrolled: 3-line block ×8, first 2 shown]
	v_min3_f32 v84, v4, v3, v2
	s_cbranch_scc1 .LBB68_46
; %bb.24:
	v_lshl_or_b32 v2, s6, 6, v66
	v_add_nc_u32_e32 v6, 12, v67
	s_lshl_b32 s6, s24, 6
	v_add_nc_u32_e32 v10, 8, v67
	v_or_b32_e32 v77, 0x2000, v76
	v_subrev_nc_u32_e32 v2, s6, v2
	v_mad_i64_i32 v[4:5], null, v6, s8, 0
	v_mad_i64_i32 v[6:7], null, v6, s20, 0
	v_ashrrev_i32_e32 v3, 31, v2
	v_mad_i64_i32 v[8:9], null, v10, s20, 0
	v_or_b32_e32 v140, 0x2000, v79
	v_lshlrev_b64 v[70:71], 2, v[4:5]
	v_lshlrev_b64 v[2:3], 2, v[2:3]
	v_add_nc_u32_e32 v4, s23, v66
	v_add_nc_u32_e32 v145, 0x2400, v76
	v_or_b32_e32 v146, 0x1000, v76
	v_lshl_add_u32 v147, v0, 4, 0x2400
	v_lshl_or_b32 v148, v1, 4, 0x1000
	v_ashrrev_i32_e32 v5, 31, v4
	v_add_co_u32 v149, vcc_lo, s16, v2
	v_add_co_ci_u32_e64 v150, null, s17, v3, vcc_lo
	v_lshlrev_b64 v[2:3], 2, v[6:7]
	v_mad_i64_i32 v[6:7], null, v10, s8, 0
	v_lshlrev_b64 v[72:73], 2, v[4:5]
	v_lshlrev_b64 v[4:5], 2, v[8:9]
	s_add_i32 s6, s14, -8
	v_add_co_u32 v151, vcc_lo, s18, v2
	v_add_co_ci_u32_e64 v152, null, s19, v3, vcc_lo
	v_add_co_u32 v153, vcc_lo, s18, v4
	v_lshlrev_b64 v[74:75], 2, v[6:7]
	v_add_co_ci_u32_e64 v154, null, s19, v5, vcc_lo
	s_lshl_b64 s[8:9], s[8:9], 5
	s_lshl_b64 s[16:17], s[20:21], 5
	s_mov_b32 s14, 0
	s_mov_b32 s18, 0
	s_branch .LBB68_26
.LBB68_25:                              ;   in Loop: Header=BB68_26 Depth=1
	v_add_f32_e32 v3, v39, v67
	v_add_f32_e32 v4, v38, v66
	;; [unrolled: 1-line block ×6, first 2 shown]
	v_min3_f32 v144, v4, v3, v144
	v_add_f32_e32 v3, v27, v67
	v_min3_f32 v159, v159, v5, v141
	v_add_f32_e32 v4, v26, v66
	;; [unrolled: 2-line block ×3, first 2 shown]
	v_add_f32_e32 v141, v22, v66
	v_add_f32_e32 v161, v19, v67
	;; [unrolled: 1-line block ×7, first 2 shown]
	v_min3_f32 v165, v4, v3, v137
	v_min3_f32 v142, v141, v5, v143
	;; [unrolled: 1-line block ×3, first 2 shown]
	v_add_f32_e32 v3, v39, v63
	v_min3_f32 v138, v66, v67, v135
	v_add_f32_e32 v4, v38, v62
	v_add_f32_e32 v5, v35, v63
	;; [unrolled: 1-line block ×3, first 2 shown]
	v_min3_f32 v137, v164, v163, v139
	v_add_f32_e32 v67, v31, v63
	v_add_f32_e32 v139, v30, v62
	;; [unrolled: 1-line block ×6, first 2 shown]
	v_min3_f32 v136, v4, v3, v136
	v_min3_f32 v135, v66, v5, v133
	v_add_f32_e32 v3, v19, v63
	v_add_f32_e32 v4, v18, v62
	;; [unrolled: 1-line block ×6, first 2 shown]
	v_min3_f32 v133, v139, v67, v134
	v_min3_f32 v131, v161, v143, v131
	v_add_f32_e32 v67, v39, v59
	v_add_f32_e32 v139, v38, v58
	;; [unrolled: 1-line block ×4, first 2 shown]
	v_min3_f32 v134, v4, v3, v128
	v_min3_f32 v128, v66, v5, v130
	;; [unrolled: 1-line block ×3, first 2 shown]
	v_add_f32_e32 v3, v31, v59
	v_add_f32_e32 v4, v30, v58
	v_add_f32_e32 v5, v27, v59
	v_add_f32_e32 v62, v26, v58
	v_min3_f32 v129, v139, v67, v129
	v_min3_f32 v126, v161, v143, v126
	v_add_f32_e32 v63, v23, v59
	v_add_f32_e32 v66, v22, v58
	v_add_f32_e32 v67, v19, v59
	v_add_f32_e32 v139, v18, v58
	v_add_f32_e32 v143, v15, v59
	v_add_f32_e32 v161, v14, v58
	v_min3_f32 v130, v4, v3, v125
	v_min3_f32 v123, v62, v5, v123
	v_add_f32_e32 v3, v7, v59
	v_add_f32_e32 v4, v6, v58
	;; [unrolled: 8-line block ×3, first 2 shown]
	v_add_f32_e32 v67, v27, v55
	v_add_f32_e32 v139, v26, v54
	v_min3_f32 v125, v4, v3, v119
	v_min3_f32 v119, v58, v5, v120
	;; [unrolled: 1-line block ×3, first 2 shown]
	v_add_f32_e32 v3, v23, v55
	v_add_f32_e32 v4, v22, v54
	;; [unrolled: 1-line block ×8, first 2 shown]
	v_min3_f32 v118, v66, v63, v118
	v_add_f32_e32 v63, v39, v51
	v_add_f32_e32 v66, v38, v50
	v_min3_f32 v120, v4, v3, v115
	v_min3_f32 v113, v58, v5, v113
	v_min3_f32 v114, v62, v59, v114
	v_min3_f32 v111, v54, v55, v111
	v_add_f32_e32 v3, v35, v51
	v_add_f32_e32 v4, v34, v50
	;; [unrolled: 1-line block ×8, first 2 shown]
	v_min3_f32 v116, v139, v67, v116
	v_min3_f32 v112, v66, v63, v112
	v_add_f32_e32 v63, v19, v51
	v_add_f32_e32 v66, v18, v50
	v_min3_f32 v115, v4, v3, v109
	v_min3_f32 v109, v54, v5, v110
	;; [unrolled: 1-line block ×4, first 2 shown]
	v_add_f32_e32 v3, v15, v51
	v_add_f32_e32 v4, v14, v50
	;; [unrolled: 1-line block ×10, first 2 shown]
	v_min3_f32 v106, v66, v63, v106
	v_min3_f32 v105, v4, v3, v105
	v_min3_f32 v62, v50, v5, v103
	v_min3_f32 v63, v54, v51, v104
	v_min3_f32 v66, v58, v55, v101
	v_min3_f32 v67, v67, v59, v102
	v_add_f32_e32 v3, v27, v47
	v_add_f32_e32 v4, v26, v46
	;; [unrolled: 1-line block ×10, first 2 shown]
	v_min3_f32 v99, v4, v3, v99
	v_min3_f32 v54, v50, v5, v100
	;; [unrolled: 1-line block ×5, first 2 shown]
	v_add_f32_e32 v3, v39, v43
	v_add_f32_e32 v4, v38, v42
	;; [unrolled: 1-line block ×10, first 2 shown]
	v_min3_f32 v95, v4, v3, v96
	v_min3_f32 v46, v46, v5, v93
	;; [unrolled: 1-line block ×4, first 2 shown]
	v_add_f32_e32 v3, v19, v43
	v_add_f32_e32 v4, v18, v42
	;; [unrolled: 1-line block ×6, first 2 shown]
	v_min3_f32 v51, v100, v98, v92
	v_add_f32_e32 v92, v35, v11
	v_min3_f32 v35, v4, v3, v89
	v_min3_f32 v3, v91, v5, v90
	;; [unrolled: 1-line block ×3, first 2 shown]
	v_add_f32_e32 v31, v31, v11
	v_add_f32_e32 v30, v30, v10
	;; [unrolled: 1-line block ×13, first 2 shown]
	v_min3_f32 v14, v30, v31, v85
	v_min3_f32 v22, v26, v27, v82
	v_min3_f32 v23, v38, v23, v83
	v_min3_f32 v26, v18, v19, v80
	v_min3_f32 v27, v39, v15, v81
	v_add_f32_e32 v7, v7, v11
	v_add_f32_e32 v6, v6, v10
	;; [unrolled: 1-line block ×10, first 2 shown]
	v_min3_f32 v4, v42, v43, v87
	v_min3_f32 v7, v6, v7, v84
	;; [unrolled: 1-line block ×6, first 2 shown]
	v_add_f32_e32 v6, v25, v69
	v_add_f32_e32 v10, v24, v68
	;; [unrolled: 1-line block ×10, first 2 shown]
	v_min3_f32 v132, v163, v162, v132
	v_min3_f32 v34, v34, v92, v86
	;; [unrolled: 1-line block ×7, first 2 shown]
	v_add_f32_e32 v6, v37, v65
	v_add_f32_e32 v10, v36, v64
	;; [unrolled: 1-line block ×10, first 2 shown]
	v_min3_f32 v87, v10, v6, v135
	v_min3_f32 v88, v18, v15, v133
	;; [unrolled: 1-line block ×5, first 2 shown]
	v_add_f32_e32 v6, v17, v65
	v_add_f32_e32 v10, v16, v64
	;; [unrolled: 1-line block ×10, first 2 shown]
	v_min3_f32 v122, v161, v143, v122
	v_min3_f32 v92, v10, v6, v128
	;; [unrolled: 1-line block ×6, first 2 shown]
	v_add_f32_e32 v6, v29, v61
	v_add_f32_e32 v10, v28, v60
	v_add_f32_e32 v15, v25, v61
	v_add_f32_e32 v18, v24, v60
	v_add_f32_e32 v19, v21, v61
	v_add_f32_e32 v30, v20, v60
	v_add_f32_e32 v31, v17, v61
	v_add_f32_e32 v38, v16, v60
	v_add_f32_e32 v39, v9, v61
	v_add_f32_e32 v42, v8, v60
	v_min3_f32 v98, v10, v6, v123
	v_min3_f32 v100, v18, v15, v124
	v_min3_f32 v101, v30, v19, v121
	v_min3_f32 v102, v38, v31, v122
	v_min3_f32 v103, v42, v39, v125
	v_add_f32_e32 v6, v41, v57
	v_add_f32_e32 v10, v40, v56
	v_add_f32_e32 v15, v37, v57
	v_add_f32_e32 v18, v36, v56
	v_add_f32_e32 v19, v33, v57
	v_add_f32_e32 v30, v32, v56
	v_add_f32_e32 v31, v29, v57
	v_add_f32_e32 v38, v28, v56
	v_add_f32_e32 v39, v25, v57
	v_add_f32_e32 v42, v24, v56
	v_min3_f32 v104, v10, v6, v119
	v_min3_f32 v110, v18, v15, v117
	v_min3_f32 v117, v30, v19, v118
	v_min3_f32 v116, v38, v31, v116
	v_min3_f32 v118, v42, v39, v120
	;; [unrolled: 15-line block ×8, first 2 shown]
	v_add_f32_e32 v10, v29, v13
	v_add_f32_e32 v25, v25, v13
	v_add_f32_e32 v21, v21, v13
	v_add_f32_e32 v29, v20, v12
	v_add_f32_e32 v30, v17, v13
	v_add_f32_e32 v31, v16, v12
	ds_read_b128 v[3:6], v140
	ds_read_b128 v[61:64], v78
	v_add_f32_e32 v9, v9, v13
	ds_read_b128 v[13:16], v140 offset:128
	ds_read_b128 v[17:20], v140 offset:256
	v_add_f32_e32 v28, v28, v12
	v_add_f32_e32 v24, v24, v12
	;; [unrolled: 1-line block ×3, first 2 shown]
	v_min3_f32 v138, v29, v21, v26
	v_min3_f32 v139, v31, v30, v27
	;; [unrolled: 1-line block ×5, first 2 shown]
	ds_read_b128 v[33:36], v140 offset:384
	ds_read_b128 v[29:32], v140 offset:512
	;; [unrolled: 1-line block ×12, first 2 shown]
	v_add_co_u32 v149, vcc_lo, v149, s8
	v_add_co_ci_u32_e64 v150, null, s9, v150, vcc_lo
	v_add_co_u32 v151, vcc_lo, v151, s16
	s_waitcnt lgkmcnt(14)
	v_add_f32_e32 v142, v4, v62
	v_add_f32_e32 v143, v3, v61
	s_waitcnt lgkmcnt(13)
	v_add_f32_e32 v144, v14, v62
	v_add_f32_e32 v159, v13, v61
	;; [unrolled: 3-line block ×3, first 2 shown]
	v_min3_f32 v11, v143, v142, v11
	s_waitcnt lgkmcnt(11)
	v_add_f32_e32 v142, v34, v62
	v_min3_f32 v80, v159, v144, v80
	v_add_f32_e32 v143, v33, v61
	v_min3_f32 v81, v161, v160, v81
	s_waitcnt lgkmcnt(10)
	v_add_f32_e32 v144, v30, v62
	v_add_f32_e32 v159, v29, v61
	s_waitcnt lgkmcnt(9)
	v_add_f32_e32 v160, v26, v62
	v_add_f32_e32 v161, v25, v61
	s_waitcnt lgkmcnt(8)
	v_add_f32_e32 v162, v22, v62
	v_add_f32_e32 v163, v21, v61
	s_waitcnt lgkmcnt(7)
	v_add_f32_e32 v62, v8, v62
	v_add_f32_e32 v61, v7, v61
	v_min3_f32 v82, v143, v142, v82
	v_min3_f32 v69, v159, v144, v69
	;; [unrolled: 1-line block ×5, first 2 shown]
	s_waitcnt lgkmcnt(6)
	v_add_f32_e32 v62, v4, v66
	v_add_f32_e32 v85, v3, v65
	;; [unrolled: 1-line block ×10, first 2 shown]
	v_min3_f32 v62, v85, v62, v86
	v_min3_f32 v85, v143, v142, v87
	;; [unrolled: 1-line block ×5, first 2 shown]
	v_add_f32_e32 v89, v26, v66
	v_add_f32_e32 v90, v25, v65
	;; [unrolled: 1-line block ×6, first 2 shown]
	s_waitcnt lgkmcnt(5)
	v_add_f32_e32 v144, v4, v58
	v_add_f32_e32 v159, v3, v57
	;; [unrolled: 1-line block ×4, first 2 shown]
	v_min3_f32 v89, v90, v89, v91
	v_min3_f32 v90, v143, v142, v92
	;; [unrolled: 1-line block ×5, first 2 shown]
	v_add_f32_e32 v92, v18, v58
	v_add_f32_e32 v93, v17, v57
	;; [unrolled: 1-line block ×10, first 2 shown]
	v_min3_f32 v92, v93, v92, v97
	v_min3_f32 v93, v96, v94, v98
	;; [unrolled: 1-line block ×5, first 2 shown]
	v_add_f32_e32 v58, v8, v58
	v_add_f32_e32 v57, v7, v57
	s_waitcnt lgkmcnt(4)
	v_add_f32_e32 v98, v4, v54
	v_add_f32_e32 v100, v3, v53
	;; [unrolled: 1-line block ×8, first 2 shown]
	v_min3_f32 v57, v57, v58, v103
	v_min3_f32 v58, v100, v98, v104
	;; [unrolled: 1-line block ×5, first 2 shown]
	v_add_f32_e32 v102, v30, v54
	v_add_f32_e32 v103, v29, v53
	;; [unrolled: 1-line block ×8, first 2 shown]
	s_waitcnt lgkmcnt(3)
	v_add_f32_e32 v142, v4, v50
	v_add_f32_e32 v143, v3, v49
	v_min3_f32 v102, v103, v102, v118
	v_min3_f32 v103, v110, v104, v113
	;; [unrolled: 1-line block ×5, first 2 shown]
	v_add_f32_e32 v110, v14, v50
	v_add_f32_e32 v111, v13, v49
	;; [unrolled: 1-line block ×10, first 2 shown]
	v_min3_f32 v110, v111, v110, v115
	v_min3_f32 v159, v113, v112, v109
	;; [unrolled: 1-line block ×4, first 2 shown]
	v_add_f32_e32 v109, v22, v50
	v_add_f32_e32 v111, v21, v49
	;; [unrolled: 1-line block ×4, first 2 shown]
	s_waitcnt lgkmcnt(2)
	v_add_f32_e32 v112, v4, v46
	v_add_f32_e32 v113, v3, v45
	;; [unrolled: 1-line block ×6, first 2 shown]
	v_min3_f32 v105, v111, v109, v105
	v_min3_f32 v49, v49, v50, v119
	;; [unrolled: 1-line block ×5, first 2 shown]
	v_add_f32_e32 v109, v34, v46
	v_add_f32_e32 v111, v33, v45
	;; [unrolled: 1-line block ×10, first 2 shown]
	v_min3_f32 v99, v111, v109, v99
	v_min3_f32 v162, v113, v112, v123
	s_waitcnt lgkmcnt(1)
	v_add_f32_e32 v109, v3, v41
	v_add_f32_e32 v111, v14, v42
	v_min3_f32 v45, v45, v46, v126
	v_add_f32_e32 v46, v4, v42
	v_add_f32_e32 v112, v13, v41
	s_waitcnt lgkmcnt(0)
	v_add_f32_e32 v4, v4, v38
	v_add_f32_e32 v3, v3, v37
	v_add_f32_e32 v14, v14, v38
	v_add_f32_e32 v13, v13, v37
	v_min3_f32 v163, v115, v114, v124
	v_add_f32_e32 v113, v18, v42
	v_add_f32_e32 v114, v17, v41
	v_min3_f32 v165, v112, v111, v127
	v_add_f32_e32 v111, v22, v42
	v_add_f32_e32 v112, v21, v41
	v_min3_f32 v3, v3, v4, v134
	v_min3_f32 v4, v13, v14, v135
	v_add_f32_e32 v13, v18, v38
	v_add_f32_e32 v14, v17, v37
	;; [unrolled: 1-line block ×6, first 2 shown]
	v_min3_f32 v164, v117, v116, v125
	v_add_f32_e32 v115, v34, v42
	v_add_f32_e32 v116, v33, v41
	;; [unrolled: 1-line block ×4, first 2 shown]
	v_min3_f32 v46, v109, v46, v95
	v_add_f32_e32 v95, v26, v42
	v_add_f32_e32 v109, v25, v41
	;; [unrolled: 1-line block ×4, first 2 shown]
	v_min3_f32 v12, v18, v17, v12
	v_min3_f32 v18, v21, v22, v139
	v_add_f32_e32 v8, v8, v38
	v_add_f32_e32 v7, v7, v37
	v_add_f32_e32 v21, v6, v64
	v_add_f32_e32 v22, v5, v63
	v_add_f32_e32 v30, v30, v38
	v_add_f32_e32 v29, v29, v37
	v_add_f32_e32 v26, v26, v38
	v_add_f32_e32 v25, v25, v37
	v_add_f32_e32 v33, v36, v64
	v_add_f32_e32 v34, v35, v63
	v_min3_f32 v7, v7, v8, v141
	v_min3_f32 v144, v22, v21, v11
	v_add_f32_e32 v8, v32, v64
	v_add_f32_e32 v11, v31, v63
	v_min3_f32 v106, v143, v142, v106
	v_min3_f32 v13, v14, v13, v136
	;; [unrolled: 1-line block ×4, first 2 shown]
	v_add_f32_e32 v25, v16, v64
	v_add_f32_e32 v26, v15, v63
	;; [unrolled: 1-line block ×4, first 2 shown]
	v_min3_f32 v137, v34, v33, v82
	v_add_f32_e32 v21, v28, v64
	v_add_f32_e32 v22, v27, v63
	;; [unrolled: 1-line block ×4, first 2 shown]
	v_min3_f32 v143, v11, v8, v69
	v_add_f32_e32 v8, v16, v68
	v_add_f32_e32 v11, v15, v67
	v_min3_f32 v41, v41, v42, v133
	v_min3_f32 v141, v26, v25, v80
	v_min3_f32 v142, v30, v29, v81
	v_add_f32_e32 v25, v24, v64
	v_add_f32_e32 v26, v23, v63
	v_add_f32_e32 v29, v10, v64
	v_add_f32_e32 v30, v9, v63
	v_min3_f32 v138, v22, v21, v83
	v_min3_f32 v136, v34, v33, v62
	v_add_f32_e32 v21, v20, v68
	v_add_f32_e32 v22, v19, v67
	v_add_f32_e32 v33, v28, v68
	v_add_f32_e32 v34, v27, v67
	v_min3_f32 v133, v11, v8, v85
	v_add_f32_e32 v8, v24, v68
	v_add_f32_e32 v11, v23, v67
	v_min3_f32 v166, v114, v113, v128
	v_min3_f32 v168, v118, v117, v130
	v_min3_f32 v139, v26, v25, v84
	v_min3_f32 v135, v30, v29, v61
	v_add_f32_e32 v25, v36, v68
	v_add_f32_e32 v26, v35, v67
	v_add_f32_e32 v29, v32, v68
	v_add_f32_e32 v30, v31, v67
	v_min3_f32 v134, v22, v21, v86
	v_min3_f32 v128, v34, v33, v89
	v_add_f32_e32 v21, v10, v68
	v_add_f32_e32 v22, v9, v67
	v_add_f32_e32 v33, v20, v60
	v_add_f32_e32 v34, v19, v59
	v_min3_f32 v130, v11, v8, v90
	v_add_f32_e32 v8, v36, v60
	v_add_f32_e32 v11, v35, v59
	v_min3_f32 v169, v109, v95, v131
	;; [unrolled: 17-line block ×3, first 2 shown]
	v_min3_f32 v129, v26, v25, v66
	v_min3_f32 v126, v30, v29, v91
	v_add_f32_e32 v25, v28, v60
	v_add_f32_e32 v26, v27, v59
	;; [unrolled: 1-line block ×4, first 2 shown]
	v_min3_f32 v124, v22, v21, v94
	v_min3_f32 v119, v34, v33, v57
	v_add_f32_e32 v21, v16, v56
	v_add_f32_e32 v22, v15, v55
	v_add_f32_e32 v33, v32, v56
	v_add_f32_e32 v34, v31, v55
	v_min3_f32 v120, v11, v8, v58
	v_add_f32_e32 v8, v28, v56
	v_add_f32_e32 v11, v27, v55
	v_min3_f32 v121, v26, v25, v96
	v_min3_f32 v122, v30, v29, v97
	v_add_f32_e32 v25, v20, v56
	v_add_f32_e32 v26, v19, v55
	;; [unrolled: 1-line block ×4, first 2 shown]
	v_min3_f32 v117, v22, v21, v98
	v_min3_f32 v115, v34, v33, v102
	v_add_f32_e32 v21, v24, v56
	v_add_f32_e32 v22, v23, v55
	;; [unrolled: 1-line block ×4, first 2 shown]
	v_min3_f32 v113, v11, v8, v103
	v_add_f32_e32 v8, v20, v52
	v_add_f32_e32 v11, v19, v51
	v_min3_f32 v118, v26, v25, v100
	v_min3_f32 v116, v30, v29, v101
	v_add_f32_e32 v25, v10, v56
	v_add_f32_e32 v26, v9, v55
	;; [unrolled: 1-line block ×4, first 2 shown]
	v_min3_f32 v114, v22, v21, v104
	v_min3_f32 v109, v34, v33, v110
	v_add_f32_e32 v21, v36, v52
	v_add_f32_e32 v22, v35, v51
	v_min3_f32 v110, v11, v8, v159
	v_add_f32_e32 v8, v10, v52
	v_add_f32_e32 v11, v9, v51
	v_min3_f32 v111, v26, v25, v53
	v_min3_f32 v112, v30, v29, v54
	v_add_f32_e32 v25, v32, v52
	v_add_f32_e32 v26, v31, v51
	v_add_f32_e32 v29, v28, v52
	v_add_f32_e32 v30, v27, v51
	v_add_f32_e32 v33, v24, v52
	v_add_f32_e32 v34, v23, v51
	v_min3_f32 v107, v22, v21, v107
	v_add_f32_e32 v21, v6, v48
	v_add_f32_e32 v22, v5, v47
	v_min3_f32 v103, v11, v8, v49
	v_add_f32_e32 v8, v32, v48
	v_add_f32_e32 v11, v31, v47
	v_min3_f32 v108, v26, v25, v108
	v_min3_f32 v106, v30, v29, v106
	v_min3_f32 v105, v34, v33, v105
	v_add_f32_e32 v25, v16, v48
	v_add_f32_e32 v26, v15, v47
	;; [unrolled: 1-line block ×6, first 2 shown]
	v_min3_f32 v104, v22, v21, v50
	v_add_f32_e32 v21, v28, v48
	v_add_f32_e32 v22, v27, v47
	v_min3_f32 v100, v11, v8, v162
	v_add_f32_e32 v8, v16, v44
	v_add_f32_e32 v11, v15, v43
	v_min3_f32 v101, v26, v25, v160
	v_min3_f32 v102, v30, v29, v161
	;; [unrolled: 1-line block ×3, first 2 shown]
	v_add_f32_e32 v25, v24, v48
	v_add_f32_e32 v26, v23, v47
	;; [unrolled: 1-line block ×6, first 2 shown]
	v_min3_f32 v97, v22, v21, v163
	v_add_f32_e32 v21, v20, v44
	v_add_f32_e32 v22, v19, v43
	v_min3_f32 v93, v11, v8, v165
	v_add_f32_e32 v8, v24, v44
	v_add_f32_e32 v11, v23, v43
	;; [unrolled: 1-line block ×8, first 2 shown]
	v_min3_f32 v98, v26, v25, v164
	v_min3_f32 v95, v30, v29, v45
	;; [unrolled: 1-line block ×3, first 2 shown]
	v_add_f32_e32 v25, v36, v44
	v_add_f32_e32 v26, v35, v43
	;; [unrolled: 1-line block ×6, first 2 shown]
	v_min3_f32 v94, v22, v21, v166
	v_add_f32_e32 v21, v10, v44
	v_add_f32_e32 v22, v9, v43
	v_min3_f32 v90, v11, v8, v170
	v_min3_f32 v88, v5, v6, v3
	v_min3_f32 v86, v15, v16, v4
	v_min3_f32 v85, v19, v20, v13
	v_add_f32_e32 v3, v36, v40
	v_add_f32_e32 v4, v35, v39
	;; [unrolled: 1-line block ×10, first 2 shown]
	v_add_co_ci_u32_e64 v152, null, s17, v152, vcc_lo
	v_add_co_u32 v153, vcc_lo, v153, s16
	v_min3_f32 v91, v26, v25, v167
	v_min3_f32 v92, v30, v29, v168
	;; [unrolled: 1-line block ×9, first 2 shown]
	v_add_co_ci_u32_e64 v154, null, s17, v154, vcc_lo
	s_add_i32 s18, s18, 8
	ds_write_b32 v145, v155
	ds_write2st64_b32 v146, v2, v156 offset1:4
	ds_write2st64_b32 v146, v157, v158 offset0:8 offset1:12
	s_cmp_ge_i32 s18, s6
	s_waitcnt lgkmcnt(0)
	s_barrier
	buffer_gl0_inv
	s_cbranch_scc1 .LBB68_46
.LBB68_26:                              ; =>This Inner Loop Header: Depth=1
	s_and_b32 vcc_lo, exec_lo, s2
	s_cbranch_vccnz .LBB68_45
; %bb.27:                               ;   in Loop: Header=BB68_26 Depth=1
	v_add_co_u32 v2, vcc_lo, v149, v74
	v_add_co_ci_u32_e64 v3, null, v150, v75, vcc_lo
	global_load_dword v2, v[2:3], off
	s_waitcnt vmcnt(0)
	v_mul_f32_e32 v156, s15, v2
	s_mov_b32 s19, -1
	s_mov_b32 vcc_lo, s1
                                        ; implicit-def: $vgpr2_vgpr3_vgpr4_vgpr5
	s_cbranch_vccz .LBB68_29
.LBB68_28:                              ;   in Loop: Header=BB68_26 Depth=1
	v_mov_b32_e32 v2, s14
	s_mov_b32 s19, 0
.LBB68_29:                              ;   in Loop: Header=BB68_26 Depth=1
	v_mov_b32_e32 v3, 0
	s_andn2_b32 vcc_lo, exec_lo, s19
	s_cbranch_vccz .LBB68_39
; %bb.30:                               ;   in Loop: Header=BB68_26 Depth=1
	s_mov_b32 s19, -1
	s_mov_b32 vcc_lo, s1
                                        ; implicit-def: $vgpr4
	s_cbranch_vccnz .LBB68_40
.LBB68_31:                              ;   in Loop: Header=BB68_26 Depth=1
	v_mov_b32_e32 v155, 0
	v_mov_b32_e32 v5, 0
	s_andn2_b32 vcc_lo, exec_lo, s19
	s_cbranch_vccnz .LBB68_33
.LBB68_32:                              ;   in Loop: Header=BB68_26 Depth=1
	v_add_co_u32 v4, vcc_lo, v153, v72
	v_add_co_ci_u32_e64 v5, null, v154, v73, vcc_lo
	s_clause 0x1
	global_load_dword v6, v[4:5], off offset:512
	global_load_dword v5, v[4:5], off offset:768
	s_waitcnt vmcnt(1)
	v_mul_f32_e32 v4, s15, v6
	s_waitcnt vmcnt(0)
	v_mul_f32_e32 v5, s15, v5
.LBB68_33:                              ;   in Loop: Header=BB68_26 Depth=1
	ds_read_b128 v[38:41], v147
	ds_read_b128 v[34:37], v147 offset:128
	ds_read_b128 v[30:33], v147 offset:256
	;; [unrolled: 1-line block ×7, first 2 shown]
	ds_read_b128 v[66:69], v148
	ds_read_b128 v[62:65], v148 offset:512
	ds_read_b128 v[58:61], v148 offset:1024
	;; [unrolled: 1-line block ×7, first 2 shown]
	s_and_b32 vcc_lo, exec_lo, s2
	ds_write_b32 v77, v156
	ds_write2st64_b32 v76, v2, v3 offset1:4
	ds_write2st64_b32 v76, v4, v5 offset0:8 offset1:12
	s_waitcnt lgkmcnt(0)
	s_barrier
	buffer_gl0_inv
	s_cbranch_vccnz .LBB68_35
; %bb.34:                               ;   in Loop: Header=BB68_26 Depth=1
	v_add_co_u32 v2, vcc_lo, v149, v70
	v_add_co_ci_u32_e64 v3, null, v150, v71, vcc_lo
	global_load_dword v2, v[2:3], off
	s_waitcnt vmcnt(0)
	v_mul_f32_e32 v155, s15, v2
.LBB68_35:                              ;   in Loop: Header=BB68_26 Depth=1
	s_mov_b32 s19, -1
	s_mov_b32 vcc_lo, s1
                                        ; implicit-def: $vgpr2_vgpr3_vgpr4_vgpr5
	s_cbranch_vccnz .LBB68_41
; %bb.36:                               ;   in Loop: Header=BB68_26 Depth=1
	v_mov_b32_e32 v156, 0
	s_andn2_b32 vcc_lo, exec_lo, s19
	s_cbranch_vccz .LBB68_42
.LBB68_37:                              ;   in Loop: Header=BB68_26 Depth=1
	s_mov_b32 s19, -1
	s_mov_b32 vcc_lo, s1
                                        ; implicit-def: $vgpr157
	s_cbranch_vccnz .LBB68_43
.LBB68_38:                              ;   in Loop: Header=BB68_26 Depth=1
	v_mov_b32_e32 v158, 0
	s_andn2_b32 vcc_lo, exec_lo, s19
	s_cbranch_vccnz .LBB68_25
	s_branch .LBB68_44
.LBB68_39:                              ;   in Loop: Header=BB68_26 Depth=1
	v_add_co_u32 v2, vcc_lo, v153, v72
	v_add_co_ci_u32_e64 v3, null, v154, v73, vcc_lo
	s_clause 0x1
	global_load_dword v4, v[2:3], off
	global_load_dword v3, v[2:3], off offset:256
	s_waitcnt vmcnt(1)
	v_mul_f32_e32 v2, s15, v4
	s_waitcnt vmcnt(0)
	v_mul_f32_e32 v3, s15, v3
	s_mov_b32 s19, -1
	s_mov_b32 vcc_lo, s1
                                        ; implicit-def: $vgpr4
	s_cbranch_vccz .LBB68_31
.LBB68_40:                              ;   in Loop: Header=BB68_26 Depth=1
	v_mov_b32_e32 v4, s14
	v_mov_b32_e32 v155, 0
	;; [unrolled: 1-line block ×3, first 2 shown]
	s_cbranch_execz .LBB68_32
	s_branch .LBB68_33
.LBB68_41:                              ;   in Loop: Header=BB68_26 Depth=1
	v_mov_b32_e32 v2, s14
	v_mov_b32_e32 v156, 0
	s_cbranch_execnz .LBB68_37
.LBB68_42:                              ;   in Loop: Header=BB68_26 Depth=1
	v_add_co_u32 v2, vcc_lo, v151, v72
	v_add_co_ci_u32_e64 v3, null, v152, v73, vcc_lo
	s_clause 0x1
	global_load_dword v4, v[2:3], off
	global_load_dword v3, v[2:3], off offset:256
	s_waitcnt vmcnt(1)
	v_mul_f32_e32 v2, s15, v4
	s_waitcnt vmcnt(0)
	v_mul_f32_e32 v156, s15, v3
	s_mov_b32 s19, -1
	s_mov_b32 vcc_lo, s1
                                        ; implicit-def: $vgpr157
	s_cbranch_vccz .LBB68_38
.LBB68_43:                              ;   in Loop: Header=BB68_26 Depth=1
	v_mov_b32_e32 v157, s14
	v_mov_b32_e32 v158, 0
	s_cbranch_execnz .LBB68_25
.LBB68_44:                              ;   in Loop: Header=BB68_26 Depth=1
	v_add_co_u32 v3, vcc_lo, v151, v72
	v_add_co_ci_u32_e64 v4, null, v152, v73, vcc_lo
	s_clause 0x1
	global_load_dword v5, v[3:4], off offset:512
	global_load_dword v3, v[3:4], off offset:768
	s_waitcnt vmcnt(1)
	v_mul_f32_e32 v157, s15, v5
	s_waitcnt vmcnt(0)
	v_mul_f32_e32 v158, s15, v3
	s_branch .LBB68_25
.LBB68_45:                              ;   in Loop: Header=BB68_26 Depth=1
	v_mov_b32_e32 v156, 0
	s_mov_b32 s19, -1
	s_mov_b32 vcc_lo, s1
                                        ; implicit-def: $vgpr2_vgpr3_vgpr4_vgpr5
	s_cbranch_vccnz .LBB68_28
	s_branch .LBB68_29
.LBB68_46:
	ds_read_b128 v[32:35], v79 offset:9216
	ds_read_b128 v[60:63], v78 offset:4096
	s_clause 0x2
	s_load_dword s2, s[4:5], 0x68
	s_load_dword s1, s[4:5], 0x50
	s_load_dwordx2 s[8:9], s[4:5], 0x70
	v_add_nc_u32_e32 v140, s23, v1
	v_add_nc_u32_e32 v76, s22, v0
	v_ashrrev_i32_e32 v77, 31, v76
	v_add_nc_u32_e32 v0, 8, v76
	v_lshlrev_b64 v[66:67], 2, v[76:77]
	v_ashrrev_i32_e32 v1, 31, v0
	s_waitcnt lgkmcnt(0)
	v_mad_i64_i32 v[2:3], null, v140, s2, 0
	v_mad_i64_i32 v[4:5], null, v140, s1, 0
	v_add_f32_e32 v6, v33, v61
	v_add_f32_e32 v7, v32, v60
	s_mul_i32 s5, s9, s7
	s_mul_hi_u32 s6, s8, s7
	s_mul_i32 s4, s8, s7
	v_add_f32_e32 v8, v35, v63
	s_add_i32 s5, s6, s5
	v_add_f32_e32 v9, v34, v62
	v_min3_f32 v6, v7, v6, v144
	v_lshlrev_b64 v[2:3], 2, v[2:3]
	s_lshl_b64 s[4:5], s[4:5], 2
	v_lshlrev_b64 v[4:5], 2, v[4:5]
	s_add_u32 s4, s10, s4
	v_min3_f32 v6, v9, v8, v6
	s_addc_u32 s5, s11, s5
	v_add_co_u32 v144, vcc_lo, s4, v2
	v_add_co_ci_u32_e64 v145, null, s5, v3, vcc_lo
	v_add_co_u32 v146, vcc_lo, s12, v4
	v_add_co_ci_u32_e64 v147, null, s13, v5, vcc_lo
	v_max_f32_e32 v2, v6, v6
	s_mov_b32 s6, -1
	s_mov_b32 vcc_lo, s0
	s_cbranch_vccz .LBB68_48
; %bb.47:
	v_add_co_u32 v3, vcc_lo, v144, v66
	v_min_f32_e32 v5, 0, v2
	v_add_co_ci_u32_e64 v4, null, v145, v67, vcc_lo
	s_mov_b32 s6, 0
	global_store_dword v[3:4], v5, off
.LBB68_48:
	ds_read_b128 v[28:31], v79 offset:9344
	ds_read_b128 v[24:27], v79 offset:9472
	v_lshlrev_b64 v[64:65], 2, v[0:1]
	v_mov_b32_e32 v69, 0
	s_andn2_b32 vcc_lo, exec_lo, s6
	s_cbranch_vccnz .LBB68_50
; %bb.49:
	v_add_co_u32 v0, vcc_lo, v146, v66
	v_add_co_ci_u32_e64 v1, null, v147, v67, vcc_lo
	global_load_dword v0, v[0:1], off
	s_waitcnt vmcnt(0)
	v_mul_f32_e32 v3, s3, v0
	v_add_co_u32 v0, vcc_lo, v144, v66
	v_add_co_ci_u32_e64 v1, null, v145, v67, vcc_lo
	v_min_f32_e32 v4, v3, v2
	v_add_co_u32 v2, vcc_lo, v146, v64
	v_add_co_ci_u32_e64 v3, null, v147, v65, vcc_lo
	global_store_dword v[0:1], v4, off
	global_load_dword v0, v[2:3], off
	s_waitcnt vmcnt(0)
	v_mul_f32_e32 v69, s3, v0
.LBB68_50:
	ds_read_b128 v[16:19], v79 offset:9728
	ds_read_b128 v[12:15], v79 offset:9856
	;; [unrolled: 1-line block ×10, first 2 shown]
	s_waitcnt lgkmcnt(11)
	v_add_f32_e32 v68, v29, v61
	v_add_f32_e32 v70, v28, v60
	s_waitcnt lgkmcnt(10)
	v_add_f32_e32 v71, v25, v61
	v_add_f32_e32 v72, v24, v60
	;; [unrolled: 1-line block ×4, first 2 shown]
	ds_read_b128 v[20:23], v79 offset:9600
	ds_read_b128 v[4:7], v78 offset:7680
	v_min3_f32 v75, v70, v68, v141
	v_min3_f32 v77, v72, v71, v142
	v_add_nc_u32_e32 v70, 16, v76
	v_min_f32_e32 v71, v74, v73
	v_add_f32_e32 v74, v27, v63
	v_add_f32_e32 v78, v26, v62
	v_add_co_u32 v72, vcc_lo, v144, v64
	v_min3_f32 v75, v69, v71, v75
	v_ashrrev_i32_e32 v71, 31, v70
	v_add_nc_u32_e32 v68, 24, v76
	v_add_co_ci_u32_e64 v73, null, v145, v65, vcc_lo
	v_min3_f32 v74, v78, v74, v77
	v_lshlrev_b64 v[70:71], 2, v[70:71]
	v_ashrrev_i32_e32 v69, 31, v68
	global_store_dword v[72:73], v75, off
	s_mov_b32 s6, -1
	v_max_f32_e32 v72, v74, v74
	s_mov_b32 vcc_lo, s0
	s_cbranch_vccz .LBB68_52
; %bb.51:
	v_add_co_u32 v73, vcc_lo, v144, v70
	v_min_f32_e32 v75, 0, v72
	v_add_co_ci_u32_e64 v74, null, v145, v71, vcc_lo
	s_mov_b32 s6, 0
	global_store_dword v[73:74], v75, off
.LBB68_52:
	v_lshlrev_b64 v[68:69], 2, v[68:69]
	v_mov_b32_e32 v73, 0
	s_andn2_b32 vcc_lo, exec_lo, s6
	s_cbranch_vccnz .LBB68_54
; %bb.53:
	v_add_co_u32 v73, vcc_lo, v146, v70
	v_add_co_ci_u32_e64 v74, null, v147, v71, vcc_lo
	global_load_dword v73, v[73:74], off
	s_waitcnt vmcnt(0)
	v_mul_f32_e32 v75, s3, v73
	v_add_co_u32 v73, vcc_lo, v144, v70
	v_add_co_ci_u32_e64 v74, null, v145, v71, vcc_lo
	v_add_co_u32 v77, vcc_lo, v146, v68
	v_min_f32_e32 v72, v75, v72
	v_add_co_ci_u32_e64 v78, null, v147, v69, vcc_lo
	global_store_dword v[73:74], v72, off
	global_load_dword v72, v[77:78], off
	s_waitcnt vmcnt(0)
	v_mul_f32_e32 v73, s3, v72
.LBB68_54:
	s_waitcnt lgkmcnt(1)
	v_add_f32_e32 v72, v21, v61
	v_add_f32_e32 v74, v20, v60
	;; [unrolled: 1-line block ×6, first 2 shown]
	v_min3_f32 v137, v74, v72, v137
	v_add_nc_u32_e32 v74, 32, v76
	v_min3_f32 v141, v77, v75, v143
	v_add_f32_e32 v142, v18, v62
	v_min_f32_e32 v75, v79, v78
	v_add_f32_e32 v79, v19, v63
	v_add_co_u32 v77, vcc_lo, v144, v68
	v_add_nc_u32_e32 v72, 40, v76
	v_min3_f32 v137, v73, v75, v137
	v_ashrrev_i32_e32 v75, 31, v74
	v_add_co_ci_u32_e64 v78, null, v145, v69, vcc_lo
	v_min3_f32 v79, v142, v79, v141
	v_ashrrev_i32_e32 v73, 31, v72
	v_lshlrev_b64 v[74:75], 2, v[74:75]
	global_store_dword v[77:78], v137, off
	s_mov_b32 s6, -1
	v_max_f32_e32 v77, v79, v79
	s_mov_b32 vcc_lo, s0
	s_cbranch_vccz .LBB68_56
; %bb.55:
	v_add_co_u32 v78, vcc_lo, v144, v74
	v_min_f32_e32 v137, 0, v77
	v_add_co_ci_u32_e64 v79, null, v145, v75, vcc_lo
	s_mov_b32 s6, 0
	global_store_dword v[78:79], v137, off
.LBB68_56:
	v_lshlrev_b64 v[72:73], 2, v[72:73]
	v_mov_b32_e32 v79, 0
	s_andn2_b32 vcc_lo, exec_lo, s6
	s_cbranch_vccnz .LBB68_58
; %bb.57:
	v_add_co_u32 v78, vcc_lo, v146, v74
	v_add_co_ci_u32_e64 v79, null, v147, v75, vcc_lo
	global_load_dword v78, v[78:79], off
	s_waitcnt vmcnt(0)
	v_mul_f32_e32 v137, s3, v78
	v_add_co_u32 v78, vcc_lo, v144, v74
	v_add_co_ci_u32_e64 v79, null, v145, v75, vcc_lo
	v_add_co_u32 v141, vcc_lo, v146, v72
	v_min_f32_e32 v77, v137, v77
	v_add_co_ci_u32_e64 v142, null, v147, v73, vcc_lo
	global_store_dword v[78:79], v77, off
	global_load_dword v77, v[141:142], off
	s_waitcnt vmcnt(0)
	v_mul_f32_e32 v79, s3, v77
.LBB68_58:
	v_add_f32_e32 v77, v13, v61
	v_add_f32_e32 v78, v12, v60
	;; [unrolled: 1-line block ×6, first 2 shown]
	v_min3_f32 v77, v78, v77, v138
	v_add_nc_u32_e32 v78, 56, v76
	v_min3_f32 v139, v141, v137, v139
	v_add_nc_u32_e32 v137, 48, v76
	v_min_f32_e32 v138, v143, v142
	v_add_f32_e32 v141, v11, v63
	v_add_f32_e32 v142, v10, v62
	v_add_co_u32 v76, vcc_lo, v144, v72
	v_min3_f32 v143, v79, v138, v77
	v_add_co_ci_u32_e64 v77, null, v145, v73, vcc_lo
	v_ashrrev_i32_e32 v138, 31, v137
	v_min3_f32 v139, v142, v141, v139
	v_ashrrev_i32_e32 v79, 31, v78
	global_store_dword v[76:77], v143, off
	s_mov_b32 s6, -1
	v_lshlrev_b64 v[76:77], 2, v[137:138]
	v_max_f32_e32 v137, v139, v139
	s_mov_b32 vcc_lo, s0
	s_cbranch_vccz .LBB68_60
; %bb.59:
	v_add_co_u32 v138, vcc_lo, v144, v76
	v_min_f32_e32 v141, 0, v137
	v_add_co_ci_u32_e64 v139, null, v145, v77, vcc_lo
	s_mov_b32 s6, 0
	global_store_dword v[138:139], v141, off
.LBB68_60:
	v_lshlrev_b64 v[78:79], 2, v[78:79]
	v_mov_b32_e32 v138, 0
	s_andn2_b32 vcc_lo, exec_lo, s6
	s_cbranch_vccnz .LBB68_62
; %bb.61:
	v_add_co_u32 v138, vcc_lo, v146, v76
	v_add_co_ci_u32_e64 v139, null, v147, v77, vcc_lo
	global_load_dword v138, v[138:139], off
	s_waitcnt vmcnt(0)
	v_mul_f32_e32 v141, s3, v138
	v_add_co_u32 v138, vcc_lo, v144, v76
	v_add_co_ci_u32_e64 v139, null, v145, v77, vcc_lo
	v_min_f32_e32 v137, v141, v137
	v_add_co_u32 v141, vcc_lo, v146, v78
	v_add_co_ci_u32_e64 v142, null, v147, v79, vcc_lo
	global_store_dword v[138:139], v137, off
	global_load_dword v137, v[141:142], off
	s_waitcnt vmcnt(0)
	v_mul_f32_e32 v138, s3, v137
.LBB68_62:
	v_add_f32_e32 v61, v1, v61
	v_add_f32_e32 v60, v0, v60
	;; [unrolled: 1-line block ×6, first 2 shown]
	v_min3_f32 v60, v60, v61, v135
	v_add_f32_e32 v141, v34, v58
	v_min_f32_e32 v61, v62, v63
	v_add_nc_u32_e32 v62, 32, v140
	v_min3_f32 v137, v139, v137, v136
	v_add_f32_e32 v139, v35, v59
	v_add_co_u32 v135, vcc_lo, v144, v78
	v_min3_f32 v138, v138, v61, v60
	v_mad_i64_i32 v[60:61], null, v62, s2, 0
	v_mad_i64_i32 v[62:63], null, v62, s1, 0
	v_add_co_ci_u32_e64 v136, null, v145, v79, vcc_lo
	v_min3_f32 v137, v141, v139, v137
	s_mov_b32 s6, -1
	v_lshlrev_b64 v[60:61], 2, v[60:61]
	global_store_dword v[135:136], v138, off
	v_lshlrev_b64 v[62:63], 2, v[62:63]
	v_max_f32_e32 v135, v137, v137
	v_add_co_u32 v60, vcc_lo, s4, v60
	v_add_co_ci_u32_e64 v61, null, s5, v61, vcc_lo
	v_add_co_u32 v62, vcc_lo, s12, v62
	v_add_co_ci_u32_e64 v63, null, s13, v63, vcc_lo
	s_mov_b32 vcc_lo, s0
	s_cbranch_vccz .LBB68_64
; %bb.63:
	v_add_co_u32 v136, vcc_lo, v60, v66
	v_min_f32_e32 v138, 0, v135
	v_add_co_ci_u32_e64 v137, null, v61, v67, vcc_lo
	s_mov_b32 s6, 0
	global_store_dword v[136:137], v138, off
.LBB68_64:
	v_mov_b32_e32 v136, 0
	s_andn2_b32 vcc_lo, exec_lo, s6
	s_cbranch_vccnz .LBB68_66
; %bb.65:
	v_add_co_u32 v136, vcc_lo, v62, v66
	v_add_co_ci_u32_e64 v137, null, v63, v67, vcc_lo
	global_load_dword v136, v[136:137], off
	s_waitcnt vmcnt(0)
	v_mul_f32_e32 v138, s3, v136
	v_add_co_u32 v136, vcc_lo, v60, v66
	v_add_co_ci_u32_e64 v137, null, v61, v67, vcc_lo
	v_min_f32_e32 v135, v138, v135
	v_add_co_u32 v138, vcc_lo, v62, v64
	v_add_co_ci_u32_e64 v139, null, v63, v65, vcc_lo
	global_store_dword v[136:137], v135, off
	global_load_dword v135, v[138:139], off
	s_waitcnt vmcnt(0)
	v_mul_f32_e32 v136, s3, v135
.LBB68_66:
	v_add_f32_e32 v135, v29, v57
	v_add_f32_e32 v137, v28, v56
	;; [unrolled: 1-line block ×6, first 2 shown]
	v_min3_f32 v133, v137, v135, v133
	s_mov_b32 s6, -1
	v_min_f32_e32 v135, v139, v138
	v_add_f32_e32 v138, v27, v59
	v_min3_f32 v137, v142, v141, v134
	v_add_f32_e32 v139, v26, v58
	v_min3_f32 v135, v136, v135, v133
	v_add_co_u32 v133, vcc_lo, v60, v64
	v_add_co_ci_u32_e64 v134, null, v61, v65, vcc_lo
	v_min3_f32 v136, v139, v138, v137
	s_mov_b32 vcc_lo, s0
	global_store_dword v[133:134], v135, off
	v_max_f32_e32 v133, v136, v136
	s_cbranch_vccz .LBB68_68
; %bb.67:
	v_add_co_u32 v134, vcc_lo, v60, v70
	v_min_f32_e32 v136, 0, v133
	v_add_co_ci_u32_e64 v135, null, v61, v71, vcc_lo
	s_mov_b32 s6, 0
	global_store_dword v[134:135], v136, off
.LBB68_68:
	v_mov_b32_e32 v134, 0
	s_andn2_b32 vcc_lo, exec_lo, s6
	s_cbranch_vccnz .LBB68_70
; %bb.69:
	v_add_co_u32 v134, vcc_lo, v62, v70
	v_add_co_ci_u32_e64 v135, null, v63, v71, vcc_lo
	global_load_dword v134, v[134:135], off
	s_waitcnt vmcnt(0)
	v_mul_f32_e32 v136, s3, v134
	v_add_co_u32 v134, vcc_lo, v60, v70
	v_add_co_ci_u32_e64 v135, null, v61, v71, vcc_lo
	v_min_f32_e32 v133, v136, v133
	v_add_co_u32 v136, vcc_lo, v62, v68
	v_add_co_ci_u32_e64 v137, null, v63, v69, vcc_lo
	global_store_dword v[134:135], v133, off
	global_load_dword v133, v[136:137], off
	s_waitcnt vmcnt(0)
	v_mul_f32_e32 v134, s3, v133
.LBB68_70:
	v_add_f32_e32 v133, v21, v57
	v_add_f32_e32 v135, v20, v56
	;; [unrolled: 1-line block ×6, first 2 shown]
	v_min3_f32 v131, v135, v133, v131
	s_mov_b32 s6, -1
	v_min_f32_e32 v133, v137, v136
	v_add_f32_e32 v136, v19, v59
	v_min3_f32 v135, v139, v138, v132
	v_add_f32_e32 v137, v18, v58
	v_min3_f32 v133, v134, v133, v131
	v_add_co_u32 v131, vcc_lo, v60, v68
	v_add_co_ci_u32_e64 v132, null, v61, v69, vcc_lo
	v_min3_f32 v134, v137, v136, v135
	s_mov_b32 vcc_lo, s0
	global_store_dword v[131:132], v133, off
	v_max_f32_e32 v131, v134, v134
	s_cbranch_vccz .LBB68_72
; %bb.71:
	v_add_co_u32 v132, vcc_lo, v60, v74
	v_min_f32_e32 v134, 0, v131
	v_add_co_ci_u32_e64 v133, null, v61, v75, vcc_lo
	s_mov_b32 s6, 0
	global_store_dword v[132:133], v134, off
.LBB68_72:
	v_mov_b32_e32 v132, 0
	s_andn2_b32 vcc_lo, exec_lo, s6
	s_cbranch_vccnz .LBB68_74
; %bb.73:
	v_add_co_u32 v132, vcc_lo, v62, v74
	v_add_co_ci_u32_e64 v133, null, v63, v75, vcc_lo
	global_load_dword v132, v[132:133], off
	s_waitcnt vmcnt(0)
	v_mul_f32_e32 v134, s3, v132
	v_add_co_u32 v132, vcc_lo, v60, v74
	v_add_co_ci_u32_e64 v133, null, v61, v75, vcc_lo
	v_min_f32_e32 v131, v134, v131
	v_add_co_u32 v134, vcc_lo, v62, v72
	v_add_co_ci_u32_e64 v135, null, v63, v73, vcc_lo
	global_store_dword v[132:133], v131, off
	global_load_dword v131, v[134:135], off
	s_waitcnt vmcnt(0)
	v_mul_f32_e32 v132, s3, v131
.LBB68_74:
	v_add_f32_e32 v131, v13, v57
	v_add_f32_e32 v133, v12, v56
	;; [unrolled: 1-line block ×6, first 2 shown]
	v_min3_f32 v128, v133, v131, v128
	s_mov_b32 s6, -1
	v_min_f32_e32 v131, v135, v134
	v_add_f32_e32 v134, v11, v59
	v_min3_f32 v133, v137, v136, v130
	v_add_f32_e32 v135, v10, v58
	v_add_co_u32 v130, vcc_lo, v60, v72
	v_min3_f32 v128, v132, v131, v128
	v_add_co_ci_u32_e64 v131, null, v61, v73, vcc_lo
	v_min3_f32 v132, v135, v134, v133
	s_mov_b32 vcc_lo, s0
	global_store_dword v[130:131], v128, off
	v_max_f32_e32 v128, v132, v132
	s_cbranch_vccz .LBB68_76
; %bb.75:
	v_add_co_u32 v130, vcc_lo, v60, v76
	v_min_f32_e32 v132, 0, v128
	v_add_co_ci_u32_e64 v131, null, v61, v77, vcc_lo
	s_mov_b32 s6, 0
	global_store_dword v[130:131], v132, off
.LBB68_76:
	v_mov_b32_e32 v130, 0
	s_andn2_b32 vcc_lo, exec_lo, s6
	s_cbranch_vccnz .LBB68_78
; %bb.77:
	v_add_co_u32 v130, vcc_lo, v62, v76
	v_add_co_ci_u32_e64 v131, null, v63, v77, vcc_lo
	global_load_dword v130, v[130:131], off
	s_waitcnt vmcnt(0)
	v_mul_f32_e32 v132, s3, v130
	v_add_co_u32 v130, vcc_lo, v60, v76
	v_add_co_ci_u32_e64 v131, null, v61, v77, vcc_lo
	v_add_co_u32 v62, vcc_lo, v62, v78
	v_min_f32_e32 v128, v132, v128
	v_add_co_ci_u32_e64 v63, null, v63, v79, vcc_lo
	global_store_dword v[130:131], v128, off
	global_load_dword v62, v[62:63], off
	s_waitcnt vmcnt(0)
	v_mul_f32_e32 v130, s3, v62
.LBB68_78:
	v_add_f32_e32 v57, v1, v57
	v_add_f32_e32 v56, v0, v56
	;; [unrolled: 1-line block ×6, first 2 shown]
	v_min3_f32 v56, v56, v57, v127
	v_add_f32_e32 v127, v34, v54
	v_min_f32_e32 v57, v58, v59
	v_add_nc_u32_e32 v58, 64, v140
	v_min3_f32 v62, v63, v62, v129
	v_add_f32_e32 v63, v35, v55
	v_add_co_u32 v60, vcc_lo, v60, v78
	v_min3_f32 v128, v130, v57, v56
	v_mad_i64_i32 v[56:57], null, v58, s2, 0
	v_mad_i64_i32 v[58:59], null, v58, s1, 0
	v_add_co_ci_u32_e64 v61, null, v61, v79, vcc_lo
	v_min3_f32 v62, v127, v63, v62
	s_mov_b32 s6, -1
	v_lshlrev_b64 v[56:57], 2, v[56:57]
	global_store_dword v[60:61], v128, off
	v_lshlrev_b64 v[58:59], 2, v[58:59]
	v_max_f32_e32 v60, v62, v62
	v_add_co_u32 v56, vcc_lo, s4, v56
	v_add_co_ci_u32_e64 v57, null, s5, v57, vcc_lo
	v_add_co_u32 v58, vcc_lo, s12, v58
	v_add_co_ci_u32_e64 v59, null, s13, v59, vcc_lo
	s_mov_b32 vcc_lo, s0
	s_cbranch_vccz .LBB68_80
; %bb.79:
	v_add_co_u32 v61, vcc_lo, v56, v66
	v_min_f32_e32 v63, 0, v60
	v_add_co_ci_u32_e64 v62, null, v57, v67, vcc_lo
	s_mov_b32 s6, 0
	global_store_dword v[61:62], v63, off
.LBB68_80:
	v_mov_b32_e32 v61, 0
	s_andn2_b32 vcc_lo, exec_lo, s6
	s_cbranch_vccnz .LBB68_82
; %bb.81:
	v_add_co_u32 v61, vcc_lo, v58, v66
	v_add_co_ci_u32_e64 v62, null, v59, v67, vcc_lo
	global_load_dword v61, v[61:62], off
	s_waitcnt vmcnt(0)
	v_mul_f32_e32 v63, s3, v61
	v_add_co_u32 v61, vcc_lo, v56, v66
	v_add_co_ci_u32_e64 v62, null, v57, v67, vcc_lo
	v_add_co_u32 v127, vcc_lo, v58, v64
	v_min_f32_e32 v60, v63, v60
	v_add_co_ci_u32_e64 v128, null, v59, v65, vcc_lo
	global_store_dword v[61:62], v60, off
	global_load_dword v60, v[127:128], off
	s_waitcnt vmcnt(0)
	v_mul_f32_e32 v61, s3, v60
.LBB68_82:
	v_add_f32_e32 v60, v29, v53
	v_add_f32_e32 v62, v28, v52
	v_add_f32_e32 v63, v31, v55
	v_add_f32_e32 v127, v30, v54
	v_add_f32_e32 v128, v25, v53
	v_add_f32_e32 v129, v24, v52
	v_min3_f32 v60, v62, v60, v126
	v_add_f32_e32 v126, v26, v54
	v_min_f32_e32 v62, v127, v63
	s_mov_b32 s6, -1
	v_min3_f32 v63, v129, v128, v125
	v_add_f32_e32 v125, v27, v55
	v_min3_f32 v62, v61, v62, v60
	v_add_co_u32 v60, vcc_lo, v56, v64
	v_add_co_ci_u32_e64 v61, null, v57, v65, vcc_lo
	v_min3_f32 v63, v126, v125, v63
	s_mov_b32 vcc_lo, s0
	global_store_dword v[60:61], v62, off
	v_max_f32_e32 v60, v63, v63
	s_cbranch_vccz .LBB68_84
; %bb.83:
	v_add_co_u32 v61, vcc_lo, v56, v70
	v_min_f32_e32 v63, 0, v60
	v_add_co_ci_u32_e64 v62, null, v57, v71, vcc_lo
	s_mov_b32 s6, 0
	global_store_dword v[61:62], v63, off
.LBB68_84:
	v_mov_b32_e32 v61, 0
	s_andn2_b32 vcc_lo, exec_lo, s6
	s_cbranch_vccnz .LBB68_86
; %bb.85:
	v_add_co_u32 v61, vcc_lo, v58, v70
	v_add_co_ci_u32_e64 v62, null, v59, v71, vcc_lo
	global_load_dword v61, v[61:62], off
	s_waitcnt vmcnt(0)
	v_mul_f32_e32 v63, s3, v61
	v_add_co_u32 v61, vcc_lo, v56, v70
	v_add_co_ci_u32_e64 v62, null, v57, v71, vcc_lo
	v_add_co_u32 v125, vcc_lo, v58, v68
	v_min_f32_e32 v60, v63, v60
	v_add_co_ci_u32_e64 v126, null, v59, v69, vcc_lo
	global_store_dword v[61:62], v60, off
	global_load_dword v60, v[125:126], off
	s_waitcnt vmcnt(0)
	v_mul_f32_e32 v61, s3, v60
.LBB68_86:
	v_add_f32_e32 v60, v21, v53
	v_add_f32_e32 v62, v20, v52
	v_add_f32_e32 v63, v23, v55
	v_add_f32_e32 v125, v22, v54
	v_add_f32_e32 v126, v17, v53
	v_add_f32_e32 v127, v16, v52
	v_min3_f32 v60, v62, v60, v123
	v_add_f32_e32 v123, v19, v55
	v_min_f32_e32 v62, v125, v63
	s_mov_b32 s6, -1
	v_min3_f32 v63, v127, v126, v124
	v_add_f32_e32 v124, v18, v54
	v_min3_f32 v62, v61, v62, v60
	v_add_co_u32 v60, vcc_lo, v56, v68
	v_add_co_ci_u32_e64 v61, null, v57, v69, vcc_lo
	v_min3_f32 v63, v124, v123, v63
	s_mov_b32 vcc_lo, s0
	global_store_dword v[60:61], v62, off
	v_max_f32_e32 v60, v63, v63
	;; [unrolled: 46-line block ×3, first 2 shown]
	s_cbranch_vccz .LBB68_92
; %bb.91:
	v_add_co_u32 v61, vcc_lo, v56, v76
	v_min_f32_e32 v63, 0, v60
	v_add_co_ci_u32_e64 v62, null, v57, v77, vcc_lo
	s_mov_b32 s6, 0
	global_store_dword v[61:62], v63, off
.LBB68_92:
	v_mov_b32_e32 v61, 0
	s_andn2_b32 vcc_lo, exec_lo, s6
	s_cbranch_vccnz .LBB68_94
; %bb.93:
	v_add_co_u32 v61, vcc_lo, v58, v76
	v_add_co_ci_u32_e64 v62, null, v59, v77, vcc_lo
	global_load_dword v61, v[61:62], off
	s_waitcnt vmcnt(0)
	v_mul_f32_e32 v63, s3, v61
	v_add_co_u32 v61, vcc_lo, v56, v76
	v_add_co_ci_u32_e64 v62, null, v57, v77, vcc_lo
	v_add_co_u32 v58, vcc_lo, v58, v78
	v_min_f32_e32 v60, v63, v60
	v_add_co_ci_u32_e64 v59, null, v59, v79, vcc_lo
	global_store_dword v[61:62], v60, off
	global_load_dword v58, v[58:59], off
	s_waitcnt vmcnt(0)
	v_mul_f32_e32 v61, s3, v58
.LBB68_94:
	v_add_f32_e32 v53, v1, v53
	v_add_f32_e32 v52, v0, v52
	v_add_f32_e32 v55, v3, v55
	v_add_f32_e32 v54, v2, v54
	v_add_f32_e32 v58, v33, v49
	v_add_f32_e32 v59, v32, v48
	v_min3_f32 v52, v52, v53, v119
	v_add_f32_e32 v60, v34, v50
	v_min_f32_e32 v53, v54, v55
	v_add_nc_u32_e32 v54, 0x60, v140
	v_min3_f32 v58, v59, v58, v120
	v_add_f32_e32 v59, v35, v51
	v_add_co_u32 v56, vcc_lo, v56, v78
	v_min3_f32 v61, v61, v53, v52
	v_mad_i64_i32 v[52:53], null, v54, s2, 0
	v_mad_i64_i32 v[54:55], null, v54, s1, 0
	v_add_co_ci_u32_e64 v57, null, v57, v79, vcc_lo
	v_min3_f32 v58, v60, v59, v58
	s_mov_b32 s6, -1
	v_lshlrev_b64 v[52:53], 2, v[52:53]
	global_store_dword v[56:57], v61, off
	v_lshlrev_b64 v[54:55], 2, v[54:55]
	v_max_f32_e32 v56, v58, v58
	v_add_co_u32 v52, vcc_lo, s4, v52
	v_add_co_ci_u32_e64 v53, null, s5, v53, vcc_lo
	v_add_co_u32 v54, vcc_lo, s12, v54
	v_add_co_ci_u32_e64 v55, null, s13, v55, vcc_lo
	s_mov_b32 vcc_lo, s0
	s_cbranch_vccz .LBB68_96
; %bb.95:
	v_add_co_u32 v57, vcc_lo, v52, v66
	v_min_f32_e32 v59, 0, v56
	v_add_co_ci_u32_e64 v58, null, v53, v67, vcc_lo
	s_mov_b32 s6, 0
	global_store_dword v[57:58], v59, off
.LBB68_96:
	v_mov_b32_e32 v57, 0
	s_andn2_b32 vcc_lo, exec_lo, s6
	s_cbranch_vccnz .LBB68_98
; %bb.97:
	v_add_co_u32 v57, vcc_lo, v54, v66
	v_add_co_ci_u32_e64 v58, null, v55, v67, vcc_lo
	global_load_dword v57, v[57:58], off
	s_waitcnt vmcnt(0)
	v_mul_f32_e32 v59, s3, v57
	v_add_co_u32 v57, vcc_lo, v52, v66
	v_add_co_ci_u32_e64 v58, null, v53, v67, vcc_lo
	v_min_f32_e32 v56, v59, v56
	v_add_co_u32 v59, vcc_lo, v54, v64
	v_add_co_ci_u32_e64 v60, null, v55, v65, vcc_lo
	global_store_dword v[57:58], v56, off
	global_load_dword v56, v[59:60], off
	s_waitcnt vmcnt(0)
	v_mul_f32_e32 v57, s3, v56
.LBB68_98:
	v_add_f32_e32 v56, v29, v49
	v_add_f32_e32 v58, v28, v48
	v_add_f32_e32 v59, v31, v51
	v_add_f32_e32 v60, v30, v50
	v_add_f32_e32 v61, v25, v49
	v_add_f32_e32 v62, v24, v48
	v_min3_f32 v56, v58, v56, v117
	s_mov_b32 s6, -1
	v_min_f32_e32 v58, v60, v59
	v_add_f32_e32 v60, v27, v51
	v_min3_f32 v59, v62, v61, v118
	v_add_f32_e32 v61, v26, v50
	v_min3_f32 v58, v57, v58, v56
	v_add_co_u32 v56, vcc_lo, v52, v64
	v_add_co_ci_u32_e64 v57, null, v53, v65, vcc_lo
	v_min3_f32 v59, v61, v60, v59
	s_mov_b32 vcc_lo, s0
	global_store_dword v[56:57], v58, off
	v_max_f32_e32 v56, v59, v59
	s_cbranch_vccz .LBB68_100
; %bb.99:
	v_add_co_u32 v57, vcc_lo, v52, v70
	v_min_f32_e32 v59, 0, v56
	v_add_co_ci_u32_e64 v58, null, v53, v71, vcc_lo
	s_mov_b32 s6, 0
	global_store_dword v[57:58], v59, off
.LBB68_100:
	v_mov_b32_e32 v57, 0
	s_andn2_b32 vcc_lo, exec_lo, s6
	s_cbranch_vccnz .LBB68_102
; %bb.101:
	v_add_co_u32 v57, vcc_lo, v54, v70
	v_add_co_ci_u32_e64 v58, null, v55, v71, vcc_lo
	global_load_dword v57, v[57:58], off
	s_waitcnt vmcnt(0)
	v_mul_f32_e32 v59, s3, v57
	v_add_co_u32 v57, vcc_lo, v52, v70
	v_add_co_ci_u32_e64 v58, null, v53, v71, vcc_lo
	v_min_f32_e32 v56, v59, v56
	v_add_co_u32 v59, vcc_lo, v54, v68
	v_add_co_ci_u32_e64 v60, null, v55, v69, vcc_lo
	global_store_dword v[57:58], v56, off
	global_load_dword v56, v[59:60], off
	s_waitcnt vmcnt(0)
	v_mul_f32_e32 v57, s3, v56
.LBB68_102:
	v_add_f32_e32 v56, v21, v49
	v_add_f32_e32 v58, v20, v48
	v_add_f32_e32 v59, v23, v51
	v_add_f32_e32 v60, v22, v50
	v_add_f32_e32 v61, v17, v49
	v_add_f32_e32 v62, v16, v48
	v_min3_f32 v56, v58, v56, v116
	s_mov_b32 s6, -1
	v_min_f32_e32 v58, v60, v59
	v_add_f32_e32 v60, v19, v51
	v_min3_f32 v59, v62, v61, v115
	v_add_f32_e32 v61, v18, v50
	v_min3_f32 v58, v57, v58, v56
	v_add_co_u32 v56, vcc_lo, v52, v68
	v_add_co_ci_u32_e64 v57, null, v53, v69, vcc_lo
	v_min3_f32 v59, v61, v60, v59
	s_mov_b32 vcc_lo, s0
	global_store_dword v[56:57], v58, off
	v_max_f32_e32 v56, v59, v59
	;; [unrolled: 46-line block ×3, first 2 shown]
	s_cbranch_vccz .LBB68_108
; %bb.107:
	v_add_co_u32 v57, vcc_lo, v52, v76
	v_min_f32_e32 v59, 0, v56
	v_add_co_ci_u32_e64 v58, null, v53, v77, vcc_lo
	s_mov_b32 s6, 0
	global_store_dword v[57:58], v59, off
.LBB68_108:
	v_mov_b32_e32 v57, 0
	s_andn2_b32 vcc_lo, exec_lo, s6
	s_cbranch_vccnz .LBB68_110
; %bb.109:
	v_add_co_u32 v57, vcc_lo, v54, v76
	v_add_co_ci_u32_e64 v58, null, v55, v77, vcc_lo
	global_load_dword v57, v[57:58], off
	s_waitcnt vmcnt(0)
	v_mul_f32_e32 v59, s3, v57
	v_add_co_u32 v57, vcc_lo, v52, v76
	v_add_co_ci_u32_e64 v58, null, v53, v77, vcc_lo
	v_add_co_u32 v54, vcc_lo, v54, v78
	v_min_f32_e32 v56, v59, v56
	v_add_co_ci_u32_e64 v55, null, v55, v79, vcc_lo
	global_store_dword v[57:58], v56, off
	global_load_dword v54, v[54:55], off
	s_waitcnt vmcnt(0)
	v_mul_f32_e32 v57, s3, v54
.LBB68_110:
	v_add_f32_e32 v49, v1, v49
	v_add_f32_e32 v48, v0, v48
	;; [unrolled: 1-line block ×6, first 2 shown]
	v_min3_f32 v48, v48, v49, v111
	v_add_f32_e32 v56, v34, v46
	v_min_f32_e32 v49, v50, v51
	v_add_nc_u32_e32 v50, 0x80, v140
	v_min3_f32 v54, v55, v54, v112
	v_add_f32_e32 v55, v35, v47
	v_add_co_u32 v52, vcc_lo, v52, v78
	v_min3_f32 v57, v57, v49, v48
	v_mad_i64_i32 v[48:49], null, v50, s2, 0
	v_mad_i64_i32 v[50:51], null, v50, s1, 0
	v_add_co_ci_u32_e64 v53, null, v53, v79, vcc_lo
	v_min3_f32 v54, v56, v55, v54
	s_mov_b32 s6, -1
	v_lshlrev_b64 v[48:49], 2, v[48:49]
	global_store_dword v[52:53], v57, off
	v_lshlrev_b64 v[50:51], 2, v[50:51]
	v_max_f32_e32 v52, v54, v54
	v_add_co_u32 v48, vcc_lo, s4, v48
	v_add_co_ci_u32_e64 v49, null, s5, v49, vcc_lo
	v_add_co_u32 v50, vcc_lo, s12, v50
	v_add_co_ci_u32_e64 v51, null, s13, v51, vcc_lo
	s_mov_b32 vcc_lo, s0
	s_cbranch_vccz .LBB68_112
; %bb.111:
	v_add_co_u32 v53, vcc_lo, v48, v66
	v_min_f32_e32 v55, 0, v52
	v_add_co_ci_u32_e64 v54, null, v49, v67, vcc_lo
	s_mov_b32 s6, 0
	global_store_dword v[53:54], v55, off
.LBB68_112:
	v_mov_b32_e32 v53, 0
	s_andn2_b32 vcc_lo, exec_lo, s6
	s_cbranch_vccnz .LBB68_114
; %bb.113:
	v_add_co_u32 v53, vcc_lo, v50, v66
	v_add_co_ci_u32_e64 v54, null, v51, v67, vcc_lo
	global_load_dword v53, v[53:54], off
	s_waitcnt vmcnt(0)
	v_mul_f32_e32 v55, s3, v53
	v_add_co_u32 v53, vcc_lo, v48, v66
	v_add_co_ci_u32_e64 v54, null, v49, v67, vcc_lo
	v_min_f32_e32 v52, v55, v52
	v_add_co_u32 v55, vcc_lo, v50, v64
	v_add_co_ci_u32_e64 v56, null, v51, v65, vcc_lo
	global_store_dword v[53:54], v52, off
	global_load_dword v52, v[55:56], off
	s_waitcnt vmcnt(0)
	v_mul_f32_e32 v53, s3, v52
.LBB68_114:
	v_add_f32_e32 v52, v29, v45
	v_add_f32_e32 v54, v28, v44
	v_add_f32_e32 v55, v31, v47
	v_add_f32_e32 v56, v30, v46
	v_add_f32_e32 v57, v25, v45
	v_add_f32_e32 v58, v24, v44
	v_min3_f32 v52, v54, v52, v109
	s_mov_b32 s6, -1
	v_min_f32_e32 v54, v56, v55
	v_add_f32_e32 v56, v27, v47
	v_min3_f32 v55, v58, v57, v110
	v_add_f32_e32 v57, v26, v46
	v_min3_f32 v54, v53, v54, v52
	v_add_co_u32 v52, vcc_lo, v48, v64
	v_add_co_ci_u32_e64 v53, null, v49, v65, vcc_lo
	v_min3_f32 v55, v57, v56, v55
	s_mov_b32 vcc_lo, s0
	global_store_dword v[52:53], v54, off
	v_max_f32_e32 v52, v55, v55
	s_cbranch_vccz .LBB68_116
; %bb.115:
	v_add_co_u32 v53, vcc_lo, v48, v70
	v_min_f32_e32 v55, 0, v52
	v_add_co_ci_u32_e64 v54, null, v49, v71, vcc_lo
	s_mov_b32 s6, 0
	global_store_dword v[53:54], v55, off
.LBB68_116:
	v_mov_b32_e32 v53, 0
	s_andn2_b32 vcc_lo, exec_lo, s6
	s_cbranch_vccnz .LBB68_118
; %bb.117:
	v_add_co_u32 v53, vcc_lo, v50, v70
	v_add_co_ci_u32_e64 v54, null, v51, v71, vcc_lo
	global_load_dword v53, v[53:54], off
	s_waitcnt vmcnt(0)
	v_mul_f32_e32 v55, s3, v53
	v_add_co_u32 v53, vcc_lo, v48, v70
	v_add_co_ci_u32_e64 v54, null, v49, v71, vcc_lo
	v_min_f32_e32 v52, v55, v52
	v_add_co_u32 v55, vcc_lo, v50, v68
	v_add_co_ci_u32_e64 v56, null, v51, v69, vcc_lo
	global_store_dword v[53:54], v52, off
	global_load_dword v52, v[55:56], off
	s_waitcnt vmcnt(0)
	v_mul_f32_e32 v53, s3, v52
.LBB68_118:
	v_add_f32_e32 v52, v21, v45
	v_add_f32_e32 v54, v20, v44
	v_add_f32_e32 v55, v23, v47
	v_add_f32_e32 v56, v22, v46
	v_add_f32_e32 v57, v17, v45
	v_add_f32_e32 v58, v16, v44
	v_min3_f32 v52, v54, v52, v107
	s_mov_b32 s6, -1
	v_min_f32_e32 v54, v56, v55
	v_add_f32_e32 v56, v19, v47
	v_min3_f32 v55, v58, v57, v108
	v_add_f32_e32 v57, v18, v46
	v_min3_f32 v54, v53, v54, v52
	v_add_co_u32 v52, vcc_lo, v48, v68
	v_add_co_ci_u32_e64 v53, null, v49, v69, vcc_lo
	v_min3_f32 v55, v57, v56, v55
	s_mov_b32 vcc_lo, s0
	global_store_dword v[52:53], v54, off
	v_max_f32_e32 v52, v55, v55
	;; [unrolled: 46-line block ×3, first 2 shown]
	s_cbranch_vccz .LBB68_124
; %bb.123:
	v_add_co_u32 v53, vcc_lo, v48, v76
	v_min_f32_e32 v55, 0, v52
	v_add_co_ci_u32_e64 v54, null, v49, v77, vcc_lo
	s_mov_b32 s6, 0
	global_store_dword v[53:54], v55, off
.LBB68_124:
	v_mov_b32_e32 v53, 0
	s_andn2_b32 vcc_lo, exec_lo, s6
	s_cbranch_vccnz .LBB68_126
; %bb.125:
	v_add_co_u32 v53, vcc_lo, v50, v76
	v_add_co_ci_u32_e64 v54, null, v51, v77, vcc_lo
	global_load_dword v53, v[53:54], off
	s_waitcnt vmcnt(0)
	v_mul_f32_e32 v55, s3, v53
	v_add_co_u32 v53, vcc_lo, v48, v76
	v_add_co_ci_u32_e64 v54, null, v49, v77, vcc_lo
	v_add_co_u32 v50, vcc_lo, v50, v78
	v_min_f32_e32 v52, v55, v52
	v_add_co_ci_u32_e64 v51, null, v51, v79, vcc_lo
	global_store_dword v[53:54], v52, off
	global_load_dword v50, v[50:51], off
	s_waitcnt vmcnt(0)
	v_mul_f32_e32 v53, s3, v50
.LBB68_126:
	v_add_f32_e32 v45, v1, v45
	v_add_f32_e32 v44, v0, v44
	;; [unrolled: 1-line block ×6, first 2 shown]
	v_min3_f32 v44, v44, v45, v103
	v_add_f32_e32 v52, v34, v42
	v_min_f32_e32 v45, v46, v47
	v_add_nc_u32_e32 v46, 0xa0, v140
	v_min3_f32 v50, v51, v50, v104
	v_add_f32_e32 v51, v35, v43
	v_add_co_u32 v48, vcc_lo, v48, v78
	v_min3_f32 v53, v53, v45, v44
	v_mad_i64_i32 v[44:45], null, v46, s2, 0
	v_mad_i64_i32 v[46:47], null, v46, s1, 0
	v_add_co_ci_u32_e64 v49, null, v49, v79, vcc_lo
	v_min3_f32 v50, v52, v51, v50
	s_mov_b32 s6, -1
	v_lshlrev_b64 v[44:45], 2, v[44:45]
	global_store_dword v[48:49], v53, off
	v_lshlrev_b64 v[46:47], 2, v[46:47]
	v_max_f32_e32 v48, v50, v50
	v_add_co_u32 v44, vcc_lo, s4, v44
	v_add_co_ci_u32_e64 v45, null, s5, v45, vcc_lo
	v_add_co_u32 v46, vcc_lo, s12, v46
	v_add_co_ci_u32_e64 v47, null, s13, v47, vcc_lo
	s_mov_b32 vcc_lo, s0
	s_cbranch_vccz .LBB68_128
; %bb.127:
	v_add_co_u32 v49, vcc_lo, v44, v66
	v_min_f32_e32 v51, 0, v48
	v_add_co_ci_u32_e64 v50, null, v45, v67, vcc_lo
	s_mov_b32 s6, 0
	global_store_dword v[49:50], v51, off
.LBB68_128:
	v_mov_b32_e32 v49, 0
	s_andn2_b32 vcc_lo, exec_lo, s6
	s_cbranch_vccnz .LBB68_130
; %bb.129:
	v_add_co_u32 v49, vcc_lo, v46, v66
	v_add_co_ci_u32_e64 v50, null, v47, v67, vcc_lo
	global_load_dword v49, v[49:50], off
	s_waitcnt vmcnt(0)
	v_mul_f32_e32 v51, s3, v49
	v_add_co_u32 v49, vcc_lo, v44, v66
	v_add_co_ci_u32_e64 v50, null, v45, v67, vcc_lo
	v_min_f32_e32 v48, v51, v48
	v_add_co_u32 v51, vcc_lo, v46, v64
	v_add_co_ci_u32_e64 v52, null, v47, v65, vcc_lo
	global_store_dword v[49:50], v48, off
	global_load_dword v48, v[51:52], off
	s_waitcnt vmcnt(0)
	v_mul_f32_e32 v49, s3, v48
.LBB68_130:
	v_add_f32_e32 v48, v29, v41
	v_add_f32_e32 v50, v28, v40
	v_add_f32_e32 v51, v31, v43
	v_add_f32_e32 v52, v30, v42
	v_add_f32_e32 v53, v25, v41
	v_add_f32_e32 v54, v24, v40
	v_min3_f32 v48, v50, v48, v101
	s_mov_b32 s6, -1
	v_min_f32_e32 v50, v52, v51
	v_add_f32_e32 v52, v27, v43
	v_min3_f32 v51, v54, v53, v102
	v_add_f32_e32 v53, v26, v42
	v_min3_f32 v50, v49, v50, v48
	v_add_co_u32 v48, vcc_lo, v44, v64
	v_add_co_ci_u32_e64 v49, null, v45, v65, vcc_lo
	v_min3_f32 v51, v53, v52, v51
	s_mov_b32 vcc_lo, s0
	global_store_dword v[48:49], v50, off
	v_max_f32_e32 v48, v51, v51
	s_cbranch_vccz .LBB68_132
; %bb.131:
	v_add_co_u32 v49, vcc_lo, v44, v70
	v_min_f32_e32 v51, 0, v48
	v_add_co_ci_u32_e64 v50, null, v45, v71, vcc_lo
	s_mov_b32 s6, 0
	global_store_dword v[49:50], v51, off
.LBB68_132:
	v_mov_b32_e32 v49, 0
	s_andn2_b32 vcc_lo, exec_lo, s6
	s_cbranch_vccnz .LBB68_134
; %bb.133:
	v_add_co_u32 v49, vcc_lo, v46, v70
	v_add_co_ci_u32_e64 v50, null, v47, v71, vcc_lo
	global_load_dword v49, v[49:50], off
	s_waitcnt vmcnt(0)
	v_mul_f32_e32 v51, s3, v49
	v_add_co_u32 v49, vcc_lo, v44, v70
	v_add_co_ci_u32_e64 v50, null, v45, v71, vcc_lo
	v_min_f32_e32 v48, v51, v48
	v_add_co_u32 v51, vcc_lo, v46, v68
	v_add_co_ci_u32_e64 v52, null, v47, v69, vcc_lo
	global_store_dword v[49:50], v48, off
	global_load_dword v48, v[51:52], off
	s_waitcnt vmcnt(0)
	v_mul_f32_e32 v49, s3, v48
.LBB68_134:
	v_add_f32_e32 v48, v21, v41
	v_add_f32_e32 v50, v20, v40
	v_add_f32_e32 v51, v23, v43
	v_add_f32_e32 v52, v22, v42
	v_add_f32_e32 v53, v17, v41
	v_add_f32_e32 v54, v16, v40
	v_min3_f32 v48, v50, v48, v99
	s_mov_b32 s6, -1
	v_min_f32_e32 v50, v52, v51
	v_add_f32_e32 v52, v19, v43
	v_min3_f32 v51, v54, v53, v100
	v_add_f32_e32 v53, v18, v42
	v_min3_f32 v50, v49, v50, v48
	v_add_co_u32 v48, vcc_lo, v44, v68
	v_add_co_ci_u32_e64 v49, null, v45, v69, vcc_lo
	v_min3_f32 v51, v53, v52, v51
	s_mov_b32 vcc_lo, s0
	global_store_dword v[48:49], v50, off
	v_max_f32_e32 v48, v51, v51
	;; [unrolled: 46-line block ×3, first 2 shown]
	s_cbranch_vccz .LBB68_140
; %bb.139:
	v_add_co_u32 v49, vcc_lo, v44, v76
	v_min_f32_e32 v51, 0, v48
	v_add_co_ci_u32_e64 v50, null, v45, v77, vcc_lo
	s_mov_b32 s6, 0
	global_store_dword v[49:50], v51, off
.LBB68_140:
	v_mov_b32_e32 v49, 0
	s_andn2_b32 vcc_lo, exec_lo, s6
	s_cbranch_vccnz .LBB68_142
; %bb.141:
	v_add_co_u32 v49, vcc_lo, v46, v76
	v_add_co_ci_u32_e64 v50, null, v47, v77, vcc_lo
	global_load_dword v49, v[49:50], off
	s_waitcnt vmcnt(0)
	v_mul_f32_e32 v51, s3, v49
	v_add_co_u32 v49, vcc_lo, v44, v76
	v_add_co_ci_u32_e64 v50, null, v45, v77, vcc_lo
	v_add_co_u32 v46, vcc_lo, v46, v78
	v_min_f32_e32 v48, v51, v48
	v_add_co_ci_u32_e64 v47, null, v47, v79, vcc_lo
	global_store_dword v[49:50], v48, off
	global_load_dword v46, v[46:47], off
	s_waitcnt vmcnt(0)
	v_mul_f32_e32 v49, s3, v46
.LBB68_142:
	v_add_f32_e32 v41, v1, v41
	v_add_f32_e32 v40, v0, v40
	;; [unrolled: 1-line block ×6, first 2 shown]
	v_min3_f32 v40, v40, v41, v95
	v_add_f32_e32 v48, v34, v38
	v_min_f32_e32 v41, v42, v43
	v_add_nc_u32_e32 v42, 0xc0, v140
	v_min3_f32 v46, v47, v46, v96
	v_add_f32_e32 v47, v35, v39
	v_add_co_u32 v44, vcc_lo, v44, v78
	v_min3_f32 v49, v49, v41, v40
	v_mad_i64_i32 v[40:41], null, v42, s2, 0
	v_mad_i64_i32 v[42:43], null, v42, s1, 0
	v_add_co_ci_u32_e64 v45, null, v45, v79, vcc_lo
	v_min3_f32 v46, v48, v47, v46
	s_mov_b32 s6, -1
	v_lshlrev_b64 v[40:41], 2, v[40:41]
	global_store_dword v[44:45], v49, off
	v_lshlrev_b64 v[42:43], 2, v[42:43]
	v_max_f32_e32 v44, v46, v46
	v_add_co_u32 v40, vcc_lo, s4, v40
	v_add_co_ci_u32_e64 v41, null, s5, v41, vcc_lo
	v_add_co_u32 v42, vcc_lo, s12, v42
	v_add_co_ci_u32_e64 v43, null, s13, v43, vcc_lo
	s_mov_b32 vcc_lo, s0
	s_cbranch_vccz .LBB68_144
; %bb.143:
	v_add_co_u32 v45, vcc_lo, v40, v66
	v_min_f32_e32 v47, 0, v44
	v_add_co_ci_u32_e64 v46, null, v41, v67, vcc_lo
	s_mov_b32 s6, 0
	global_store_dword v[45:46], v47, off
.LBB68_144:
	v_mov_b32_e32 v45, 0
	s_andn2_b32 vcc_lo, exec_lo, s6
	s_cbranch_vccnz .LBB68_146
; %bb.145:
	v_add_co_u32 v45, vcc_lo, v42, v66
	v_add_co_ci_u32_e64 v46, null, v43, v67, vcc_lo
	global_load_dword v45, v[45:46], off
	s_waitcnt vmcnt(0)
	v_mul_f32_e32 v47, s3, v45
	v_add_co_u32 v45, vcc_lo, v40, v66
	v_add_co_ci_u32_e64 v46, null, v41, v67, vcc_lo
	v_min_f32_e32 v44, v47, v44
	v_add_co_u32 v47, vcc_lo, v42, v64
	v_add_co_ci_u32_e64 v48, null, v43, v65, vcc_lo
	global_store_dword v[45:46], v44, off
	global_load_dword v44, v[47:48], off
	s_waitcnt vmcnt(0)
	v_mul_f32_e32 v45, s3, v44
.LBB68_146:
	v_add_f32_e32 v44, v29, v37
	v_add_f32_e32 v46, v28, v36
	v_add_f32_e32 v47, v31, v39
	v_add_f32_e32 v48, v30, v38
	v_add_f32_e32 v49, v25, v37
	v_add_f32_e32 v50, v24, v36
	v_min3_f32 v44, v46, v44, v93
	s_mov_b32 s6, -1
	v_min_f32_e32 v46, v48, v47
	v_add_f32_e32 v48, v27, v39
	v_min3_f32 v47, v50, v49, v94
	v_add_f32_e32 v49, v26, v38
	v_min3_f32 v46, v45, v46, v44
	v_add_co_u32 v44, vcc_lo, v40, v64
	v_add_co_ci_u32_e64 v45, null, v41, v65, vcc_lo
	v_min3_f32 v47, v49, v48, v47
	s_mov_b32 vcc_lo, s0
	global_store_dword v[44:45], v46, off
	v_max_f32_e32 v44, v47, v47
	s_cbranch_vccz .LBB68_148
; %bb.147:
	v_add_co_u32 v45, vcc_lo, v40, v70
	v_min_f32_e32 v47, 0, v44
	v_add_co_ci_u32_e64 v46, null, v41, v71, vcc_lo
	s_mov_b32 s6, 0
	global_store_dword v[45:46], v47, off
.LBB68_148:
	v_mov_b32_e32 v45, 0
	s_andn2_b32 vcc_lo, exec_lo, s6
	s_cbranch_vccnz .LBB68_150
; %bb.149:
	v_add_co_u32 v45, vcc_lo, v42, v70
	v_add_co_ci_u32_e64 v46, null, v43, v71, vcc_lo
	global_load_dword v45, v[45:46], off
	s_waitcnt vmcnt(0)
	v_mul_f32_e32 v47, s3, v45
	v_add_co_u32 v45, vcc_lo, v40, v70
	v_add_co_ci_u32_e64 v46, null, v41, v71, vcc_lo
	v_min_f32_e32 v44, v47, v44
	v_add_co_u32 v47, vcc_lo, v42, v68
	v_add_co_ci_u32_e64 v48, null, v43, v69, vcc_lo
	global_store_dword v[45:46], v44, off
	global_load_dword v44, v[47:48], off
	s_waitcnt vmcnt(0)
	v_mul_f32_e32 v45, s3, v44
.LBB68_150:
	v_add_f32_e32 v44, v21, v37
	v_add_f32_e32 v46, v20, v36
	v_add_f32_e32 v47, v23, v39
	v_add_f32_e32 v48, v22, v38
	v_add_f32_e32 v49, v17, v37
	v_add_f32_e32 v50, v16, v36
	v_min3_f32 v44, v46, v44, v91
	s_mov_b32 s6, -1
	v_min_f32_e32 v46, v48, v47
	v_add_f32_e32 v48, v19, v39
	v_min3_f32 v47, v50, v49, v92
	v_add_f32_e32 v49, v18, v38
	v_min3_f32 v46, v45, v46, v44
	v_add_co_u32 v44, vcc_lo, v40, v68
	v_add_co_ci_u32_e64 v45, null, v41, v69, vcc_lo
	v_min3_f32 v47, v49, v48, v47
	s_mov_b32 vcc_lo, s0
	global_store_dword v[44:45], v46, off
	v_max_f32_e32 v44, v47, v47
	;; [unrolled: 46-line block ×3, first 2 shown]
	s_cbranch_vccz .LBB68_156
; %bb.155:
	v_add_co_u32 v45, vcc_lo, v40, v76
	v_min_f32_e32 v47, 0, v44
	v_add_co_ci_u32_e64 v46, null, v41, v77, vcc_lo
	s_mov_b32 s6, 0
	global_store_dword v[45:46], v47, off
.LBB68_156:
	v_mov_b32_e32 v45, 0
	s_andn2_b32 vcc_lo, exec_lo, s6
	s_cbranch_vccnz .LBB68_158
; %bb.157:
	v_add_co_u32 v45, vcc_lo, v42, v76
	v_add_co_ci_u32_e64 v46, null, v43, v77, vcc_lo
	global_load_dword v45, v[45:46], off
	s_waitcnt vmcnt(0)
	v_mul_f32_e32 v47, s3, v45
	v_add_co_u32 v45, vcc_lo, v40, v76
	v_add_co_ci_u32_e64 v46, null, v41, v77, vcc_lo
	v_add_co_u32 v42, vcc_lo, v42, v78
	v_min_f32_e32 v44, v47, v44
	v_add_co_ci_u32_e64 v43, null, v43, v79, vcc_lo
	global_store_dword v[45:46], v44, off
	global_load_dword v42, v[42:43], off
	s_waitcnt vmcnt(0)
	v_mul_f32_e32 v45, s3, v42
.LBB68_158:
	v_add_f32_e32 v37, v1, v37
	v_add_f32_e32 v36, v0, v36
	;; [unrolled: 1-line block ×4, first 2 shown]
	s_waitcnt lgkmcnt(0)
	v_add_f32_e32 v33, v33, v5
	v_add_f32_e32 v32, v32, v4
	v_min3_f32 v36, v36, v37, v87
	v_add_f32_e32 v42, v35, v7
	v_min_f32_e32 v37, v38, v39
	v_add_nc_u32_e32 v39, 0xe0, v140
	v_min3_f32 v38, v32, v33, v88
	v_add_f32_e32 v43, v34, v6
	v_min3_f32 v44, v45, v37, v36
	v_mad_i64_i32 v[32:33], null, v39, s2, 0
	v_mad_i64_i32 v[34:35], null, v39, s1, 0
	v_add_co_u32 v36, vcc_lo, v40, v78
	v_add_co_ci_u32_e64 v37, null, v41, v79, vcc_lo
	v_lshlrev_b64 v[32:33], 2, v[32:33]
	v_min3_f32 v38, v43, v42, v38
	v_lshlrev_b64 v[34:35], 2, v[34:35]
	global_store_dword v[36:37], v44, off
	s_mov_b32 s1, -1
	v_add_co_u32 v32, vcc_lo, s4, v32
	v_add_co_ci_u32_e64 v33, null, s5, v33, vcc_lo
	v_add_co_u32 v34, vcc_lo, s12, v34
	v_add_co_ci_u32_e64 v35, null, s13, v35, vcc_lo
	v_max_f32_e32 v36, v38, v38
	s_mov_b32 vcc_lo, s0
	s_cbranch_vccz .LBB68_160
; %bb.159:
	v_add_co_u32 v37, vcc_lo, v32, v66
	v_min_f32_e32 v39, 0, v36
	v_add_co_ci_u32_e64 v38, null, v33, v67, vcc_lo
	s_mov_b32 s1, 0
	global_store_dword v[37:38], v39, off
.LBB68_160:
	v_mov_b32_e32 v37, 0
	s_andn2_b32 vcc_lo, exec_lo, s1
	s_cbranch_vccnz .LBB68_162
; %bb.161:
	v_add_co_u32 v37, vcc_lo, v34, v66
	v_add_co_ci_u32_e64 v38, null, v35, v67, vcc_lo
	global_load_dword v37, v[37:38], off
	s_waitcnt vmcnt(0)
	v_mul_f32_e32 v39, s3, v37
	v_add_co_u32 v37, vcc_lo, v32, v66
	v_add_co_ci_u32_e64 v38, null, v33, v67, vcc_lo
	v_min_f32_e32 v36, v39, v36
	v_add_co_u32 v39, vcc_lo, v34, v64
	v_add_co_ci_u32_e64 v40, null, v35, v65, vcc_lo
	global_store_dword v[37:38], v36, off
	global_load_dword v36, v[39:40], off
	s_waitcnt vmcnt(0)
	v_mul_f32_e32 v37, s3, v36
.LBB68_162:
	v_add_f32_e32 v29, v29, v5
	v_add_f32_e32 v28, v28, v4
	v_add_f32_e32 v31, v31, v7
	v_add_f32_e32 v30, v30, v6
	v_add_f32_e32 v25, v25, v5
	v_add_f32_e32 v24, v24, v4
	v_min3_f32 v28, v28, v29, v86
	v_add_f32_e32 v27, v27, v7
	v_min_f32_e32 v29, v30, v31
	v_add_f32_e32 v26, v26, v6
	v_min3_f32 v30, v24, v25, v85
	v_add_co_u32 v24, vcc_lo, v32, v64
	v_min3_f32 v28, v37, v29, v28
	v_add_co_ci_u32_e64 v25, null, v33, v65, vcc_lo
	v_min3_f32 v26, v26, v27, v30
	s_mov_b32 s1, -1
	s_mov_b32 vcc_lo, s0
	global_store_dword v[24:25], v28, off
	v_max_f32_e32 v24, v26, v26
	s_cbranch_vccz .LBB68_164
; %bb.163:
	v_add_co_u32 v25, vcc_lo, v32, v70
	v_min_f32_e32 v27, 0, v24
	v_add_co_ci_u32_e64 v26, null, v33, v71, vcc_lo
	s_mov_b32 s1, 0
	global_store_dword v[25:26], v27, off
.LBB68_164:
	v_mov_b32_e32 v25, 0
	s_andn2_b32 vcc_lo, exec_lo, s1
	s_cbranch_vccnz .LBB68_166
; %bb.165:
	v_add_co_u32 v25, vcc_lo, v34, v70
	v_add_co_ci_u32_e64 v26, null, v35, v71, vcc_lo
	global_load_dword v25, v[25:26], off
	s_waitcnt vmcnt(0)
	v_mul_f32_e32 v27, s3, v25
	v_add_co_u32 v25, vcc_lo, v32, v70
	v_add_co_ci_u32_e64 v26, null, v33, v71, vcc_lo
	v_min_f32_e32 v24, v27, v24
	v_add_co_u32 v27, vcc_lo, v34, v68
	v_add_co_ci_u32_e64 v28, null, v35, v69, vcc_lo
	global_store_dword v[25:26], v24, off
	global_load_dword v24, v[27:28], off
	s_waitcnt vmcnt(0)
	v_mul_f32_e32 v25, s3, v24
.LBB68_166:
	v_add_f32_e32 v21, v21, v5
	v_add_f32_e32 v20, v20, v4
	v_add_f32_e32 v23, v23, v7
	v_add_f32_e32 v22, v22, v6
	v_add_f32_e32 v17, v17, v5
	v_add_f32_e32 v16, v16, v4
	v_min3_f32 v20, v20, v21, v82
	v_add_f32_e32 v19, v19, v7
	v_min_f32_e32 v21, v22, v23
	v_add_f32_e32 v18, v18, v6
	v_min3_f32 v22, v16, v17, v83
	v_add_co_u32 v16, vcc_lo, v32, v68
	v_min3_f32 v20, v25, v21, v20
	v_add_co_ci_u32_e64 v17, null, v33, v69, vcc_lo
	v_min3_f32 v18, v18, v19, v22
	s_mov_b32 s1, -1
	s_mov_b32 vcc_lo, s0
	global_store_dword v[16:17], v20, off
	v_max_f32_e32 v16, v18, v18
	;; [unrolled: 46-line block ×3, first 2 shown]
	s_cbranch_vccz .LBB68_172
; %bb.171:
	v_add_co_u32 v9, vcc_lo, v32, v76
	v_min_f32_e32 v11, 0, v8
	v_add_co_ci_u32_e64 v10, null, v33, v77, vcc_lo
	s_mov_b32 s1, 0
	global_store_dword v[9:10], v11, off
.LBB68_172:
	v_mov_b32_e32 v9, 0
	s_andn2_b32 vcc_lo, exec_lo, s1
	s_cbranch_vccnz .LBB68_174
; %bb.173:
	v_add_co_u32 v9, vcc_lo, v34, v76
	v_add_co_ci_u32_e64 v10, null, v35, v77, vcc_lo
	global_load_dword v9, v[9:10], off
	s_waitcnt vmcnt(0)
	v_mul_f32_e32 v11, s3, v9
	v_add_co_u32 v9, vcc_lo, v32, v76
	v_add_co_ci_u32_e64 v10, null, v33, v77, vcc_lo
	v_min_f32_e32 v8, v11, v8
	v_add_co_u32 v11, vcc_lo, v34, v78
	v_add_co_ci_u32_e64 v12, null, v35, v79, vcc_lo
	global_store_dword v[9:10], v8, off
	global_load_dword v8, v[11:12], off
	s_waitcnt vmcnt(0)
	v_mul_f32_e32 v9, s3, v8
.LBB68_174:
	v_add_f32_e32 v3, v3, v7
	v_add_f32_e32 v2, v2, v6
	;; [unrolled: 1-line block ×4, first 2 shown]
	v_min_f32_e32 v2, v2, v3
	v_min3_f32 v0, v0, v1, v84
	v_min3_f32 v2, v9, v2, v0
	v_add_co_u32 v0, vcc_lo, v32, v78
	v_add_co_ci_u32_e64 v1, null, v33, v79, vcc_lo
	global_store_dword v[0:1], v2, off
	s_endpgm
.LBB68_175:
	s_mov_b64 s[16:17], 0
	s_andn2_b32 vcc_lo, exec_lo, s0
	s_mov_b32 s0, -1
	s_cbranch_vccz .LBB68_2
	s_branch .LBB68_3
	.section	.rodata,"a",@progbits
	.p2align	6, 0x0
	.amdhsa_kernel _ZN12_GLOBAL__N_120geam_min_plus_kernelIf15HIP_vector_typeIfLj2EEfLi8ELi32ELi64ELi256ELi4ELi64ELi4ELi64ELi4ELc78ELc84ELb0ELb0ELb1EfKffEEviiiT16_PT17_ilS6_ilS4_S6_ilPT18_ili26rocblas_geam_ex_operation_
		.amdhsa_group_segment_fixed_size 10240
		.amdhsa_private_segment_fixed_size 0
		.amdhsa_kernarg_size 128
		.amdhsa_user_sgpr_count 6
		.amdhsa_user_sgpr_private_segment_buffer 1
		.amdhsa_user_sgpr_dispatch_ptr 0
		.amdhsa_user_sgpr_queue_ptr 0
		.amdhsa_user_sgpr_kernarg_segment_ptr 1
		.amdhsa_user_sgpr_dispatch_id 0
		.amdhsa_user_sgpr_flat_scratch_init 0
		.amdhsa_user_sgpr_private_segment_size 0
		.amdhsa_wavefront_size32 1
		.amdhsa_uses_dynamic_stack 0
		.amdhsa_system_sgpr_private_segment_wavefront_offset 0
		.amdhsa_system_sgpr_workgroup_id_x 1
		.amdhsa_system_sgpr_workgroup_id_y 0
		.amdhsa_system_sgpr_workgroup_id_z 1
		.amdhsa_system_sgpr_workgroup_info 0
		.amdhsa_system_vgpr_workitem_id 1
		.amdhsa_next_free_vgpr 171
		.amdhsa_next_free_sgpr 26
		.amdhsa_reserve_vcc 1
		.amdhsa_reserve_flat_scratch 0
		.amdhsa_float_round_mode_32 0
		.amdhsa_float_round_mode_16_64 0
		.amdhsa_float_denorm_mode_32 3
		.amdhsa_float_denorm_mode_16_64 3
		.amdhsa_dx10_clamp 1
		.amdhsa_ieee_mode 1
		.amdhsa_fp16_overflow 0
		.amdhsa_workgroup_processor_mode 1
		.amdhsa_memory_ordered 1
		.amdhsa_forward_progress 1
		.amdhsa_shared_vgpr_count 0
		.amdhsa_exception_fp_ieee_invalid_op 0
		.amdhsa_exception_fp_denorm_src 0
		.amdhsa_exception_fp_ieee_div_zero 0
		.amdhsa_exception_fp_ieee_overflow 0
		.amdhsa_exception_fp_ieee_underflow 0
		.amdhsa_exception_fp_ieee_inexact 0
		.amdhsa_exception_int_div_zero 0
	.end_amdhsa_kernel
	.section	.text._ZN12_GLOBAL__N_120geam_min_plus_kernelIf15HIP_vector_typeIfLj2EEfLi8ELi32ELi64ELi256ELi4ELi64ELi4ELi64ELi4ELc78ELc84ELb0ELb0ELb1EfKffEEviiiT16_PT17_ilS6_ilS4_S6_ilPT18_ili26rocblas_geam_ex_operation_,"axG",@progbits,_ZN12_GLOBAL__N_120geam_min_plus_kernelIf15HIP_vector_typeIfLj2EEfLi8ELi32ELi64ELi256ELi4ELi64ELi4ELi64ELi4ELc78ELc84ELb0ELb0ELb1EfKffEEviiiT16_PT17_ilS6_ilS4_S6_ilPT18_ili26rocblas_geam_ex_operation_,comdat
.Lfunc_end68:
	.size	_ZN12_GLOBAL__N_120geam_min_plus_kernelIf15HIP_vector_typeIfLj2EEfLi8ELi32ELi64ELi256ELi4ELi64ELi4ELi64ELi4ELc78ELc84ELb0ELb0ELb1EfKffEEviiiT16_PT17_ilS6_ilS4_S6_ilPT18_ili26rocblas_geam_ex_operation_, .Lfunc_end68-_ZN12_GLOBAL__N_120geam_min_plus_kernelIf15HIP_vector_typeIfLj2EEfLi8ELi32ELi64ELi256ELi4ELi64ELi4ELi64ELi4ELc78ELc84ELb0ELb0ELb1EfKffEEviiiT16_PT17_ilS6_ilS4_S6_ilPT18_ili26rocblas_geam_ex_operation_
                                        ; -- End function
	.set _ZN12_GLOBAL__N_120geam_min_plus_kernelIf15HIP_vector_typeIfLj2EEfLi8ELi32ELi64ELi256ELi4ELi64ELi4ELi64ELi4ELc78ELc84ELb0ELb0ELb1EfKffEEviiiT16_PT17_ilS6_ilS4_S6_ilPT18_ili26rocblas_geam_ex_operation_.num_vgpr, 171
	.set _ZN12_GLOBAL__N_120geam_min_plus_kernelIf15HIP_vector_typeIfLj2EEfLi8ELi32ELi64ELi256ELi4ELi64ELi4ELi64ELi4ELc78ELc84ELb0ELb0ELb1EfKffEEviiiT16_PT17_ilS6_ilS4_S6_ilPT18_ili26rocblas_geam_ex_operation_.num_agpr, 0
	.set _ZN12_GLOBAL__N_120geam_min_plus_kernelIf15HIP_vector_typeIfLj2EEfLi8ELi32ELi64ELi256ELi4ELi64ELi4ELi64ELi4ELc78ELc84ELb0ELb0ELb1EfKffEEviiiT16_PT17_ilS6_ilS4_S6_ilPT18_ili26rocblas_geam_ex_operation_.numbered_sgpr, 26
	.set _ZN12_GLOBAL__N_120geam_min_plus_kernelIf15HIP_vector_typeIfLj2EEfLi8ELi32ELi64ELi256ELi4ELi64ELi4ELi64ELi4ELc78ELc84ELb0ELb0ELb1EfKffEEviiiT16_PT17_ilS6_ilS4_S6_ilPT18_ili26rocblas_geam_ex_operation_.num_named_barrier, 0
	.set _ZN12_GLOBAL__N_120geam_min_plus_kernelIf15HIP_vector_typeIfLj2EEfLi8ELi32ELi64ELi256ELi4ELi64ELi4ELi64ELi4ELc78ELc84ELb0ELb0ELb1EfKffEEviiiT16_PT17_ilS6_ilS4_S6_ilPT18_ili26rocblas_geam_ex_operation_.private_seg_size, 0
	.set _ZN12_GLOBAL__N_120geam_min_plus_kernelIf15HIP_vector_typeIfLj2EEfLi8ELi32ELi64ELi256ELi4ELi64ELi4ELi64ELi4ELc78ELc84ELb0ELb0ELb1EfKffEEviiiT16_PT17_ilS6_ilS4_S6_ilPT18_ili26rocblas_geam_ex_operation_.uses_vcc, 1
	.set _ZN12_GLOBAL__N_120geam_min_plus_kernelIf15HIP_vector_typeIfLj2EEfLi8ELi32ELi64ELi256ELi4ELi64ELi4ELi64ELi4ELc78ELc84ELb0ELb0ELb1EfKffEEviiiT16_PT17_ilS6_ilS4_S6_ilPT18_ili26rocblas_geam_ex_operation_.uses_flat_scratch, 0
	.set _ZN12_GLOBAL__N_120geam_min_plus_kernelIf15HIP_vector_typeIfLj2EEfLi8ELi32ELi64ELi256ELi4ELi64ELi4ELi64ELi4ELc78ELc84ELb0ELb0ELb1EfKffEEviiiT16_PT17_ilS6_ilS4_S6_ilPT18_ili26rocblas_geam_ex_operation_.has_dyn_sized_stack, 0
	.set _ZN12_GLOBAL__N_120geam_min_plus_kernelIf15HIP_vector_typeIfLj2EEfLi8ELi32ELi64ELi256ELi4ELi64ELi4ELi64ELi4ELc78ELc84ELb0ELb0ELb1EfKffEEviiiT16_PT17_ilS6_ilS4_S6_ilPT18_ili26rocblas_geam_ex_operation_.has_recursion, 0
	.set _ZN12_GLOBAL__N_120geam_min_plus_kernelIf15HIP_vector_typeIfLj2EEfLi8ELi32ELi64ELi256ELi4ELi64ELi4ELi64ELi4ELc78ELc84ELb0ELb0ELb1EfKffEEviiiT16_PT17_ilS6_ilS4_S6_ilPT18_ili26rocblas_geam_ex_operation_.has_indirect_call, 0
	.section	.AMDGPU.csdata,"",@progbits
; Kernel info:
; codeLenInByte = 17584
; TotalNumSgprs: 28
; NumVgprs: 171
; ScratchSize: 0
; MemoryBound: 0
; FloatMode: 240
; IeeeMode: 1
; LDSByteSize: 10240 bytes/workgroup (compile time only)
; SGPRBlocks: 0
; VGPRBlocks: 21
; NumSGPRsForWavesPerEU: 28
; NumVGPRsForWavesPerEU: 171
; Occupancy: 5
; WaveLimiterHint : 1
; COMPUTE_PGM_RSRC2:SCRATCH_EN: 0
; COMPUTE_PGM_RSRC2:USER_SGPR: 6
; COMPUTE_PGM_RSRC2:TRAP_HANDLER: 0
; COMPUTE_PGM_RSRC2:TGID_X_EN: 1
; COMPUTE_PGM_RSRC2:TGID_Y_EN: 0
; COMPUTE_PGM_RSRC2:TGID_Z_EN: 1
; COMPUTE_PGM_RSRC2:TIDIG_COMP_CNT: 1
	.section	.text._ZN12_GLOBAL__N_120geam_min_plus_kernelIf15HIP_vector_typeIfLj2EEfLi8ELi32ELi64ELi256ELi4ELi64ELi4ELi64ELi4ELc78ELc84ELb0ELb1ELb1EPKfS3_fEEviiiT16_PT17_ilS7_ilS5_S7_ilPT18_ili26rocblas_geam_ex_operation_,"axG",@progbits,_ZN12_GLOBAL__N_120geam_min_plus_kernelIf15HIP_vector_typeIfLj2EEfLi8ELi32ELi64ELi256ELi4ELi64ELi4ELi64ELi4ELc78ELc84ELb0ELb1ELb1EPKfS3_fEEviiiT16_PT17_ilS7_ilS5_S7_ilPT18_ili26rocblas_geam_ex_operation_,comdat
	.globl	_ZN12_GLOBAL__N_120geam_min_plus_kernelIf15HIP_vector_typeIfLj2EEfLi8ELi32ELi64ELi256ELi4ELi64ELi4ELi64ELi4ELc78ELc84ELb0ELb1ELb1EPKfS3_fEEviiiT16_PT17_ilS7_ilS5_S7_ilPT18_ili26rocblas_geam_ex_operation_ ; -- Begin function _ZN12_GLOBAL__N_120geam_min_plus_kernelIf15HIP_vector_typeIfLj2EEfLi8ELi32ELi64ELi256ELi4ELi64ELi4ELi64ELi4ELc78ELc84ELb0ELb1ELb1EPKfS3_fEEviiiT16_PT17_ilS7_ilS5_S7_ilPT18_ili26rocblas_geam_ex_operation_
	.p2align	8
	.type	_ZN12_GLOBAL__N_120geam_min_plus_kernelIf15HIP_vector_typeIfLj2EEfLi8ELi32ELi64ELi256ELi4ELi64ELi4ELi64ELi4ELc78ELc84ELb0ELb1ELb1EPKfS3_fEEviiiT16_PT17_ilS7_ilS5_S7_ilPT18_ili26rocblas_geam_ex_operation_,@function
_ZN12_GLOBAL__N_120geam_min_plus_kernelIf15HIP_vector_typeIfLj2EEfLi8ELi32ELi64ELi256ELi4ELi64ELi4ELi64ELi4ELc78ELc84ELb0ELb1ELb1EPKfS3_fEEviiiT16_PT17_ilS7_ilS5_S7_ilPT18_ili26rocblas_geam_ex_operation_: ; @_ZN12_GLOBAL__N_120geam_min_plus_kernelIf15HIP_vector_typeIfLj2EEfLi8ELi32ELi64ELi256ELi4ELi64ELi4ELi64ELi4ELc78ELc84ELb0ELb1ELb1EPKfS3_fEEviiiT16_PT17_ilS7_ilS5_S7_ilPT18_ili26rocblas_geam_ex_operation_
; %bb.0:
	s_clause 0x1
	s_load_dwordx4 s[12:15], s[4:5], 0x10
	s_load_dwordx4 s[0:3], s[4:5], 0x28
	s_mov_b32 s18, s7
	s_mov_b32 s19, 0
	s_mov_b64 s[20:21], 0
	s_lshl_b64 s[16:17], s[18:19], 2
	s_mov_b64 s[22:23], 0
	s_waitcnt lgkmcnt(0)
	s_add_u32 s8, s12, s16
	s_addc_u32 s9, s13, s17
	s_load_dword s26, s[8:9], 0x0
	s_clause 0x1
	s_load_dwordx4 s[8:11], s[4:5], 0x40
	s_load_dwordx2 s[12:13], s[4:5], 0x50
	s_waitcnt lgkmcnt(0)
	v_cmp_eq_f32_e64 s19, s26, 0
	v_cmp_neq_f32_e64 s7, s26, 0
	s_add_u32 s10, s10, s16
	s_addc_u32 s11, s11, s17
	s_and_b32 vcc_lo, exec_lo, s19
	s_cbranch_vccnz .LBB69_2
; %bb.1:
	s_mul_i32 s1, s1, s18
	s_mul_hi_u32 s16, s0, s18
	s_mul_i32 s0, s0, s18
	s_add_i32 s1, s16, s1
	s_lshl_b64 s[0:1], s[0:1], 2
	s_add_u32 s22, s14, s0
	s_addc_u32 s23, s15, s1
.LBB69_2:
	s_load_dword s19, s[10:11], 0x0
	s_andn2_b32 vcc_lo, exec_lo, s7
	s_cbranch_vccnz .LBB69_4
; %bb.3:
	s_mul_i32 s0, s9, s18
	s_mul_hi_u32 s1, s8, s18
	s_add_i32 s1, s1, s0
	s_mul_i32 s0, s8, s18
	s_lshl_b64 s[0:1], s[0:1], 2
	s_add_u32 s20, s2, s0
	s_addc_u32 s21, s3, s1
.LBB69_4:
	s_load_dwordx4 s[8:11], s[4:5], 0x60
	s_waitcnt lgkmcnt(0)
	v_cmp_eq_f32_e64 s0, s19, 0
	v_cmp_neq_f32_e64 s24, s19, 0
	s_and_b32 vcc_lo, exec_lo, s0
	s_cbranch_vccnz .LBB69_6
; %bb.5:
	s_mul_i32 s0, s9, s18
	s_mul_hi_u32 s1, s8, s18
	s_add_i32 s1, s1, s0
	s_mul_i32 s0, s8, s18
	s_lshl_b64 s[0:1], s[0:1], 2
	s_add_u32 s16, s12, s0
	s_addc_u32 s17, s13, s1
	s_branch .LBB69_7
.LBB69_6:
	s_mov_b64 s[16:17], 0
.LBB69_7:
	s_clause 0x1
	s_load_dwordx4 s[12:15], s[4:5], 0x0
	s_load_dword s8, s[4:5], 0x20
	v_lshl_add_u32 v3, v1, 3, v0
	v_cmp_eq_f32_e64 s27, s26, 0
	v_lshrrev_b32_e32 v72, 6, v3
	s_waitcnt lgkmcnt(0)
	s_add_i32 s0, s12, -1
	s_ashr_i32 s9, s8, 31
	s_ashr_i32 s1, s0, 31
	s_lshr_b32 s1, s1, 26
	s_add_i32 s0, s0, s1
	s_ashr_i32 s0, s0, 6
	s_add_i32 s2, s0, 1
	s_not_b32 s0, s0
	v_cvt_f32_u32_e32 v2, s2
	v_rcp_iflag_f32_e32 v2, v2
	v_mul_f32_e32 v2, 0x4f7ffffe, v2
	v_cvt_u32_f32_e32 v2, v2
	v_readfirstlane_b32 s1, v2
	v_and_b32_e32 v2, 63, v3
                                        ; implicit-def: $vgpr3
	s_mul_i32 s0, s0, s1
	s_mul_hi_u32 s0, s1, s0
	s_add_i32 s1, s1, s0
	s_mul_hi_u32 s0, s6, s1
	s_mul_i32 s1, s0, s2
	s_add_i32 s3, s0, 1
	s_sub_i32 s1, s6, s1
	s_sub_i32 s7, s1, s2
	s_cmp_ge_u32 s1, s2
	s_cselect_b32 s0, s3, s0
	s_cselect_b32 s1, s7, s1
	s_add_i32 s3, s0, 1
	s_cmp_ge_u32 s1, s2
	s_cselect_b32 s1, s3, s0
                                        ; implicit-def: $sgpr3
	s_mul_i32 s0, s1, s2
	s_sub_i32 s0, s6, s0
	v_cmp_le_i32_e64 s6, s14, v72
	s_lshl_b32 s15, s0, 6
	v_or_b32_e32 v66, s15, v2
	v_cmp_le_i32_e32 vcc_lo, s12, v66
	v_ashrrev_i32_e32 v67, 31, v66
	s_or_b32 s2, vcc_lo, s6
	s_nor_b32 s0, s27, s2
	s_and_saveexec_b32 s7, s0
	s_xor_b32 s7, exec_lo, s7
	s_cbranch_execz .LBB69_9
; %bb.8:
	s_add_i32 s3, s14, -1
	v_lshlrev_b64 v[5:6], 2, v[66:67]
	v_min_u32_e32 v3, s3, v72
	v_mad_i64_i32 v[3:4], null, s8, v3, 0
	v_lshlrev_b64 v[3:4], 2, v[3:4]
	v_add_co_u32 v3, s0, s22, v3
	v_add_co_ci_u32_e64 v4, null, s23, v4, s0
	v_add_co_u32 v3, s0, v3, v5
	v_add_co_ci_u32_e64 v4, null, v4, v6, s0
	global_load_dword v3, v[3:4], off
	s_waitcnt vmcnt(0)
	v_mul_f32_e32 v3, s26, v3
.LBB69_9:
	s_or_saveexec_b32 s0, s7
	v_mov_b32_e32 v4, s3
	s_xor_b32 exec_lo, exec_lo, s0
; %bb.10:
	s_add_i32 s3, s14, -1
	v_cndmask_b32_e64 v3, 0, 0x7f7fffff, s2
	v_mov_b32_e32 v4, s3
; %bb.11:
	s_or_b32 exec_lo, exec_lo, s0
	s_load_dword s28, s[4:5], 0x38
	v_min_i32_e32 v4, v72, v4
	s_lshl_b32 s25, s1, 8
	v_or_b32_e32 v68, s25, v2
	v_cmp_le_i32_e64 s0, s13, v68
	v_ashrrev_i32_e32 v69, 31, v68
	s_or_b32 s2, s0, s6
	s_waitcnt lgkmcnt(0)
	v_mad_i64_i32 v[4:5], null, v4, s28, 0
	v_lshlrev_b64 v[5:6], 2, v[4:5]
	v_cndmask_b32_e64 v4, 0, 0x7f7fffff, s2
	v_add_co_u32 v8, s1, s20, v5
	v_add_co_ci_u32_e64 v9, null, s21, v6, s1
	s_nor_b32 s1, s27, s2
	s_and_saveexec_b32 s2, s1
	s_cbranch_execz .LBB69_13
; %bb.12:
	v_lshlrev_b64 v[4:5], 2, v[68:69]
	v_add_co_u32 v4, s1, v8, v4
	v_add_co_ci_u32_e64 v5, null, v9, v5, s1
	global_load_dword v4, v[4:5], off
	s_waitcnt vmcnt(0)
	v_mul_f32_e32 v4, s26, v4
.LBB69_13:
	s_or_b32 exec_lo, exec_lo, s2
	v_or_b32_e32 v5, 64, v68
	v_cmp_le_i32_e64 s1, s13, v5
	s_or_b32 s2, s1, s6
	v_cndmask_b32_e64 v5, 0, 0x7f7fffff, s2
	s_nor_b32 s2, s27, s2
	s_and_saveexec_b32 s3, s2
	s_cbranch_execz .LBB69_15
; %bb.14:
	v_lshlrev_b64 v[5:6], 2, v[68:69]
	v_add_co_u32 v5, s2, v8, v5
	v_add_co_ci_u32_e64 v6, null, v9, v6, s2
	global_load_dword v5, v[5:6], off offset:256
	s_waitcnt vmcnt(0)
	v_mul_f32_e32 v5, s26, v5
.LBB69_15:
	s_or_b32 exec_lo, exec_lo, s3
	v_or_b32_e32 v6, 0x80, v68
	v_cmp_le_i32_e64 s2, s13, v6
	s_or_b32 s3, s2, s6
	v_cndmask_b32_e64 v6, 0, 0x7f7fffff, s3
	s_nor_b32 s3, s27, s3
	s_and_saveexec_b32 s7, s3
	s_cbranch_execz .LBB69_17
; %bb.16:
	v_lshlrev_b64 v[6:7], 2, v[68:69]
	v_add_co_u32 v6, s3, v8, v6
	v_add_co_ci_u32_e64 v7, null, v9, v7, s3
	global_load_dword v6, v[6:7], off offset:512
	s_waitcnt vmcnt(0)
	v_mul_f32_e32 v6, s26, v6
.LBB69_17:
	;; [unrolled: 16-line block ×3, first 2 shown]
	s_or_b32 exec_lo, exec_lo, s7
	v_add_nc_u32_e32 v8, 4, v72
                                        ; implicit-def: $vgpr70
                                        ; implicit-def: $sgpr30
	v_cmp_le_i32_e64 s6, s14, v8
	s_or_b32 s29, vcc_lo, s6
	s_nor_b32 s7, s27, s29
	s_and_saveexec_b32 s31, s7
	s_xor_b32 s31, exec_lo, s31
	s_cbranch_execz .LBB69_21
; %bb.20:
	s_add_i32 s30, s14, -1
	v_min_u32_e32 v11, s30, v8
	v_mad_u64_u32 v[9:10], null, s8, v11, 0
	v_mad_u64_u32 v[10:11], null, s9, v11, v[10:11]
	v_lshlrev_b64 v[11:12], 2, v[66:67]
	v_lshlrev_b64 v[9:10], 2, v[9:10]
	v_add_co_u32 v9, s7, s22, v9
	v_add_co_ci_u32_e64 v10, null, s23, v10, s7
	v_add_co_u32 v9, s7, v9, v11
	v_add_co_ci_u32_e64 v10, null, v10, v12, s7
	global_load_dword v9, v[9:10], off
	s_waitcnt vmcnt(0)
	v_mul_f32_e32 v70, s26, v9
.LBB69_21:
	s_or_saveexec_b32 s7, s31
	v_mov_b32_e32 v9, s30
	s_xor_b32 exec_lo, exec_lo, s7
; %bb.22:
	s_add_i32 s30, s14, -1
	v_cndmask_b32_e64 v70, 0, 0x7f7fffff, s29
	v_mov_b32_e32 v9, s30
; %bb.23:
	s_or_b32 exec_lo, exec_lo, s7
	v_min_i32_e32 v8, v8, v9
	v_mad_i64_i32 v[8:9], null, v8, s28, 0
	v_lshlrev_b64 v[8:9], 2, v[8:9]
	v_add_co_u32 v8, s7, s20, v8
	v_add_co_ci_u32_e64 v9, null, s21, v9, s7
	s_or_b32 s7, s0, s6
	v_cndmask_b32_e64 v71, 0, 0x7f7fffff, s7
	s_nor_b32 s7, s27, s7
	s_and_saveexec_b32 s29, s7
	s_cbranch_execz .LBB69_25
; %bb.24:
	v_lshlrev_b64 v[10:11], 2, v[68:69]
	v_add_co_u32 v10, s7, v8, v10
	v_add_co_ci_u32_e64 v11, null, v9, v11, s7
	global_load_dword v10, v[10:11], off
	s_waitcnt vmcnt(0)
	v_mul_f32_e32 v71, s26, v10
.LBB69_25:
	s_or_b32 exec_lo, exec_lo, s29
	s_or_b32 s7, s1, s6
	v_cndmask_b32_e64 v124, 0, 0x7f7fffff, s7
	s_nor_b32 s7, s27, s7
	s_and_saveexec_b32 s29, s7
	s_cbranch_execz .LBB69_27
; %bb.26:
	v_lshlrev_b64 v[10:11], 2, v[68:69]
	v_add_co_u32 v10, s7, v8, v10
	v_add_co_ci_u32_e64 v11, null, v9, v11, s7
	global_load_dword v10, v[10:11], off offset:256
	s_waitcnt vmcnt(0)
	v_mul_f32_e32 v124, s26, v10
.LBB69_27:
	s_or_b32 exec_lo, exec_lo, s29
	s_or_b32 s7, s2, s6
	v_cndmask_b32_e64 v134, 0, 0x7f7fffff, s7
	s_nor_b32 s7, s27, s7
	s_and_saveexec_b32 s29, s7
	s_cbranch_execz .LBB69_29
; %bb.28:
	v_lshlrev_b64 v[10:11], 2, v[68:69]
	v_add_co_u32 v10, s7, v8, v10
	v_add_co_ci_u32_e64 v11, null, v9, v11, s7
	global_load_dword v10, v[10:11], off offset:512
	s_waitcnt vmcnt(0)
	v_mul_f32_e32 v134, s26, v10
.LBB69_29:
	;; [unrolled: 14-line block ×3, first 2 shown]
	s_or_b32 exec_lo, exec_lo, s7
	v_lshlrev_b32_e32 v2, 4, v2
	v_lshlrev_b32_e32 v74, 4, v0
	;; [unrolled: 1-line block ×3, first 2 shown]
	s_cmp_lt_i32 s14, 9
	v_lshl_add_u32 v75, v72, 2, v2
	ds_write_b32 v75, v3 offset:8192
	ds_write2st64_b32 v75, v4, v5 offset1:4
	ds_write2st64_b32 v75, v6, v7 offset0:8 offset1:12
	s_waitcnt lgkmcnt(0)
	s_barrier
	buffer_gl0_inv
	ds_read_b128 v[34:37], v74 offset:8192
	ds_read_b128 v[30:33], v74 offset:8320
	;; [unrolled: 1-line block ×8, first 2 shown]
	ds_read_b128 v[62:65], v73
	ds_read_b128 v[58:61], v73 offset:512
	ds_read_b128 v[54:57], v73 offset:1024
	;; [unrolled: 1-line block ×7, first 2 shown]
	ds_write_b32 v75, v70 offset:9216
	ds_write2st64_b32 v75, v71, v124 offset0:16 offset1:20
	ds_write2st64_b32 v75, v134, v142 offset0:24 offset1:28
	s_waitcnt lgkmcnt(0)
	s_barrier
	buffer_gl0_inv
	v_add_f32_e32 v76, v35, v63
	v_add_f32_e32 v77, v34, v62
	;; [unrolled: 1-line block ×6, first 2 shown]
	v_min3_f32 v76, v77, v76, 0x7f7fffff
	v_add_f32_e32 v77, v31, v63
	v_min3_f32 v77, v78, v77, 0x7f7fffff
	v_add_f32_e32 v78, v27, v63
	;; [unrolled: 2-line block ×5, first 2 shown]
	v_add_f32_e32 v81, v10, v62
	v_min3_f32 v118, v81, v79, 0x7f7fffff
	v_add_f32_e32 v79, v7, v63
	v_add_f32_e32 v81, v6, v62
	;; [unrolled: 1-line block ×4, first 2 shown]
	v_min3_f32 v119, v81, v79, 0x7f7fffff
	v_add_f32_e32 v79, v6, v38
	v_min3_f32 v120, v62, v63, 0x7f7fffff
	v_add_f32_e32 v62, v35, v59
	v_add_f32_e32 v63, v34, v58
	v_min3_f32 v116, v63, v62, 0x7f7fffff
	v_add_f32_e32 v62, v31, v59
	;; [unrolled: 3-line block ×7, first 2 shown]
	v_add_f32_e32 v63, v6, v58
	v_add_f32_e32 v59, v3, v59
	v_add_f32_e32 v58, v2, v58
	v_min3_f32 v110, v63, v62, 0x7f7fffff
	v_min3_f32 v109, v58, v59, 0x7f7fffff
	v_add_f32_e32 v58, v35, v55
	v_add_f32_e32 v59, v34, v54
	v_min3_f32 v108, v59, v58, 0x7f7fffff
	v_add_f32_e32 v58, v31, v55
	v_add_f32_e32 v59, v30, v54
	v_min3_f32 v107, v59, v58, 0x7f7fffff
	v_add_f32_e32 v58, v27, v55
	v_add_f32_e32 v59, v26, v54
	v_min3_f32 v106, v59, v58, 0x7f7fffff
	v_add_f32_e32 v58, v19, v55
	v_add_f32_e32 v59, v18, v54
	v_min3_f32 v105, v59, v58, 0x7f7fffff
	v_add_f32_e32 v58, v15, v55
	v_add_f32_e32 v59, v14, v54
	v_min3_f32 v104, v59, v58, 0x7f7fffff
	v_add_f32_e32 v58, v11, v55
	v_add_f32_e32 v59, v10, v54
	v_min3_f32 v103, v59, v58, 0x7f7fffff
	v_add_f32_e32 v58, v7, v55
	v_add_f32_e32 v59, v6, v54
	v_add_f32_e32 v55, v3, v55
	v_add_f32_e32 v54, v2, v54
	v_min3_f32 v102, v59, v58, 0x7f7fffff
	v_min3_f32 v101, v54, v55, 0x7f7fffff
	v_add_f32_e32 v54, v35, v51
	v_add_f32_e32 v55, v34, v50
	v_min3_f32 v100, v55, v54, 0x7f7fffff
	v_add_f32_e32 v54, v31, v51
	v_add_f32_e32 v55, v30, v50
	v_min3_f32 v99, v55, v54, 0x7f7fffff
	v_add_f32_e32 v54, v27, v51
	v_add_f32_e32 v55, v26, v50
	v_min3_f32 v98, v55, v54, 0x7f7fffff
	v_add_f32_e32 v54, v19, v51
	v_add_f32_e32 v55, v18, v50
	v_min3_f32 v97, v55, v54, 0x7f7fffff
	v_add_f32_e32 v54, v15, v51
	v_add_f32_e32 v55, v14, v50
	v_min3_f32 v96, v55, v54, 0x7f7fffff
	v_add_f32_e32 v54, v11, v51
	v_add_f32_e32 v55, v10, v50
	v_min3_f32 v95, v55, v54, 0x7f7fffff
	v_add_f32_e32 v54, v7, v51
	;; [unrolled: 24-line block ×4, first 2 shown]
	v_add_f32_e32 v47, v6, v42
	v_add_f32_e32 v43, v3, v43
	;; [unrolled: 1-line block ×4, first 2 shown]
	v_min3_f32 v58, v47, v46, 0x7f7fffff
	v_min3_f32 v55, v42, v43, 0x7f7fffff
	v_add_f32_e32 v42, v35, v39
	v_add_f32_e32 v43, v34, v38
	;; [unrolled: 1-line block ×4, first 2 shown]
	v_min3_f32 v54, v43, v42, 0x7f7fffff
	v_add_f32_e32 v42, v31, v39
	v_add_f32_e32 v43, v30, v38
	v_min3_f32 v34, v34, v35, 0x7f7fffff
	v_add_f32_e32 v31, v31, v23
	v_add_f32_e32 v30, v30, v22
	;; [unrolled: 3-line block ×9, first 2 shown]
	v_add_f32_e32 v38, v2, v38
	v_add_f32_e32 v2, v2, v22
	v_min3_f32 v14, v14, v15, 0x7f7fffff
	v_add_f32_e32 v11, v11, v23
	v_min3_f32 v43, v43, v42, 0x7f7fffff
	v_add_f32_e32 v42, v7, v39
	v_add_f32_e32 v39, v3, v39
	;; [unrolled: 1-line block ×5, first 2 shown]
	v_min3_f32 v42, v79, v42, 0x7f7fffff
	v_min3_f32 v38, v38, v39, 0x7f7fffff
	;; [unrolled: 1-line block ×4, first 2 shown]
	v_add_f32_e32 v3, v37, v65
	v_add_f32_e32 v7, v36, v64
	v_min3_f32 v10, v10, v11, 0x7f7fffff
	v_min3_f32 v141, v7, v3, v76
	v_add_f32_e32 v3, v33, v65
	v_add_f32_e32 v7, v32, v64
	v_min3_f32 v81, v7, v3, v77
	v_add_f32_e32 v3, v29, v65
	v_add_f32_e32 v7, v28, v64
	v_min3_f32 v79, v7, v3, v78
	v_add_f32_e32 v3, v21, v65
	v_add_f32_e32 v7, v20, v64
	v_min3_f32 v77, v7, v3, v80
	v_add_f32_e32 v3, v17, v65
	v_add_f32_e32 v7, v16, v64
	v_min3_f32 v76, v7, v3, v117
	v_add_f32_e32 v3, v13, v65
	v_add_f32_e32 v7, v12, v64
	v_min3_f32 v78, v7, v3, v118
	v_add_f32_e32 v3, v9, v65
	v_add_f32_e32 v7, v8, v64
	v_min3_f32 v80, v7, v3, v119
	v_add_f32_e32 v3, v5, v65
	v_add_f32_e32 v7, v4, v64
	v_min3_f32 v140, v7, v3, v120
	v_add_f32_e32 v3, v37, v61
	v_add_f32_e32 v7, v36, v60
	v_min3_f32 v139, v7, v3, v116
	v_add_f32_e32 v3, v33, v61
	v_add_f32_e32 v7, v32, v60
	v_min3_f32 v138, v7, v3, v115
	v_add_f32_e32 v3, v29, v61
	v_add_f32_e32 v7, v28, v60
	v_min3_f32 v137, v7, v3, v114
	v_add_f32_e32 v3, v21, v61
	v_add_f32_e32 v7, v20, v60
	v_min3_f32 v136, v7, v3, v113
	v_add_f32_e32 v3, v17, v61
	v_add_f32_e32 v7, v16, v60
	v_min3_f32 v135, v7, v3, v112
	v_add_f32_e32 v3, v13, v61
	v_add_f32_e32 v7, v12, v60
	v_min3_f32 v133, v7, v3, v111
	v_add_f32_e32 v3, v9, v61
	v_add_f32_e32 v7, v8, v60
	v_min3_f32 v132, v7, v3, v110
	v_add_f32_e32 v3, v5, v61
	v_add_f32_e32 v7, v4, v60
	v_min3_f32 v131, v7, v3, v109
	v_add_f32_e32 v3, v37, v57
	v_add_f32_e32 v7, v36, v56
	v_min3_f32 v130, v7, v3, v108
	v_add_f32_e32 v3, v33, v57
	v_add_f32_e32 v7, v32, v56
	v_min3_f32 v129, v7, v3, v107
	v_add_f32_e32 v3, v29, v57
	v_add_f32_e32 v7, v28, v56
	v_min3_f32 v128, v7, v3, v106
	v_add_f32_e32 v3, v21, v57
	v_add_f32_e32 v7, v20, v56
	v_min3_f32 v127, v7, v3, v105
	v_add_f32_e32 v3, v17, v57
	v_add_f32_e32 v7, v16, v56
	v_min3_f32 v126, v7, v3, v104
	v_add_f32_e32 v3, v13, v57
	v_add_f32_e32 v7, v12, v56
	v_min3_f32 v125, v7, v3, v103
	v_add_f32_e32 v3, v9, v57
	v_add_f32_e32 v7, v8, v56
	v_min3_f32 v123, v7, v3, v102
	v_add_f32_e32 v3, v5, v57
	v_add_f32_e32 v7, v4, v56
	v_min3_f32 v122, v7, v3, v101
	v_add_f32_e32 v3, v37, v53
	v_add_f32_e32 v7, v36, v52
	v_min3_f32 v121, v7, v3, v100
	v_add_f32_e32 v3, v33, v53
	v_add_f32_e32 v7, v32, v52
	v_min3_f32 v120, v7, v3, v99
	v_add_f32_e32 v3, v29, v53
	v_add_f32_e32 v7, v28, v52
	v_min3_f32 v119, v7, v3, v98
	v_add_f32_e32 v3, v21, v53
	v_add_f32_e32 v7, v20, v52
	v_min3_f32 v118, v7, v3, v97
	v_add_f32_e32 v3, v17, v53
	v_add_f32_e32 v7, v16, v52
	v_min3_f32 v117, v7, v3, v96
	v_add_f32_e32 v3, v13, v53
	v_add_f32_e32 v7, v12, v52
	v_min3_f32 v116, v7, v3, v95
	v_add_f32_e32 v3, v9, v53
	v_add_f32_e32 v7, v8, v52
	v_min3_f32 v115, v7, v3, v94
	v_add_f32_e32 v3, v5, v53
	v_add_f32_e32 v7, v4, v52
	v_min3_f32 v114, v7, v3, v93
	v_add_f32_e32 v3, v37, v49
	v_add_f32_e32 v7, v36, v48
	v_min3_f32 v113, v7, v3, v92
	v_add_f32_e32 v3, v33, v49
	v_add_f32_e32 v7, v32, v48
	v_min3_f32 v112, v7, v3, v91
	v_add_f32_e32 v3, v29, v49
	v_add_f32_e32 v7, v28, v48
	v_min3_f32 v111, v7, v3, v90
	v_add_f32_e32 v3, v21, v49
	v_add_f32_e32 v7, v20, v48
	v_min3_f32 v110, v7, v3, v89
	v_add_f32_e32 v3, v17, v49
	v_add_f32_e32 v7, v16, v48
	v_min3_f32 v109, v7, v3, v88
	v_add_f32_e32 v3, v13, v49
	v_add_f32_e32 v7, v12, v48
	v_min3_f32 v108, v7, v3, v87
	v_add_f32_e32 v3, v9, v49
	v_add_f32_e32 v7, v8, v48
	v_min3_f32 v107, v7, v3, v86
	v_add_f32_e32 v3, v5, v49
	v_add_f32_e32 v7, v4, v48
	v_min3_f32 v106, v7, v3, v85
	v_add_f32_e32 v3, v37, v45
	v_add_f32_e32 v7, v36, v44
	v_min3_f32 v105, v7, v3, v84
	v_add_f32_e32 v3, v33, v45
	v_add_f32_e32 v7, v32, v44
	v_min3_f32 v104, v7, v3, v83
	v_add_f32_e32 v3, v29, v45
	v_add_f32_e32 v7, v28, v44
	v_min3_f32 v103, v7, v3, v82
	v_add_f32_e32 v3, v21, v45
	v_add_f32_e32 v7, v20, v44
	v_min3_f32 v102, v7, v3, v63
	v_add_f32_e32 v3, v17, v45
	v_add_f32_e32 v7, v16, v44
	v_min3_f32 v101, v7, v3, v62
	v_add_f32_e32 v3, v13, v45
	v_add_f32_e32 v7, v12, v44
	v_min3_f32 v100, v7, v3, v59
	v_add_f32_e32 v3, v9, v45
	v_add_f32_e32 v7, v8, v44
	v_min3_f32 v99, v7, v3, v58
	v_add_f32_e32 v3, v5, v45
	v_add_f32_e32 v7, v4, v44
	v_min3_f32 v98, v7, v3, v55
	v_add_f32_e32 v3, v37, v41
	v_add_f32_e32 v7, v36, v40
	v_min3_f32 v97, v7, v3, v54
	v_add_f32_e32 v3, v33, v41
	v_add_f32_e32 v7, v32, v40
	v_min3_f32 v96, v7, v3, v51
	v_add_f32_e32 v3, v29, v41
	v_add_f32_e32 v7, v28, v40
	v_min3_f32 v95, v7, v3, v50
	v_add_f32_e32 v3, v21, v41
	v_add_f32_e32 v7, v20, v40
	v_min3_f32 v94, v7, v3, v47
	v_add_f32_e32 v3, v17, v41
	v_add_f32_e32 v7, v16, v40
	v_min3_f32 v93, v7, v3, v46
	v_add_f32_e32 v3, v13, v41
	v_add_f32_e32 v7, v12, v40
	v_min3_f32 v91, v7, v3, v43
	v_add_f32_e32 v3, v9, v41
	v_add_f32_e32 v7, v8, v40
	v_min3_f32 v90, v7, v3, v42
	v_add_f32_e32 v3, v5, v41
	v_add_f32_e32 v7, v4, v40
	v_add_f32_e32 v4, v4, v24
	v_min3_f32 v89, v7, v3, v38
	v_add_f32_e32 v3, v37, v25
	v_add_f32_e32 v7, v36, v24
	v_min3_f32 v88, v7, v3, v34
	v_add_f32_e32 v3, v33, v25
	;; [unrolled: 3-line block ×8, first 2 shown]
	v_min3_f32 v92, v4, v3, v2
	s_cbranch_scc1 .LBB69_58
; %bb.32:
	v_add_nc_u32_e32 v4, 12, v72
	v_add_nc_u32_e32 v6, 8, v72
	v_lshlrev_b64 v[2:3], 2, v[66:67]
	v_lshlrev_b64 v[68:69], 2, v[68:69]
	v_or_b32_e32 v124, 0x2000, v75
	v_mad_i64_i32 v[4:5], null, v4, s8, 0
	v_mad_i64_i32 v[6:7], null, v6, s8, 0
	v_add_co_u32 v144, s6, s22, v2
	v_or_b32_e32 v134, 0x2000, v74
	v_add_nc_u32_e32 v142, 0x2400, v75
	v_lshlrev_b64 v[66:67], 2, v[4:5]
	v_or_b32_e32 v143, 0x1000, v75
	v_lshlrev_b64 v[70:71], 2, v[6:7]
	v_add_co_ci_u32_e64 v145, null, s23, v3, s6
	v_lshl_add_u32 v146, v0, 4, 0x2400
	v_lshl_or_b32 v147, v1, 4, 0x1000
	s_add_i32 s29, s14, -8
	s_add_i32 s22, s14, -1
	s_lshl_b64 s[8:9], s[8:9], 5
	s_mov_b32 s23, 0
	s_branch .LBB69_34
.LBB69_33:                              ;   in Loop: Header=BB69_34 Depth=1
	s_or_b32 exec_lo, exec_lo, s7
	v_add_f32_e32 v153, v35, v63
	v_add_f32_e32 v154, v34, v62
	v_add_co_u32 v144, s6, v144, s8
	v_add_co_ci_u32_e64 v145, null, s9, v145, s6
	v_min3_f32 v141, v154, v153, v141
	v_add_f32_e32 v153, v31, v63
	v_add_f32_e32 v154, v30, v62
	s_add_i32 s23, s23, 8
	s_cmp_ge_i32 s23, s29
	v_min3_f32 v81, v154, v153, v81
	v_add_f32_e32 v153, v27, v63
	v_add_f32_e32 v154, v26, v62
	v_min3_f32 v79, v154, v153, v79
	v_add_f32_e32 v153, v23, v63
	v_add_f32_e32 v154, v22, v62
	v_min3_f32 v77, v154, v153, v77
	v_add_f32_e32 v153, v15, v63
	v_add_f32_e32 v154, v14, v62
	v_min3_f32 v76, v154, v153, v76
	v_add_f32_e32 v153, v11, v63
	v_add_f32_e32 v154, v10, v62
	v_min3_f32 v78, v154, v153, v78
	v_add_f32_e32 v153, v7, v63
	v_add_f32_e32 v154, v6, v62
	v_add_f32_e32 v63, v3, v63
	v_add_f32_e32 v62, v2, v62
	v_min3_f32 v80, v154, v153, v80
	v_min3_f32 v62, v62, v63, v140
	v_add_f32_e32 v63, v35, v59
	v_add_f32_e32 v140, v34, v58
	v_min3_f32 v63, v140, v63, v139
	v_add_f32_e32 v139, v31, v59
	v_add_f32_e32 v140, v30, v58
	v_min3_f32 v138, v140, v139, v138
	v_add_f32_e32 v139, v27, v59
	v_add_f32_e32 v140, v26, v58
	v_min3_f32 v137, v140, v139, v137
	v_add_f32_e32 v139, v23, v59
	v_add_f32_e32 v140, v22, v58
	v_min3_f32 v136, v140, v139, v136
	v_add_f32_e32 v139, v15, v59
	v_add_f32_e32 v140, v14, v58
	v_min3_f32 v135, v140, v139, v135
	v_add_f32_e32 v139, v11, v59
	v_add_f32_e32 v140, v10, v58
	v_min3_f32 v133, v140, v139, v133
	v_add_f32_e32 v139, v7, v59
	v_add_f32_e32 v140, v6, v58
	v_add_f32_e32 v59, v3, v59
	v_add_f32_e32 v58, v2, v58
	v_min3_f32 v132, v140, v139, v132
	v_min3_f32 v58, v58, v59, v131
	v_add_f32_e32 v59, v35, v55
	v_add_f32_e32 v131, v34, v54
	v_min3_f32 v59, v131, v59, v130
	v_add_f32_e32 v130, v31, v55
	v_add_f32_e32 v131, v30, v54
	;; [unrolled: 24-line block ×5, first 2 shown]
	v_min3_f32 v104, v106, v105, v104
	v_add_f32_e32 v105, v27, v43
	v_add_f32_e32 v106, v26, v42
	v_min3_f32 v103, v106, v105, v103
	v_add_f32_e32 v105, v23, v43
	v_add_f32_e32 v106, v22, v42
	;; [unrolled: 3-line block ×5, first 2 shown]
	v_add_f32_e32 v43, v3, v43
	v_add_f32_e32 v42, v2, v42
	v_min3_f32 v99, v106, v105, v99
	v_min3_f32 v42, v42, v43, v98
	v_add_f32_e32 v43, v35, v39
	v_add_f32_e32 v98, v34, v38
	;; [unrolled: 1-line block ×4, first 2 shown]
	v_min3_f32 v43, v98, v43, v97
	v_add_f32_e32 v97, v31, v39
	v_add_f32_e32 v98, v30, v38
	v_add_f32_e32 v31, v31, v19
	v_add_f32_e32 v30, v30, v18
	v_min3_f32 v34, v34, v35, v88
	v_min3_f32 v96, v98, v97, v96
	v_add_f32_e32 v97, v27, v39
	v_add_f32_e32 v98, v26, v38
	v_add_f32_e32 v27, v27, v19
	v_add_f32_e32 v26, v26, v18
	v_min3_f32 v30, v30, v31, v87
	;; [unrolled: 6-line block ×5, first 2 shown]
	v_min3_f32 v91, v98, v97, v91
	v_add_f32_e32 v97, v7, v39
	v_add_f32_e32 v98, v6, v38
	;; [unrolled: 1-line block ×8, first 2 shown]
	v_min3_f32 v10, v10, v11, v83
	v_min3_f32 v38, v38, v39, v89
	;; [unrolled: 1-line block ×3, first 2 shown]
	v_add_f32_e32 v7, v36, v64
	v_min3_f32 v2, v2, v3, v92
	v_add_f32_e32 v3, v37, v65
	v_min3_f32 v90, v98, v97, v90
	v_min3_f32 v82, v7, v3, v141
	v_add_f32_e32 v3, v33, v65
	v_add_f32_e32 v7, v32, v64
	v_min3_f32 v81, v7, v3, v81
	v_add_f32_e32 v3, v29, v65
	v_add_f32_e32 v7, v28, v64
	;; [unrolled: 3-line block ×55, first 2 shown]
	v_add_f32_e32 v4, v4, v20
	v_min3_f32 v132, v7, v3, v38
	v_add_f32_e32 v3, v37, v21
	v_add_f32_e32 v7, v36, v20
	v_min3_f32 v133, v7, v3, v34
	v_add_f32_e32 v3, v33, v21
	;; [unrolled: 3-line block ×8, first 2 shown]
	v_min3_f32 v141, v4, v3, v2
	ds_read_b128 v[30:33], v134
	ds_read_b128 v[26:29], v134 offset:128
	ds_read_b128 v[22:25], v134 offset:256
	;; [unrolled: 1-line block ×7, first 2 shown]
	ds_read_b128 v[46:49], v73
	ds_read_b128 v[50:53], v73 offset:512
	ds_read_b128 v[54:57], v73 offset:1024
	;; [unrolled: 1-line block ×7, first 2 shown]
	ds_write_b32 v142, v148
	ds_write2st64_b32 v143, v149, v150 offset1:4
	ds_write2st64_b32 v143, v151, v152 offset0:8 offset1:12
	s_waitcnt lgkmcnt(0)
	s_barrier
	buffer_gl0_inv
	v_add_f32_e32 v153, v31, v47
	v_add_f32_e32 v154, v30, v46
	v_min3_f32 v82, v154, v153, v82
	v_add_f32_e32 v153, v27, v47
	v_add_f32_e32 v154, v26, v46
	v_min3_f32 v81, v154, v153, v81
	;; [unrolled: 3-line block ×6, first 2 shown]
	v_add_f32_e32 v153, v7, v47
	v_add_f32_e32 v154, v6, v46
	;; [unrolled: 1-line block ×4, first 2 shown]
	v_min3_f32 v80, v154, v153, v80
	v_min3_f32 v46, v46, v47, v83
	v_add_f32_e32 v47, v31, v51
	v_add_f32_e32 v83, v30, v50
	v_min3_f32 v47, v83, v47, v84
	v_add_f32_e32 v83, v27, v51
	v_add_f32_e32 v84, v26, v50
	;; [unrolled: 3-line block ×7, first 2 shown]
	v_add_f32_e32 v51, v3, v51
	v_add_f32_e32 v50, v2, v50
	v_min3_f32 v88, v89, v88, v92
	v_add_f32_e32 v89, v30, v54
	v_min3_f32 v50, v50, v51, v97
	v_add_f32_e32 v51, v31, v55
	v_add_f32_e32 v92, v26, v54
	;; [unrolled: 1-line block ×3, first 2 shown]
	v_min3_f32 v51, v89, v51, v98
	v_add_f32_e32 v89, v27, v55
	v_add_f32_e32 v98, v18, v54
	v_min3_f32 v89, v92, v89, v105
	v_add_f32_e32 v92, v23, v55
	v_add_f32_e32 v105, v14, v54
	;; [unrolled: 3-line block ×4, first 2 shown]
	v_add_f32_e32 v54, v2, v54
	v_min3_f32 v98, v105, v98, v114
	v_add_f32_e32 v105, v11, v55
	v_add_f32_e32 v114, v26, v58
	v_min3_f32 v105, v106, v105, v121
	v_add_f32_e32 v106, v7, v55
	v_add_f32_e32 v55, v3, v55
	v_min3_f32 v106, v113, v106, v122
	v_min3_f32 v54, v54, v55, v123
	v_add_f32_e32 v55, v31, v59
	v_add_f32_e32 v113, v30, v58
	v_min3_f32 v55, v113, v55, v125
	v_add_f32_e32 v113, v27, v59
	v_min3_f32 v113, v114, v113, v120
	v_add_f32_e32 v114, v23, v59
	v_add_f32_e32 v120, v22, v58
	v_min3_f32 v114, v120, v114, v119
	v_add_f32_e32 v119, v19, v59
	v_add_f32_e32 v120, v18, v58
	v_min3_f32 v118, v120, v119, v118
	v_add_f32_e32 v119, v15, v59
	v_add_f32_e32 v120, v14, v58
	v_min3_f32 v117, v120, v119, v117
	v_add_f32_e32 v119, v11, v59
	v_add_f32_e32 v120, v10, v58
	v_min3_f32 v116, v120, v119, v116
	v_add_f32_e32 v119, v7, v59
	v_add_f32_e32 v120, v6, v58
	v_add_f32_e32 v59, v3, v59
	v_add_f32_e32 v58, v2, v58
	v_min3_f32 v115, v120, v119, v115
	v_add_f32_e32 v119, v30, v62
	v_min3_f32 v58, v58, v59, v126
	v_add_f32_e32 v59, v31, v63
	v_add_f32_e32 v120, v26, v62
	v_min3_f32 v59, v119, v59, v127
	v_add_f32_e32 v119, v27, v63
	v_min3_f32 v112, v120, v119, v112
	v_add_f32_e32 v119, v23, v63
	v_add_f32_e32 v120, v22, v62
	v_min3_f32 v111, v120, v119, v111
	v_add_f32_e32 v119, v19, v63
	v_add_f32_e32 v120, v18, v62
	v_min3_f32 v110, v120, v119, v110
	v_add_f32_e32 v119, v15, v63
	v_add_f32_e32 v120, v14, v62
	v_min3_f32 v109, v120, v119, v109
	v_add_f32_e32 v119, v11, v63
	v_add_f32_e32 v120, v10, v62
	v_min3_f32 v108, v120, v119, v108
	v_add_f32_e32 v119, v7, v63
	v_add_f32_e32 v120, v6, v62
	v_add_f32_e32 v63, v3, v63
	v_add_f32_e32 v62, v2, v62
	v_min3_f32 v107, v120, v119, v107
	v_add_f32_e32 v119, v30, v42
	v_min3_f32 v62, v62, v63, v128
	v_add_f32_e32 v63, v31, v43
	v_add_f32_e32 v120, v26, v42
	v_min3_f32 v63, v119, v63, v129
	v_add_f32_e32 v119, v27, v43
	v_min3_f32 v104, v120, v119, v104
	v_add_f32_e32 v119, v23, v43
	v_add_f32_e32 v120, v22, v42
	v_min3_f32 v103, v120, v119, v103
	v_add_f32_e32 v119, v19, v43
	v_add_f32_e32 v120, v18, v42
	v_min3_f32 v102, v120, v119, v102
	v_add_f32_e32 v119, v15, v43
	v_add_f32_e32 v120, v14, v42
	v_min3_f32 v101, v120, v119, v101
	v_add_f32_e32 v119, v11, v43
	v_add_f32_e32 v120, v10, v42
	v_min3_f32 v100, v120, v119, v100
	v_add_f32_e32 v119, v7, v43
	v_add_f32_e32 v120, v6, v42
	v_add_f32_e32 v43, v3, v43
	v_add_f32_e32 v42, v2, v42
	v_min3_f32 v99, v120, v119, v99
	v_add_f32_e32 v119, v30, v38
	v_min3_f32 v42, v42, v43, v130
	v_add_f32_e32 v43, v31, v39
	v_add_f32_e32 v120, v26, v38
	;; [unrolled: 1-line block ×5, first 2 shown]
	v_min3_f32 v43, v119, v43, v131
	v_add_f32_e32 v119, v27, v39
	v_add_f32_e32 v27, v27, v35
	v_min3_f32 v30, v30, v31, v133
	v_min3_f32 v96, v120, v119, v96
	v_add_f32_e32 v119, v23, v39
	v_add_f32_e32 v120, v22, v38
	v_add_f32_e32 v23, v23, v35
	v_add_f32_e32 v22, v22, v34
	v_min3_f32 v26, v26, v27, v135
	v_min3_f32 v95, v120, v119, v95
	v_add_f32_e32 v119, v19, v39
	v_add_f32_e32 v120, v18, v38
	;; [unrolled: 6-line block ×5, first 2 shown]
	v_add_f32_e32 v39, v3, v39
	v_add_f32_e32 v38, v2, v38
	;; [unrolled: 1-line block ×6, first 2 shown]
	v_min3_f32 v10, v10, v11, v139
	v_min3_f32 v38, v38, v39, v132
	;; [unrolled: 1-line block ×3, first 2 shown]
	v_add_f32_e32 v7, v32, v48
	v_min3_f32 v2, v2, v3, v141
	v_add_f32_e32 v3, v33, v49
	v_min3_f32 v90, v120, v119, v90
	v_min3_f32 v141, v7, v3, v82
	v_add_f32_e32 v3, v29, v49
	v_add_f32_e32 v7, v28, v48
	v_min3_f32 v81, v7, v3, v81
	v_add_f32_e32 v3, v25, v49
	v_add_f32_e32 v7, v24, v48
	;; [unrolled: 3-line block ×55, first 2 shown]
	v_add_f32_e32 v4, v4, v36
	v_min3_f32 v89, v7, v3, v38
	v_add_f32_e32 v3, v33, v37
	v_add_f32_e32 v7, v32, v36
	v_min3_f32 v88, v7, v3, v30
	v_add_f32_e32 v3, v29, v37
	;; [unrolled: 3-line block ×8, first 2 shown]
	v_min3_f32 v92, v4, v3, v2
	s_cbranch_scc1 .LBB69_58
.LBB69_34:                              ; =>This Inner Loop Header: Depth=1
	v_add_nc_u32_e32 v148, s23, v72
                                        ; implicit-def: $vgpr149
	v_add_nc_u32_e32 v2, 8, v148
	v_cmp_le_i32_e64 s6, s14, v2
	s_or_b32 s30, vcc_lo, s6
	s_nor_b32 s7, s27, s30
	s_and_saveexec_b32 s31, s7
	s_xor_b32 s31, exec_lo, s31
	s_cbranch_execz .LBB69_36
; %bb.35:                               ;   in Loop: Header=BB69_34 Depth=1
	v_add_co_u32 v3, s7, v144, v70
	v_add_co_ci_u32_e64 v4, null, v145, v71, s7
	global_load_dword v3, v[3:4], off
	s_waitcnt vmcnt(0)
	v_mul_f32_e32 v149, s26, v3
.LBB69_36:                              ;   in Loop: Header=BB69_34 Depth=1
	s_andn2_saveexec_b32 s7, s31
; %bb.37:                               ;   in Loop: Header=BB69_34 Depth=1
	v_cndmask_b32_e64 v149, 0, 0x7f7fffff, s30
; %bb.38:                               ;   in Loop: Header=BB69_34 Depth=1
	s_or_b32 exec_lo, exec_lo, s7
	v_min_i32_e32 v2, s22, v2
	v_mad_i64_i32 v[2:3], null, v2, s28, 0
	v_lshlrev_b64 v[2:3], 2, v[2:3]
	v_add_co_u32 v2, s7, s20, v2
	v_add_co_ci_u32_e64 v3, null, s21, v3, s7
	s_or_b32 s7, s0, s6
	v_cndmask_b32_e64 v150, 0, 0x7f7fffff, s7
	s_nor_b32 s7, s27, s7
	s_and_saveexec_b32 s30, s7
	s_cbranch_execz .LBB69_40
; %bb.39:                               ;   in Loop: Header=BB69_34 Depth=1
	v_add_co_u32 v4, s7, v2, v68
	v_add_co_ci_u32_e64 v5, null, v3, v69, s7
	global_load_dword v4, v[4:5], off
	s_waitcnt vmcnt(0)
	v_mul_f32_e32 v150, s26, v4
.LBB69_40:                              ;   in Loop: Header=BB69_34 Depth=1
	s_or_b32 exec_lo, exec_lo, s30
	s_or_b32 s7, s1, s6
	v_cndmask_b32_e64 v151, 0, 0x7f7fffff, s7
	s_nor_b32 s7, s27, s7
	s_and_saveexec_b32 s30, s7
	s_cbranch_execz .LBB69_42
; %bb.41:                               ;   in Loop: Header=BB69_34 Depth=1
	v_add_co_u32 v4, s7, v2, v68
	v_add_co_ci_u32_e64 v5, null, v3, v69, s7
	global_load_dword v4, v[4:5], off offset:256
	s_waitcnt vmcnt(0)
	v_mul_f32_e32 v151, s26, v4
.LBB69_42:                              ;   in Loop: Header=BB69_34 Depth=1
	s_or_b32 exec_lo, exec_lo, s30
	s_or_b32 s7, s2, s6
	v_cndmask_b32_e64 v152, 0, 0x7f7fffff, s7
	s_nor_b32 s7, s27, s7
	s_and_saveexec_b32 s30, s7
	s_cbranch_execz .LBB69_44
; %bb.43:                               ;   in Loop: Header=BB69_34 Depth=1
	v_add_co_u32 v4, s7, v2, v68
	v_add_co_ci_u32_e64 v5, null, v3, v69, s7
	global_load_dword v4, v[4:5], off offset:512
	s_waitcnt vmcnt(0)
	v_mul_f32_e32 v152, s26, v4
.LBB69_44:                              ;   in Loop: Header=BB69_34 Depth=1
	;; [unrolled: 13-line block ×3, first 2 shown]
	s_or_b32 exec_lo, exec_lo, s7
	ds_read_b128 v[34:37], v146
	ds_read_b128 v[30:33], v146 offset:128
	ds_read_b128 v[26:29], v146 offset:256
	;; [unrolled: 1-line block ×7, first 2 shown]
	ds_read_b128 v[62:65], v147
	ds_read_b128 v[58:61], v147 offset:512
	ds_read_b128 v[54:57], v147 offset:1024
	;; [unrolled: 1-line block ×7, first 2 shown]
	v_add_nc_u32_e32 v153, 12, v148
	ds_write_b32 v124, v149
	ds_write2st64_b32 v75, v150, v151 offset1:4
	ds_write2st64_b32 v75, v152, v154 offset0:8 offset1:12
	s_waitcnt lgkmcnt(0)
	s_barrier
	buffer_gl0_inv
	v_cmp_le_i32_e64 s6, s14, v153
                                        ; implicit-def: $vgpr148
	s_or_b32 s30, vcc_lo, s6
	s_nor_b32 s7, s27, s30
	s_and_saveexec_b32 s31, s7
	s_xor_b32 s31, exec_lo, s31
	s_cbranch_execz .LBB69_48
; %bb.47:                               ;   in Loop: Header=BB69_34 Depth=1
	v_add_co_u32 v148, s7, v144, v66
	v_add_co_ci_u32_e64 v149, null, v145, v67, s7
	global_load_dword v148, v[148:149], off
	s_waitcnt vmcnt(0)
	v_mul_f32_e32 v148, s26, v148
.LBB69_48:                              ;   in Loop: Header=BB69_34 Depth=1
	s_andn2_saveexec_b32 s7, s31
; %bb.49:                               ;   in Loop: Header=BB69_34 Depth=1
	v_cndmask_b32_e64 v148, 0, 0x7f7fffff, s30
; %bb.50:                               ;   in Loop: Header=BB69_34 Depth=1
	s_or_b32 exec_lo, exec_lo, s7
	v_min_i32_e32 v149, s22, v153
	v_mad_i64_i32 v[149:150], null, v149, s28, 0
	v_lshlrev_b64 v[149:150], 2, v[149:150]
	v_add_co_u32 v153, s7, s20, v149
	v_add_co_ci_u32_e64 v154, null, s21, v150, s7
	s_or_b32 s7, s0, s6
	v_cndmask_b32_e64 v149, 0, 0x7f7fffff, s7
	s_nor_b32 s7, s27, s7
	s_and_saveexec_b32 s30, s7
	s_cbranch_execz .LBB69_52
; %bb.51:                               ;   in Loop: Header=BB69_34 Depth=1
	v_add_co_u32 v149, s7, v153, v68
	v_add_co_ci_u32_e64 v150, null, v154, v69, s7
	global_load_dword v149, v[149:150], off
	s_waitcnt vmcnt(0)
	v_mul_f32_e32 v149, s26, v149
.LBB69_52:                              ;   in Loop: Header=BB69_34 Depth=1
	s_or_b32 exec_lo, exec_lo, s30
	s_or_b32 s7, s1, s6
	v_cndmask_b32_e64 v150, 0, 0x7f7fffff, s7
	s_nor_b32 s7, s27, s7
	s_and_saveexec_b32 s30, s7
	s_cbranch_execz .LBB69_54
; %bb.53:                               ;   in Loop: Header=BB69_34 Depth=1
	v_add_co_u32 v150, s7, v153, v68
	v_add_co_ci_u32_e64 v151, null, v154, v69, s7
	global_load_dword v150, v[150:151], off offset:256
	s_waitcnt vmcnt(0)
	v_mul_f32_e32 v150, s26, v150
.LBB69_54:                              ;   in Loop: Header=BB69_34 Depth=1
	s_or_b32 exec_lo, exec_lo, s30
	s_or_b32 s7, s2, s6
	v_cndmask_b32_e64 v151, 0, 0x7f7fffff, s7
	s_nor_b32 s7, s27, s7
	s_and_saveexec_b32 s30, s7
	s_cbranch_execz .LBB69_56
; %bb.55:                               ;   in Loop: Header=BB69_34 Depth=1
	v_add_co_u32 v151, s7, v153, v68
	v_add_co_ci_u32_e64 v152, null, v154, v69, s7
	global_load_dword v151, v[151:152], off offset:512
	s_waitcnt vmcnt(0)
	v_mul_f32_e32 v151, s26, v151
.LBB69_56:                              ;   in Loop: Header=BB69_34 Depth=1
	s_or_b32 exec_lo, exec_lo, s30
	s_or_b32 s6, s3, s6
	v_cndmask_b32_e64 v152, 0, 0x7f7fffff, s6
	s_nor_b32 s6, s27, s6
	s_and_saveexec_b32 s7, s6
	s_cbranch_execz .LBB69_33
; %bb.57:                               ;   in Loop: Header=BB69_34 Depth=1
	v_add_co_u32 v152, s6, v153, v68
	v_add_co_ci_u32_e64 v153, null, v154, v69, s6
	global_load_dword v152, v[152:153], off offset:768
	s_waitcnt vmcnt(0)
	v_mul_f32_e32 v152, s26, v152
	s_branch .LBB69_33
.LBB69_58:
	s_clause 0x2
	s_load_dwordx2 s[0:1], s[4:5], 0x78
	s_load_dword s14, s[4:5], 0x58
	s_load_dword s9, s[4:5], 0x70
	ds_read_b128 v[34:37], v74 offset:9216
	ds_read_b128 v[30:33], v74 offset:9344
	;; [unrolled: 1-line block ×12, first 2 shown]
	v_add_nc_u32_e32 v134, s25, v1
	ds_read_b128 v[46:49], v73 offset:6144
	ds_read_b128 v[42:45], v73 offset:6656
	;; [unrolled: 1-line block ×4, first 2 shown]
	v_add_nc_u32_e32 v0, s15, v0
	v_cndmask_b32_e64 v124, 0, 1, s24
	v_cmp_gt_i32_e64 s8, s13, v134
	v_ashrrev_i32_e32 v1, 31, v0
	s_waitcnt lgkmcnt(0)
	s_mul_i32 s1, s1, s18
	v_mad_i64_i32 v[66:67], null, v134, s14, 0
	v_mad_i64_i32 v[68:69], null, v134, s9, 0
	s_mul_hi_u32 s2, s0, s18
	s_mul_i32 s0, s0, s18
	s_add_i32 s1, s2, s1
	s_lshl_b64 s[0:1], s[0:1], 2
	v_lshlrev_b64 v[66:67], 2, v[66:67]
	v_lshlrev_b64 v[68:69], 2, v[68:69]
	s_add_u32 s10, s10, s0
	s_addc_u32 s11, s11, s1
	v_cmp_gt_i32_e64 s0, s12, v0
	v_add_co_u32 v144, vcc_lo, s16, v66
	v_add_co_ci_u32_e64 v145, null, s17, v67, vcc_lo
	v_add_co_u32 v142, vcc_lo, s10, v68
	v_add_co_ci_u32_e64 v143, null, s11, v69, vcc_lo
	s_and_b32 s2, s0, s8
	s_and_saveexec_b32 s1, s2
	s_cbranch_execz .LBB69_63
; %bb.59:
	v_lshlrev_b64 v[66:67], 2, v[0:1]
	s_andn2_b32 vcc_lo, exec_lo, s24
	s_cbranch_vccnz .LBB69_61
; %bb.60:
	v_add_co_u32 v68, vcc_lo, v144, v66
	v_add_co_ci_u32_e64 v69, null, v145, v67, vcc_lo
	global_load_dword v68, v[68:69], off
	s_waitcnt vmcnt(0)
	v_mul_f32_e32 v68, s19, v68
	s_branch .LBB69_62
.LBB69_61:
	v_mov_b32_e32 v68, 0
.LBB69_62:
	v_add_f32_e32 v69, v35, v63
	v_add_f32_e32 v70, v34, v62
	;; [unrolled: 1-line block ×4, first 2 shown]
	v_add_co_u32 v66, vcc_lo, v142, v66
	v_min3_f32 v69, v70, v69, v141
	v_add_co_ci_u32_e64 v67, null, v143, v67, vcc_lo
	v_min_f32_e32 v70, v72, v71
	v_min3_f32 v68, v68, v70, v69
	global_store_dword v[66:67], v68, off
.LBB69_63:
	s_or_b32 exec_lo, exec_lo, s1
	v_add_nc_u32_e32 v66, 8, v0
	v_cmp_gt_i32_e64 s1, s12, v66
	v_ashrrev_i32_e32 v67, 31, v66
	s_and_b32 s3, s1, s8
	s_and_saveexec_b32 s2, s3
	s_cbranch_execz .LBB69_68
; %bb.64:
	v_cmp_ne_u32_e32 vcc_lo, 1, v124
	v_lshlrev_b64 v[68:69], 2, v[66:67]
	s_cbranch_vccnz .LBB69_66
; %bb.65:
	v_add_co_u32 v70, vcc_lo, v144, v68
	v_add_co_ci_u32_e64 v71, null, v145, v69, vcc_lo
	global_load_dword v70, v[70:71], off
	s_waitcnt vmcnt(0)
	v_mul_f32_e32 v70, s19, v70
	s_branch .LBB69_67
.LBB69_66:
	v_mov_b32_e32 v70, 0
.LBB69_67:
	v_add_f32_e32 v71, v31, v63
	v_add_f32_e32 v72, v30, v62
	v_add_f32_e32 v73, v33, v65
	v_add_f32_e32 v74, v32, v64
	v_add_co_u32 v68, vcc_lo, v142, v68
	v_min3_f32 v71, v72, v71, v81
	v_add_co_ci_u32_e64 v69, null, v143, v69, vcc_lo
	v_min_f32_e32 v72, v74, v73
	v_min3_f32 v70, v70, v72, v71
	global_store_dword v[68:69], v70, off
.LBB69_68:
	s_or_b32 exec_lo, exec_lo, s2
	v_add_nc_u32_e32 v68, 16, v0
	v_cmp_gt_i32_e64 s2, s12, v68
	v_ashrrev_i32_e32 v69, 31, v68
	s_and_b32 s4, s2, s8
	s_and_saveexec_b32 s3, s4
	s_cbranch_execz .LBB69_73
; %bb.69:
	v_cmp_ne_u32_e32 vcc_lo, 1, v124
	v_lshlrev_b64 v[70:71], 2, v[68:69]
	s_cbranch_vccnz .LBB69_71
; %bb.70:
	v_add_co_u32 v72, vcc_lo, v144, v70
	v_add_co_ci_u32_e64 v73, null, v145, v71, vcc_lo
	global_load_dword v72, v[72:73], off
	s_waitcnt vmcnt(0)
	v_mul_f32_e32 v72, s19, v72
	s_branch .LBB69_72
.LBB69_71:
	v_mov_b32_e32 v72, 0
.LBB69_72:
	v_add_f32_e32 v73, v27, v63
	v_add_f32_e32 v74, v26, v62
	v_add_f32_e32 v75, v29, v65
	v_add_f32_e32 v81, v28, v64
	v_add_co_u32 v70, vcc_lo, v142, v70
	v_min3_f32 v73, v74, v73, v79
	v_add_co_ci_u32_e64 v71, null, v143, v71, vcc_lo
	v_min_f32_e32 v74, v81, v75
	v_min3_f32 v72, v72, v74, v73
	global_store_dword v[70:71], v72, off
.LBB69_73:
	;; [unrolled: 32-line block ×6, first 2 shown]
	s_or_b32 exec_lo, exec_lo, s7
	v_add_nc_u32_e32 v78, 56, v0
	v_cmp_gt_i32_e64 s7, s12, v78
	v_ashrrev_i32_e32 v79, 31, v78
	s_and_b32 s12, s7, s8
	s_and_saveexec_b32 s8, s12
	s_cbranch_execz .LBB69_98
; %bb.94:
	v_cmp_ne_u32_e32 vcc_lo, 1, v124
	v_lshlrev_b64 v[80:81], 2, v[78:79]
	s_cbranch_vccnz .LBB69_96
; %bb.95:
	v_add_co_u32 v144, vcc_lo, v144, v80
	v_add_co_ci_u32_e64 v145, null, v145, v81, vcc_lo
	global_load_dword v141, v[144:145], off
	s_waitcnt vmcnt(0)
	v_mul_f32_e32 v141, s19, v141
	s_branch .LBB69_97
.LBB69_96:
	v_mov_b32_e32 v141, 0
.LBB69_97:
	v_add_f32_e32 v63, v3, v63
	v_add_f32_e32 v62, v2, v62
	;; [unrolled: 1-line block ×4, first 2 shown]
	v_min3_f32 v62, v62, v63, v140
	v_min_f32_e32 v63, v64, v65
	v_min3_f32 v64, v141, v63, v62
	v_add_co_u32 v62, vcc_lo, v142, v80
	v_add_co_ci_u32_e64 v63, null, v143, v81, vcc_lo
	global_store_dword v[62:63], v64, off
.LBB69_98:
	s_or_b32 exec_lo, exec_lo, s8
	v_add_nc_u32_e32 v80, 32, v134
	v_mad_i64_i32 v[62:63], null, v80, s14, 0
	v_mad_i64_i32 v[64:65], null, v80, s9, 0
	v_cmp_gt_i32_e64 s8, s13, v80
	v_lshlrev_b64 v[62:63], 2, v[62:63]
	s_and_b32 s15, s0, s8
	v_lshlrev_b64 v[64:65], 2, v[64:65]
	v_add_co_u32 v80, vcc_lo, s16, v62
	v_add_co_ci_u32_e64 v81, null, s17, v63, vcc_lo
	v_add_co_u32 v64, vcc_lo, s10, v64
	v_add_co_ci_u32_e64 v65, null, s11, v65, vcc_lo
	s_and_saveexec_b32 s12, s15
	s_cbranch_execnz .LBB69_106
; %bb.99:
	s_or_b32 exec_lo, exec_lo, s12
	s_and_b32 s15, s1, s8
	s_and_saveexec_b32 s12, s15
	s_cbranch_execnz .LBB69_110
.LBB69_100:
	s_or_b32 exec_lo, exec_lo, s12
	s_and_b32 s15, s2, s8
	s_and_saveexec_b32 s12, s15
	s_cbranch_execnz .LBB69_114
.LBB69_101:
	s_or_b32 exec_lo, exec_lo, s12
	s_and_b32 s15, s3, s8
	s_and_saveexec_b32 s12, s15
	s_cbranch_execnz .LBB69_118
.LBB69_102:
	s_or_b32 exec_lo, exec_lo, s12
	s_and_b32 s15, s4, s8
	s_and_saveexec_b32 s12, s15
	s_cbranch_execnz .LBB69_122
.LBB69_103:
	s_or_b32 exec_lo, exec_lo, s12
	s_and_b32 s15, s5, s8
	s_and_saveexec_b32 s12, s15
	s_cbranch_execnz .LBB69_126
.LBB69_104:
	s_or_b32 exec_lo, exec_lo, s12
	s_and_b32 s15, s6, s8
	s_and_saveexec_b32 s12, s15
	s_cbranch_execnz .LBB69_130
.LBB69_105:
	s_or_b32 exec_lo, exec_lo, s12
	s_and_b32 s12, s7, s8
	s_and_saveexec_b32 s8, s12
	s_cbranch_execnz .LBB69_134
	s_branch .LBB69_138
.LBB69_106:
	v_cmp_ne_u32_e32 vcc_lo, 1, v124
	v_lshlrev_b64 v[62:63], 2, v[0:1]
	s_cbranch_vccnz .LBB69_108
; %bb.107:
	v_add_co_u32 v140, vcc_lo, v80, v62
	v_add_co_ci_u32_e64 v141, null, v81, v63, vcc_lo
	global_load_dword v140, v[140:141], off
	s_waitcnt vmcnt(0)
	v_mul_f32_e32 v140, s19, v140
	s_branch .LBB69_109
.LBB69_108:
	v_mov_b32_e32 v140, 0
.LBB69_109:
	v_add_f32_e32 v141, v35, v59
	v_add_f32_e32 v142, v34, v58
	;; [unrolled: 1-line block ×4, first 2 shown]
	v_add_co_u32 v62, vcc_lo, v64, v62
	v_min3_f32 v139, v142, v141, v139
	v_add_co_ci_u32_e64 v63, null, v65, v63, vcc_lo
	v_min_f32_e32 v141, v144, v143
	v_min3_f32 v139, v140, v141, v139
	global_store_dword v[62:63], v139, off
	s_or_b32 exec_lo, exec_lo, s12
	s_and_b32 s15, s1, s8
	s_and_saveexec_b32 s12, s15
	s_cbranch_execz .LBB69_100
.LBB69_110:
	v_cmp_ne_u32_e32 vcc_lo, 1, v124
	v_lshlrev_b64 v[62:63], 2, v[66:67]
	s_cbranch_vccnz .LBB69_112
; %bb.111:
	v_add_co_u32 v139, vcc_lo, v80, v62
	v_add_co_ci_u32_e64 v140, null, v81, v63, vcc_lo
	global_load_dword v139, v[139:140], off
	s_waitcnt vmcnt(0)
	v_mul_f32_e32 v139, s19, v139
	s_branch .LBB69_113
.LBB69_112:
	v_mov_b32_e32 v139, 0
.LBB69_113:
	v_add_f32_e32 v140, v31, v59
	v_add_f32_e32 v141, v30, v58
	v_add_f32_e32 v142, v33, v61
	v_add_f32_e32 v143, v32, v60
	v_add_co_u32 v62, vcc_lo, v64, v62
	v_min3_f32 v138, v141, v140, v138
	v_add_co_ci_u32_e64 v63, null, v65, v63, vcc_lo
	v_min_f32_e32 v140, v143, v142
	v_min3_f32 v138, v139, v140, v138
	global_store_dword v[62:63], v138, off
	s_or_b32 exec_lo, exec_lo, s12
	s_and_b32 s15, s2, s8
	s_and_saveexec_b32 s12, s15
	s_cbranch_execz .LBB69_101
.LBB69_114:
	v_cmp_ne_u32_e32 vcc_lo, 1, v124
	v_lshlrev_b64 v[62:63], 2, v[68:69]
	s_cbranch_vccnz .LBB69_116
; %bb.115:
	v_add_co_u32 v138, vcc_lo, v80, v62
	v_add_co_ci_u32_e64 v139, null, v81, v63, vcc_lo
	global_load_dword v138, v[138:139], off
	s_waitcnt vmcnt(0)
	v_mul_f32_e32 v138, s19, v138
	s_branch .LBB69_117
.LBB69_116:
	v_mov_b32_e32 v138, 0
.LBB69_117:
	v_add_f32_e32 v139, v27, v59
	v_add_f32_e32 v140, v26, v58
	;; [unrolled: 1-line block ×4, first 2 shown]
	v_add_co_u32 v62, vcc_lo, v64, v62
	v_min3_f32 v137, v140, v139, v137
	v_add_co_ci_u32_e64 v63, null, v65, v63, vcc_lo
	v_min_f32_e32 v139, v142, v141
	v_min3_f32 v137, v138, v139, v137
	global_store_dword v[62:63], v137, off
	s_or_b32 exec_lo, exec_lo, s12
	s_and_b32 s15, s3, s8
	s_and_saveexec_b32 s12, s15
	s_cbranch_execz .LBB69_102
.LBB69_118:
	v_cmp_ne_u32_e32 vcc_lo, 1, v124
	v_lshlrev_b64 v[62:63], 2, v[70:71]
	s_cbranch_vccnz .LBB69_120
; %bb.119:
	v_add_co_u32 v137, vcc_lo, v80, v62
	v_add_co_ci_u32_e64 v138, null, v81, v63, vcc_lo
	global_load_dword v137, v[137:138], off
	s_waitcnt vmcnt(0)
	v_mul_f32_e32 v137, s19, v137
	s_branch .LBB69_121
.LBB69_120:
	v_mov_b32_e32 v137, 0
.LBB69_121:
	v_add_f32_e32 v138, v23, v59
	v_add_f32_e32 v139, v22, v58
	v_add_f32_e32 v140, v25, v61
	v_add_f32_e32 v141, v24, v60
	v_add_co_u32 v62, vcc_lo, v64, v62
	v_min3_f32 v136, v139, v138, v136
	v_add_co_ci_u32_e64 v63, null, v65, v63, vcc_lo
	v_min_f32_e32 v138, v141, v140
	v_min3_f32 v136, v137, v138, v136
	global_store_dword v[62:63], v136, off
	s_or_b32 exec_lo, exec_lo, s12
	s_and_b32 s15, s4, s8
	s_and_saveexec_b32 s12, s15
	s_cbranch_execz .LBB69_103
.LBB69_122:
	v_cmp_ne_u32_e32 vcc_lo, 1, v124
	v_lshlrev_b64 v[62:63], 2, v[72:73]
	s_cbranch_vccnz .LBB69_124
; %bb.123:
	v_add_co_u32 v136, vcc_lo, v80, v62
	v_add_co_ci_u32_e64 v137, null, v81, v63, vcc_lo
	global_load_dword v136, v[136:137], off
	s_waitcnt vmcnt(0)
	v_mul_f32_e32 v136, s19, v136
	s_branch .LBB69_125
.LBB69_124:
	v_mov_b32_e32 v136, 0
.LBB69_125:
	v_add_f32_e32 v137, v19, v59
	v_add_f32_e32 v138, v18, v58
	;; [unrolled: 1-line block ×4, first 2 shown]
	v_add_co_u32 v62, vcc_lo, v64, v62
	v_min3_f32 v135, v138, v137, v135
	v_add_co_ci_u32_e64 v63, null, v65, v63, vcc_lo
	v_min_f32_e32 v137, v140, v139
	v_min3_f32 v135, v136, v137, v135
	global_store_dword v[62:63], v135, off
	s_or_b32 exec_lo, exec_lo, s12
	s_and_b32 s15, s5, s8
	s_and_saveexec_b32 s12, s15
	s_cbranch_execz .LBB69_104
.LBB69_126:
	v_cmp_ne_u32_e32 vcc_lo, 1, v124
	v_lshlrev_b64 v[62:63], 2, v[74:75]
	s_cbranch_vccnz .LBB69_128
; %bb.127:
	v_add_co_u32 v135, vcc_lo, v80, v62
	v_add_co_ci_u32_e64 v136, null, v81, v63, vcc_lo
	global_load_dword v135, v[135:136], off
	s_waitcnt vmcnt(0)
	v_mul_f32_e32 v135, s19, v135
	s_branch .LBB69_129
.LBB69_128:
	v_mov_b32_e32 v135, 0
.LBB69_129:
	v_add_f32_e32 v136, v15, v59
	v_add_f32_e32 v137, v14, v58
	v_add_f32_e32 v138, v17, v61
	v_add_f32_e32 v139, v16, v60
	v_add_co_u32 v62, vcc_lo, v64, v62
	v_min3_f32 v133, v137, v136, v133
	v_add_co_ci_u32_e64 v63, null, v65, v63, vcc_lo
	v_min_f32_e32 v136, v139, v138
	v_min3_f32 v133, v135, v136, v133
	global_store_dword v[62:63], v133, off
	s_or_b32 exec_lo, exec_lo, s12
	s_and_b32 s15, s6, s8
	s_and_saveexec_b32 s12, s15
	s_cbranch_execz .LBB69_105
.LBB69_130:
	v_cmp_ne_u32_e32 vcc_lo, 1, v124
	v_lshlrev_b64 v[62:63], 2, v[76:77]
	s_cbranch_vccnz .LBB69_132
; %bb.131:
	v_add_co_u32 v135, vcc_lo, v80, v62
	v_add_co_ci_u32_e64 v136, null, v81, v63, vcc_lo
	global_load_dword v133, v[135:136], off
	s_waitcnt vmcnt(0)
	v_mul_f32_e32 v133, s19, v133
	s_branch .LBB69_133
.LBB69_132:
	v_mov_b32_e32 v133, 0
.LBB69_133:
	v_add_f32_e32 v135, v11, v59
	v_add_f32_e32 v136, v10, v58
	v_add_f32_e32 v137, v13, v61
	v_add_f32_e32 v138, v12, v60
	v_add_co_u32 v62, vcc_lo, v64, v62
	v_min3_f32 v132, v136, v135, v132
	v_add_co_ci_u32_e64 v63, null, v65, v63, vcc_lo
	v_min_f32_e32 v135, v138, v137
	v_min3_f32 v132, v133, v135, v132
	global_store_dword v[62:63], v132, off
	s_or_b32 exec_lo, exec_lo, s12
	s_and_b32 s12, s7, s8
	s_and_saveexec_b32 s8, s12
	s_cbranch_execz .LBB69_138
.LBB69_134:
	v_cmp_ne_u32_e32 vcc_lo, 1, v124
	v_lshlrev_b64 v[62:63], 2, v[78:79]
	s_cbranch_vccnz .LBB69_136
; %bb.135:
	v_add_co_u32 v80, vcc_lo, v80, v62
	v_add_co_ci_u32_e64 v81, null, v81, v63, vcc_lo
	global_load_dword v80, v[80:81], off
	s_waitcnt vmcnt(0)
	v_mul_f32_e32 v80, s19, v80
	s_branch .LBB69_137
.LBB69_136:
	v_mov_b32_e32 v80, 0
.LBB69_137:
	v_add_f32_e32 v59, v3, v59
	v_add_f32_e32 v58, v2, v58
	;; [unrolled: 1-line block ×4, first 2 shown]
	v_min3_f32 v58, v58, v59, v131
	v_min_f32_e32 v59, v60, v61
	v_min3_f32 v60, v80, v59, v58
	v_add_co_u32 v58, vcc_lo, v64, v62
	v_add_co_ci_u32_e64 v59, null, v65, v63, vcc_lo
	global_store_dword v[58:59], v60, off
.LBB69_138:
	s_or_b32 exec_lo, exec_lo, s8
	v_add_nc_u32_e32 v62, 64, v134
	v_mad_i64_i32 v[58:59], null, v62, s14, 0
	v_mad_i64_i32 v[60:61], null, v62, s9, 0
	v_cmp_gt_i32_e64 s8, s13, v62
	v_lshlrev_b64 v[58:59], 2, v[58:59]
	s_and_b32 s15, s0, s8
	v_lshlrev_b64 v[60:61], 2, v[60:61]
	v_add_co_u32 v62, vcc_lo, s16, v58
	v_add_co_ci_u32_e64 v63, null, s17, v59, vcc_lo
	v_add_co_u32 v60, vcc_lo, s10, v60
	v_add_co_ci_u32_e64 v61, null, s11, v61, vcc_lo
	s_and_saveexec_b32 s12, s15
	s_cbranch_execnz .LBB69_146
; %bb.139:
	s_or_b32 exec_lo, exec_lo, s12
	s_and_b32 s15, s1, s8
	s_and_saveexec_b32 s12, s15
	s_cbranch_execnz .LBB69_150
.LBB69_140:
	s_or_b32 exec_lo, exec_lo, s12
	s_and_b32 s15, s2, s8
	s_and_saveexec_b32 s12, s15
	s_cbranch_execnz .LBB69_154
.LBB69_141:
	s_or_b32 exec_lo, exec_lo, s12
	s_and_b32 s15, s3, s8
	s_and_saveexec_b32 s12, s15
	s_cbranch_execnz .LBB69_158
.LBB69_142:
	s_or_b32 exec_lo, exec_lo, s12
	s_and_b32 s15, s4, s8
	s_and_saveexec_b32 s12, s15
	s_cbranch_execnz .LBB69_162
.LBB69_143:
	s_or_b32 exec_lo, exec_lo, s12
	s_and_b32 s15, s5, s8
	s_and_saveexec_b32 s12, s15
	s_cbranch_execnz .LBB69_166
.LBB69_144:
	s_or_b32 exec_lo, exec_lo, s12
	s_and_b32 s15, s6, s8
	s_and_saveexec_b32 s12, s15
	s_cbranch_execnz .LBB69_170
.LBB69_145:
	s_or_b32 exec_lo, exec_lo, s12
	s_and_b32 s12, s7, s8
	s_and_saveexec_b32 s8, s12
	s_cbranch_execnz .LBB69_174
	s_branch .LBB69_178
.LBB69_146:
	v_cmp_ne_u32_e32 vcc_lo, 1, v124
	v_lshlrev_b64 v[58:59], 2, v[0:1]
	s_cbranch_vccnz .LBB69_148
; %bb.147:
	v_add_co_u32 v64, vcc_lo, v62, v58
	v_add_co_ci_u32_e64 v65, null, v63, v59, vcc_lo
	global_load_dword v64, v[64:65], off
	s_waitcnt vmcnt(0)
	v_mul_f32_e32 v64, s19, v64
	s_branch .LBB69_149
.LBB69_148:
	v_mov_b32_e32 v64, 0
.LBB69_149:
	v_add_f32_e32 v65, v35, v55
	v_add_f32_e32 v80, v34, v54
	;; [unrolled: 1-line block ×4, first 2 shown]
	v_add_co_u32 v58, vcc_lo, v60, v58
	v_min3_f32 v65, v80, v65, v130
	v_add_co_ci_u32_e64 v59, null, v61, v59, vcc_lo
	v_min_f32_e32 v80, v131, v81
	v_min3_f32 v64, v64, v80, v65
	global_store_dword v[58:59], v64, off
	s_or_b32 exec_lo, exec_lo, s12
	s_and_b32 s15, s1, s8
	s_and_saveexec_b32 s12, s15
	s_cbranch_execz .LBB69_140
.LBB69_150:
	v_cmp_ne_u32_e32 vcc_lo, 1, v124
	v_lshlrev_b64 v[58:59], 2, v[66:67]
	s_cbranch_vccnz .LBB69_152
; %bb.151:
	v_add_co_u32 v64, vcc_lo, v62, v58
	v_add_co_ci_u32_e64 v65, null, v63, v59, vcc_lo
	global_load_dword v64, v[64:65], off
	s_waitcnt vmcnt(0)
	v_mul_f32_e32 v64, s19, v64
	s_branch .LBB69_153
.LBB69_152:
	v_mov_b32_e32 v64, 0
.LBB69_153:
	v_add_f32_e32 v65, v31, v55
	v_add_f32_e32 v80, v30, v54
	;; [unrolled: 1-line block ×4, first 2 shown]
	v_add_co_u32 v58, vcc_lo, v60, v58
	v_min3_f32 v65, v80, v65, v129
	v_add_co_ci_u32_e64 v59, null, v61, v59, vcc_lo
	v_min_f32_e32 v80, v130, v81
	v_min3_f32 v64, v64, v80, v65
	global_store_dword v[58:59], v64, off
	s_or_b32 exec_lo, exec_lo, s12
	s_and_b32 s15, s2, s8
	s_and_saveexec_b32 s12, s15
	s_cbranch_execz .LBB69_141
.LBB69_154:
	v_cmp_ne_u32_e32 vcc_lo, 1, v124
	v_lshlrev_b64 v[58:59], 2, v[68:69]
	s_cbranch_vccnz .LBB69_156
; %bb.155:
	v_add_co_u32 v64, vcc_lo, v62, v58
	v_add_co_ci_u32_e64 v65, null, v63, v59, vcc_lo
	global_load_dword v64, v[64:65], off
	s_waitcnt vmcnt(0)
	v_mul_f32_e32 v64, s19, v64
	s_branch .LBB69_157
.LBB69_156:
	v_mov_b32_e32 v64, 0
.LBB69_157:
	v_add_f32_e32 v65, v27, v55
	v_add_f32_e32 v80, v26, v54
	;; [unrolled: 1-line block ×4, first 2 shown]
	v_add_co_u32 v58, vcc_lo, v60, v58
	v_min3_f32 v65, v80, v65, v128
	v_add_co_ci_u32_e64 v59, null, v61, v59, vcc_lo
	v_min_f32_e32 v80, v129, v81
	v_min3_f32 v64, v64, v80, v65
	global_store_dword v[58:59], v64, off
	s_or_b32 exec_lo, exec_lo, s12
	s_and_b32 s15, s3, s8
	s_and_saveexec_b32 s12, s15
	s_cbranch_execz .LBB69_142
.LBB69_158:
	v_cmp_ne_u32_e32 vcc_lo, 1, v124
	v_lshlrev_b64 v[58:59], 2, v[70:71]
	s_cbranch_vccnz .LBB69_160
; %bb.159:
	v_add_co_u32 v64, vcc_lo, v62, v58
	v_add_co_ci_u32_e64 v65, null, v63, v59, vcc_lo
	global_load_dword v64, v[64:65], off
	s_waitcnt vmcnt(0)
	v_mul_f32_e32 v64, s19, v64
	s_branch .LBB69_161
.LBB69_160:
	v_mov_b32_e32 v64, 0
.LBB69_161:
	v_add_f32_e32 v65, v23, v55
	v_add_f32_e32 v80, v22, v54
	v_add_f32_e32 v81, v25, v57
	v_add_f32_e32 v128, v24, v56
	v_add_co_u32 v58, vcc_lo, v60, v58
	v_min3_f32 v65, v80, v65, v127
	v_add_co_ci_u32_e64 v59, null, v61, v59, vcc_lo
	v_min_f32_e32 v80, v128, v81
	v_min3_f32 v64, v64, v80, v65
	global_store_dword v[58:59], v64, off
	s_or_b32 exec_lo, exec_lo, s12
	s_and_b32 s15, s4, s8
	s_and_saveexec_b32 s12, s15
	s_cbranch_execz .LBB69_143
.LBB69_162:
	v_cmp_ne_u32_e32 vcc_lo, 1, v124
	v_lshlrev_b64 v[58:59], 2, v[72:73]
	s_cbranch_vccnz .LBB69_164
; %bb.163:
	v_add_co_u32 v64, vcc_lo, v62, v58
	v_add_co_ci_u32_e64 v65, null, v63, v59, vcc_lo
	global_load_dword v64, v[64:65], off
	s_waitcnt vmcnt(0)
	v_mul_f32_e32 v64, s19, v64
	s_branch .LBB69_165
.LBB69_164:
	v_mov_b32_e32 v64, 0
.LBB69_165:
	v_add_f32_e32 v65, v19, v55
	v_add_f32_e32 v80, v18, v54
	;; [unrolled: 1-line block ×4, first 2 shown]
	v_add_co_u32 v58, vcc_lo, v60, v58
	v_min3_f32 v65, v80, v65, v126
	v_add_co_ci_u32_e64 v59, null, v61, v59, vcc_lo
	v_min_f32_e32 v80, v127, v81
	v_min3_f32 v64, v64, v80, v65
	global_store_dword v[58:59], v64, off
	s_or_b32 exec_lo, exec_lo, s12
	s_and_b32 s15, s5, s8
	s_and_saveexec_b32 s12, s15
	s_cbranch_execz .LBB69_144
.LBB69_166:
	v_cmp_ne_u32_e32 vcc_lo, 1, v124
	v_lshlrev_b64 v[58:59], 2, v[74:75]
	s_cbranch_vccnz .LBB69_168
; %bb.167:
	v_add_co_u32 v64, vcc_lo, v62, v58
	v_add_co_ci_u32_e64 v65, null, v63, v59, vcc_lo
	global_load_dword v64, v[64:65], off
	s_waitcnt vmcnt(0)
	v_mul_f32_e32 v64, s19, v64
	s_branch .LBB69_169
.LBB69_168:
	v_mov_b32_e32 v64, 0
.LBB69_169:
	v_add_f32_e32 v65, v15, v55
	v_add_f32_e32 v80, v14, v54
	;; [unrolled: 1-line block ×4, first 2 shown]
	v_add_co_u32 v58, vcc_lo, v60, v58
	v_min3_f32 v65, v80, v65, v125
	v_add_co_ci_u32_e64 v59, null, v61, v59, vcc_lo
	v_min_f32_e32 v80, v126, v81
	v_min3_f32 v64, v64, v80, v65
	global_store_dword v[58:59], v64, off
	s_or_b32 exec_lo, exec_lo, s12
	s_and_b32 s15, s6, s8
	s_and_saveexec_b32 s12, s15
	s_cbranch_execz .LBB69_145
.LBB69_170:
	v_cmp_ne_u32_e32 vcc_lo, 1, v124
	v_lshlrev_b64 v[58:59], 2, v[76:77]
	s_cbranch_vccnz .LBB69_172
; %bb.171:
	v_add_co_u32 v64, vcc_lo, v62, v58
	v_add_co_ci_u32_e64 v65, null, v63, v59, vcc_lo
	global_load_dword v64, v[64:65], off
	s_waitcnt vmcnt(0)
	v_mul_f32_e32 v64, s19, v64
	s_branch .LBB69_173
.LBB69_172:
	v_mov_b32_e32 v64, 0
.LBB69_173:
	v_add_f32_e32 v65, v11, v55
	v_add_f32_e32 v80, v10, v54
	v_add_f32_e32 v81, v13, v57
	v_add_f32_e32 v125, v12, v56
	v_add_co_u32 v58, vcc_lo, v60, v58
	v_min3_f32 v65, v80, v65, v123
	v_add_co_ci_u32_e64 v59, null, v61, v59, vcc_lo
	v_min_f32_e32 v80, v125, v81
	v_min3_f32 v64, v64, v80, v65
	global_store_dword v[58:59], v64, off
	s_or_b32 exec_lo, exec_lo, s12
	s_and_b32 s12, s7, s8
	s_and_saveexec_b32 s8, s12
	s_cbranch_execz .LBB69_178
.LBB69_174:
	v_cmp_ne_u32_e32 vcc_lo, 1, v124
	v_lshlrev_b64 v[58:59], 2, v[78:79]
	s_cbranch_vccnz .LBB69_176
; %bb.175:
	v_add_co_u32 v62, vcc_lo, v62, v58
	v_add_co_ci_u32_e64 v63, null, v63, v59, vcc_lo
	global_load_dword v62, v[62:63], off
	s_waitcnt vmcnt(0)
	v_mul_f32_e32 v62, s19, v62
	s_branch .LBB69_177
.LBB69_176:
	v_mov_b32_e32 v62, 0
.LBB69_177:
	v_add_f32_e32 v55, v3, v55
	v_add_f32_e32 v54, v2, v54
	;; [unrolled: 1-line block ×4, first 2 shown]
	v_min3_f32 v54, v54, v55, v122
	v_min_f32_e32 v55, v56, v57
	v_min3_f32 v56, v62, v55, v54
	v_add_co_u32 v54, vcc_lo, v60, v58
	v_add_co_ci_u32_e64 v55, null, v61, v59, vcc_lo
	global_store_dword v[54:55], v56, off
.LBB69_178:
	s_or_b32 exec_lo, exec_lo, s8
	v_add_nc_u32_e32 v58, 0x60, v134
	v_mad_i64_i32 v[54:55], null, v58, s14, 0
	v_mad_i64_i32 v[56:57], null, v58, s9, 0
	v_cmp_gt_i32_e64 s8, s13, v58
	v_lshlrev_b64 v[54:55], 2, v[54:55]
	s_and_b32 s15, s0, s8
	v_lshlrev_b64 v[56:57], 2, v[56:57]
	v_add_co_u32 v58, vcc_lo, s16, v54
	v_add_co_ci_u32_e64 v59, null, s17, v55, vcc_lo
	v_add_co_u32 v56, vcc_lo, s10, v56
	v_add_co_ci_u32_e64 v57, null, s11, v57, vcc_lo
	s_and_saveexec_b32 s12, s15
	s_cbranch_execnz .LBB69_186
; %bb.179:
	s_or_b32 exec_lo, exec_lo, s12
	s_and_b32 s15, s1, s8
	s_and_saveexec_b32 s12, s15
	s_cbranch_execnz .LBB69_190
.LBB69_180:
	s_or_b32 exec_lo, exec_lo, s12
	s_and_b32 s15, s2, s8
	s_and_saveexec_b32 s12, s15
	s_cbranch_execnz .LBB69_194
.LBB69_181:
	s_or_b32 exec_lo, exec_lo, s12
	s_and_b32 s15, s3, s8
	s_and_saveexec_b32 s12, s15
	s_cbranch_execnz .LBB69_198
.LBB69_182:
	s_or_b32 exec_lo, exec_lo, s12
	s_and_b32 s15, s4, s8
	s_and_saveexec_b32 s12, s15
	s_cbranch_execnz .LBB69_202
.LBB69_183:
	s_or_b32 exec_lo, exec_lo, s12
	s_and_b32 s15, s5, s8
	s_and_saveexec_b32 s12, s15
	s_cbranch_execnz .LBB69_206
.LBB69_184:
	s_or_b32 exec_lo, exec_lo, s12
	s_and_b32 s15, s6, s8
	s_and_saveexec_b32 s12, s15
	s_cbranch_execnz .LBB69_210
.LBB69_185:
	s_or_b32 exec_lo, exec_lo, s12
	s_and_b32 s12, s7, s8
	s_and_saveexec_b32 s8, s12
	s_cbranch_execnz .LBB69_214
	s_branch .LBB69_218
.LBB69_186:
	v_cmp_ne_u32_e32 vcc_lo, 1, v124
	v_lshlrev_b64 v[54:55], 2, v[0:1]
	s_cbranch_vccnz .LBB69_188
; %bb.187:
	v_add_co_u32 v60, vcc_lo, v58, v54
	v_add_co_ci_u32_e64 v61, null, v59, v55, vcc_lo
	global_load_dword v60, v[60:61], off
	s_waitcnt vmcnt(0)
	v_mul_f32_e32 v60, s19, v60
	s_branch .LBB69_189
.LBB69_188:
	v_mov_b32_e32 v60, 0
.LBB69_189:
	v_add_f32_e32 v61, v35, v51
	v_add_f32_e32 v62, v34, v50
	v_add_f32_e32 v63, v37, v53
	v_add_f32_e32 v64, v36, v52
	v_add_co_u32 v54, vcc_lo, v56, v54
	v_min3_f32 v61, v62, v61, v121
	v_add_co_ci_u32_e64 v55, null, v57, v55, vcc_lo
	v_min_f32_e32 v62, v64, v63
	v_min3_f32 v60, v60, v62, v61
	global_store_dword v[54:55], v60, off
	s_or_b32 exec_lo, exec_lo, s12
	s_and_b32 s15, s1, s8
	s_and_saveexec_b32 s12, s15
	s_cbranch_execz .LBB69_180
.LBB69_190:
	v_cmp_ne_u32_e32 vcc_lo, 1, v124
	v_lshlrev_b64 v[54:55], 2, v[66:67]
	s_cbranch_vccnz .LBB69_192
; %bb.191:
	v_add_co_u32 v60, vcc_lo, v58, v54
	v_add_co_ci_u32_e64 v61, null, v59, v55, vcc_lo
	global_load_dword v60, v[60:61], off
	s_waitcnt vmcnt(0)
	v_mul_f32_e32 v60, s19, v60
	s_branch .LBB69_193
.LBB69_192:
	v_mov_b32_e32 v60, 0
.LBB69_193:
	v_add_f32_e32 v61, v31, v51
	v_add_f32_e32 v62, v30, v50
	;; [unrolled: 1-line block ×4, first 2 shown]
	v_add_co_u32 v54, vcc_lo, v56, v54
	v_min3_f32 v61, v62, v61, v120
	v_add_co_ci_u32_e64 v55, null, v57, v55, vcc_lo
	v_min_f32_e32 v62, v64, v63
	v_min3_f32 v60, v60, v62, v61
	global_store_dword v[54:55], v60, off
	s_or_b32 exec_lo, exec_lo, s12
	s_and_b32 s15, s2, s8
	s_and_saveexec_b32 s12, s15
	s_cbranch_execz .LBB69_181
.LBB69_194:
	v_cmp_ne_u32_e32 vcc_lo, 1, v124
	v_lshlrev_b64 v[54:55], 2, v[68:69]
	s_cbranch_vccnz .LBB69_196
; %bb.195:
	v_add_co_u32 v60, vcc_lo, v58, v54
	v_add_co_ci_u32_e64 v61, null, v59, v55, vcc_lo
	global_load_dword v60, v[60:61], off
	s_waitcnt vmcnt(0)
	v_mul_f32_e32 v60, s19, v60
	s_branch .LBB69_197
.LBB69_196:
	v_mov_b32_e32 v60, 0
.LBB69_197:
	v_add_f32_e32 v61, v27, v51
	v_add_f32_e32 v62, v26, v50
	;; [unrolled: 1-line block ×4, first 2 shown]
	v_add_co_u32 v54, vcc_lo, v56, v54
	v_min3_f32 v61, v62, v61, v119
	v_add_co_ci_u32_e64 v55, null, v57, v55, vcc_lo
	v_min_f32_e32 v62, v64, v63
	v_min3_f32 v60, v60, v62, v61
	global_store_dword v[54:55], v60, off
	s_or_b32 exec_lo, exec_lo, s12
	s_and_b32 s15, s3, s8
	s_and_saveexec_b32 s12, s15
	s_cbranch_execz .LBB69_182
.LBB69_198:
	v_cmp_ne_u32_e32 vcc_lo, 1, v124
	v_lshlrev_b64 v[54:55], 2, v[70:71]
	s_cbranch_vccnz .LBB69_200
; %bb.199:
	v_add_co_u32 v60, vcc_lo, v58, v54
	v_add_co_ci_u32_e64 v61, null, v59, v55, vcc_lo
	global_load_dword v60, v[60:61], off
	s_waitcnt vmcnt(0)
	v_mul_f32_e32 v60, s19, v60
	s_branch .LBB69_201
.LBB69_200:
	v_mov_b32_e32 v60, 0
.LBB69_201:
	v_add_f32_e32 v61, v23, v51
	v_add_f32_e32 v62, v22, v50
	;; [unrolled: 1-line block ×4, first 2 shown]
	v_add_co_u32 v54, vcc_lo, v56, v54
	v_min3_f32 v61, v62, v61, v118
	v_add_co_ci_u32_e64 v55, null, v57, v55, vcc_lo
	v_min_f32_e32 v62, v64, v63
	v_min3_f32 v60, v60, v62, v61
	global_store_dword v[54:55], v60, off
	s_or_b32 exec_lo, exec_lo, s12
	s_and_b32 s15, s4, s8
	s_and_saveexec_b32 s12, s15
	s_cbranch_execz .LBB69_183
.LBB69_202:
	v_cmp_ne_u32_e32 vcc_lo, 1, v124
	v_lshlrev_b64 v[54:55], 2, v[72:73]
	s_cbranch_vccnz .LBB69_204
; %bb.203:
	v_add_co_u32 v60, vcc_lo, v58, v54
	v_add_co_ci_u32_e64 v61, null, v59, v55, vcc_lo
	global_load_dword v60, v[60:61], off
	s_waitcnt vmcnt(0)
	v_mul_f32_e32 v60, s19, v60
	s_branch .LBB69_205
.LBB69_204:
	v_mov_b32_e32 v60, 0
.LBB69_205:
	v_add_f32_e32 v61, v19, v51
	v_add_f32_e32 v62, v18, v50
	;; [unrolled: 1-line block ×4, first 2 shown]
	v_add_co_u32 v54, vcc_lo, v56, v54
	v_min3_f32 v61, v62, v61, v117
	v_add_co_ci_u32_e64 v55, null, v57, v55, vcc_lo
	v_min_f32_e32 v62, v64, v63
	v_min3_f32 v60, v60, v62, v61
	global_store_dword v[54:55], v60, off
	s_or_b32 exec_lo, exec_lo, s12
	s_and_b32 s15, s5, s8
	s_and_saveexec_b32 s12, s15
	s_cbranch_execz .LBB69_184
.LBB69_206:
	v_cmp_ne_u32_e32 vcc_lo, 1, v124
	v_lshlrev_b64 v[54:55], 2, v[74:75]
	s_cbranch_vccnz .LBB69_208
; %bb.207:
	v_add_co_u32 v60, vcc_lo, v58, v54
	v_add_co_ci_u32_e64 v61, null, v59, v55, vcc_lo
	global_load_dword v60, v[60:61], off
	s_waitcnt vmcnt(0)
	v_mul_f32_e32 v60, s19, v60
	s_branch .LBB69_209
.LBB69_208:
	v_mov_b32_e32 v60, 0
.LBB69_209:
	v_add_f32_e32 v61, v15, v51
	v_add_f32_e32 v62, v14, v50
	;; [unrolled: 1-line block ×4, first 2 shown]
	v_add_co_u32 v54, vcc_lo, v56, v54
	v_min3_f32 v61, v62, v61, v116
	v_add_co_ci_u32_e64 v55, null, v57, v55, vcc_lo
	v_min_f32_e32 v62, v64, v63
	v_min3_f32 v60, v60, v62, v61
	global_store_dword v[54:55], v60, off
	s_or_b32 exec_lo, exec_lo, s12
	s_and_b32 s15, s6, s8
	s_and_saveexec_b32 s12, s15
	s_cbranch_execz .LBB69_185
.LBB69_210:
	v_cmp_ne_u32_e32 vcc_lo, 1, v124
	v_lshlrev_b64 v[54:55], 2, v[76:77]
	s_cbranch_vccnz .LBB69_212
; %bb.211:
	v_add_co_u32 v60, vcc_lo, v58, v54
	v_add_co_ci_u32_e64 v61, null, v59, v55, vcc_lo
	global_load_dword v60, v[60:61], off
	s_waitcnt vmcnt(0)
	v_mul_f32_e32 v60, s19, v60
	s_branch .LBB69_213
.LBB69_212:
	v_mov_b32_e32 v60, 0
.LBB69_213:
	v_add_f32_e32 v61, v11, v51
	v_add_f32_e32 v62, v10, v50
	;; [unrolled: 1-line block ×4, first 2 shown]
	v_add_co_u32 v54, vcc_lo, v56, v54
	v_min3_f32 v61, v62, v61, v115
	v_add_co_ci_u32_e64 v55, null, v57, v55, vcc_lo
	v_min_f32_e32 v62, v64, v63
	v_min3_f32 v60, v60, v62, v61
	global_store_dword v[54:55], v60, off
	s_or_b32 exec_lo, exec_lo, s12
	s_and_b32 s12, s7, s8
	s_and_saveexec_b32 s8, s12
	s_cbranch_execz .LBB69_218
.LBB69_214:
	v_cmp_ne_u32_e32 vcc_lo, 1, v124
	v_lshlrev_b64 v[54:55], 2, v[78:79]
	s_cbranch_vccnz .LBB69_216
; %bb.215:
	v_add_co_u32 v58, vcc_lo, v58, v54
	v_add_co_ci_u32_e64 v59, null, v59, v55, vcc_lo
	global_load_dword v58, v[58:59], off
	s_waitcnt vmcnt(0)
	v_mul_f32_e32 v58, s19, v58
	s_branch .LBB69_217
.LBB69_216:
	v_mov_b32_e32 v58, 0
.LBB69_217:
	v_add_f32_e32 v51, v3, v51
	v_add_f32_e32 v50, v2, v50
	;; [unrolled: 1-line block ×4, first 2 shown]
	v_min3_f32 v50, v50, v51, v114
	v_min_f32_e32 v51, v52, v53
	v_min3_f32 v52, v58, v51, v50
	v_add_co_u32 v50, vcc_lo, v56, v54
	v_add_co_ci_u32_e64 v51, null, v57, v55, vcc_lo
	global_store_dword v[50:51], v52, off
.LBB69_218:
	s_or_b32 exec_lo, exec_lo, s8
	v_add_nc_u32_e32 v54, 0x80, v134
	v_mad_i64_i32 v[50:51], null, v54, s14, 0
	v_mad_i64_i32 v[52:53], null, v54, s9, 0
	v_cmp_gt_i32_e64 s8, s13, v54
	v_lshlrev_b64 v[50:51], 2, v[50:51]
	s_and_b32 s15, s0, s8
	v_lshlrev_b64 v[52:53], 2, v[52:53]
	v_add_co_u32 v54, vcc_lo, s16, v50
	v_add_co_ci_u32_e64 v55, null, s17, v51, vcc_lo
	v_add_co_u32 v52, vcc_lo, s10, v52
	v_add_co_ci_u32_e64 v53, null, s11, v53, vcc_lo
	s_and_saveexec_b32 s12, s15
	s_cbranch_execnz .LBB69_226
; %bb.219:
	s_or_b32 exec_lo, exec_lo, s12
	s_and_b32 s15, s1, s8
	s_and_saveexec_b32 s12, s15
	s_cbranch_execnz .LBB69_230
.LBB69_220:
	s_or_b32 exec_lo, exec_lo, s12
	s_and_b32 s15, s2, s8
	s_and_saveexec_b32 s12, s15
	s_cbranch_execnz .LBB69_234
.LBB69_221:
	s_or_b32 exec_lo, exec_lo, s12
	s_and_b32 s15, s3, s8
	s_and_saveexec_b32 s12, s15
	s_cbranch_execnz .LBB69_238
.LBB69_222:
	s_or_b32 exec_lo, exec_lo, s12
	s_and_b32 s15, s4, s8
	s_and_saveexec_b32 s12, s15
	s_cbranch_execnz .LBB69_242
.LBB69_223:
	s_or_b32 exec_lo, exec_lo, s12
	s_and_b32 s15, s5, s8
	s_and_saveexec_b32 s12, s15
	s_cbranch_execnz .LBB69_246
.LBB69_224:
	s_or_b32 exec_lo, exec_lo, s12
	s_and_b32 s15, s6, s8
	s_and_saveexec_b32 s12, s15
	s_cbranch_execnz .LBB69_250
.LBB69_225:
	s_or_b32 exec_lo, exec_lo, s12
	s_and_b32 s12, s7, s8
	s_and_saveexec_b32 s8, s12
	s_cbranch_execnz .LBB69_254
	s_branch .LBB69_258
.LBB69_226:
	v_cmp_ne_u32_e32 vcc_lo, 1, v124
	v_lshlrev_b64 v[50:51], 2, v[0:1]
	s_cbranch_vccnz .LBB69_228
; %bb.227:
	v_add_co_u32 v56, vcc_lo, v54, v50
	v_add_co_ci_u32_e64 v57, null, v55, v51, vcc_lo
	global_load_dword v56, v[56:57], off
	s_waitcnt vmcnt(0)
	v_mul_f32_e32 v56, s19, v56
	s_branch .LBB69_229
.LBB69_228:
	v_mov_b32_e32 v56, 0
.LBB69_229:
	v_add_f32_e32 v57, v35, v47
	v_add_f32_e32 v58, v34, v46
	;; [unrolled: 1-line block ×4, first 2 shown]
	v_add_co_u32 v50, vcc_lo, v52, v50
	v_min3_f32 v57, v58, v57, v113
	v_add_co_ci_u32_e64 v51, null, v53, v51, vcc_lo
	v_min_f32_e32 v58, v60, v59
	v_min3_f32 v56, v56, v58, v57
	global_store_dword v[50:51], v56, off
	s_or_b32 exec_lo, exec_lo, s12
	s_and_b32 s15, s1, s8
	s_and_saveexec_b32 s12, s15
	s_cbranch_execz .LBB69_220
.LBB69_230:
	v_cmp_ne_u32_e32 vcc_lo, 1, v124
	v_lshlrev_b64 v[50:51], 2, v[66:67]
	s_cbranch_vccnz .LBB69_232
; %bb.231:
	v_add_co_u32 v56, vcc_lo, v54, v50
	v_add_co_ci_u32_e64 v57, null, v55, v51, vcc_lo
	global_load_dword v56, v[56:57], off
	s_waitcnt vmcnt(0)
	v_mul_f32_e32 v56, s19, v56
	s_branch .LBB69_233
.LBB69_232:
	v_mov_b32_e32 v56, 0
.LBB69_233:
	v_add_f32_e32 v57, v31, v47
	v_add_f32_e32 v58, v30, v46
	;; [unrolled: 1-line block ×4, first 2 shown]
	v_add_co_u32 v50, vcc_lo, v52, v50
	v_min3_f32 v57, v58, v57, v112
	v_add_co_ci_u32_e64 v51, null, v53, v51, vcc_lo
	v_min_f32_e32 v58, v60, v59
	v_min3_f32 v56, v56, v58, v57
	global_store_dword v[50:51], v56, off
	s_or_b32 exec_lo, exec_lo, s12
	s_and_b32 s15, s2, s8
	s_and_saveexec_b32 s12, s15
	s_cbranch_execz .LBB69_221
.LBB69_234:
	v_cmp_ne_u32_e32 vcc_lo, 1, v124
	v_lshlrev_b64 v[50:51], 2, v[68:69]
	s_cbranch_vccnz .LBB69_236
; %bb.235:
	v_add_co_u32 v56, vcc_lo, v54, v50
	v_add_co_ci_u32_e64 v57, null, v55, v51, vcc_lo
	global_load_dword v56, v[56:57], off
	s_waitcnt vmcnt(0)
	v_mul_f32_e32 v56, s19, v56
	s_branch .LBB69_237
.LBB69_236:
	v_mov_b32_e32 v56, 0
.LBB69_237:
	v_add_f32_e32 v57, v27, v47
	v_add_f32_e32 v58, v26, v46
	;; [unrolled: 1-line block ×4, first 2 shown]
	v_add_co_u32 v50, vcc_lo, v52, v50
	v_min3_f32 v57, v58, v57, v111
	v_add_co_ci_u32_e64 v51, null, v53, v51, vcc_lo
	v_min_f32_e32 v58, v60, v59
	v_min3_f32 v56, v56, v58, v57
	global_store_dword v[50:51], v56, off
	s_or_b32 exec_lo, exec_lo, s12
	s_and_b32 s15, s3, s8
	s_and_saveexec_b32 s12, s15
	s_cbranch_execz .LBB69_222
.LBB69_238:
	v_cmp_ne_u32_e32 vcc_lo, 1, v124
	v_lshlrev_b64 v[50:51], 2, v[70:71]
	s_cbranch_vccnz .LBB69_240
; %bb.239:
	v_add_co_u32 v56, vcc_lo, v54, v50
	v_add_co_ci_u32_e64 v57, null, v55, v51, vcc_lo
	global_load_dword v56, v[56:57], off
	s_waitcnt vmcnt(0)
	v_mul_f32_e32 v56, s19, v56
	s_branch .LBB69_241
.LBB69_240:
	v_mov_b32_e32 v56, 0
.LBB69_241:
	v_add_f32_e32 v57, v23, v47
	v_add_f32_e32 v58, v22, v46
	;; [unrolled: 1-line block ×4, first 2 shown]
	v_add_co_u32 v50, vcc_lo, v52, v50
	v_min3_f32 v57, v58, v57, v110
	v_add_co_ci_u32_e64 v51, null, v53, v51, vcc_lo
	v_min_f32_e32 v58, v60, v59
	v_min3_f32 v56, v56, v58, v57
	global_store_dword v[50:51], v56, off
	s_or_b32 exec_lo, exec_lo, s12
	s_and_b32 s15, s4, s8
	s_and_saveexec_b32 s12, s15
	s_cbranch_execz .LBB69_223
.LBB69_242:
	v_cmp_ne_u32_e32 vcc_lo, 1, v124
	v_lshlrev_b64 v[50:51], 2, v[72:73]
	s_cbranch_vccnz .LBB69_244
; %bb.243:
	v_add_co_u32 v56, vcc_lo, v54, v50
	v_add_co_ci_u32_e64 v57, null, v55, v51, vcc_lo
	global_load_dword v56, v[56:57], off
	s_waitcnt vmcnt(0)
	v_mul_f32_e32 v56, s19, v56
	s_branch .LBB69_245
.LBB69_244:
	v_mov_b32_e32 v56, 0
.LBB69_245:
	v_add_f32_e32 v57, v19, v47
	v_add_f32_e32 v58, v18, v46
	v_add_f32_e32 v59, v21, v49
	v_add_f32_e32 v60, v20, v48
	v_add_co_u32 v50, vcc_lo, v52, v50
	v_min3_f32 v57, v58, v57, v109
	v_add_co_ci_u32_e64 v51, null, v53, v51, vcc_lo
	v_min_f32_e32 v58, v60, v59
	v_min3_f32 v56, v56, v58, v57
	global_store_dword v[50:51], v56, off
	s_or_b32 exec_lo, exec_lo, s12
	s_and_b32 s15, s5, s8
	s_and_saveexec_b32 s12, s15
	s_cbranch_execz .LBB69_224
.LBB69_246:
	v_cmp_ne_u32_e32 vcc_lo, 1, v124
	v_lshlrev_b64 v[50:51], 2, v[74:75]
	s_cbranch_vccnz .LBB69_248
; %bb.247:
	v_add_co_u32 v56, vcc_lo, v54, v50
	v_add_co_ci_u32_e64 v57, null, v55, v51, vcc_lo
	global_load_dword v56, v[56:57], off
	s_waitcnt vmcnt(0)
	v_mul_f32_e32 v56, s19, v56
	s_branch .LBB69_249
.LBB69_248:
	v_mov_b32_e32 v56, 0
.LBB69_249:
	v_add_f32_e32 v57, v15, v47
	v_add_f32_e32 v58, v14, v46
	;; [unrolled: 1-line block ×4, first 2 shown]
	v_add_co_u32 v50, vcc_lo, v52, v50
	v_min3_f32 v57, v58, v57, v108
	v_add_co_ci_u32_e64 v51, null, v53, v51, vcc_lo
	v_min_f32_e32 v58, v60, v59
	v_min3_f32 v56, v56, v58, v57
	global_store_dword v[50:51], v56, off
	s_or_b32 exec_lo, exec_lo, s12
	s_and_b32 s15, s6, s8
	s_and_saveexec_b32 s12, s15
	s_cbranch_execz .LBB69_225
.LBB69_250:
	v_cmp_ne_u32_e32 vcc_lo, 1, v124
	v_lshlrev_b64 v[50:51], 2, v[76:77]
	s_cbranch_vccnz .LBB69_252
; %bb.251:
	v_add_co_u32 v56, vcc_lo, v54, v50
	v_add_co_ci_u32_e64 v57, null, v55, v51, vcc_lo
	global_load_dword v56, v[56:57], off
	s_waitcnt vmcnt(0)
	v_mul_f32_e32 v56, s19, v56
	s_branch .LBB69_253
.LBB69_252:
	v_mov_b32_e32 v56, 0
.LBB69_253:
	v_add_f32_e32 v57, v11, v47
	v_add_f32_e32 v58, v10, v46
	;; [unrolled: 1-line block ×4, first 2 shown]
	v_add_co_u32 v50, vcc_lo, v52, v50
	v_min3_f32 v57, v58, v57, v107
	v_add_co_ci_u32_e64 v51, null, v53, v51, vcc_lo
	v_min_f32_e32 v58, v60, v59
	v_min3_f32 v56, v56, v58, v57
	global_store_dword v[50:51], v56, off
	s_or_b32 exec_lo, exec_lo, s12
	s_and_b32 s12, s7, s8
	s_and_saveexec_b32 s8, s12
	s_cbranch_execz .LBB69_258
.LBB69_254:
	v_cmp_ne_u32_e32 vcc_lo, 1, v124
	v_lshlrev_b64 v[50:51], 2, v[78:79]
	s_cbranch_vccnz .LBB69_256
; %bb.255:
	v_add_co_u32 v54, vcc_lo, v54, v50
	v_add_co_ci_u32_e64 v55, null, v55, v51, vcc_lo
	global_load_dword v54, v[54:55], off
	s_waitcnt vmcnt(0)
	v_mul_f32_e32 v54, s19, v54
	s_branch .LBB69_257
.LBB69_256:
	v_mov_b32_e32 v54, 0
.LBB69_257:
	v_add_f32_e32 v47, v3, v47
	v_add_f32_e32 v46, v2, v46
	;; [unrolled: 1-line block ×4, first 2 shown]
	v_min3_f32 v46, v46, v47, v106
	v_min_f32_e32 v47, v48, v49
	v_min3_f32 v48, v54, v47, v46
	v_add_co_u32 v46, vcc_lo, v52, v50
	v_add_co_ci_u32_e64 v47, null, v53, v51, vcc_lo
	global_store_dword v[46:47], v48, off
.LBB69_258:
	s_or_b32 exec_lo, exec_lo, s8
	v_add_nc_u32_e32 v50, 0xa0, v134
	v_mad_i64_i32 v[46:47], null, v50, s14, 0
	v_mad_i64_i32 v[48:49], null, v50, s9, 0
	v_cmp_gt_i32_e64 s8, s13, v50
	v_lshlrev_b64 v[46:47], 2, v[46:47]
	s_and_b32 s15, s0, s8
	v_lshlrev_b64 v[48:49], 2, v[48:49]
	v_add_co_u32 v50, vcc_lo, s16, v46
	v_add_co_ci_u32_e64 v51, null, s17, v47, vcc_lo
	v_add_co_u32 v48, vcc_lo, s10, v48
	v_add_co_ci_u32_e64 v49, null, s11, v49, vcc_lo
	s_and_saveexec_b32 s12, s15
	s_cbranch_execnz .LBB69_266
; %bb.259:
	s_or_b32 exec_lo, exec_lo, s12
	s_and_b32 s15, s1, s8
	s_and_saveexec_b32 s12, s15
	s_cbranch_execnz .LBB69_270
.LBB69_260:
	s_or_b32 exec_lo, exec_lo, s12
	s_and_b32 s15, s2, s8
	s_and_saveexec_b32 s12, s15
	s_cbranch_execnz .LBB69_274
.LBB69_261:
	s_or_b32 exec_lo, exec_lo, s12
	s_and_b32 s15, s3, s8
	s_and_saveexec_b32 s12, s15
	s_cbranch_execnz .LBB69_278
.LBB69_262:
	s_or_b32 exec_lo, exec_lo, s12
	s_and_b32 s15, s4, s8
	s_and_saveexec_b32 s12, s15
	s_cbranch_execnz .LBB69_282
.LBB69_263:
	s_or_b32 exec_lo, exec_lo, s12
	s_and_b32 s15, s5, s8
	s_and_saveexec_b32 s12, s15
	s_cbranch_execnz .LBB69_286
.LBB69_264:
	s_or_b32 exec_lo, exec_lo, s12
	s_and_b32 s15, s6, s8
	s_and_saveexec_b32 s12, s15
	s_cbranch_execnz .LBB69_290
.LBB69_265:
	s_or_b32 exec_lo, exec_lo, s12
	s_and_b32 s12, s7, s8
	s_and_saveexec_b32 s8, s12
	s_cbranch_execnz .LBB69_294
	s_branch .LBB69_298
.LBB69_266:
	v_cmp_ne_u32_e32 vcc_lo, 1, v124
	v_lshlrev_b64 v[46:47], 2, v[0:1]
	s_cbranch_vccnz .LBB69_268
; %bb.267:
	v_add_co_u32 v52, vcc_lo, v50, v46
	v_add_co_ci_u32_e64 v53, null, v51, v47, vcc_lo
	global_load_dword v52, v[52:53], off
	s_waitcnt vmcnt(0)
	v_mul_f32_e32 v52, s19, v52
	s_branch .LBB69_269
.LBB69_268:
	v_mov_b32_e32 v52, 0
.LBB69_269:
	v_add_f32_e32 v53, v35, v43
	v_add_f32_e32 v54, v34, v42
	;; [unrolled: 1-line block ×4, first 2 shown]
	v_add_co_u32 v46, vcc_lo, v48, v46
	v_min3_f32 v53, v54, v53, v105
	v_add_co_ci_u32_e64 v47, null, v49, v47, vcc_lo
	v_min_f32_e32 v54, v56, v55
	v_min3_f32 v52, v52, v54, v53
	global_store_dword v[46:47], v52, off
	s_or_b32 exec_lo, exec_lo, s12
	s_and_b32 s15, s1, s8
	s_and_saveexec_b32 s12, s15
	s_cbranch_execz .LBB69_260
.LBB69_270:
	v_cmp_ne_u32_e32 vcc_lo, 1, v124
	v_lshlrev_b64 v[46:47], 2, v[66:67]
	s_cbranch_vccnz .LBB69_272
; %bb.271:
	v_add_co_u32 v52, vcc_lo, v50, v46
	v_add_co_ci_u32_e64 v53, null, v51, v47, vcc_lo
	global_load_dword v52, v[52:53], off
	s_waitcnt vmcnt(0)
	v_mul_f32_e32 v52, s19, v52
	s_branch .LBB69_273
.LBB69_272:
	v_mov_b32_e32 v52, 0
.LBB69_273:
	v_add_f32_e32 v53, v31, v43
	v_add_f32_e32 v54, v30, v42
	;; [unrolled: 1-line block ×4, first 2 shown]
	v_add_co_u32 v46, vcc_lo, v48, v46
	v_min3_f32 v53, v54, v53, v104
	v_add_co_ci_u32_e64 v47, null, v49, v47, vcc_lo
	v_min_f32_e32 v54, v56, v55
	v_min3_f32 v52, v52, v54, v53
	global_store_dword v[46:47], v52, off
	s_or_b32 exec_lo, exec_lo, s12
	s_and_b32 s15, s2, s8
	s_and_saveexec_b32 s12, s15
	s_cbranch_execz .LBB69_261
.LBB69_274:
	v_cmp_ne_u32_e32 vcc_lo, 1, v124
	v_lshlrev_b64 v[46:47], 2, v[68:69]
	s_cbranch_vccnz .LBB69_276
; %bb.275:
	v_add_co_u32 v52, vcc_lo, v50, v46
	v_add_co_ci_u32_e64 v53, null, v51, v47, vcc_lo
	global_load_dword v52, v[52:53], off
	s_waitcnt vmcnt(0)
	v_mul_f32_e32 v52, s19, v52
	s_branch .LBB69_277
.LBB69_276:
	v_mov_b32_e32 v52, 0
.LBB69_277:
	v_add_f32_e32 v53, v27, v43
	v_add_f32_e32 v54, v26, v42
	;; [unrolled: 1-line block ×4, first 2 shown]
	v_add_co_u32 v46, vcc_lo, v48, v46
	v_min3_f32 v53, v54, v53, v103
	v_add_co_ci_u32_e64 v47, null, v49, v47, vcc_lo
	v_min_f32_e32 v54, v56, v55
	v_min3_f32 v52, v52, v54, v53
	global_store_dword v[46:47], v52, off
	s_or_b32 exec_lo, exec_lo, s12
	s_and_b32 s15, s3, s8
	s_and_saveexec_b32 s12, s15
	s_cbranch_execz .LBB69_262
.LBB69_278:
	v_cmp_ne_u32_e32 vcc_lo, 1, v124
	v_lshlrev_b64 v[46:47], 2, v[70:71]
	s_cbranch_vccnz .LBB69_280
; %bb.279:
	v_add_co_u32 v52, vcc_lo, v50, v46
	v_add_co_ci_u32_e64 v53, null, v51, v47, vcc_lo
	global_load_dword v52, v[52:53], off
	s_waitcnt vmcnt(0)
	v_mul_f32_e32 v52, s19, v52
	s_branch .LBB69_281
.LBB69_280:
	v_mov_b32_e32 v52, 0
.LBB69_281:
	v_add_f32_e32 v53, v23, v43
	v_add_f32_e32 v54, v22, v42
	;; [unrolled: 1-line block ×4, first 2 shown]
	v_add_co_u32 v46, vcc_lo, v48, v46
	v_min3_f32 v53, v54, v53, v102
	v_add_co_ci_u32_e64 v47, null, v49, v47, vcc_lo
	v_min_f32_e32 v54, v56, v55
	v_min3_f32 v52, v52, v54, v53
	global_store_dword v[46:47], v52, off
	s_or_b32 exec_lo, exec_lo, s12
	s_and_b32 s15, s4, s8
	s_and_saveexec_b32 s12, s15
	s_cbranch_execz .LBB69_263
.LBB69_282:
	v_cmp_ne_u32_e32 vcc_lo, 1, v124
	v_lshlrev_b64 v[46:47], 2, v[72:73]
	s_cbranch_vccnz .LBB69_284
; %bb.283:
	v_add_co_u32 v52, vcc_lo, v50, v46
	v_add_co_ci_u32_e64 v53, null, v51, v47, vcc_lo
	global_load_dword v52, v[52:53], off
	s_waitcnt vmcnt(0)
	v_mul_f32_e32 v52, s19, v52
	s_branch .LBB69_285
.LBB69_284:
	v_mov_b32_e32 v52, 0
.LBB69_285:
	v_add_f32_e32 v53, v19, v43
	v_add_f32_e32 v54, v18, v42
	;; [unrolled: 1-line block ×4, first 2 shown]
	v_add_co_u32 v46, vcc_lo, v48, v46
	v_min3_f32 v53, v54, v53, v101
	v_add_co_ci_u32_e64 v47, null, v49, v47, vcc_lo
	v_min_f32_e32 v54, v56, v55
	v_min3_f32 v52, v52, v54, v53
	global_store_dword v[46:47], v52, off
	s_or_b32 exec_lo, exec_lo, s12
	s_and_b32 s15, s5, s8
	s_and_saveexec_b32 s12, s15
	s_cbranch_execz .LBB69_264
.LBB69_286:
	v_cmp_ne_u32_e32 vcc_lo, 1, v124
	v_lshlrev_b64 v[46:47], 2, v[74:75]
	s_cbranch_vccnz .LBB69_288
; %bb.287:
	v_add_co_u32 v52, vcc_lo, v50, v46
	v_add_co_ci_u32_e64 v53, null, v51, v47, vcc_lo
	global_load_dword v52, v[52:53], off
	s_waitcnt vmcnt(0)
	v_mul_f32_e32 v52, s19, v52
	s_branch .LBB69_289
.LBB69_288:
	v_mov_b32_e32 v52, 0
.LBB69_289:
	v_add_f32_e32 v53, v15, v43
	v_add_f32_e32 v54, v14, v42
	;; [unrolled: 1-line block ×4, first 2 shown]
	v_add_co_u32 v46, vcc_lo, v48, v46
	v_min3_f32 v53, v54, v53, v100
	v_add_co_ci_u32_e64 v47, null, v49, v47, vcc_lo
	v_min_f32_e32 v54, v56, v55
	v_min3_f32 v52, v52, v54, v53
	global_store_dword v[46:47], v52, off
	s_or_b32 exec_lo, exec_lo, s12
	s_and_b32 s15, s6, s8
	s_and_saveexec_b32 s12, s15
	s_cbranch_execz .LBB69_265
.LBB69_290:
	v_cmp_ne_u32_e32 vcc_lo, 1, v124
	v_lshlrev_b64 v[46:47], 2, v[76:77]
	s_cbranch_vccnz .LBB69_292
; %bb.291:
	v_add_co_u32 v52, vcc_lo, v50, v46
	v_add_co_ci_u32_e64 v53, null, v51, v47, vcc_lo
	global_load_dword v52, v[52:53], off
	s_waitcnt vmcnt(0)
	v_mul_f32_e32 v52, s19, v52
	s_branch .LBB69_293
.LBB69_292:
	v_mov_b32_e32 v52, 0
.LBB69_293:
	v_add_f32_e32 v53, v11, v43
	v_add_f32_e32 v54, v10, v42
	;; [unrolled: 1-line block ×4, first 2 shown]
	v_add_co_u32 v46, vcc_lo, v48, v46
	v_min3_f32 v53, v54, v53, v99
	v_add_co_ci_u32_e64 v47, null, v49, v47, vcc_lo
	v_min_f32_e32 v54, v56, v55
	v_min3_f32 v52, v52, v54, v53
	global_store_dword v[46:47], v52, off
	s_or_b32 exec_lo, exec_lo, s12
	s_and_b32 s12, s7, s8
	s_and_saveexec_b32 s8, s12
	s_cbranch_execz .LBB69_298
.LBB69_294:
	v_cmp_ne_u32_e32 vcc_lo, 1, v124
	v_lshlrev_b64 v[46:47], 2, v[78:79]
	s_cbranch_vccnz .LBB69_296
; %bb.295:
	v_add_co_u32 v50, vcc_lo, v50, v46
	v_add_co_ci_u32_e64 v51, null, v51, v47, vcc_lo
	global_load_dword v50, v[50:51], off
	s_waitcnt vmcnt(0)
	v_mul_f32_e32 v50, s19, v50
	s_branch .LBB69_297
.LBB69_296:
	v_mov_b32_e32 v50, 0
.LBB69_297:
	v_add_f32_e32 v43, v3, v43
	v_add_f32_e32 v42, v2, v42
	;; [unrolled: 1-line block ×4, first 2 shown]
	v_min3_f32 v42, v42, v43, v98
	v_min_f32_e32 v43, v44, v45
	v_min3_f32 v44, v50, v43, v42
	v_add_co_u32 v42, vcc_lo, v48, v46
	v_add_co_ci_u32_e64 v43, null, v49, v47, vcc_lo
	global_store_dword v[42:43], v44, off
.LBB69_298:
	s_or_b32 exec_lo, exec_lo, s8
	v_add_nc_u32_e32 v46, 0xc0, v134
	v_mad_i64_i32 v[42:43], null, v46, s14, 0
	v_mad_i64_i32 v[44:45], null, v46, s9, 0
	v_cmp_gt_i32_e64 s8, s13, v46
	v_lshlrev_b64 v[42:43], 2, v[42:43]
	s_and_b32 s15, s0, s8
	v_lshlrev_b64 v[44:45], 2, v[44:45]
	v_add_co_u32 v46, vcc_lo, s16, v42
	v_add_co_ci_u32_e64 v47, null, s17, v43, vcc_lo
	v_add_co_u32 v44, vcc_lo, s10, v44
	v_add_co_ci_u32_e64 v45, null, s11, v45, vcc_lo
	s_and_saveexec_b32 s12, s15
	s_cbranch_execnz .LBB69_306
; %bb.299:
	s_or_b32 exec_lo, exec_lo, s12
	s_and_b32 s15, s1, s8
	s_and_saveexec_b32 s12, s15
	s_cbranch_execnz .LBB69_310
.LBB69_300:
	s_or_b32 exec_lo, exec_lo, s12
	s_and_b32 s15, s2, s8
	s_and_saveexec_b32 s12, s15
	s_cbranch_execnz .LBB69_314
.LBB69_301:
	s_or_b32 exec_lo, exec_lo, s12
	s_and_b32 s15, s3, s8
	s_and_saveexec_b32 s12, s15
	s_cbranch_execnz .LBB69_318
.LBB69_302:
	s_or_b32 exec_lo, exec_lo, s12
	s_and_b32 s15, s4, s8
	s_and_saveexec_b32 s12, s15
	s_cbranch_execnz .LBB69_322
.LBB69_303:
	s_or_b32 exec_lo, exec_lo, s12
	s_and_b32 s15, s5, s8
	s_and_saveexec_b32 s12, s15
	s_cbranch_execnz .LBB69_326
.LBB69_304:
	s_or_b32 exec_lo, exec_lo, s12
	s_and_b32 s15, s6, s8
	s_and_saveexec_b32 s12, s15
	s_cbranch_execnz .LBB69_330
.LBB69_305:
	s_or_b32 exec_lo, exec_lo, s12
	s_and_b32 s12, s7, s8
	s_and_saveexec_b32 s8, s12
	s_cbranch_execnz .LBB69_334
	s_branch .LBB69_338
.LBB69_306:
	v_cmp_ne_u32_e32 vcc_lo, 1, v124
	v_lshlrev_b64 v[42:43], 2, v[0:1]
	s_cbranch_vccnz .LBB69_308
; %bb.307:
	v_add_co_u32 v48, vcc_lo, v46, v42
	v_add_co_ci_u32_e64 v49, null, v47, v43, vcc_lo
	global_load_dword v48, v[48:49], off
	s_waitcnt vmcnt(0)
	v_mul_f32_e32 v48, s19, v48
	s_branch .LBB69_309
.LBB69_308:
	v_mov_b32_e32 v48, 0
.LBB69_309:
	v_add_f32_e32 v49, v35, v39
	v_add_f32_e32 v50, v34, v38
	;; [unrolled: 1-line block ×4, first 2 shown]
	v_add_co_u32 v42, vcc_lo, v44, v42
	v_min3_f32 v49, v50, v49, v97
	v_add_co_ci_u32_e64 v43, null, v45, v43, vcc_lo
	v_min_f32_e32 v50, v52, v51
	v_min3_f32 v48, v48, v50, v49
	global_store_dword v[42:43], v48, off
	s_or_b32 exec_lo, exec_lo, s12
	s_and_b32 s15, s1, s8
	s_and_saveexec_b32 s12, s15
	s_cbranch_execz .LBB69_300
.LBB69_310:
	v_cmp_ne_u32_e32 vcc_lo, 1, v124
	v_lshlrev_b64 v[42:43], 2, v[66:67]
	s_cbranch_vccnz .LBB69_312
; %bb.311:
	v_add_co_u32 v48, vcc_lo, v46, v42
	v_add_co_ci_u32_e64 v49, null, v47, v43, vcc_lo
	global_load_dword v48, v[48:49], off
	s_waitcnt vmcnt(0)
	v_mul_f32_e32 v48, s19, v48
	s_branch .LBB69_313
.LBB69_312:
	v_mov_b32_e32 v48, 0
.LBB69_313:
	v_add_f32_e32 v49, v31, v39
	v_add_f32_e32 v50, v30, v38
	;; [unrolled: 1-line block ×4, first 2 shown]
	v_add_co_u32 v42, vcc_lo, v44, v42
	v_min3_f32 v49, v50, v49, v96
	v_add_co_ci_u32_e64 v43, null, v45, v43, vcc_lo
	v_min_f32_e32 v50, v52, v51
	v_min3_f32 v48, v48, v50, v49
	global_store_dword v[42:43], v48, off
	s_or_b32 exec_lo, exec_lo, s12
	s_and_b32 s15, s2, s8
	s_and_saveexec_b32 s12, s15
	s_cbranch_execz .LBB69_301
.LBB69_314:
	v_cmp_ne_u32_e32 vcc_lo, 1, v124
	v_lshlrev_b64 v[42:43], 2, v[68:69]
	s_cbranch_vccnz .LBB69_316
; %bb.315:
	v_add_co_u32 v48, vcc_lo, v46, v42
	v_add_co_ci_u32_e64 v49, null, v47, v43, vcc_lo
	global_load_dword v48, v[48:49], off
	s_waitcnt vmcnt(0)
	v_mul_f32_e32 v48, s19, v48
	s_branch .LBB69_317
.LBB69_316:
	v_mov_b32_e32 v48, 0
.LBB69_317:
	v_add_f32_e32 v49, v27, v39
	v_add_f32_e32 v50, v26, v38
	v_add_f32_e32 v51, v29, v41
	v_add_f32_e32 v52, v28, v40
	v_add_co_u32 v42, vcc_lo, v44, v42
	v_min3_f32 v49, v50, v49, v95
	v_add_co_ci_u32_e64 v43, null, v45, v43, vcc_lo
	v_min_f32_e32 v50, v52, v51
	v_min3_f32 v48, v48, v50, v49
	global_store_dword v[42:43], v48, off
	s_or_b32 exec_lo, exec_lo, s12
	s_and_b32 s15, s3, s8
	s_and_saveexec_b32 s12, s15
	s_cbranch_execz .LBB69_302
.LBB69_318:
	v_cmp_ne_u32_e32 vcc_lo, 1, v124
	v_lshlrev_b64 v[42:43], 2, v[70:71]
	s_cbranch_vccnz .LBB69_320
; %bb.319:
	v_add_co_u32 v48, vcc_lo, v46, v42
	v_add_co_ci_u32_e64 v49, null, v47, v43, vcc_lo
	global_load_dword v48, v[48:49], off
	s_waitcnt vmcnt(0)
	v_mul_f32_e32 v48, s19, v48
	s_branch .LBB69_321
.LBB69_320:
	v_mov_b32_e32 v48, 0
.LBB69_321:
	v_add_f32_e32 v49, v23, v39
	v_add_f32_e32 v50, v22, v38
	v_add_f32_e32 v51, v25, v41
	v_add_f32_e32 v52, v24, v40
	v_add_co_u32 v42, vcc_lo, v44, v42
	v_min3_f32 v49, v50, v49, v94
	v_add_co_ci_u32_e64 v43, null, v45, v43, vcc_lo
	v_min_f32_e32 v50, v52, v51
	v_min3_f32 v48, v48, v50, v49
	global_store_dword v[42:43], v48, off
	s_or_b32 exec_lo, exec_lo, s12
	s_and_b32 s15, s4, s8
	s_and_saveexec_b32 s12, s15
	s_cbranch_execz .LBB69_303
.LBB69_322:
	v_cmp_ne_u32_e32 vcc_lo, 1, v124
	v_lshlrev_b64 v[42:43], 2, v[72:73]
	s_cbranch_vccnz .LBB69_324
; %bb.323:
	v_add_co_u32 v48, vcc_lo, v46, v42
	v_add_co_ci_u32_e64 v49, null, v47, v43, vcc_lo
	global_load_dword v48, v[48:49], off
	s_waitcnt vmcnt(0)
	v_mul_f32_e32 v48, s19, v48
	s_branch .LBB69_325
.LBB69_324:
	v_mov_b32_e32 v48, 0
.LBB69_325:
	v_add_f32_e32 v49, v19, v39
	v_add_f32_e32 v50, v18, v38
	;; [unrolled: 1-line block ×4, first 2 shown]
	v_add_co_u32 v42, vcc_lo, v44, v42
	v_min3_f32 v49, v50, v49, v93
	v_add_co_ci_u32_e64 v43, null, v45, v43, vcc_lo
	v_min_f32_e32 v50, v52, v51
	v_min3_f32 v48, v48, v50, v49
	global_store_dword v[42:43], v48, off
	s_or_b32 exec_lo, exec_lo, s12
	s_and_b32 s15, s5, s8
	s_and_saveexec_b32 s12, s15
	s_cbranch_execz .LBB69_304
.LBB69_326:
	v_cmp_ne_u32_e32 vcc_lo, 1, v124
	v_lshlrev_b64 v[42:43], 2, v[74:75]
	s_cbranch_vccnz .LBB69_328
; %bb.327:
	v_add_co_u32 v48, vcc_lo, v46, v42
	v_add_co_ci_u32_e64 v49, null, v47, v43, vcc_lo
	global_load_dword v48, v[48:49], off
	s_waitcnt vmcnt(0)
	v_mul_f32_e32 v48, s19, v48
	s_branch .LBB69_329
.LBB69_328:
	v_mov_b32_e32 v48, 0
.LBB69_329:
	v_add_f32_e32 v49, v15, v39
	v_add_f32_e32 v50, v14, v38
	;; [unrolled: 1-line block ×4, first 2 shown]
	v_add_co_u32 v42, vcc_lo, v44, v42
	v_min3_f32 v49, v50, v49, v91
	v_add_co_ci_u32_e64 v43, null, v45, v43, vcc_lo
	v_min_f32_e32 v50, v52, v51
	v_min3_f32 v48, v48, v50, v49
	global_store_dword v[42:43], v48, off
	s_or_b32 exec_lo, exec_lo, s12
	s_and_b32 s15, s6, s8
	s_and_saveexec_b32 s12, s15
	s_cbranch_execz .LBB69_305
.LBB69_330:
	v_cmp_ne_u32_e32 vcc_lo, 1, v124
	v_lshlrev_b64 v[42:43], 2, v[76:77]
	s_cbranch_vccnz .LBB69_332
; %bb.331:
	v_add_co_u32 v48, vcc_lo, v46, v42
	v_add_co_ci_u32_e64 v49, null, v47, v43, vcc_lo
	global_load_dword v48, v[48:49], off
	s_waitcnt vmcnt(0)
	v_mul_f32_e32 v48, s19, v48
	s_branch .LBB69_333
.LBB69_332:
	v_mov_b32_e32 v48, 0
.LBB69_333:
	v_add_f32_e32 v49, v11, v39
	v_add_f32_e32 v50, v10, v38
	;; [unrolled: 1-line block ×4, first 2 shown]
	v_add_co_u32 v42, vcc_lo, v44, v42
	v_min3_f32 v49, v50, v49, v90
	v_add_co_ci_u32_e64 v43, null, v45, v43, vcc_lo
	v_min_f32_e32 v50, v52, v51
	v_min3_f32 v48, v48, v50, v49
	global_store_dword v[42:43], v48, off
	s_or_b32 exec_lo, exec_lo, s12
	s_and_b32 s12, s7, s8
	s_and_saveexec_b32 s8, s12
	s_cbranch_execz .LBB69_338
.LBB69_334:
	v_cmp_ne_u32_e32 vcc_lo, 1, v124
	v_lshlrev_b64 v[42:43], 2, v[78:79]
	s_cbranch_vccnz .LBB69_336
; %bb.335:
	v_add_co_u32 v46, vcc_lo, v46, v42
	v_add_co_ci_u32_e64 v47, null, v47, v43, vcc_lo
	global_load_dword v46, v[46:47], off
	s_waitcnt vmcnt(0)
	v_mul_f32_e32 v46, s19, v46
	s_branch .LBB69_337
.LBB69_336:
	v_mov_b32_e32 v46, 0
.LBB69_337:
	v_add_f32_e32 v39, v3, v39
	v_add_f32_e32 v38, v2, v38
	;; [unrolled: 1-line block ×4, first 2 shown]
	v_min3_f32 v38, v38, v39, v89
	v_min_f32_e32 v39, v40, v41
	v_min3_f32 v40, v46, v39, v38
	v_add_co_u32 v38, vcc_lo, v44, v42
	v_add_co_ci_u32_e64 v39, null, v45, v43, vcc_lo
	global_store_dword v[38:39], v40, off
.LBB69_338:
	s_or_b32 exec_lo, exec_lo, s8
	v_add_nc_u32_e32 v42, 0xe0, v134
	v_mad_i64_i32 v[38:39], null, v42, s14, 0
	v_mad_i64_i32 v[40:41], null, v42, s9, 0
	v_cmp_gt_i32_e64 s8, s13, v42
	v_lshlrev_b64 v[38:39], 2, v[38:39]
	s_and_b32 s9, s0, s8
	v_lshlrev_b64 v[42:43], 2, v[40:41]
	v_add_co_u32 v40, vcc_lo, s16, v38
	v_add_co_ci_u32_e64 v41, null, s17, v39, vcc_lo
	v_add_co_u32 v38, vcc_lo, s10, v42
	v_add_co_ci_u32_e64 v39, null, s11, v43, vcc_lo
	s_and_saveexec_b32 s0, s9
	s_cbranch_execnz .LBB69_347
; %bb.339:
	s_or_b32 exec_lo, exec_lo, s0
	s_and_b32 s1, s1, s8
	s_and_saveexec_b32 s0, s1
	s_cbranch_execnz .LBB69_351
.LBB69_340:
	s_or_b32 exec_lo, exec_lo, s0
	s_and_b32 s1, s2, s8
	s_and_saveexec_b32 s0, s1
	s_cbranch_execnz .LBB69_355
.LBB69_341:
	s_or_b32 exec_lo, exec_lo, s0
	s_and_b32 s1, s3, s8
	s_and_saveexec_b32 s0, s1
	s_cbranch_execnz .LBB69_359
.LBB69_342:
	s_or_b32 exec_lo, exec_lo, s0
	s_and_b32 s1, s4, s8
	s_and_saveexec_b32 s0, s1
	s_cbranch_execnz .LBB69_363
.LBB69_343:
	s_or_b32 exec_lo, exec_lo, s0
	s_and_b32 s1, s5, s8
	s_and_saveexec_b32 s0, s1
	s_cbranch_execnz .LBB69_367
.LBB69_344:
	s_or_b32 exec_lo, exec_lo, s0
	s_and_b32 s1, s6, s8
	s_and_saveexec_b32 s0, s1
	s_cbranch_execnz .LBB69_371
.LBB69_345:
	s_or_b32 exec_lo, exec_lo, s0
	s_and_b32 s0, s7, s8
	s_and_saveexec_b32 s1, s0
	s_cbranch_execnz .LBB69_375
.LBB69_346:
	s_endpgm
.LBB69_347:
	v_cmp_ne_u32_e32 vcc_lo, 1, v124
	v_lshlrev_b64 v[0:1], 2, v[0:1]
	s_cbranch_vccnz .LBB69_349
; %bb.348:
	v_add_co_u32 v42, vcc_lo, v40, v0
	v_add_co_ci_u32_e64 v43, null, v41, v1, vcc_lo
	global_load_dword v42, v[42:43], off
	s_waitcnt vmcnt(0)
	v_mul_f32_e32 v42, s19, v42
	s_branch .LBB69_350
.LBB69_349:
	v_mov_b32_e32 v42, 0
.LBB69_350:
	v_add_f32_e32 v35, v35, v7
	v_add_f32_e32 v34, v34, v6
	;; [unrolled: 1-line block ×4, first 2 shown]
	v_add_co_u32 v0, vcc_lo, v38, v0
	v_min3_f32 v34, v34, v35, v88
	v_add_co_ci_u32_e64 v1, null, v39, v1, vcc_lo
	v_min_f32_e32 v35, v36, v37
	v_min3_f32 v34, v42, v35, v34
	global_store_dword v[0:1], v34, off
	s_or_b32 exec_lo, exec_lo, s0
	s_and_b32 s1, s1, s8
	s_and_saveexec_b32 s0, s1
	s_cbranch_execz .LBB69_340
.LBB69_351:
	v_cmp_ne_u32_e32 vcc_lo, 1, v124
	v_lshlrev_b64 v[0:1], 2, v[66:67]
	s_cbranch_vccnz .LBB69_353
; %bb.352:
	v_add_co_u32 v34, vcc_lo, v40, v0
	v_add_co_ci_u32_e64 v35, null, v41, v1, vcc_lo
	global_load_dword v34, v[34:35], off
	s_waitcnt vmcnt(0)
	v_mul_f32_e32 v34, s19, v34
	s_branch .LBB69_354
.LBB69_353:
	v_mov_b32_e32 v34, 0
.LBB69_354:
	v_add_f32_e32 v31, v31, v7
	v_add_f32_e32 v30, v30, v6
	;; [unrolled: 1-line block ×4, first 2 shown]
	v_add_co_u32 v0, vcc_lo, v38, v0
	v_min3_f32 v30, v30, v31, v87
	v_add_co_ci_u32_e64 v1, null, v39, v1, vcc_lo
	v_min_f32_e32 v31, v32, v33
	v_min3_f32 v30, v34, v31, v30
	global_store_dword v[0:1], v30, off
	s_or_b32 exec_lo, exec_lo, s0
	s_and_b32 s1, s2, s8
	s_and_saveexec_b32 s0, s1
	s_cbranch_execz .LBB69_341
.LBB69_355:
	v_cmp_ne_u32_e32 vcc_lo, 1, v124
	v_lshlrev_b64 v[0:1], 2, v[68:69]
	s_cbranch_vccnz .LBB69_357
; %bb.356:
	v_add_co_u32 v30, vcc_lo, v40, v0
	v_add_co_ci_u32_e64 v31, null, v41, v1, vcc_lo
	global_load_dword v30, v[30:31], off
	s_waitcnt vmcnt(0)
	v_mul_f32_e32 v30, s19, v30
	s_branch .LBB69_358
.LBB69_357:
	v_mov_b32_e32 v30, 0
.LBB69_358:
	v_add_f32_e32 v27, v27, v7
	v_add_f32_e32 v26, v26, v6
	;; [unrolled: 1-line block ×4, first 2 shown]
	v_add_co_u32 v0, vcc_lo, v38, v0
	v_min3_f32 v26, v26, v27, v86
	v_add_co_ci_u32_e64 v1, null, v39, v1, vcc_lo
	v_min_f32_e32 v27, v28, v29
	v_min3_f32 v26, v30, v27, v26
	global_store_dword v[0:1], v26, off
	s_or_b32 exec_lo, exec_lo, s0
	s_and_b32 s1, s3, s8
	s_and_saveexec_b32 s0, s1
	s_cbranch_execz .LBB69_342
.LBB69_359:
	v_cmp_ne_u32_e32 vcc_lo, 1, v124
	v_lshlrev_b64 v[0:1], 2, v[70:71]
	s_cbranch_vccnz .LBB69_361
; %bb.360:
	v_add_co_u32 v26, vcc_lo, v40, v0
	v_add_co_ci_u32_e64 v27, null, v41, v1, vcc_lo
	global_load_dword v26, v[26:27], off
	s_waitcnt vmcnt(0)
	v_mul_f32_e32 v26, s19, v26
	s_branch .LBB69_362
.LBB69_361:
	v_mov_b32_e32 v26, 0
.LBB69_362:
	v_add_f32_e32 v23, v23, v7
	v_add_f32_e32 v22, v22, v6
	;; [unrolled: 1-line block ×4, first 2 shown]
	v_add_co_u32 v0, vcc_lo, v38, v0
	v_min3_f32 v22, v22, v23, v85
	v_add_co_ci_u32_e64 v1, null, v39, v1, vcc_lo
	v_min_f32_e32 v23, v24, v25
	v_min3_f32 v22, v26, v23, v22
	global_store_dword v[0:1], v22, off
	s_or_b32 exec_lo, exec_lo, s0
	s_and_b32 s1, s4, s8
	s_and_saveexec_b32 s0, s1
	s_cbranch_execz .LBB69_343
.LBB69_363:
	v_cmp_ne_u32_e32 vcc_lo, 1, v124
	v_lshlrev_b64 v[0:1], 2, v[72:73]
	s_cbranch_vccnz .LBB69_365
; %bb.364:
	v_add_co_u32 v22, vcc_lo, v40, v0
	v_add_co_ci_u32_e64 v23, null, v41, v1, vcc_lo
	global_load_dword v22, v[22:23], off
	s_waitcnt vmcnt(0)
	v_mul_f32_e32 v22, s19, v22
	s_branch .LBB69_366
.LBB69_365:
	v_mov_b32_e32 v22, 0
.LBB69_366:
	v_add_f32_e32 v19, v19, v7
	v_add_f32_e32 v18, v18, v6
	;; [unrolled: 1-line block ×4, first 2 shown]
	v_add_co_u32 v0, vcc_lo, v38, v0
	v_min3_f32 v18, v18, v19, v84
	v_add_co_ci_u32_e64 v1, null, v39, v1, vcc_lo
	v_min_f32_e32 v19, v20, v21
	v_min3_f32 v18, v22, v19, v18
	global_store_dword v[0:1], v18, off
	s_or_b32 exec_lo, exec_lo, s0
	s_and_b32 s1, s5, s8
	s_and_saveexec_b32 s0, s1
	s_cbranch_execz .LBB69_344
.LBB69_367:
	v_cmp_ne_u32_e32 vcc_lo, 1, v124
	v_lshlrev_b64 v[0:1], 2, v[74:75]
	s_cbranch_vccnz .LBB69_369
; %bb.368:
	v_add_co_u32 v18, vcc_lo, v40, v0
	v_add_co_ci_u32_e64 v19, null, v41, v1, vcc_lo
	global_load_dword v18, v[18:19], off
	s_waitcnt vmcnt(0)
	v_mul_f32_e32 v18, s19, v18
	s_branch .LBB69_370
.LBB69_369:
	v_mov_b32_e32 v18, 0
.LBB69_370:
	v_add_f32_e32 v15, v15, v7
	v_add_f32_e32 v14, v14, v6
	;; [unrolled: 1-line block ×4, first 2 shown]
	v_add_co_u32 v0, vcc_lo, v38, v0
	v_min3_f32 v14, v14, v15, v83
	v_add_co_ci_u32_e64 v1, null, v39, v1, vcc_lo
	v_min_f32_e32 v15, v16, v17
	v_min3_f32 v14, v18, v15, v14
	global_store_dword v[0:1], v14, off
	s_or_b32 exec_lo, exec_lo, s0
	s_and_b32 s1, s6, s8
	s_and_saveexec_b32 s0, s1
	s_cbranch_execz .LBB69_345
.LBB69_371:
	v_cmp_ne_u32_e32 vcc_lo, 1, v124
	v_lshlrev_b64 v[0:1], 2, v[76:77]
	s_cbranch_vccnz .LBB69_373
; %bb.372:
	v_add_co_u32 v14, vcc_lo, v40, v0
	v_add_co_ci_u32_e64 v15, null, v41, v1, vcc_lo
	global_load_dword v14, v[14:15], off
	s_waitcnt vmcnt(0)
	v_mul_f32_e32 v14, s19, v14
	s_branch .LBB69_374
.LBB69_373:
	v_mov_b32_e32 v14, 0
.LBB69_374:
	v_add_f32_e32 v11, v11, v7
	v_add_f32_e32 v10, v10, v6
	v_add_f32_e32 v13, v13, v9
	v_add_f32_e32 v12, v12, v8
	v_add_co_u32 v0, vcc_lo, v38, v0
	v_min3_f32 v10, v10, v11, v82
	v_add_co_ci_u32_e64 v1, null, v39, v1, vcc_lo
	v_min_f32_e32 v11, v12, v13
	v_min3_f32 v10, v14, v11, v10
	global_store_dword v[0:1], v10, off
	s_or_b32 exec_lo, exec_lo, s0
	s_and_b32 s0, s7, s8
	s_and_saveexec_b32 s1, s0
	s_cbranch_execz .LBB69_346
.LBB69_375:
	v_cmp_ne_u32_e32 vcc_lo, 1, v124
	v_lshlrev_b64 v[0:1], 2, v[78:79]
	s_cbranch_vccnz .LBB69_377
; %bb.376:
	v_add_co_u32 v10, vcc_lo, v40, v0
	v_add_co_ci_u32_e64 v11, null, v41, v1, vcc_lo
	global_load_dword v10, v[10:11], off
	s_waitcnt vmcnt(0)
	v_mul_f32_e32 v10, s19, v10
	s_branch .LBB69_378
.LBB69_377:
	v_mov_b32_e32 v10, 0
.LBB69_378:
	v_add_f32_e32 v3, v3, v7
	v_add_f32_e32 v2, v2, v6
	;; [unrolled: 1-line block ×4, first 2 shown]
	v_add_co_u32 v0, vcc_lo, v38, v0
	v_min3_f32 v2, v2, v3, v92
	v_add_co_ci_u32_e64 v1, null, v39, v1, vcc_lo
	v_min_f32_e32 v3, v4, v5
	v_min3_f32 v2, v10, v3, v2
	global_store_dword v[0:1], v2, off
	s_endpgm
	.section	.rodata,"a",@progbits
	.p2align	6, 0x0
	.amdhsa_kernel _ZN12_GLOBAL__N_120geam_min_plus_kernelIf15HIP_vector_typeIfLj2EEfLi8ELi32ELi64ELi256ELi4ELi64ELi4ELi64ELi4ELc78ELc84ELb0ELb1ELb1EPKfS3_fEEviiiT16_PT17_ilS7_ilS5_S7_ilPT18_ili26rocblas_geam_ex_operation_
		.amdhsa_group_segment_fixed_size 10240
		.amdhsa_private_segment_fixed_size 0
		.amdhsa_kernarg_size 136
		.amdhsa_user_sgpr_count 6
		.amdhsa_user_sgpr_private_segment_buffer 1
		.amdhsa_user_sgpr_dispatch_ptr 0
		.amdhsa_user_sgpr_queue_ptr 0
		.amdhsa_user_sgpr_kernarg_segment_ptr 1
		.amdhsa_user_sgpr_dispatch_id 0
		.amdhsa_user_sgpr_flat_scratch_init 0
		.amdhsa_user_sgpr_private_segment_size 0
		.amdhsa_wavefront_size32 1
		.amdhsa_uses_dynamic_stack 0
		.amdhsa_system_sgpr_private_segment_wavefront_offset 0
		.amdhsa_system_sgpr_workgroup_id_x 1
		.amdhsa_system_sgpr_workgroup_id_y 0
		.amdhsa_system_sgpr_workgroup_id_z 1
		.amdhsa_system_sgpr_workgroup_info 0
		.amdhsa_system_vgpr_workitem_id 1
		.amdhsa_next_free_vgpr 155
		.amdhsa_next_free_sgpr 32
		.amdhsa_reserve_vcc 1
		.amdhsa_reserve_flat_scratch 0
		.amdhsa_float_round_mode_32 0
		.amdhsa_float_round_mode_16_64 0
		.amdhsa_float_denorm_mode_32 3
		.amdhsa_float_denorm_mode_16_64 3
		.amdhsa_dx10_clamp 1
		.amdhsa_ieee_mode 1
		.amdhsa_fp16_overflow 0
		.amdhsa_workgroup_processor_mode 1
		.amdhsa_memory_ordered 1
		.amdhsa_forward_progress 1
		.amdhsa_shared_vgpr_count 0
		.amdhsa_exception_fp_ieee_invalid_op 0
		.amdhsa_exception_fp_denorm_src 0
		.amdhsa_exception_fp_ieee_div_zero 0
		.amdhsa_exception_fp_ieee_overflow 0
		.amdhsa_exception_fp_ieee_underflow 0
		.amdhsa_exception_fp_ieee_inexact 0
		.amdhsa_exception_int_div_zero 0
	.end_amdhsa_kernel
	.section	.text._ZN12_GLOBAL__N_120geam_min_plus_kernelIf15HIP_vector_typeIfLj2EEfLi8ELi32ELi64ELi256ELi4ELi64ELi4ELi64ELi4ELc78ELc84ELb0ELb1ELb1EPKfS3_fEEviiiT16_PT17_ilS7_ilS5_S7_ilPT18_ili26rocblas_geam_ex_operation_,"axG",@progbits,_ZN12_GLOBAL__N_120geam_min_plus_kernelIf15HIP_vector_typeIfLj2EEfLi8ELi32ELi64ELi256ELi4ELi64ELi4ELi64ELi4ELc78ELc84ELb0ELb1ELb1EPKfS3_fEEviiiT16_PT17_ilS7_ilS5_S7_ilPT18_ili26rocblas_geam_ex_operation_,comdat
.Lfunc_end69:
	.size	_ZN12_GLOBAL__N_120geam_min_plus_kernelIf15HIP_vector_typeIfLj2EEfLi8ELi32ELi64ELi256ELi4ELi64ELi4ELi64ELi4ELc78ELc84ELb0ELb1ELb1EPKfS3_fEEviiiT16_PT17_ilS7_ilS5_S7_ilPT18_ili26rocblas_geam_ex_operation_, .Lfunc_end69-_ZN12_GLOBAL__N_120geam_min_plus_kernelIf15HIP_vector_typeIfLj2EEfLi8ELi32ELi64ELi256ELi4ELi64ELi4ELi64ELi4ELc78ELc84ELb0ELb1ELb1EPKfS3_fEEviiiT16_PT17_ilS7_ilS5_S7_ilPT18_ili26rocblas_geam_ex_operation_
                                        ; -- End function
	.set _ZN12_GLOBAL__N_120geam_min_plus_kernelIf15HIP_vector_typeIfLj2EEfLi8ELi32ELi64ELi256ELi4ELi64ELi4ELi64ELi4ELc78ELc84ELb0ELb1ELb1EPKfS3_fEEviiiT16_PT17_ilS7_ilS5_S7_ilPT18_ili26rocblas_geam_ex_operation_.num_vgpr, 155
	.set _ZN12_GLOBAL__N_120geam_min_plus_kernelIf15HIP_vector_typeIfLj2EEfLi8ELi32ELi64ELi256ELi4ELi64ELi4ELi64ELi4ELc78ELc84ELb0ELb1ELb1EPKfS3_fEEviiiT16_PT17_ilS7_ilS5_S7_ilPT18_ili26rocblas_geam_ex_operation_.num_agpr, 0
	.set _ZN12_GLOBAL__N_120geam_min_plus_kernelIf15HIP_vector_typeIfLj2EEfLi8ELi32ELi64ELi256ELi4ELi64ELi4ELi64ELi4ELc78ELc84ELb0ELb1ELb1EPKfS3_fEEviiiT16_PT17_ilS7_ilS5_S7_ilPT18_ili26rocblas_geam_ex_operation_.numbered_sgpr, 32
	.set _ZN12_GLOBAL__N_120geam_min_plus_kernelIf15HIP_vector_typeIfLj2EEfLi8ELi32ELi64ELi256ELi4ELi64ELi4ELi64ELi4ELc78ELc84ELb0ELb1ELb1EPKfS3_fEEviiiT16_PT17_ilS7_ilS5_S7_ilPT18_ili26rocblas_geam_ex_operation_.num_named_barrier, 0
	.set _ZN12_GLOBAL__N_120geam_min_plus_kernelIf15HIP_vector_typeIfLj2EEfLi8ELi32ELi64ELi256ELi4ELi64ELi4ELi64ELi4ELc78ELc84ELb0ELb1ELb1EPKfS3_fEEviiiT16_PT17_ilS7_ilS5_S7_ilPT18_ili26rocblas_geam_ex_operation_.private_seg_size, 0
	.set _ZN12_GLOBAL__N_120geam_min_plus_kernelIf15HIP_vector_typeIfLj2EEfLi8ELi32ELi64ELi256ELi4ELi64ELi4ELi64ELi4ELc78ELc84ELb0ELb1ELb1EPKfS3_fEEviiiT16_PT17_ilS7_ilS5_S7_ilPT18_ili26rocblas_geam_ex_operation_.uses_vcc, 1
	.set _ZN12_GLOBAL__N_120geam_min_plus_kernelIf15HIP_vector_typeIfLj2EEfLi8ELi32ELi64ELi256ELi4ELi64ELi4ELi64ELi4ELc78ELc84ELb0ELb1ELb1EPKfS3_fEEviiiT16_PT17_ilS7_ilS5_S7_ilPT18_ili26rocblas_geam_ex_operation_.uses_flat_scratch, 0
	.set _ZN12_GLOBAL__N_120geam_min_plus_kernelIf15HIP_vector_typeIfLj2EEfLi8ELi32ELi64ELi256ELi4ELi64ELi4ELi64ELi4ELc78ELc84ELb0ELb1ELb1EPKfS3_fEEviiiT16_PT17_ilS7_ilS5_S7_ilPT18_ili26rocblas_geam_ex_operation_.has_dyn_sized_stack, 0
	.set _ZN12_GLOBAL__N_120geam_min_plus_kernelIf15HIP_vector_typeIfLj2EEfLi8ELi32ELi64ELi256ELi4ELi64ELi4ELi64ELi4ELc78ELc84ELb0ELb1ELb1EPKfS3_fEEviiiT16_PT17_ilS7_ilS5_S7_ilPT18_ili26rocblas_geam_ex_operation_.has_recursion, 0
	.set _ZN12_GLOBAL__N_120geam_min_plus_kernelIf15HIP_vector_typeIfLj2EEfLi8ELi32ELi64ELi256ELi4ELi64ELi4ELi64ELi4ELc78ELc84ELb0ELb1ELb1EPKfS3_fEEviiiT16_PT17_ilS7_ilS5_S7_ilPT18_ili26rocblas_geam_ex_operation_.has_indirect_call, 0
	.section	.AMDGPU.csdata,"",@progbits
; Kernel info:
; codeLenInByte = 19588
; TotalNumSgprs: 34
; NumVgprs: 155
; ScratchSize: 0
; MemoryBound: 0
; FloatMode: 240
; IeeeMode: 1
; LDSByteSize: 10240 bytes/workgroup (compile time only)
; SGPRBlocks: 0
; VGPRBlocks: 19
; NumSGPRsForWavesPerEU: 34
; NumVGPRsForWavesPerEU: 155
; Occupancy: 6
; WaveLimiterHint : 0
; COMPUTE_PGM_RSRC2:SCRATCH_EN: 0
; COMPUTE_PGM_RSRC2:USER_SGPR: 6
; COMPUTE_PGM_RSRC2:TRAP_HANDLER: 0
; COMPUTE_PGM_RSRC2:TGID_X_EN: 1
; COMPUTE_PGM_RSRC2:TGID_Y_EN: 0
; COMPUTE_PGM_RSRC2:TGID_Z_EN: 1
; COMPUTE_PGM_RSRC2:TIDIG_COMP_CNT: 1
	.section	.text._ZN12_GLOBAL__N_120geam_min_plus_kernelIf15HIP_vector_typeIfLj2EEfLi8ELi32ELi64ELi256ELi4ELi64ELi4ELi64ELi4ELc78ELc84ELb1ELb1ELb1EfKffEEviiiT16_PT17_ilS6_ilS4_S6_ilPT18_ili26rocblas_geam_ex_operation_,"axG",@progbits,_ZN12_GLOBAL__N_120geam_min_plus_kernelIf15HIP_vector_typeIfLj2EEfLi8ELi32ELi64ELi256ELi4ELi64ELi4ELi64ELi4ELc78ELc84ELb1ELb1ELb1EfKffEEviiiT16_PT17_ilS6_ilS4_S6_ilPT18_ili26rocblas_geam_ex_operation_,comdat
	.globl	_ZN12_GLOBAL__N_120geam_min_plus_kernelIf15HIP_vector_typeIfLj2EEfLi8ELi32ELi64ELi256ELi4ELi64ELi4ELi64ELi4ELc78ELc84ELb1ELb1ELb1EfKffEEviiiT16_PT17_ilS6_ilS4_S6_ilPT18_ili26rocblas_geam_ex_operation_ ; -- Begin function _ZN12_GLOBAL__N_120geam_min_plus_kernelIf15HIP_vector_typeIfLj2EEfLi8ELi32ELi64ELi256ELi4ELi64ELi4ELi64ELi4ELc78ELc84ELb1ELb1ELb1EfKffEEviiiT16_PT17_ilS6_ilS4_S6_ilPT18_ili26rocblas_geam_ex_operation_
	.p2align	8
	.type	_ZN12_GLOBAL__N_120geam_min_plus_kernelIf15HIP_vector_typeIfLj2EEfLi8ELi32ELi64ELi256ELi4ELi64ELi4ELi64ELi4ELc78ELc84ELb1ELb1ELb1EfKffEEviiiT16_PT17_ilS6_ilS4_S6_ilPT18_ili26rocblas_geam_ex_operation_,@function
_ZN12_GLOBAL__N_120geam_min_plus_kernelIf15HIP_vector_typeIfLj2EEfLi8ELi32ELi64ELi256ELi4ELi64ELi4ELi64ELi4ELc78ELc84ELb1ELb1ELb1EfKffEEviiiT16_PT17_ilS6_ilS4_S6_ilPT18_ili26rocblas_geam_ex_operation_: ; @_ZN12_GLOBAL__N_120geam_min_plus_kernelIf15HIP_vector_typeIfLj2EEfLi8ELi32ELi64ELi256ELi4ELi64ELi4ELi64ELi4ELc78ELc84ELb1ELb1ELb1EfKffEEviiiT16_PT17_ilS6_ilS4_S6_ilPT18_ili26rocblas_geam_ex_operation_
; %bb.0:
	s_clause 0x1
	s_load_dwordx4 s[12:15], s[4:5], 0x0
	s_load_dwordx4 s[0:3], s[4:5], 0x20
	s_waitcnt lgkmcnt(0)
	v_cmp_eq_f32_e64 s8, s15, 0
	s_and_b32 vcc_lo, exec_lo, s8
	s_cbranch_vccnz .LBB70_53
; %bb.1:
	s_load_dwordx2 s[10:11], s[4:5], 0x10
	s_mul_i32 s1, s1, s7
	s_mul_hi_u32 s9, s0, s7
	s_mul_i32 s0, s0, s7
	s_add_i32 s1, s9, s1
	s_lshl_b64 s[0:1], s[0:1], 2
	s_waitcnt lgkmcnt(0)
	s_add_u32 s18, s10, s0
	s_addc_u32 s19, s11, s1
	s_andn2_b32 vcc_lo, exec_lo, s8
	s_mov_b32 s0, -1
	s_cbranch_vccnz .LBB70_3
.LBB70_2:
	s_mov_b32 s0, 0
.LBB70_3:
	s_mov_b64 s[16:17], 0
	s_andn2_b32 vcc_lo, exec_lo, s0
	s_mov_b64 s[20:21], 0
	s_cbranch_vccnz .LBB70_5
; %bb.4:
	s_load_dwordx2 s[0:1], s[4:5], 0x38
	s_waitcnt lgkmcnt(0)
	s_mul_i32 s1, s1, s7
	s_mul_hi_u32 s8, s0, s7
	s_mul_i32 s0, s0, s7
	s_add_i32 s1, s8, s1
	s_lshl_b64 s[0:1], s[0:1], 2
	s_add_u32 s20, s2, s0
	s_addc_u32 s21, s3, s1
.LBB70_5:
	s_clause 0x1
	s_load_dword s15, s[4:5], 0x40
	s_load_dwordx4 s[8:11], s[4:5], 0x58
	s_waitcnt lgkmcnt(0)
	v_cmp_eq_f32_e64 s0, s15, 0
	v_cmp_neq_f32_e64 s26, s15, 0
	s_and_b32 vcc_lo, exec_lo, s0
	s_cbranch_vccnz .LBB70_7
; %bb.6:
	s_load_dwordx2 s[0:1], s[4:5], 0x48
	s_mul_i32 s2, s9, s7
	s_mul_hi_u32 s3, s8, s7
	s_add_i32 s3, s3, s2
	s_mul_i32 s2, s8, s7
	s_lshl_b64 s[2:3], s[2:3], 2
	s_waitcnt lgkmcnt(0)
	s_add_u32 s16, s0, s2
	s_addc_u32 s17, s1, s3
.LBB70_7:
	s_add_i32 s0, s12, -1
	s_load_dword s22, s[4:5], 0x18
	s_ashr_i32 s1, s0, 31
	v_lshl_add_u32 v3, v1, 3, v0
	s_lshr_b32 s1, s1, 26
	v_mov_b32_e32 v4, 0x7f7fffff
	s_add_i32 s0, s0, s1
	v_lshrrev_b32_e32 v72, 6, v3
	s_ashr_i32 s0, s0, 6
	s_add_i32 s2, s0, 1
	s_not_b32 s0, s0
	v_cvt_f32_u32_e32 v2, s2
	v_rcp_iflag_f32_e32 v2, v2
	s_waitcnt lgkmcnt(0)
	s_ashr_i32 s23, s22, 31
	v_mul_f32_e32 v2, 0x4f7ffffe, v2
	v_cvt_u32_f32_e32 v2, v2
	v_readfirstlane_b32 s1, v2
	v_and_b32_e32 v2, 63, v3
	v_mov_b32_e32 v3, 0x7f7fffff
	s_mul_i32 s0, s0, s1
	s_mul_hi_u32 s0, s1, s0
	s_add_i32 s1, s1, s0
	s_mul_hi_u32 s0, s6, s1
	s_mul_i32 s1, s0, s2
	s_add_i32 s3, s0, 1
	s_sub_i32 s1, s6, s1
	s_sub_i32 s8, s1, s2
	s_cmp_ge_u32 s1, s2
	s_cselect_b32 s0, s3, s0
	s_cselect_b32 s1, s8, s1
	s_add_i32 s3, s0, 1
	s_cmp_ge_u32 s1, s2
	s_cselect_b32 s1, s3, s0
	s_mul_i32 s0, s1, s2
	s_sub_i32 s0, s6, s0
	v_cmp_le_i32_e64 s6, s14, v72
	s_lshl_b32 s9, s0, 6
	v_or_b32_e32 v66, s9, v2
	v_cmp_le_i32_e32 vcc_lo, s12, v66
	v_ashrrev_i32_e32 v67, 31, v66
	s_nor_b32 s0, vcc_lo, s6
	s_and_saveexec_b32 s2, s0
	s_cbranch_execz .LBB70_9
; %bb.8:
	v_mad_i64_i32 v[4:5], null, s22, v72, 0
	v_lshlrev_b64 v[6:7], 2, v[66:67]
	v_lshlrev_b64 v[4:5], 2, v[4:5]
	v_add_co_u32 v4, s0, s18, v4
	v_add_co_ci_u32_e64 v5, null, s19, v5, s0
	v_add_co_u32 v4, s0, v4, v6
	v_add_co_ci_u32_e64 v5, null, v5, v7, s0
	global_load_dword v4, v[4:5], off
.LBB70_9:
	s_or_b32 exec_lo, exec_lo, s2
	s_load_dword s24, s[4:5], 0x30
	s_lshl_b32 s27, s1, 8
	v_or_b32_e32 v68, s27, v2
	v_cmp_le_i32_e64 s0, s13, v68
	v_ashrrev_i32_e32 v69, 31, v68
	s_waitcnt lgkmcnt(0)
	v_mad_i64_i32 v[5:6], null, v72, s24, 0
	v_lshlrev_b64 v[5:6], 2, v[5:6]
	v_add_co_u32 v8, s1, s20, v5
	v_add_co_ci_u32_e64 v9, null, s21, v6, s1
	s_nor_b32 s1, s0, s6
	s_and_saveexec_b32 s2, s1
	s_cbranch_execz .LBB70_11
; %bb.10:
	v_lshlrev_b64 v[5:6], 2, v[68:69]
	v_add_co_u32 v5, s1, v8, v5
	v_add_co_ci_u32_e64 v6, null, v9, v6, s1
	global_load_dword v3, v[5:6], off
.LBB70_11:
	s_or_b32 exec_lo, exec_lo, s2
	v_or_b32_e32 v5, 64, v68
	v_mov_b32_e32 v6, 0x7f7fffff
	v_cmp_le_i32_e64 s1, s13, v5
	v_mov_b32_e32 v5, 0x7f7fffff
	s_nor_b32 s2, s1, s6
	s_and_saveexec_b32 s3, s2
	s_cbranch_execz .LBB70_13
; %bb.12:
	v_lshlrev_b64 v[6:7], 2, v[68:69]
	v_add_co_u32 v6, s2, v8, v6
	v_add_co_ci_u32_e64 v7, null, v9, v7, s2
	global_load_dword v6, v[6:7], off offset:256
.LBB70_13:
	s_or_b32 exec_lo, exec_lo, s3
	v_or_b32_e32 v7, 0x80, v68
	s_ashr_i32 s25, s24, 31
	v_cmp_le_i32_e64 s2, s13, v7
	s_nor_b32 s3, s2, s6
	s_and_saveexec_b32 s8, s3
	s_cbranch_execz .LBB70_15
; %bb.14:
	v_lshlrev_b64 v[10:11], 2, v[68:69]
	v_add_co_u32 v10, s3, v8, v10
	v_add_co_ci_u32_e64 v11, null, v9, v11, s3
	global_load_dword v5, v[10:11], off offset:512
.LBB70_15:
	s_or_b32 exec_lo, exec_lo, s8
	v_or_b32_e32 v7, 0xc0, v68
	v_mov_b32_e32 v70, 0x7f7fffff
	v_cmp_le_i32_e64 s3, s13, v7
	v_mov_b32_e32 v7, 0x7f7fffff
	s_nor_b32 s6, s3, s6
	s_and_saveexec_b32 s8, s6
	s_cbranch_execz .LBB70_17
; %bb.16:
	v_lshlrev_b64 v[10:11], 2, v[68:69]
	v_add_co_u32 v7, s6, v8, v10
	v_add_co_ci_u32_e64 v8, null, v9, v11, s6
	global_load_dword v7, v[7:8], off offset:768
.LBB70_17:
	s_or_b32 exec_lo, exec_lo, s8
	v_add_nc_u32_e32 v8, 4, v72
	v_cmp_le_i32_e64 s6, s14, v8
	s_nor_b32 s8, vcc_lo, s6
	s_and_saveexec_b32 s28, s8
	s_cbranch_execz .LBB70_19
; %bb.18:
	v_mad_u64_u32 v[9:10], null, s22, v8, 0
	v_mad_u64_u32 v[10:11], null, s23, v8, v[10:11]
	v_lshlrev_b64 v[11:12], 2, v[66:67]
	v_lshlrev_b64 v[9:10], 2, v[9:10]
	v_add_co_u32 v9, s8, s18, v9
	v_add_co_ci_u32_e64 v10, null, s19, v10, s8
	v_add_co_u32 v9, s8, v9, v11
	v_add_co_ci_u32_e64 v10, null, v10, v12, s8
	global_load_dword v70, v[9:10], off
.LBB70_19:
	s_or_b32 exec_lo, exec_lo, s28
	v_mad_u64_u32 v[9:10], null, v8, s24, 0
	v_mov_b32_e32 v71, 0x7f7fffff
	v_mov_b32_e32 v123, 0x7f7fffff
	v_mad_u64_u32 v[10:11], null, v8, s25, v[10:11]
	v_lshlrev_b64 v[8:9], 2, v[9:10]
	v_add_co_u32 v8, s8, s20, v8
	v_add_co_ci_u32_e64 v9, null, s21, v9, s8
	s_nor_b32 s8, s0, s6
	s_and_saveexec_b32 s28, s8
	s_cbranch_execz .LBB70_21
; %bb.20:
	v_lshlrev_b64 v[10:11], 2, v[68:69]
	v_add_co_u32 v10, s8, v8, v10
	v_add_co_ci_u32_e64 v11, null, v9, v11, s8
	global_load_dword v123, v[10:11], off
.LBB70_21:
	s_or_b32 exec_lo, exec_lo, s28
	s_nor_b32 s8, s1, s6
	s_and_saveexec_b32 s28, s8
	s_cbranch_execz .LBB70_23
; %bb.22:
	v_lshlrev_b64 v[10:11], 2, v[68:69]
	v_add_co_u32 v10, s8, v8, v10
	v_add_co_ci_u32_e64 v11, null, v9, v11, s8
	global_load_dword v71, v[10:11], off offset:256
.LBB70_23:
	s_or_b32 exec_lo, exec_lo, s28
	v_mov_b32_e32 v133, 0x7f7fffff
	v_mov_b32_e32 v142, 0x7f7fffff
	s_nor_b32 s8, s2, s6
	s_and_saveexec_b32 s28, s8
	s_cbranch_execz .LBB70_25
; %bb.24:
	v_lshlrev_b64 v[10:11], 2, v[68:69]
	v_add_co_u32 v10, s8, v8, v10
	v_add_co_ci_u32_e64 v11, null, v9, v11, s8
	global_load_dword v142, v[10:11], off offset:512
.LBB70_25:
	s_or_b32 exec_lo, exec_lo, s28
	s_nor_b32 s6, s3, s6
	s_and_saveexec_b32 s8, s6
	s_cbranch_execz .LBB70_27
; %bb.26:
	v_lshlrev_b64 v[10:11], 2, v[68:69]
	v_add_co_u32 v8, s6, v8, v10
	v_add_co_ci_u32_e64 v9, null, v9, v11, s6
	global_load_dword v133, v[8:9], off offset:768
.LBB70_27:
	s_or_b32 exec_lo, exec_lo, s8
	v_lshlrev_b32_e32 v2, 4, v2
	v_lshlrev_b32_e32 v74, 4, v0
	;; [unrolled: 1-line block ×3, first 2 shown]
	s_cmp_lt_i32 s14, 9
	v_lshl_add_u32 v75, v72, 2, v2
	s_waitcnt vmcnt(0)
	ds_write_b32 v75, v4 offset:8192
	ds_write2st64_b32 v75, v3, v6 offset1:4
	ds_write2st64_b32 v75, v5, v7 offset0:8 offset1:12
	s_waitcnt lgkmcnt(0)
	s_barrier
	buffer_gl0_inv
	ds_read_b128 v[34:37], v74 offset:8192
	ds_read_b128 v[30:33], v74 offset:8320
	;; [unrolled: 1-line block ×8, first 2 shown]
	ds_read_b128 v[62:65], v73
	ds_read_b128 v[58:61], v73 offset:512
	ds_read_b128 v[54:57], v73 offset:1024
	;; [unrolled: 1-line block ×7, first 2 shown]
	ds_write_b32 v75, v70 offset:9216
	ds_write2st64_b32 v75, v123, v71 offset0:16 offset1:20
	ds_write2st64_b32 v75, v142, v133 offset0:24 offset1:28
	s_waitcnt lgkmcnt(0)
	s_barrier
	buffer_gl0_inv
	v_add_f32_e32 v76, v35, v63
	v_add_f32_e32 v77, v34, v62
	;; [unrolled: 1-line block ×6, first 2 shown]
	v_min3_f32 v76, v77, v76, 0x7f7fffff
	v_add_f32_e32 v77, v31, v63
	v_min3_f32 v77, v78, v77, 0x7f7fffff
	v_add_f32_e32 v78, v27, v63
	;; [unrolled: 2-line block ×5, first 2 shown]
	v_add_f32_e32 v81, v10, v62
	v_min3_f32 v118, v81, v79, 0x7f7fffff
	v_add_f32_e32 v79, v7, v63
	v_add_f32_e32 v81, v6, v62
	;; [unrolled: 1-line block ×4, first 2 shown]
	v_min3_f32 v119, v81, v79, 0x7f7fffff
	v_add_f32_e32 v79, v6, v38
	v_min3_f32 v120, v62, v63, 0x7f7fffff
	v_add_f32_e32 v62, v35, v59
	v_add_f32_e32 v63, v34, v58
	v_min3_f32 v116, v63, v62, 0x7f7fffff
	v_add_f32_e32 v62, v31, v59
	;; [unrolled: 3-line block ×7, first 2 shown]
	v_add_f32_e32 v63, v6, v58
	v_add_f32_e32 v59, v3, v59
	v_add_f32_e32 v58, v2, v58
	v_min3_f32 v110, v63, v62, 0x7f7fffff
	v_min3_f32 v109, v58, v59, 0x7f7fffff
	v_add_f32_e32 v58, v35, v55
	v_add_f32_e32 v59, v34, v54
	v_min3_f32 v108, v59, v58, 0x7f7fffff
	v_add_f32_e32 v58, v31, v55
	v_add_f32_e32 v59, v30, v54
	v_min3_f32 v107, v59, v58, 0x7f7fffff
	v_add_f32_e32 v58, v27, v55
	v_add_f32_e32 v59, v26, v54
	v_min3_f32 v106, v59, v58, 0x7f7fffff
	v_add_f32_e32 v58, v19, v55
	v_add_f32_e32 v59, v18, v54
	v_min3_f32 v105, v59, v58, 0x7f7fffff
	v_add_f32_e32 v58, v15, v55
	v_add_f32_e32 v59, v14, v54
	v_min3_f32 v104, v59, v58, 0x7f7fffff
	v_add_f32_e32 v58, v11, v55
	v_add_f32_e32 v59, v10, v54
	v_min3_f32 v103, v59, v58, 0x7f7fffff
	v_add_f32_e32 v58, v7, v55
	v_add_f32_e32 v59, v6, v54
	v_add_f32_e32 v55, v3, v55
	v_add_f32_e32 v54, v2, v54
	v_min3_f32 v102, v59, v58, 0x7f7fffff
	v_min3_f32 v101, v54, v55, 0x7f7fffff
	v_add_f32_e32 v54, v35, v51
	v_add_f32_e32 v55, v34, v50
	v_min3_f32 v100, v55, v54, 0x7f7fffff
	v_add_f32_e32 v54, v31, v51
	v_add_f32_e32 v55, v30, v50
	v_min3_f32 v99, v55, v54, 0x7f7fffff
	v_add_f32_e32 v54, v27, v51
	v_add_f32_e32 v55, v26, v50
	v_min3_f32 v98, v55, v54, 0x7f7fffff
	v_add_f32_e32 v54, v19, v51
	v_add_f32_e32 v55, v18, v50
	v_min3_f32 v97, v55, v54, 0x7f7fffff
	v_add_f32_e32 v54, v15, v51
	v_add_f32_e32 v55, v14, v50
	v_min3_f32 v96, v55, v54, 0x7f7fffff
	v_add_f32_e32 v54, v11, v51
	v_add_f32_e32 v55, v10, v50
	v_min3_f32 v95, v55, v54, 0x7f7fffff
	v_add_f32_e32 v54, v7, v51
	;; [unrolled: 24-line block ×4, first 2 shown]
	v_add_f32_e32 v47, v6, v42
	v_add_f32_e32 v43, v3, v43
	;; [unrolled: 1-line block ×4, first 2 shown]
	v_min3_f32 v58, v47, v46, 0x7f7fffff
	v_min3_f32 v55, v42, v43, 0x7f7fffff
	v_add_f32_e32 v42, v35, v39
	v_add_f32_e32 v43, v34, v38
	;; [unrolled: 1-line block ×4, first 2 shown]
	v_min3_f32 v54, v43, v42, 0x7f7fffff
	v_add_f32_e32 v42, v31, v39
	v_add_f32_e32 v43, v30, v38
	v_min3_f32 v34, v34, v35, 0x7f7fffff
	v_add_f32_e32 v31, v31, v23
	v_add_f32_e32 v30, v30, v22
	;; [unrolled: 3-line block ×9, first 2 shown]
	v_add_f32_e32 v38, v2, v38
	v_add_f32_e32 v2, v2, v22
	v_min3_f32 v14, v14, v15, 0x7f7fffff
	v_add_f32_e32 v11, v11, v23
	v_min3_f32 v43, v43, v42, 0x7f7fffff
	v_add_f32_e32 v42, v7, v39
	v_add_f32_e32 v39, v3, v39
	;; [unrolled: 1-line block ×5, first 2 shown]
	v_min3_f32 v42, v79, v42, 0x7f7fffff
	v_min3_f32 v38, v38, v39, 0x7f7fffff
	v_min3_f32 v6, v6, v7, 0x7f7fffff
	v_min3_f32 v2, v2, v3, 0x7f7fffff
	v_add_f32_e32 v3, v37, v65
	v_add_f32_e32 v7, v36, v64
	v_min3_f32 v10, v10, v11, 0x7f7fffff
	v_min3_f32 v141, v7, v3, v76
	v_add_f32_e32 v3, v33, v65
	v_add_f32_e32 v7, v32, v64
	v_min3_f32 v81, v7, v3, v77
	v_add_f32_e32 v3, v29, v65
	v_add_f32_e32 v7, v28, v64
	;; [unrolled: 3-line block ×55, first 2 shown]
	v_add_f32_e32 v4, v4, v24
	v_min3_f32 v89, v7, v3, v38
	v_add_f32_e32 v3, v37, v25
	v_add_f32_e32 v7, v36, v24
	v_min3_f32 v88, v7, v3, v34
	v_add_f32_e32 v3, v33, v25
	;; [unrolled: 3-line block ×8, first 2 shown]
	v_min3_f32 v92, v4, v3, v2
	s_cbranch_scc1 .LBB70_50
; %bb.28:
	v_lshlrev_b64 v[2:3], 2, v[66:67]
	v_add_nc_u32_e32 v6, 8, v72
	v_add_nc_u32_e32 v8, 12, v72
	v_lshlrev_b64 v[68:69], 2, v[68:69]
	v_or_b32_e32 v123, 0x2000, v75
	v_or_b32_e32 v133, 0x2000, v74
	v_mad_i64_i32 v[4:5], null, v6, s24, 0
	v_add_co_u32 v144, s6, s18, v2
	v_add_co_ci_u32_e64 v145, null, s19, v3, s6
	v_mad_i64_i32 v[2:3], null, v6, s22, 0
	v_mad_i64_i32 v[6:7], null, v8, s24, 0
	v_lshlrev_b64 v[4:5], 2, v[4:5]
	v_mad_i64_i32 v[8:9], null, v8, s22, 0
	v_add_nc_u32_e32 v142, 0x2400, v75
	v_lshlrev_b64 v[66:67], 2, v[2:3]
	v_or_b32_e32 v143, 0x1000, v75
	v_lshlrev_b64 v[2:3], 2, v[6:7]
	v_add_co_u32 v148, s6, s20, v4
	v_add_co_ci_u32_e64 v149, null, s21, v5, s6
	v_lshlrev_b64 v[70:71], 2, v[8:9]
	v_add_co_u32 v150, s6, s20, v2
	v_lshl_add_u32 v146, v0, 4, 0x2400
	v_lshl_or_b32 v147, v1, 4, 0x1000
	v_add_co_ci_u32_e64 v151, null, s21, v3, s6
	s_add_i32 s28, s14, -8
	s_lshl_b64 s[18:19], s[22:23], 5
	s_lshl_b64 s[20:21], s[24:25], 5
	s_mov_b32 s22, 0
	s_branch .LBB70_30
.LBB70_29:                              ;   in Loop: Header=BB70_30 Depth=1
	s_or_b32 exec_lo, exec_lo, s8
	v_add_f32_e32 v157, v35, v63
	v_add_f32_e32 v158, v34, v62
	v_add_co_u32 v144, s6, v144, s18
	v_add_co_ci_u32_e64 v145, null, s19, v145, s6
	v_min3_f32 v141, v158, v157, v141
	v_add_f32_e32 v157, v31, v63
	v_add_f32_e32 v158, v30, v62
	v_add_co_u32 v148, s6, v148, s20
	v_add_co_ci_u32_e64 v149, null, s21, v149, s6
	v_min3_f32 v81, v158, v157, v81
	;; [unrolled: 5-line block ×3, first 2 shown]
	v_add_f32_e32 v157, v23, v63
	v_add_f32_e32 v158, v22, v62
	s_add_i32 s22, s22, 8
	s_cmp_ge_i32 s22, s28
	v_min3_f32 v77, v158, v157, v77
	v_add_f32_e32 v157, v15, v63
	v_add_f32_e32 v158, v14, v62
	v_min3_f32 v76, v158, v157, v76
	v_add_f32_e32 v157, v11, v63
	v_add_f32_e32 v158, v10, v62
	v_min3_f32 v78, v158, v157, v78
	v_add_f32_e32 v157, v7, v63
	v_add_f32_e32 v158, v6, v62
	v_add_f32_e32 v63, v3, v63
	v_add_f32_e32 v62, v2, v62
	v_min3_f32 v80, v158, v157, v80
	v_min3_f32 v62, v62, v63, v140
	v_add_f32_e32 v63, v35, v59
	v_add_f32_e32 v140, v34, v58
	v_min3_f32 v63, v140, v63, v139
	v_add_f32_e32 v139, v31, v59
	v_add_f32_e32 v140, v30, v58
	v_min3_f32 v138, v140, v139, v138
	v_add_f32_e32 v139, v27, v59
	v_add_f32_e32 v140, v26, v58
	v_min3_f32 v137, v140, v139, v137
	v_add_f32_e32 v139, v23, v59
	v_add_f32_e32 v140, v22, v58
	v_min3_f32 v136, v140, v139, v136
	v_add_f32_e32 v139, v15, v59
	v_add_f32_e32 v140, v14, v58
	v_min3_f32 v135, v140, v139, v135
	v_add_f32_e32 v139, v11, v59
	v_add_f32_e32 v140, v10, v58
	v_min3_f32 v134, v140, v139, v134
	v_add_f32_e32 v139, v7, v59
	v_add_f32_e32 v140, v6, v58
	v_add_f32_e32 v59, v3, v59
	v_add_f32_e32 v58, v2, v58
	v_min3_f32 v132, v140, v139, v132
	v_min3_f32 v58, v58, v59, v131
	v_add_f32_e32 v59, v35, v55
	v_add_f32_e32 v131, v34, v54
	v_min3_f32 v59, v131, v59, v130
	v_add_f32_e32 v130, v31, v55
	v_add_f32_e32 v131, v30, v54
	v_min3_f32 v129, v131, v130, v129
	v_add_f32_e32 v130, v27, v55
	v_add_f32_e32 v131, v26, v54
	v_min3_f32 v128, v131, v130, v128
	v_add_f32_e32 v130, v23, v55
	v_add_f32_e32 v131, v22, v54
	;; [unrolled: 24-line block ×5, first 2 shown]
	v_min3_f32 v102, v106, v105, v102
	v_add_f32_e32 v105, v15, v43
	v_add_f32_e32 v106, v14, v42
	v_min3_f32 v101, v106, v105, v101
	v_add_f32_e32 v105, v11, v43
	v_add_f32_e32 v106, v10, v42
	;; [unrolled: 3-line block ×3, first 2 shown]
	v_add_f32_e32 v43, v3, v43
	v_add_f32_e32 v42, v2, v42
	v_min3_f32 v99, v106, v105, v99
	v_min3_f32 v42, v42, v43, v98
	v_add_f32_e32 v43, v35, v39
	v_add_f32_e32 v98, v34, v38
	;; [unrolled: 1-line block ×4, first 2 shown]
	v_min3_f32 v43, v98, v43, v97
	v_add_f32_e32 v97, v31, v39
	v_add_f32_e32 v98, v30, v38
	v_add_f32_e32 v31, v31, v19
	v_add_f32_e32 v30, v30, v18
	v_min3_f32 v34, v34, v35, v88
	v_min3_f32 v96, v98, v97, v96
	v_add_f32_e32 v97, v27, v39
	v_add_f32_e32 v98, v26, v38
	v_add_f32_e32 v27, v27, v19
	v_add_f32_e32 v26, v26, v18
	v_min3_f32 v30, v30, v31, v87
	;; [unrolled: 6-line block ×5, first 2 shown]
	v_min3_f32 v91, v98, v97, v91
	v_add_f32_e32 v97, v7, v39
	v_add_f32_e32 v98, v6, v38
	;; [unrolled: 1-line block ×8, first 2 shown]
	v_min3_f32 v10, v10, v11, v83
	v_min3_f32 v38, v38, v39, v89
	;; [unrolled: 1-line block ×3, first 2 shown]
	v_add_f32_e32 v7, v36, v64
	v_min3_f32 v2, v2, v3, v92
	v_add_f32_e32 v3, v37, v65
	v_min3_f32 v90, v98, v97, v90
	v_min3_f32 v82, v7, v3, v141
	v_add_f32_e32 v3, v33, v65
	v_add_f32_e32 v7, v32, v64
	v_min3_f32 v81, v7, v3, v81
	v_add_f32_e32 v3, v29, v65
	v_add_f32_e32 v7, v28, v64
	v_min3_f32 v79, v7, v3, v79
	v_add_f32_e32 v3, v25, v65
	v_add_f32_e32 v7, v24, v64
	v_min3_f32 v77, v7, v3, v77
	v_add_f32_e32 v3, v17, v65
	v_add_f32_e32 v7, v16, v64
	v_min3_f32 v76, v7, v3, v76
	v_add_f32_e32 v3, v13, v65
	v_add_f32_e32 v7, v12, v64
	v_min3_f32 v78, v7, v3, v78
	v_add_f32_e32 v3, v9, v65
	v_add_f32_e32 v7, v8, v64
	v_min3_f32 v80, v7, v3, v80
	v_add_f32_e32 v3, v5, v65
	v_add_f32_e32 v7, v4, v64
	v_min3_f32 v83, v7, v3, v62
	v_add_f32_e32 v3, v37, v61
	v_add_f32_e32 v7, v36, v60
	v_min3_f32 v84, v7, v3, v63
	v_add_f32_e32 v3, v33, v61
	v_add_f32_e32 v7, v32, v60
	v_min3_f32 v85, v7, v3, v138
	v_add_f32_e32 v3, v29, v61
	v_add_f32_e32 v7, v28, v60
	v_min3_f32 v86, v7, v3, v137
	v_add_f32_e32 v3, v25, v61
	v_add_f32_e32 v7, v24, v60
	v_min3_f32 v87, v7, v3, v136
	v_add_f32_e32 v3, v17, v61
	v_add_f32_e32 v7, v16, v60
	v_min3_f32 v88, v7, v3, v135
	v_add_f32_e32 v3, v13, v61
	v_add_f32_e32 v7, v12, v60
	v_min3_f32 v89, v7, v3, v134
	v_add_f32_e32 v3, v9, v61
	v_add_f32_e32 v7, v8, v60
	v_min3_f32 v92, v7, v3, v132
	v_add_f32_e32 v3, v5, v61
	v_add_f32_e32 v7, v4, v60
	v_min3_f32 v97, v7, v3, v58
	v_add_f32_e32 v3, v37, v57
	v_add_f32_e32 v7, v36, v56
	v_min3_f32 v98, v7, v3, v59
	v_add_f32_e32 v3, v33, v57
	v_add_f32_e32 v7, v32, v56
	v_min3_f32 v105, v7, v3, v129
	v_add_f32_e32 v3, v29, v57
	v_add_f32_e32 v7, v28, v56
	v_min3_f32 v106, v7, v3, v128
	v_add_f32_e32 v3, v25, v57
	v_add_f32_e32 v7, v24, v56
	v_min3_f32 v113, v7, v3, v127
	v_add_f32_e32 v3, v17, v57
	v_add_f32_e32 v7, v16, v56
	v_min3_f32 v114, v7, v3, v126
	v_add_f32_e32 v3, v13, v57
	v_add_f32_e32 v7, v12, v56
	v_min3_f32 v121, v7, v3, v125
	v_add_f32_e32 v3, v9, v57
	v_add_f32_e32 v7, v8, v56
	v_min3_f32 v122, v7, v3, v124
	v_add_f32_e32 v3, v5, v57
	v_add_f32_e32 v7, v4, v56
	v_min3_f32 v124, v7, v3, v54
	v_add_f32_e32 v3, v37, v53
	v_add_f32_e32 v7, v36, v52
	v_min3_f32 v125, v7, v3, v55
	v_add_f32_e32 v3, v33, v53
	v_add_f32_e32 v7, v32, v52
	v_min3_f32 v120, v7, v3, v120
	v_add_f32_e32 v3, v29, v53
	v_add_f32_e32 v7, v28, v52
	v_min3_f32 v119, v7, v3, v119
	v_add_f32_e32 v3, v25, v53
	v_add_f32_e32 v7, v24, v52
	v_min3_f32 v118, v7, v3, v118
	v_add_f32_e32 v3, v17, v53
	v_add_f32_e32 v7, v16, v52
	v_min3_f32 v117, v7, v3, v117
	v_add_f32_e32 v3, v13, v53
	v_add_f32_e32 v7, v12, v52
	v_min3_f32 v116, v7, v3, v116
	v_add_f32_e32 v3, v9, v53
	v_add_f32_e32 v7, v8, v52
	v_min3_f32 v115, v7, v3, v115
	v_add_f32_e32 v3, v5, v53
	v_add_f32_e32 v7, v4, v52
	v_min3_f32 v126, v7, v3, v50
	v_add_f32_e32 v3, v37, v49
	v_add_f32_e32 v7, v36, v48
	v_min3_f32 v127, v7, v3, v51
	v_add_f32_e32 v3, v33, v49
	v_add_f32_e32 v7, v32, v48
	v_min3_f32 v112, v7, v3, v112
	v_add_f32_e32 v3, v29, v49
	v_add_f32_e32 v7, v28, v48
	v_min3_f32 v111, v7, v3, v111
	v_add_f32_e32 v3, v25, v49
	v_add_f32_e32 v7, v24, v48
	v_min3_f32 v110, v7, v3, v110
	v_add_f32_e32 v3, v17, v49
	v_add_f32_e32 v7, v16, v48
	v_min3_f32 v109, v7, v3, v109
	v_add_f32_e32 v3, v13, v49
	v_add_f32_e32 v7, v12, v48
	v_min3_f32 v108, v7, v3, v108
	v_add_f32_e32 v3, v9, v49
	v_add_f32_e32 v7, v8, v48
	v_min3_f32 v107, v7, v3, v107
	v_add_f32_e32 v3, v5, v49
	v_add_f32_e32 v7, v4, v48
	v_min3_f32 v128, v7, v3, v46
	v_add_f32_e32 v3, v37, v45
	v_add_f32_e32 v7, v36, v44
	v_min3_f32 v129, v7, v3, v47
	v_add_f32_e32 v3, v33, v45
	v_add_f32_e32 v7, v32, v44
	v_min3_f32 v104, v7, v3, v104
	v_add_f32_e32 v3, v29, v45
	v_add_f32_e32 v7, v28, v44
	v_min3_f32 v103, v7, v3, v103
	v_add_f32_e32 v3, v25, v45
	v_add_f32_e32 v7, v24, v44
	v_min3_f32 v102, v7, v3, v102
	v_add_f32_e32 v3, v17, v45
	v_add_f32_e32 v7, v16, v44
	v_min3_f32 v101, v7, v3, v101
	v_add_f32_e32 v3, v13, v45
	v_add_f32_e32 v7, v12, v44
	v_min3_f32 v100, v7, v3, v100
	v_add_f32_e32 v3, v9, v45
	v_add_f32_e32 v7, v8, v44
	v_min3_f32 v99, v7, v3, v99
	v_add_f32_e32 v3, v5, v45
	v_add_f32_e32 v7, v4, v44
	v_min3_f32 v130, v7, v3, v42
	v_add_f32_e32 v3, v37, v41
	v_add_f32_e32 v7, v36, v40
	v_min3_f32 v131, v7, v3, v43
	v_add_f32_e32 v3, v33, v41
	v_add_f32_e32 v7, v32, v40
	v_min3_f32 v96, v7, v3, v96
	v_add_f32_e32 v3, v29, v41
	v_add_f32_e32 v7, v28, v40
	v_min3_f32 v95, v7, v3, v95
	v_add_f32_e32 v3, v25, v41
	v_add_f32_e32 v7, v24, v40
	v_min3_f32 v94, v7, v3, v94
	v_add_f32_e32 v3, v17, v41
	v_add_f32_e32 v7, v16, v40
	v_min3_f32 v93, v7, v3, v93
	v_add_f32_e32 v3, v13, v41
	v_add_f32_e32 v7, v12, v40
	v_min3_f32 v91, v7, v3, v91
	v_add_f32_e32 v3, v9, v41
	v_add_f32_e32 v7, v8, v40
	v_min3_f32 v90, v7, v3, v90
	v_add_f32_e32 v3, v5, v41
	v_add_f32_e32 v7, v4, v40
	v_add_f32_e32 v4, v4, v20
	v_min3_f32 v132, v7, v3, v38
	v_add_f32_e32 v3, v37, v21
	v_add_f32_e32 v7, v36, v20
	v_min3_f32 v134, v7, v3, v34
	v_add_f32_e32 v3, v33, v21
	;; [unrolled: 3-line block ×8, first 2 shown]
	v_min3_f32 v141, v4, v3, v2
	ds_read_b128 v[30:33], v133
	ds_read_b128 v[26:29], v133 offset:128
	ds_read_b128 v[22:25], v133 offset:256
	;; [unrolled: 1-line block ×7, first 2 shown]
	ds_read_b128 v[46:49], v73
	ds_read_b128 v[50:53], v73 offset:512
	ds_read_b128 v[54:57], v73 offset:1024
	;; [unrolled: 1-line block ×7, first 2 shown]
	s_waitcnt vmcnt(0)
	ds_write_b32 v142, v152
	ds_write2st64_b32 v143, v154, v153 offset1:4
	ds_write2st64_b32 v143, v156, v155 offset0:8 offset1:12
	s_waitcnt lgkmcnt(0)
	s_barrier
	buffer_gl0_inv
	v_add_f32_e32 v157, v31, v47
	v_add_f32_e32 v158, v30, v46
	v_min3_f32 v82, v158, v157, v82
	v_add_f32_e32 v157, v27, v47
	v_add_f32_e32 v158, v26, v46
	v_min3_f32 v81, v158, v157, v81
	v_add_f32_e32 v157, v23, v47
	v_add_f32_e32 v158, v22, v46
	v_min3_f32 v79, v158, v157, v79
	v_add_f32_e32 v157, v19, v47
	v_add_f32_e32 v158, v18, v46
	v_min3_f32 v77, v158, v157, v77
	v_add_f32_e32 v157, v15, v47
	v_add_f32_e32 v158, v14, v46
	v_min3_f32 v76, v158, v157, v76
	v_add_f32_e32 v157, v11, v47
	v_add_f32_e32 v158, v10, v46
	v_min3_f32 v78, v158, v157, v78
	v_add_f32_e32 v157, v7, v47
	v_add_f32_e32 v158, v6, v46
	v_add_f32_e32 v47, v3, v47
	v_add_f32_e32 v46, v2, v46
	v_min3_f32 v80, v158, v157, v80
	v_min3_f32 v46, v46, v47, v83
	v_add_f32_e32 v47, v31, v51
	v_add_f32_e32 v83, v30, v50
	v_min3_f32 v47, v83, v47, v84
	v_add_f32_e32 v83, v27, v51
	v_add_f32_e32 v84, v26, v50
	;; [unrolled: 3-line block ×7, first 2 shown]
	v_add_f32_e32 v51, v3, v51
	v_add_f32_e32 v50, v2, v50
	v_min3_f32 v88, v89, v88, v92
	v_add_f32_e32 v89, v30, v54
	v_min3_f32 v50, v50, v51, v97
	v_add_f32_e32 v51, v31, v55
	v_add_f32_e32 v92, v26, v54
	;; [unrolled: 1-line block ×3, first 2 shown]
	v_min3_f32 v51, v89, v51, v98
	v_add_f32_e32 v89, v27, v55
	v_add_f32_e32 v98, v18, v54
	v_min3_f32 v89, v92, v89, v105
	v_add_f32_e32 v92, v23, v55
	v_add_f32_e32 v105, v14, v54
	;; [unrolled: 3-line block ×4, first 2 shown]
	v_add_f32_e32 v54, v2, v54
	v_min3_f32 v98, v105, v98, v114
	v_add_f32_e32 v105, v11, v55
	v_add_f32_e32 v114, v26, v58
	v_min3_f32 v105, v106, v105, v121
	v_add_f32_e32 v106, v7, v55
	v_add_f32_e32 v55, v3, v55
	v_min3_f32 v106, v113, v106, v122
	v_min3_f32 v54, v54, v55, v124
	v_add_f32_e32 v55, v31, v59
	v_add_f32_e32 v113, v30, v58
	v_min3_f32 v55, v113, v55, v125
	v_add_f32_e32 v113, v27, v59
	v_min3_f32 v113, v114, v113, v120
	v_add_f32_e32 v114, v23, v59
	v_add_f32_e32 v120, v22, v58
	v_min3_f32 v114, v120, v114, v119
	v_add_f32_e32 v119, v19, v59
	v_add_f32_e32 v120, v18, v58
	v_min3_f32 v118, v120, v119, v118
	v_add_f32_e32 v119, v15, v59
	v_add_f32_e32 v120, v14, v58
	v_min3_f32 v117, v120, v119, v117
	v_add_f32_e32 v119, v11, v59
	v_add_f32_e32 v120, v10, v58
	v_min3_f32 v116, v120, v119, v116
	v_add_f32_e32 v119, v7, v59
	v_add_f32_e32 v120, v6, v58
	v_add_f32_e32 v59, v3, v59
	v_add_f32_e32 v58, v2, v58
	v_min3_f32 v115, v120, v119, v115
	v_add_f32_e32 v119, v30, v62
	v_min3_f32 v58, v58, v59, v126
	v_add_f32_e32 v59, v31, v63
	v_add_f32_e32 v120, v26, v62
	v_min3_f32 v59, v119, v59, v127
	v_add_f32_e32 v119, v27, v63
	v_min3_f32 v112, v120, v119, v112
	v_add_f32_e32 v119, v23, v63
	v_add_f32_e32 v120, v22, v62
	v_min3_f32 v111, v120, v119, v111
	v_add_f32_e32 v119, v19, v63
	v_add_f32_e32 v120, v18, v62
	v_min3_f32 v110, v120, v119, v110
	v_add_f32_e32 v119, v15, v63
	v_add_f32_e32 v120, v14, v62
	v_min3_f32 v109, v120, v119, v109
	v_add_f32_e32 v119, v11, v63
	v_add_f32_e32 v120, v10, v62
	v_min3_f32 v108, v120, v119, v108
	v_add_f32_e32 v119, v7, v63
	v_add_f32_e32 v120, v6, v62
	v_add_f32_e32 v63, v3, v63
	v_add_f32_e32 v62, v2, v62
	v_min3_f32 v107, v120, v119, v107
	v_add_f32_e32 v119, v30, v42
	;; [unrolled: 24-line block ×3, first 2 shown]
	v_min3_f32 v42, v42, v43, v130
	v_add_f32_e32 v43, v31, v39
	v_add_f32_e32 v120, v26, v38
	;; [unrolled: 1-line block ×5, first 2 shown]
	v_min3_f32 v43, v119, v43, v131
	v_add_f32_e32 v119, v27, v39
	v_add_f32_e32 v27, v27, v35
	v_min3_f32 v30, v30, v31, v134
	v_min3_f32 v96, v120, v119, v96
	v_add_f32_e32 v119, v23, v39
	v_add_f32_e32 v120, v22, v38
	v_add_f32_e32 v23, v23, v35
	v_add_f32_e32 v22, v22, v34
	v_min3_f32 v26, v26, v27, v135
	v_min3_f32 v95, v120, v119, v95
	v_add_f32_e32 v119, v19, v39
	v_add_f32_e32 v120, v18, v38
	;; [unrolled: 6-line block ×5, first 2 shown]
	v_add_f32_e32 v39, v3, v39
	v_add_f32_e32 v38, v2, v38
	;; [unrolled: 1-line block ×6, first 2 shown]
	v_min3_f32 v10, v10, v11, v139
	v_min3_f32 v38, v38, v39, v132
	;; [unrolled: 1-line block ×3, first 2 shown]
	v_add_f32_e32 v7, v32, v48
	v_min3_f32 v2, v2, v3, v141
	v_add_f32_e32 v3, v33, v49
	v_min3_f32 v90, v120, v119, v90
	v_min3_f32 v141, v7, v3, v82
	v_add_f32_e32 v3, v29, v49
	v_add_f32_e32 v7, v28, v48
	v_min3_f32 v81, v7, v3, v81
	v_add_f32_e32 v3, v25, v49
	v_add_f32_e32 v7, v24, v48
	v_min3_f32 v79, v7, v3, v79
	v_add_f32_e32 v3, v21, v49
	v_add_f32_e32 v7, v20, v48
	v_min3_f32 v77, v7, v3, v77
	v_add_f32_e32 v3, v17, v49
	v_add_f32_e32 v7, v16, v48
	v_min3_f32 v76, v7, v3, v76
	v_add_f32_e32 v3, v13, v49
	v_add_f32_e32 v7, v12, v48
	v_min3_f32 v78, v7, v3, v78
	v_add_f32_e32 v3, v9, v49
	v_add_f32_e32 v7, v8, v48
	v_min3_f32 v80, v7, v3, v80
	v_add_f32_e32 v3, v5, v49
	v_add_f32_e32 v7, v4, v48
	v_min3_f32 v140, v7, v3, v46
	v_add_f32_e32 v3, v33, v53
	v_add_f32_e32 v7, v32, v52
	v_min3_f32 v139, v7, v3, v47
	v_add_f32_e32 v3, v29, v53
	v_add_f32_e32 v7, v28, v52
	v_min3_f32 v138, v7, v3, v83
	v_add_f32_e32 v3, v25, v53
	v_add_f32_e32 v7, v24, v52
	v_min3_f32 v137, v7, v3, v84
	v_add_f32_e32 v3, v21, v53
	v_add_f32_e32 v7, v20, v52
	v_min3_f32 v136, v7, v3, v85
	v_add_f32_e32 v3, v17, v53
	v_add_f32_e32 v7, v16, v52
	v_min3_f32 v135, v7, v3, v86
	v_add_f32_e32 v3, v13, v53
	v_add_f32_e32 v7, v12, v52
	v_min3_f32 v134, v7, v3, v87
	v_add_f32_e32 v3, v9, v53
	v_add_f32_e32 v7, v8, v52
	v_min3_f32 v132, v7, v3, v88
	v_add_f32_e32 v3, v5, v53
	v_add_f32_e32 v7, v4, v52
	v_min3_f32 v131, v7, v3, v50
	v_add_f32_e32 v3, v33, v57
	v_add_f32_e32 v7, v32, v56
	v_min3_f32 v130, v7, v3, v51
	v_add_f32_e32 v3, v29, v57
	v_add_f32_e32 v7, v28, v56
	v_min3_f32 v129, v7, v3, v89
	v_add_f32_e32 v3, v25, v57
	v_add_f32_e32 v7, v24, v56
	v_min3_f32 v128, v7, v3, v92
	v_add_f32_e32 v3, v21, v57
	v_add_f32_e32 v7, v20, v56
	v_min3_f32 v127, v7, v3, v97
	v_add_f32_e32 v3, v17, v57
	v_add_f32_e32 v7, v16, v56
	v_min3_f32 v126, v7, v3, v98
	v_add_f32_e32 v3, v13, v57
	v_add_f32_e32 v7, v12, v56
	v_min3_f32 v125, v7, v3, v105
	v_add_f32_e32 v3, v9, v57
	v_add_f32_e32 v7, v8, v56
	v_min3_f32 v124, v7, v3, v106
	v_add_f32_e32 v3, v5, v57
	v_add_f32_e32 v7, v4, v56
	v_min3_f32 v122, v7, v3, v54
	v_add_f32_e32 v3, v33, v61
	v_add_f32_e32 v7, v32, v60
	v_min3_f32 v121, v7, v3, v55
	v_add_f32_e32 v3, v29, v61
	v_add_f32_e32 v7, v28, v60
	v_min3_f32 v120, v7, v3, v113
	v_add_f32_e32 v3, v25, v61
	v_add_f32_e32 v7, v24, v60
	v_min3_f32 v119, v7, v3, v114
	v_add_f32_e32 v3, v21, v61
	v_add_f32_e32 v7, v20, v60
	v_min3_f32 v118, v7, v3, v118
	v_add_f32_e32 v3, v17, v61
	v_add_f32_e32 v7, v16, v60
	v_min3_f32 v117, v7, v3, v117
	v_add_f32_e32 v3, v13, v61
	v_add_f32_e32 v7, v12, v60
	v_min3_f32 v116, v7, v3, v116
	v_add_f32_e32 v3, v9, v61
	v_add_f32_e32 v7, v8, v60
	v_min3_f32 v115, v7, v3, v115
	v_add_f32_e32 v3, v5, v61
	v_add_f32_e32 v7, v4, v60
	v_min3_f32 v114, v7, v3, v58
	v_add_f32_e32 v3, v33, v65
	v_add_f32_e32 v7, v32, v64
	v_min3_f32 v113, v7, v3, v59
	v_add_f32_e32 v3, v29, v65
	v_add_f32_e32 v7, v28, v64
	v_min3_f32 v112, v7, v3, v112
	v_add_f32_e32 v3, v25, v65
	v_add_f32_e32 v7, v24, v64
	v_min3_f32 v111, v7, v3, v111
	v_add_f32_e32 v3, v21, v65
	v_add_f32_e32 v7, v20, v64
	v_min3_f32 v110, v7, v3, v110
	v_add_f32_e32 v3, v17, v65
	v_add_f32_e32 v7, v16, v64
	v_min3_f32 v109, v7, v3, v109
	v_add_f32_e32 v3, v13, v65
	v_add_f32_e32 v7, v12, v64
	v_min3_f32 v108, v7, v3, v108
	v_add_f32_e32 v3, v9, v65
	v_add_f32_e32 v7, v8, v64
	v_min3_f32 v107, v7, v3, v107
	v_add_f32_e32 v3, v5, v65
	v_add_f32_e32 v7, v4, v64
	v_min3_f32 v106, v7, v3, v62
	v_add_f32_e32 v3, v33, v45
	v_add_f32_e32 v7, v32, v44
	v_min3_f32 v105, v7, v3, v63
	v_add_f32_e32 v3, v29, v45
	v_add_f32_e32 v7, v28, v44
	v_min3_f32 v104, v7, v3, v104
	v_add_f32_e32 v3, v25, v45
	v_add_f32_e32 v7, v24, v44
	v_min3_f32 v103, v7, v3, v103
	v_add_f32_e32 v3, v21, v45
	v_add_f32_e32 v7, v20, v44
	v_min3_f32 v102, v7, v3, v102
	v_add_f32_e32 v3, v17, v45
	v_add_f32_e32 v7, v16, v44
	v_min3_f32 v101, v7, v3, v101
	v_add_f32_e32 v3, v13, v45
	v_add_f32_e32 v7, v12, v44
	v_min3_f32 v100, v7, v3, v100
	v_add_f32_e32 v3, v9, v45
	v_add_f32_e32 v7, v8, v44
	v_min3_f32 v99, v7, v3, v99
	v_add_f32_e32 v3, v5, v45
	v_add_f32_e32 v7, v4, v44
	v_min3_f32 v98, v7, v3, v42
	v_add_f32_e32 v3, v33, v41
	v_add_f32_e32 v7, v32, v40
	v_min3_f32 v97, v7, v3, v43
	v_add_f32_e32 v3, v29, v41
	v_add_f32_e32 v7, v28, v40
	v_min3_f32 v96, v7, v3, v96
	v_add_f32_e32 v3, v25, v41
	v_add_f32_e32 v7, v24, v40
	v_min3_f32 v95, v7, v3, v95
	v_add_f32_e32 v3, v21, v41
	v_add_f32_e32 v7, v20, v40
	v_min3_f32 v94, v7, v3, v94
	v_add_f32_e32 v3, v17, v41
	v_add_f32_e32 v7, v16, v40
	v_min3_f32 v93, v7, v3, v93
	v_add_f32_e32 v3, v13, v41
	v_add_f32_e32 v7, v12, v40
	v_min3_f32 v91, v7, v3, v91
	v_add_f32_e32 v3, v9, v41
	v_add_f32_e32 v7, v8, v40
	v_min3_f32 v90, v7, v3, v90
	v_add_f32_e32 v3, v5, v41
	v_add_f32_e32 v7, v4, v40
	v_add_f32_e32 v4, v4, v36
	v_min3_f32 v89, v7, v3, v38
	v_add_f32_e32 v3, v33, v37
	v_add_f32_e32 v7, v32, v36
	v_min3_f32 v88, v7, v3, v30
	v_add_f32_e32 v3, v29, v37
	;; [unrolled: 3-line block ×8, first 2 shown]
	v_min3_f32 v92, v4, v3, v2
	s_cbranch_scc1 .LBB70_50
.LBB70_30:                              ; =>This Inner Loop Header: Depth=1
	v_add_nc_u32_e32 v153, s22, v72
	v_mov_b32_e32 v154, 0x7f7fffff
	v_mov_b32_e32 v155, 0x7f7fffff
	v_add_nc_u32_e32 v2, 8, v153
	v_cmp_le_i32_e64 s6, s14, v2
	s_nor_b32 s8, vcc_lo, s6
	s_and_saveexec_b32 s23, s8
	s_cbranch_execz .LBB70_32
; %bb.31:                               ;   in Loop: Header=BB70_30 Depth=1
	v_add_co_u32 v2, s8, v144, v66
	v_add_co_ci_u32_e64 v3, null, v145, v67, s8
	global_load_dword v155, v[2:3], off
.LBB70_32:                              ;   in Loop: Header=BB70_30 Depth=1
	s_or_b32 exec_lo, exec_lo, s23
	s_nor_b32 s8, s0, s6
	s_and_saveexec_b32 s23, s8
	s_cbranch_execz .LBB70_34
; %bb.33:                               ;   in Loop: Header=BB70_30 Depth=1
	v_add_co_u32 v2, s8, v148, v68
	v_add_co_ci_u32_e64 v3, null, v149, v69, s8
	global_load_dword v154, v[2:3], off
.LBB70_34:                              ;   in Loop: Header=BB70_30 Depth=1
	s_or_b32 exec_lo, exec_lo, s23
	v_mov_b32_e32 v156, 0x7f7fffff
	v_mov_b32_e32 v157, 0x7f7fffff
	s_nor_b32 s8, s1, s6
	s_and_saveexec_b32 s23, s8
	s_cbranch_execz .LBB70_36
; %bb.35:                               ;   in Loop: Header=BB70_30 Depth=1
	v_add_co_u32 v2, s8, v148, v68
	v_add_co_ci_u32_e64 v3, null, v149, v69, s8
	global_load_dword v157, v[2:3], off offset:256
.LBB70_36:                              ;   in Loop: Header=BB70_30 Depth=1
	s_or_b32 exec_lo, exec_lo, s23
	s_nor_b32 s8, s2, s6
	s_and_saveexec_b32 s23, s8
	s_cbranch_execz .LBB70_38
; %bb.37:                               ;   in Loop: Header=BB70_30 Depth=1
	v_add_co_u32 v2, s8, v148, v68
	v_add_co_ci_u32_e64 v3, null, v149, v69, s8
	global_load_dword v156, v[2:3], off offset:512
.LBB70_38:                              ;   in Loop: Header=BB70_30 Depth=1
	s_or_b32 exec_lo, exec_lo, s23
	v_mov_b32_e32 v152, 0x7f7fffff
	v_mov_b32_e32 v158, 0x7f7fffff
	s_nor_b32 s6, s3, s6
	s_and_saveexec_b32 s8, s6
	s_cbranch_execz .LBB70_40
; %bb.39:                               ;   in Loop: Header=BB70_30 Depth=1
	v_add_co_u32 v2, s6, v148, v68
	v_add_co_ci_u32_e64 v3, null, v149, v69, s6
	global_load_dword v158, v[2:3], off offset:768
.LBB70_40:                              ;   in Loop: Header=BB70_30 Depth=1
	s_or_b32 exec_lo, exec_lo, s8
	ds_read_b128 v[34:37], v146
	ds_read_b128 v[30:33], v146 offset:128
	ds_read_b128 v[26:29], v146 offset:256
	;; [unrolled: 1-line block ×7, first 2 shown]
	ds_read_b128 v[62:65], v147
	ds_read_b128 v[58:61], v147 offset:512
	ds_read_b128 v[54:57], v147 offset:1024
	;; [unrolled: 1-line block ×7, first 2 shown]
	v_add_nc_u32_e32 v153, 12, v153
	s_waitcnt vmcnt(0)
	ds_write_b32 v123, v155
	ds_write2st64_b32 v75, v154, v157 offset1:4
	ds_write2st64_b32 v75, v156, v158 offset0:8 offset1:12
	s_waitcnt lgkmcnt(0)
	s_barrier
	v_cmp_le_i32_e64 s6, s14, v153
	buffer_gl0_inv
	s_nor_b32 s8, vcc_lo, s6
	s_and_saveexec_b32 s23, s8
	s_cbranch_execz .LBB70_42
; %bb.41:                               ;   in Loop: Header=BB70_30 Depth=1
	v_add_co_u32 v152, s8, v144, v70
	v_add_co_ci_u32_e64 v153, null, v145, v71, s8
	global_load_dword v152, v[152:153], off
.LBB70_42:                              ;   in Loop: Header=BB70_30 Depth=1
	s_or_b32 exec_lo, exec_lo, s23
	v_mov_b32_e32 v153, 0x7f7fffff
	v_mov_b32_e32 v154, 0x7f7fffff
	s_nor_b32 s8, s0, s6
	s_and_saveexec_b32 s23, s8
	s_cbranch_execz .LBB70_44
; %bb.43:                               ;   in Loop: Header=BB70_30 Depth=1
	v_add_co_u32 v154, s8, v150, v68
	v_add_co_ci_u32_e64 v155, null, v151, v69, s8
	global_load_dword v154, v[154:155], off
.LBB70_44:                              ;   in Loop: Header=BB70_30 Depth=1
	s_or_b32 exec_lo, exec_lo, s23
	s_nor_b32 s8, s1, s6
	s_and_saveexec_b32 s23, s8
	s_cbranch_execz .LBB70_46
; %bb.45:                               ;   in Loop: Header=BB70_30 Depth=1
	v_add_co_u32 v155, s8, v150, v68
	v_add_co_ci_u32_e64 v156, null, v151, v69, s8
	global_load_dword v153, v[155:156], off offset:256
.LBB70_46:                              ;   in Loop: Header=BB70_30 Depth=1
	s_or_b32 exec_lo, exec_lo, s23
	v_mov_b32_e32 v155, 0x7f7fffff
	v_mov_b32_e32 v156, 0x7f7fffff
	s_nor_b32 s8, s2, s6
	s_and_saveexec_b32 s23, s8
	s_cbranch_execz .LBB70_48
; %bb.47:                               ;   in Loop: Header=BB70_30 Depth=1
	v_add_co_u32 v156, s8, v150, v68
	v_add_co_ci_u32_e64 v157, null, v151, v69, s8
	global_load_dword v156, v[156:157], off offset:512
.LBB70_48:                              ;   in Loop: Header=BB70_30 Depth=1
	s_or_b32 exec_lo, exec_lo, s23
	s_nor_b32 s6, s3, s6
	s_and_saveexec_b32 s8, s6
	s_cbranch_execz .LBB70_29
; %bb.49:                               ;   in Loop: Header=BB70_30 Depth=1
	v_add_co_u32 v157, s6, v150, v68
	v_add_co_ci_u32_e64 v158, null, v151, v69, s6
	global_load_dword v155, v[157:158], off offset:768
	s_branch .LBB70_29
.LBB70_50:
	s_clause 0x2
	s_load_dwordx2 s[0:1], s[4:5], 0x70
	s_load_dword s18, s[4:5], 0x50
	s_load_dword s14, s[4:5], 0x68
	ds_read_b128 v[34:37], v74 offset:9216
	ds_read_b128 v[30:33], v74 offset:9344
	;; [unrolled: 1-line block ×12, first 2 shown]
	v_add_nc_u32_e32 v133, s27, v1
	ds_read_b128 v[46:49], v73 offset:6144
	ds_read_b128 v[42:45], v73 offset:6656
	;; [unrolled: 1-line block ×4, first 2 shown]
	v_add_nc_u32_e32 v0, s9, v0
	v_cndmask_b32_e64 v123, 0, 1, s26
	v_cmp_gt_i32_e64 s8, s13, v133
	v_ashrrev_i32_e32 v1, 31, v0
	s_waitcnt lgkmcnt(0)
	s_mul_i32 s1, s1, s7
	v_mad_i64_i32 v[66:67], null, v133, s18, 0
	v_mad_i64_i32 v[68:69], null, v133, s14, 0
	s_mul_hi_u32 s2, s0, s7
	s_mul_i32 s0, s0, s7
	s_add_i32 s1, s2, s1
	s_lshl_b64 s[0:1], s[0:1], 2
	v_lshlrev_b64 v[66:67], 2, v[66:67]
	v_lshlrev_b64 v[68:69], 2, v[68:69]
	s_add_u32 s10, s10, s0
	s_addc_u32 s11, s11, s1
	v_cmp_gt_i32_e64 s0, s12, v0
	v_add_co_u32 v144, vcc_lo, s16, v66
	v_add_co_ci_u32_e64 v145, null, s17, v67, vcc_lo
	v_add_co_u32 v142, vcc_lo, s10, v68
	v_add_co_ci_u32_e64 v143, null, s11, v69, vcc_lo
	s_and_b32 s2, s0, s8
	s_and_saveexec_b32 s1, s2
	s_cbranch_execz .LBB70_56
; %bb.51:
	v_lshlrev_b64 v[66:67], 2, v[0:1]
	s_andn2_b32 vcc_lo, exec_lo, s26
	s_cbranch_vccnz .LBB70_54
; %bb.52:
	v_add_co_u32 v68, vcc_lo, v144, v66
	v_add_co_ci_u32_e64 v69, null, v145, v67, vcc_lo
	global_load_dword v68, v[68:69], off
	s_waitcnt vmcnt(0)
	v_mul_f32_e32 v68, s15, v68
	s_branch .LBB70_55
.LBB70_53:
	s_mov_b64 s[18:19], 0
	s_andn2_b32 vcc_lo, exec_lo, s8
	s_mov_b32 s0, -1
	s_cbranch_vccz .LBB70_2
	s_branch .LBB70_3
.LBB70_54:
	v_mov_b32_e32 v68, 0
.LBB70_55:
	v_add_f32_e32 v69, v35, v63
	v_add_f32_e32 v70, v34, v62
	;; [unrolled: 1-line block ×4, first 2 shown]
	v_add_co_u32 v66, vcc_lo, v142, v66
	v_min3_f32 v69, v70, v69, v141
	v_add_co_ci_u32_e64 v67, null, v143, v67, vcc_lo
	v_min_f32_e32 v70, v72, v71
	v_min3_f32 v68, v68, v70, v69
	global_store_dword v[66:67], v68, off
.LBB70_56:
	s_or_b32 exec_lo, exec_lo, s1
	v_add_nc_u32_e32 v66, 8, v0
	v_cmp_gt_i32_e64 s1, s12, v66
	v_ashrrev_i32_e32 v67, 31, v66
	s_and_b32 s3, s1, s8
	s_and_saveexec_b32 s2, s3
	s_cbranch_execz .LBB70_61
; %bb.57:
	v_cmp_ne_u32_e32 vcc_lo, 1, v123
	v_lshlrev_b64 v[68:69], 2, v[66:67]
	s_cbranch_vccnz .LBB70_59
; %bb.58:
	v_add_co_u32 v70, vcc_lo, v144, v68
	v_add_co_ci_u32_e64 v71, null, v145, v69, vcc_lo
	global_load_dword v70, v[70:71], off
	s_waitcnt vmcnt(0)
	v_mul_f32_e32 v70, s15, v70
	s_branch .LBB70_60
.LBB70_59:
	v_mov_b32_e32 v70, 0
.LBB70_60:
	v_add_f32_e32 v71, v31, v63
	v_add_f32_e32 v72, v30, v62
	v_add_f32_e32 v73, v33, v65
	v_add_f32_e32 v74, v32, v64
	v_add_co_u32 v68, vcc_lo, v142, v68
	v_min3_f32 v71, v72, v71, v81
	v_add_co_ci_u32_e64 v69, null, v143, v69, vcc_lo
	v_min_f32_e32 v72, v74, v73
	v_min3_f32 v70, v70, v72, v71
	global_store_dword v[68:69], v70, off
.LBB70_61:
	s_or_b32 exec_lo, exec_lo, s2
	v_add_nc_u32_e32 v68, 16, v0
	v_cmp_gt_i32_e64 s2, s12, v68
	v_ashrrev_i32_e32 v69, 31, v68
	s_and_b32 s4, s2, s8
	s_and_saveexec_b32 s3, s4
	s_cbranch_execz .LBB70_66
; %bb.62:
	v_cmp_ne_u32_e32 vcc_lo, 1, v123
	v_lshlrev_b64 v[70:71], 2, v[68:69]
	s_cbranch_vccnz .LBB70_64
; %bb.63:
	v_add_co_u32 v72, vcc_lo, v144, v70
	v_add_co_ci_u32_e64 v73, null, v145, v71, vcc_lo
	global_load_dword v72, v[72:73], off
	s_waitcnt vmcnt(0)
	v_mul_f32_e32 v72, s15, v72
	s_branch .LBB70_65
.LBB70_64:
	v_mov_b32_e32 v72, 0
.LBB70_65:
	v_add_f32_e32 v73, v27, v63
	v_add_f32_e32 v74, v26, v62
	v_add_f32_e32 v75, v29, v65
	v_add_f32_e32 v81, v28, v64
	v_add_co_u32 v70, vcc_lo, v142, v70
	v_min3_f32 v73, v74, v73, v79
	v_add_co_ci_u32_e64 v71, null, v143, v71, vcc_lo
	v_min_f32_e32 v74, v81, v75
	v_min3_f32 v72, v72, v74, v73
	global_store_dword v[70:71], v72, off
.LBB70_66:
	;; [unrolled: 32-line block ×6, first 2 shown]
	s_or_b32 exec_lo, exec_lo, s7
	v_add_nc_u32_e32 v78, 56, v0
	v_cmp_gt_i32_e64 s7, s12, v78
	v_ashrrev_i32_e32 v79, 31, v78
	s_and_b32 s9, s7, s8
	s_and_saveexec_b32 s8, s9
	s_cbranch_execz .LBB70_91
; %bb.87:
	v_cmp_ne_u32_e32 vcc_lo, 1, v123
	v_lshlrev_b64 v[80:81], 2, v[78:79]
	s_cbranch_vccnz .LBB70_89
; %bb.88:
	v_add_co_u32 v144, vcc_lo, v144, v80
	v_add_co_ci_u32_e64 v145, null, v145, v81, vcc_lo
	global_load_dword v141, v[144:145], off
	s_waitcnt vmcnt(0)
	v_mul_f32_e32 v141, s15, v141
	s_branch .LBB70_90
.LBB70_89:
	v_mov_b32_e32 v141, 0
.LBB70_90:
	v_add_f32_e32 v63, v3, v63
	v_add_f32_e32 v62, v2, v62
	;; [unrolled: 1-line block ×4, first 2 shown]
	v_min3_f32 v62, v62, v63, v140
	v_min_f32_e32 v63, v64, v65
	v_min3_f32 v64, v141, v63, v62
	v_add_co_u32 v62, vcc_lo, v142, v80
	v_add_co_ci_u32_e64 v63, null, v143, v81, vcc_lo
	global_store_dword v[62:63], v64, off
.LBB70_91:
	s_or_b32 exec_lo, exec_lo, s8
	v_add_nc_u32_e32 v80, 32, v133
	v_mad_i64_i32 v[62:63], null, v80, s18, 0
	v_mad_i64_i32 v[64:65], null, v80, s14, 0
	v_cmp_gt_i32_e64 s8, s13, v80
	v_lshlrev_b64 v[62:63], 2, v[62:63]
	s_and_b32 s12, s0, s8
	v_lshlrev_b64 v[64:65], 2, v[64:65]
	v_add_co_u32 v80, vcc_lo, s16, v62
	v_add_co_ci_u32_e64 v81, null, s17, v63, vcc_lo
	v_add_co_u32 v64, vcc_lo, s10, v64
	v_add_co_ci_u32_e64 v65, null, s11, v65, vcc_lo
	s_and_saveexec_b32 s9, s12
	s_cbranch_execnz .LBB70_99
; %bb.92:
	s_or_b32 exec_lo, exec_lo, s9
	s_and_b32 s12, s1, s8
	s_and_saveexec_b32 s9, s12
	s_cbranch_execnz .LBB70_103
.LBB70_93:
	s_or_b32 exec_lo, exec_lo, s9
	s_and_b32 s12, s2, s8
	s_and_saveexec_b32 s9, s12
	s_cbranch_execnz .LBB70_107
.LBB70_94:
	s_or_b32 exec_lo, exec_lo, s9
	s_and_b32 s12, s3, s8
	s_and_saveexec_b32 s9, s12
	s_cbranch_execnz .LBB70_111
.LBB70_95:
	s_or_b32 exec_lo, exec_lo, s9
	s_and_b32 s12, s4, s8
	s_and_saveexec_b32 s9, s12
	s_cbranch_execnz .LBB70_115
.LBB70_96:
	s_or_b32 exec_lo, exec_lo, s9
	s_and_b32 s12, s5, s8
	s_and_saveexec_b32 s9, s12
	s_cbranch_execnz .LBB70_119
.LBB70_97:
	s_or_b32 exec_lo, exec_lo, s9
	s_and_b32 s12, s6, s8
	s_and_saveexec_b32 s9, s12
	s_cbranch_execnz .LBB70_123
.LBB70_98:
	s_or_b32 exec_lo, exec_lo, s9
	s_and_b32 s9, s7, s8
	s_and_saveexec_b32 s8, s9
	s_cbranch_execnz .LBB70_127
	s_branch .LBB70_131
.LBB70_99:
	v_cmp_ne_u32_e32 vcc_lo, 1, v123
	v_lshlrev_b64 v[62:63], 2, v[0:1]
	s_cbranch_vccnz .LBB70_101
; %bb.100:
	v_add_co_u32 v140, vcc_lo, v80, v62
	v_add_co_ci_u32_e64 v141, null, v81, v63, vcc_lo
	global_load_dword v140, v[140:141], off
	s_waitcnt vmcnt(0)
	v_mul_f32_e32 v140, s15, v140
	s_branch .LBB70_102
.LBB70_101:
	v_mov_b32_e32 v140, 0
.LBB70_102:
	v_add_f32_e32 v141, v35, v59
	v_add_f32_e32 v142, v34, v58
	v_add_f32_e32 v143, v37, v61
	v_add_f32_e32 v144, v36, v60
	v_add_co_u32 v62, vcc_lo, v64, v62
	v_min3_f32 v139, v142, v141, v139
	v_add_co_ci_u32_e64 v63, null, v65, v63, vcc_lo
	v_min_f32_e32 v141, v144, v143
	v_min3_f32 v139, v140, v141, v139
	global_store_dword v[62:63], v139, off
	s_or_b32 exec_lo, exec_lo, s9
	s_and_b32 s12, s1, s8
	s_and_saveexec_b32 s9, s12
	s_cbranch_execz .LBB70_93
.LBB70_103:
	v_cmp_ne_u32_e32 vcc_lo, 1, v123
	v_lshlrev_b64 v[62:63], 2, v[66:67]
	s_cbranch_vccnz .LBB70_105
; %bb.104:
	v_add_co_u32 v139, vcc_lo, v80, v62
	v_add_co_ci_u32_e64 v140, null, v81, v63, vcc_lo
	global_load_dword v139, v[139:140], off
	s_waitcnt vmcnt(0)
	v_mul_f32_e32 v139, s15, v139
	s_branch .LBB70_106
.LBB70_105:
	v_mov_b32_e32 v139, 0
.LBB70_106:
	v_add_f32_e32 v140, v31, v59
	v_add_f32_e32 v141, v30, v58
	;; [unrolled: 1-line block ×4, first 2 shown]
	v_add_co_u32 v62, vcc_lo, v64, v62
	v_min3_f32 v138, v141, v140, v138
	v_add_co_ci_u32_e64 v63, null, v65, v63, vcc_lo
	v_min_f32_e32 v140, v143, v142
	v_min3_f32 v138, v139, v140, v138
	global_store_dword v[62:63], v138, off
	s_or_b32 exec_lo, exec_lo, s9
	s_and_b32 s12, s2, s8
	s_and_saveexec_b32 s9, s12
	s_cbranch_execz .LBB70_94
.LBB70_107:
	v_cmp_ne_u32_e32 vcc_lo, 1, v123
	v_lshlrev_b64 v[62:63], 2, v[68:69]
	s_cbranch_vccnz .LBB70_109
; %bb.108:
	v_add_co_u32 v138, vcc_lo, v80, v62
	v_add_co_ci_u32_e64 v139, null, v81, v63, vcc_lo
	global_load_dword v138, v[138:139], off
	s_waitcnt vmcnt(0)
	v_mul_f32_e32 v138, s15, v138
	s_branch .LBB70_110
.LBB70_109:
	v_mov_b32_e32 v138, 0
.LBB70_110:
	v_add_f32_e32 v139, v27, v59
	v_add_f32_e32 v140, v26, v58
	;; [unrolled: 1-line block ×4, first 2 shown]
	v_add_co_u32 v62, vcc_lo, v64, v62
	v_min3_f32 v137, v140, v139, v137
	v_add_co_ci_u32_e64 v63, null, v65, v63, vcc_lo
	v_min_f32_e32 v139, v142, v141
	v_min3_f32 v137, v138, v139, v137
	global_store_dword v[62:63], v137, off
	s_or_b32 exec_lo, exec_lo, s9
	s_and_b32 s12, s3, s8
	s_and_saveexec_b32 s9, s12
	s_cbranch_execz .LBB70_95
.LBB70_111:
	v_cmp_ne_u32_e32 vcc_lo, 1, v123
	v_lshlrev_b64 v[62:63], 2, v[70:71]
	s_cbranch_vccnz .LBB70_113
; %bb.112:
	v_add_co_u32 v137, vcc_lo, v80, v62
	v_add_co_ci_u32_e64 v138, null, v81, v63, vcc_lo
	global_load_dword v137, v[137:138], off
	s_waitcnt vmcnt(0)
	v_mul_f32_e32 v137, s15, v137
	s_branch .LBB70_114
.LBB70_113:
	v_mov_b32_e32 v137, 0
.LBB70_114:
	v_add_f32_e32 v138, v23, v59
	v_add_f32_e32 v139, v22, v58
	;; [unrolled: 1-line block ×4, first 2 shown]
	v_add_co_u32 v62, vcc_lo, v64, v62
	v_min3_f32 v136, v139, v138, v136
	v_add_co_ci_u32_e64 v63, null, v65, v63, vcc_lo
	v_min_f32_e32 v138, v141, v140
	v_min3_f32 v136, v137, v138, v136
	global_store_dword v[62:63], v136, off
	s_or_b32 exec_lo, exec_lo, s9
	s_and_b32 s12, s4, s8
	s_and_saveexec_b32 s9, s12
	s_cbranch_execz .LBB70_96
.LBB70_115:
	v_cmp_ne_u32_e32 vcc_lo, 1, v123
	v_lshlrev_b64 v[62:63], 2, v[72:73]
	s_cbranch_vccnz .LBB70_117
; %bb.116:
	v_add_co_u32 v136, vcc_lo, v80, v62
	v_add_co_ci_u32_e64 v137, null, v81, v63, vcc_lo
	global_load_dword v136, v[136:137], off
	s_waitcnt vmcnt(0)
	v_mul_f32_e32 v136, s15, v136
	s_branch .LBB70_118
.LBB70_117:
	v_mov_b32_e32 v136, 0
.LBB70_118:
	v_add_f32_e32 v137, v19, v59
	v_add_f32_e32 v138, v18, v58
	v_add_f32_e32 v139, v21, v61
	v_add_f32_e32 v140, v20, v60
	v_add_co_u32 v62, vcc_lo, v64, v62
	v_min3_f32 v135, v138, v137, v135
	v_add_co_ci_u32_e64 v63, null, v65, v63, vcc_lo
	v_min_f32_e32 v137, v140, v139
	v_min3_f32 v135, v136, v137, v135
	global_store_dword v[62:63], v135, off
	s_or_b32 exec_lo, exec_lo, s9
	s_and_b32 s12, s5, s8
	s_and_saveexec_b32 s9, s12
	s_cbranch_execz .LBB70_97
.LBB70_119:
	v_cmp_ne_u32_e32 vcc_lo, 1, v123
	v_lshlrev_b64 v[62:63], 2, v[74:75]
	s_cbranch_vccnz .LBB70_121
; %bb.120:
	v_add_co_u32 v135, vcc_lo, v80, v62
	v_add_co_ci_u32_e64 v136, null, v81, v63, vcc_lo
	global_load_dword v135, v[135:136], off
	s_waitcnt vmcnt(0)
	v_mul_f32_e32 v135, s15, v135
	s_branch .LBB70_122
.LBB70_121:
	v_mov_b32_e32 v135, 0
.LBB70_122:
	v_add_f32_e32 v136, v15, v59
	v_add_f32_e32 v137, v14, v58
	;; [unrolled: 1-line block ×4, first 2 shown]
	v_add_co_u32 v62, vcc_lo, v64, v62
	v_min3_f32 v134, v137, v136, v134
	v_add_co_ci_u32_e64 v63, null, v65, v63, vcc_lo
	v_min_f32_e32 v136, v139, v138
	v_min3_f32 v134, v135, v136, v134
	global_store_dword v[62:63], v134, off
	s_or_b32 exec_lo, exec_lo, s9
	s_and_b32 s12, s6, s8
	s_and_saveexec_b32 s9, s12
	s_cbranch_execz .LBB70_98
.LBB70_123:
	v_cmp_ne_u32_e32 vcc_lo, 1, v123
	v_lshlrev_b64 v[62:63], 2, v[76:77]
	s_cbranch_vccnz .LBB70_125
; %bb.124:
	v_add_co_u32 v134, vcc_lo, v80, v62
	v_add_co_ci_u32_e64 v135, null, v81, v63, vcc_lo
	global_load_dword v134, v[134:135], off
	s_waitcnt vmcnt(0)
	v_mul_f32_e32 v134, s15, v134
	s_branch .LBB70_126
.LBB70_125:
	v_mov_b32_e32 v134, 0
.LBB70_126:
	v_add_f32_e32 v135, v11, v59
	v_add_f32_e32 v136, v10, v58
	;; [unrolled: 1-line block ×4, first 2 shown]
	v_add_co_u32 v62, vcc_lo, v64, v62
	v_min3_f32 v132, v136, v135, v132
	v_add_co_ci_u32_e64 v63, null, v65, v63, vcc_lo
	v_min_f32_e32 v135, v138, v137
	v_min3_f32 v132, v134, v135, v132
	global_store_dword v[62:63], v132, off
	s_or_b32 exec_lo, exec_lo, s9
	s_and_b32 s9, s7, s8
	s_and_saveexec_b32 s8, s9
	s_cbranch_execz .LBB70_131
.LBB70_127:
	v_cmp_ne_u32_e32 vcc_lo, 1, v123
	v_lshlrev_b64 v[62:63], 2, v[78:79]
	s_cbranch_vccnz .LBB70_129
; %bb.128:
	v_add_co_u32 v80, vcc_lo, v80, v62
	v_add_co_ci_u32_e64 v81, null, v81, v63, vcc_lo
	global_load_dword v80, v[80:81], off
	s_waitcnt vmcnt(0)
	v_mul_f32_e32 v80, s15, v80
	s_branch .LBB70_130
.LBB70_129:
	v_mov_b32_e32 v80, 0
.LBB70_130:
	v_add_f32_e32 v59, v3, v59
	v_add_f32_e32 v58, v2, v58
	;; [unrolled: 1-line block ×4, first 2 shown]
	v_min3_f32 v58, v58, v59, v131
	v_min_f32_e32 v59, v60, v61
	v_min3_f32 v60, v80, v59, v58
	v_add_co_u32 v58, vcc_lo, v64, v62
	v_add_co_ci_u32_e64 v59, null, v65, v63, vcc_lo
	global_store_dword v[58:59], v60, off
.LBB70_131:
	s_or_b32 exec_lo, exec_lo, s8
	v_add_nc_u32_e32 v62, 64, v133
	v_mad_i64_i32 v[58:59], null, v62, s18, 0
	v_mad_i64_i32 v[60:61], null, v62, s14, 0
	v_cmp_gt_i32_e64 s8, s13, v62
	v_lshlrev_b64 v[58:59], 2, v[58:59]
	s_and_b32 s12, s0, s8
	v_lshlrev_b64 v[60:61], 2, v[60:61]
	v_add_co_u32 v62, vcc_lo, s16, v58
	v_add_co_ci_u32_e64 v63, null, s17, v59, vcc_lo
	v_add_co_u32 v60, vcc_lo, s10, v60
	v_add_co_ci_u32_e64 v61, null, s11, v61, vcc_lo
	s_and_saveexec_b32 s9, s12
	s_cbranch_execnz .LBB70_139
; %bb.132:
	s_or_b32 exec_lo, exec_lo, s9
	s_and_b32 s12, s1, s8
	s_and_saveexec_b32 s9, s12
	s_cbranch_execnz .LBB70_143
.LBB70_133:
	s_or_b32 exec_lo, exec_lo, s9
	s_and_b32 s12, s2, s8
	s_and_saveexec_b32 s9, s12
	s_cbranch_execnz .LBB70_147
.LBB70_134:
	s_or_b32 exec_lo, exec_lo, s9
	s_and_b32 s12, s3, s8
	s_and_saveexec_b32 s9, s12
	s_cbranch_execnz .LBB70_151
.LBB70_135:
	s_or_b32 exec_lo, exec_lo, s9
	s_and_b32 s12, s4, s8
	s_and_saveexec_b32 s9, s12
	s_cbranch_execnz .LBB70_155
.LBB70_136:
	s_or_b32 exec_lo, exec_lo, s9
	s_and_b32 s12, s5, s8
	s_and_saveexec_b32 s9, s12
	s_cbranch_execnz .LBB70_159
.LBB70_137:
	s_or_b32 exec_lo, exec_lo, s9
	s_and_b32 s12, s6, s8
	s_and_saveexec_b32 s9, s12
	s_cbranch_execnz .LBB70_163
.LBB70_138:
	s_or_b32 exec_lo, exec_lo, s9
	s_and_b32 s9, s7, s8
	s_and_saveexec_b32 s8, s9
	s_cbranch_execnz .LBB70_167
	s_branch .LBB70_171
.LBB70_139:
	v_cmp_ne_u32_e32 vcc_lo, 1, v123
	v_lshlrev_b64 v[58:59], 2, v[0:1]
	s_cbranch_vccnz .LBB70_141
; %bb.140:
	v_add_co_u32 v64, vcc_lo, v62, v58
	v_add_co_ci_u32_e64 v65, null, v63, v59, vcc_lo
	global_load_dword v64, v[64:65], off
	s_waitcnt vmcnt(0)
	v_mul_f32_e32 v64, s15, v64
	s_branch .LBB70_142
.LBB70_141:
	v_mov_b32_e32 v64, 0
.LBB70_142:
	v_add_f32_e32 v65, v35, v55
	v_add_f32_e32 v80, v34, v54
	;; [unrolled: 1-line block ×4, first 2 shown]
	v_add_co_u32 v58, vcc_lo, v60, v58
	v_min3_f32 v65, v80, v65, v130
	v_add_co_ci_u32_e64 v59, null, v61, v59, vcc_lo
	v_min_f32_e32 v80, v131, v81
	v_min3_f32 v64, v64, v80, v65
	global_store_dword v[58:59], v64, off
	s_or_b32 exec_lo, exec_lo, s9
	s_and_b32 s12, s1, s8
	s_and_saveexec_b32 s9, s12
	s_cbranch_execz .LBB70_133
.LBB70_143:
	v_cmp_ne_u32_e32 vcc_lo, 1, v123
	v_lshlrev_b64 v[58:59], 2, v[66:67]
	s_cbranch_vccnz .LBB70_145
; %bb.144:
	v_add_co_u32 v64, vcc_lo, v62, v58
	v_add_co_ci_u32_e64 v65, null, v63, v59, vcc_lo
	global_load_dword v64, v[64:65], off
	s_waitcnt vmcnt(0)
	v_mul_f32_e32 v64, s15, v64
	s_branch .LBB70_146
.LBB70_145:
	v_mov_b32_e32 v64, 0
.LBB70_146:
	v_add_f32_e32 v65, v31, v55
	v_add_f32_e32 v80, v30, v54
	;; [unrolled: 1-line block ×4, first 2 shown]
	v_add_co_u32 v58, vcc_lo, v60, v58
	v_min3_f32 v65, v80, v65, v129
	v_add_co_ci_u32_e64 v59, null, v61, v59, vcc_lo
	v_min_f32_e32 v80, v130, v81
	v_min3_f32 v64, v64, v80, v65
	global_store_dword v[58:59], v64, off
	s_or_b32 exec_lo, exec_lo, s9
	s_and_b32 s12, s2, s8
	s_and_saveexec_b32 s9, s12
	s_cbranch_execz .LBB70_134
.LBB70_147:
	v_cmp_ne_u32_e32 vcc_lo, 1, v123
	v_lshlrev_b64 v[58:59], 2, v[68:69]
	s_cbranch_vccnz .LBB70_149
; %bb.148:
	v_add_co_u32 v64, vcc_lo, v62, v58
	v_add_co_ci_u32_e64 v65, null, v63, v59, vcc_lo
	global_load_dword v64, v[64:65], off
	s_waitcnt vmcnt(0)
	v_mul_f32_e32 v64, s15, v64
	s_branch .LBB70_150
.LBB70_149:
	v_mov_b32_e32 v64, 0
.LBB70_150:
	v_add_f32_e32 v65, v27, v55
	v_add_f32_e32 v80, v26, v54
	;; [unrolled: 1-line block ×4, first 2 shown]
	v_add_co_u32 v58, vcc_lo, v60, v58
	v_min3_f32 v65, v80, v65, v128
	v_add_co_ci_u32_e64 v59, null, v61, v59, vcc_lo
	v_min_f32_e32 v80, v129, v81
	v_min3_f32 v64, v64, v80, v65
	global_store_dword v[58:59], v64, off
	s_or_b32 exec_lo, exec_lo, s9
	s_and_b32 s12, s3, s8
	s_and_saveexec_b32 s9, s12
	s_cbranch_execz .LBB70_135
.LBB70_151:
	v_cmp_ne_u32_e32 vcc_lo, 1, v123
	v_lshlrev_b64 v[58:59], 2, v[70:71]
	s_cbranch_vccnz .LBB70_153
; %bb.152:
	v_add_co_u32 v64, vcc_lo, v62, v58
	v_add_co_ci_u32_e64 v65, null, v63, v59, vcc_lo
	global_load_dword v64, v[64:65], off
	s_waitcnt vmcnt(0)
	v_mul_f32_e32 v64, s15, v64
	s_branch .LBB70_154
.LBB70_153:
	v_mov_b32_e32 v64, 0
.LBB70_154:
	v_add_f32_e32 v65, v23, v55
	v_add_f32_e32 v80, v22, v54
	;; [unrolled: 1-line block ×4, first 2 shown]
	v_add_co_u32 v58, vcc_lo, v60, v58
	v_min3_f32 v65, v80, v65, v127
	v_add_co_ci_u32_e64 v59, null, v61, v59, vcc_lo
	v_min_f32_e32 v80, v128, v81
	v_min3_f32 v64, v64, v80, v65
	global_store_dword v[58:59], v64, off
	s_or_b32 exec_lo, exec_lo, s9
	s_and_b32 s12, s4, s8
	s_and_saveexec_b32 s9, s12
	s_cbranch_execz .LBB70_136
.LBB70_155:
	v_cmp_ne_u32_e32 vcc_lo, 1, v123
	v_lshlrev_b64 v[58:59], 2, v[72:73]
	s_cbranch_vccnz .LBB70_157
; %bb.156:
	v_add_co_u32 v64, vcc_lo, v62, v58
	v_add_co_ci_u32_e64 v65, null, v63, v59, vcc_lo
	global_load_dword v64, v[64:65], off
	s_waitcnt vmcnt(0)
	v_mul_f32_e32 v64, s15, v64
	s_branch .LBB70_158
.LBB70_157:
	v_mov_b32_e32 v64, 0
.LBB70_158:
	v_add_f32_e32 v65, v19, v55
	v_add_f32_e32 v80, v18, v54
	;; [unrolled: 1-line block ×4, first 2 shown]
	v_add_co_u32 v58, vcc_lo, v60, v58
	v_min3_f32 v65, v80, v65, v126
	v_add_co_ci_u32_e64 v59, null, v61, v59, vcc_lo
	v_min_f32_e32 v80, v127, v81
	v_min3_f32 v64, v64, v80, v65
	global_store_dword v[58:59], v64, off
	s_or_b32 exec_lo, exec_lo, s9
	s_and_b32 s12, s5, s8
	s_and_saveexec_b32 s9, s12
	s_cbranch_execz .LBB70_137
.LBB70_159:
	v_cmp_ne_u32_e32 vcc_lo, 1, v123
	v_lshlrev_b64 v[58:59], 2, v[74:75]
	s_cbranch_vccnz .LBB70_161
; %bb.160:
	v_add_co_u32 v64, vcc_lo, v62, v58
	v_add_co_ci_u32_e64 v65, null, v63, v59, vcc_lo
	global_load_dword v64, v[64:65], off
	s_waitcnt vmcnt(0)
	v_mul_f32_e32 v64, s15, v64
	s_branch .LBB70_162
.LBB70_161:
	v_mov_b32_e32 v64, 0
.LBB70_162:
	v_add_f32_e32 v65, v15, v55
	v_add_f32_e32 v80, v14, v54
	;; [unrolled: 1-line block ×4, first 2 shown]
	v_add_co_u32 v58, vcc_lo, v60, v58
	v_min3_f32 v65, v80, v65, v125
	v_add_co_ci_u32_e64 v59, null, v61, v59, vcc_lo
	v_min_f32_e32 v80, v126, v81
	v_min3_f32 v64, v64, v80, v65
	global_store_dword v[58:59], v64, off
	s_or_b32 exec_lo, exec_lo, s9
	s_and_b32 s12, s6, s8
	s_and_saveexec_b32 s9, s12
	s_cbranch_execz .LBB70_138
.LBB70_163:
	v_cmp_ne_u32_e32 vcc_lo, 1, v123
	v_lshlrev_b64 v[58:59], 2, v[76:77]
	s_cbranch_vccnz .LBB70_165
; %bb.164:
	v_add_co_u32 v64, vcc_lo, v62, v58
	v_add_co_ci_u32_e64 v65, null, v63, v59, vcc_lo
	global_load_dword v64, v[64:65], off
	s_waitcnt vmcnt(0)
	v_mul_f32_e32 v64, s15, v64
	s_branch .LBB70_166
.LBB70_165:
	v_mov_b32_e32 v64, 0
.LBB70_166:
	v_add_f32_e32 v65, v11, v55
	v_add_f32_e32 v80, v10, v54
	;; [unrolled: 1-line block ×4, first 2 shown]
	v_add_co_u32 v58, vcc_lo, v60, v58
	v_min3_f32 v65, v80, v65, v124
	v_add_co_ci_u32_e64 v59, null, v61, v59, vcc_lo
	v_min_f32_e32 v80, v125, v81
	v_min3_f32 v64, v64, v80, v65
	global_store_dword v[58:59], v64, off
	s_or_b32 exec_lo, exec_lo, s9
	s_and_b32 s9, s7, s8
	s_and_saveexec_b32 s8, s9
	s_cbranch_execz .LBB70_171
.LBB70_167:
	v_cmp_ne_u32_e32 vcc_lo, 1, v123
	v_lshlrev_b64 v[58:59], 2, v[78:79]
	s_cbranch_vccnz .LBB70_169
; %bb.168:
	v_add_co_u32 v62, vcc_lo, v62, v58
	v_add_co_ci_u32_e64 v63, null, v63, v59, vcc_lo
	global_load_dword v62, v[62:63], off
	s_waitcnt vmcnt(0)
	v_mul_f32_e32 v62, s15, v62
	s_branch .LBB70_170
.LBB70_169:
	v_mov_b32_e32 v62, 0
.LBB70_170:
	v_add_f32_e32 v55, v3, v55
	v_add_f32_e32 v54, v2, v54
	;; [unrolled: 1-line block ×4, first 2 shown]
	v_min3_f32 v54, v54, v55, v122
	v_min_f32_e32 v55, v56, v57
	v_min3_f32 v56, v62, v55, v54
	v_add_co_u32 v54, vcc_lo, v60, v58
	v_add_co_ci_u32_e64 v55, null, v61, v59, vcc_lo
	global_store_dword v[54:55], v56, off
.LBB70_171:
	s_or_b32 exec_lo, exec_lo, s8
	v_add_nc_u32_e32 v58, 0x60, v133
	v_mad_i64_i32 v[54:55], null, v58, s18, 0
	v_mad_i64_i32 v[56:57], null, v58, s14, 0
	v_cmp_gt_i32_e64 s8, s13, v58
	v_lshlrev_b64 v[54:55], 2, v[54:55]
	s_and_b32 s12, s0, s8
	v_lshlrev_b64 v[56:57], 2, v[56:57]
	v_add_co_u32 v58, vcc_lo, s16, v54
	v_add_co_ci_u32_e64 v59, null, s17, v55, vcc_lo
	v_add_co_u32 v56, vcc_lo, s10, v56
	v_add_co_ci_u32_e64 v57, null, s11, v57, vcc_lo
	s_and_saveexec_b32 s9, s12
	s_cbranch_execnz .LBB70_179
; %bb.172:
	s_or_b32 exec_lo, exec_lo, s9
	s_and_b32 s12, s1, s8
	s_and_saveexec_b32 s9, s12
	s_cbranch_execnz .LBB70_183
.LBB70_173:
	s_or_b32 exec_lo, exec_lo, s9
	s_and_b32 s12, s2, s8
	s_and_saveexec_b32 s9, s12
	s_cbranch_execnz .LBB70_187
.LBB70_174:
	s_or_b32 exec_lo, exec_lo, s9
	s_and_b32 s12, s3, s8
	s_and_saveexec_b32 s9, s12
	s_cbranch_execnz .LBB70_191
.LBB70_175:
	s_or_b32 exec_lo, exec_lo, s9
	s_and_b32 s12, s4, s8
	s_and_saveexec_b32 s9, s12
	s_cbranch_execnz .LBB70_195
.LBB70_176:
	s_or_b32 exec_lo, exec_lo, s9
	s_and_b32 s12, s5, s8
	s_and_saveexec_b32 s9, s12
	s_cbranch_execnz .LBB70_199
.LBB70_177:
	s_or_b32 exec_lo, exec_lo, s9
	s_and_b32 s12, s6, s8
	s_and_saveexec_b32 s9, s12
	s_cbranch_execnz .LBB70_203
.LBB70_178:
	s_or_b32 exec_lo, exec_lo, s9
	s_and_b32 s9, s7, s8
	s_and_saveexec_b32 s8, s9
	s_cbranch_execnz .LBB70_207
	s_branch .LBB70_211
.LBB70_179:
	v_cmp_ne_u32_e32 vcc_lo, 1, v123
	v_lshlrev_b64 v[54:55], 2, v[0:1]
	s_cbranch_vccnz .LBB70_181
; %bb.180:
	v_add_co_u32 v60, vcc_lo, v58, v54
	v_add_co_ci_u32_e64 v61, null, v59, v55, vcc_lo
	global_load_dword v60, v[60:61], off
	s_waitcnt vmcnt(0)
	v_mul_f32_e32 v60, s15, v60
	s_branch .LBB70_182
.LBB70_181:
	v_mov_b32_e32 v60, 0
.LBB70_182:
	v_add_f32_e32 v61, v35, v51
	v_add_f32_e32 v62, v34, v50
	;; [unrolled: 1-line block ×4, first 2 shown]
	v_add_co_u32 v54, vcc_lo, v56, v54
	v_min3_f32 v61, v62, v61, v121
	v_add_co_ci_u32_e64 v55, null, v57, v55, vcc_lo
	v_min_f32_e32 v62, v64, v63
	v_min3_f32 v60, v60, v62, v61
	global_store_dword v[54:55], v60, off
	s_or_b32 exec_lo, exec_lo, s9
	s_and_b32 s12, s1, s8
	s_and_saveexec_b32 s9, s12
	s_cbranch_execz .LBB70_173
.LBB70_183:
	v_cmp_ne_u32_e32 vcc_lo, 1, v123
	v_lshlrev_b64 v[54:55], 2, v[66:67]
	s_cbranch_vccnz .LBB70_185
; %bb.184:
	v_add_co_u32 v60, vcc_lo, v58, v54
	v_add_co_ci_u32_e64 v61, null, v59, v55, vcc_lo
	global_load_dword v60, v[60:61], off
	s_waitcnt vmcnt(0)
	v_mul_f32_e32 v60, s15, v60
	s_branch .LBB70_186
.LBB70_185:
	v_mov_b32_e32 v60, 0
.LBB70_186:
	v_add_f32_e32 v61, v31, v51
	v_add_f32_e32 v62, v30, v50
	v_add_f32_e32 v63, v33, v53
	v_add_f32_e32 v64, v32, v52
	v_add_co_u32 v54, vcc_lo, v56, v54
	v_min3_f32 v61, v62, v61, v120
	v_add_co_ci_u32_e64 v55, null, v57, v55, vcc_lo
	v_min_f32_e32 v62, v64, v63
	v_min3_f32 v60, v60, v62, v61
	global_store_dword v[54:55], v60, off
	s_or_b32 exec_lo, exec_lo, s9
	s_and_b32 s12, s2, s8
	s_and_saveexec_b32 s9, s12
	s_cbranch_execz .LBB70_174
.LBB70_187:
	v_cmp_ne_u32_e32 vcc_lo, 1, v123
	v_lshlrev_b64 v[54:55], 2, v[68:69]
	s_cbranch_vccnz .LBB70_189
; %bb.188:
	v_add_co_u32 v60, vcc_lo, v58, v54
	v_add_co_ci_u32_e64 v61, null, v59, v55, vcc_lo
	global_load_dword v60, v[60:61], off
	s_waitcnt vmcnt(0)
	v_mul_f32_e32 v60, s15, v60
	s_branch .LBB70_190
.LBB70_189:
	v_mov_b32_e32 v60, 0
.LBB70_190:
	v_add_f32_e32 v61, v27, v51
	v_add_f32_e32 v62, v26, v50
	;; [unrolled: 1-line block ×4, first 2 shown]
	v_add_co_u32 v54, vcc_lo, v56, v54
	v_min3_f32 v61, v62, v61, v119
	v_add_co_ci_u32_e64 v55, null, v57, v55, vcc_lo
	v_min_f32_e32 v62, v64, v63
	v_min3_f32 v60, v60, v62, v61
	global_store_dword v[54:55], v60, off
	s_or_b32 exec_lo, exec_lo, s9
	s_and_b32 s12, s3, s8
	s_and_saveexec_b32 s9, s12
	s_cbranch_execz .LBB70_175
.LBB70_191:
	v_cmp_ne_u32_e32 vcc_lo, 1, v123
	v_lshlrev_b64 v[54:55], 2, v[70:71]
	s_cbranch_vccnz .LBB70_193
; %bb.192:
	v_add_co_u32 v60, vcc_lo, v58, v54
	v_add_co_ci_u32_e64 v61, null, v59, v55, vcc_lo
	global_load_dword v60, v[60:61], off
	s_waitcnt vmcnt(0)
	v_mul_f32_e32 v60, s15, v60
	s_branch .LBB70_194
.LBB70_193:
	v_mov_b32_e32 v60, 0
.LBB70_194:
	v_add_f32_e32 v61, v23, v51
	v_add_f32_e32 v62, v22, v50
	;; [unrolled: 1-line block ×4, first 2 shown]
	v_add_co_u32 v54, vcc_lo, v56, v54
	v_min3_f32 v61, v62, v61, v118
	v_add_co_ci_u32_e64 v55, null, v57, v55, vcc_lo
	v_min_f32_e32 v62, v64, v63
	v_min3_f32 v60, v60, v62, v61
	global_store_dword v[54:55], v60, off
	s_or_b32 exec_lo, exec_lo, s9
	s_and_b32 s12, s4, s8
	s_and_saveexec_b32 s9, s12
	s_cbranch_execz .LBB70_176
.LBB70_195:
	v_cmp_ne_u32_e32 vcc_lo, 1, v123
	v_lshlrev_b64 v[54:55], 2, v[72:73]
	s_cbranch_vccnz .LBB70_197
; %bb.196:
	v_add_co_u32 v60, vcc_lo, v58, v54
	v_add_co_ci_u32_e64 v61, null, v59, v55, vcc_lo
	global_load_dword v60, v[60:61], off
	s_waitcnt vmcnt(0)
	v_mul_f32_e32 v60, s15, v60
	s_branch .LBB70_198
.LBB70_197:
	v_mov_b32_e32 v60, 0
.LBB70_198:
	v_add_f32_e32 v61, v19, v51
	v_add_f32_e32 v62, v18, v50
	;; [unrolled: 1-line block ×4, first 2 shown]
	v_add_co_u32 v54, vcc_lo, v56, v54
	v_min3_f32 v61, v62, v61, v117
	v_add_co_ci_u32_e64 v55, null, v57, v55, vcc_lo
	v_min_f32_e32 v62, v64, v63
	v_min3_f32 v60, v60, v62, v61
	global_store_dword v[54:55], v60, off
	s_or_b32 exec_lo, exec_lo, s9
	s_and_b32 s12, s5, s8
	s_and_saveexec_b32 s9, s12
	s_cbranch_execz .LBB70_177
.LBB70_199:
	v_cmp_ne_u32_e32 vcc_lo, 1, v123
	v_lshlrev_b64 v[54:55], 2, v[74:75]
	s_cbranch_vccnz .LBB70_201
; %bb.200:
	v_add_co_u32 v60, vcc_lo, v58, v54
	v_add_co_ci_u32_e64 v61, null, v59, v55, vcc_lo
	global_load_dword v60, v[60:61], off
	s_waitcnt vmcnt(0)
	v_mul_f32_e32 v60, s15, v60
	s_branch .LBB70_202
.LBB70_201:
	v_mov_b32_e32 v60, 0
.LBB70_202:
	v_add_f32_e32 v61, v15, v51
	v_add_f32_e32 v62, v14, v50
	;; [unrolled: 1-line block ×4, first 2 shown]
	v_add_co_u32 v54, vcc_lo, v56, v54
	v_min3_f32 v61, v62, v61, v116
	v_add_co_ci_u32_e64 v55, null, v57, v55, vcc_lo
	v_min_f32_e32 v62, v64, v63
	v_min3_f32 v60, v60, v62, v61
	global_store_dword v[54:55], v60, off
	s_or_b32 exec_lo, exec_lo, s9
	s_and_b32 s12, s6, s8
	s_and_saveexec_b32 s9, s12
	s_cbranch_execz .LBB70_178
.LBB70_203:
	v_cmp_ne_u32_e32 vcc_lo, 1, v123
	v_lshlrev_b64 v[54:55], 2, v[76:77]
	s_cbranch_vccnz .LBB70_205
; %bb.204:
	v_add_co_u32 v60, vcc_lo, v58, v54
	v_add_co_ci_u32_e64 v61, null, v59, v55, vcc_lo
	global_load_dword v60, v[60:61], off
	s_waitcnt vmcnt(0)
	v_mul_f32_e32 v60, s15, v60
	s_branch .LBB70_206
.LBB70_205:
	v_mov_b32_e32 v60, 0
.LBB70_206:
	v_add_f32_e32 v61, v11, v51
	v_add_f32_e32 v62, v10, v50
	;; [unrolled: 1-line block ×4, first 2 shown]
	v_add_co_u32 v54, vcc_lo, v56, v54
	v_min3_f32 v61, v62, v61, v115
	v_add_co_ci_u32_e64 v55, null, v57, v55, vcc_lo
	v_min_f32_e32 v62, v64, v63
	v_min3_f32 v60, v60, v62, v61
	global_store_dword v[54:55], v60, off
	s_or_b32 exec_lo, exec_lo, s9
	s_and_b32 s9, s7, s8
	s_and_saveexec_b32 s8, s9
	s_cbranch_execz .LBB70_211
.LBB70_207:
	v_cmp_ne_u32_e32 vcc_lo, 1, v123
	v_lshlrev_b64 v[54:55], 2, v[78:79]
	s_cbranch_vccnz .LBB70_209
; %bb.208:
	v_add_co_u32 v58, vcc_lo, v58, v54
	v_add_co_ci_u32_e64 v59, null, v59, v55, vcc_lo
	global_load_dword v58, v[58:59], off
	s_waitcnt vmcnt(0)
	v_mul_f32_e32 v58, s15, v58
	s_branch .LBB70_210
.LBB70_209:
	v_mov_b32_e32 v58, 0
.LBB70_210:
	v_add_f32_e32 v51, v3, v51
	v_add_f32_e32 v50, v2, v50
	v_add_f32_e32 v53, v5, v53
	v_add_f32_e32 v52, v4, v52
	v_min3_f32 v50, v50, v51, v114
	v_min_f32_e32 v51, v52, v53
	v_min3_f32 v52, v58, v51, v50
	v_add_co_u32 v50, vcc_lo, v56, v54
	v_add_co_ci_u32_e64 v51, null, v57, v55, vcc_lo
	global_store_dword v[50:51], v52, off
.LBB70_211:
	s_or_b32 exec_lo, exec_lo, s8
	v_add_nc_u32_e32 v54, 0x80, v133
	v_mad_i64_i32 v[50:51], null, v54, s18, 0
	v_mad_i64_i32 v[52:53], null, v54, s14, 0
	v_cmp_gt_i32_e64 s8, s13, v54
	v_lshlrev_b64 v[50:51], 2, v[50:51]
	s_and_b32 s12, s0, s8
	v_lshlrev_b64 v[52:53], 2, v[52:53]
	v_add_co_u32 v54, vcc_lo, s16, v50
	v_add_co_ci_u32_e64 v55, null, s17, v51, vcc_lo
	v_add_co_u32 v52, vcc_lo, s10, v52
	v_add_co_ci_u32_e64 v53, null, s11, v53, vcc_lo
	s_and_saveexec_b32 s9, s12
	s_cbranch_execnz .LBB70_219
; %bb.212:
	s_or_b32 exec_lo, exec_lo, s9
	s_and_b32 s12, s1, s8
	s_and_saveexec_b32 s9, s12
	s_cbranch_execnz .LBB70_223
.LBB70_213:
	s_or_b32 exec_lo, exec_lo, s9
	s_and_b32 s12, s2, s8
	s_and_saveexec_b32 s9, s12
	s_cbranch_execnz .LBB70_227
.LBB70_214:
	s_or_b32 exec_lo, exec_lo, s9
	s_and_b32 s12, s3, s8
	s_and_saveexec_b32 s9, s12
	s_cbranch_execnz .LBB70_231
.LBB70_215:
	s_or_b32 exec_lo, exec_lo, s9
	s_and_b32 s12, s4, s8
	s_and_saveexec_b32 s9, s12
	s_cbranch_execnz .LBB70_235
.LBB70_216:
	s_or_b32 exec_lo, exec_lo, s9
	s_and_b32 s12, s5, s8
	s_and_saveexec_b32 s9, s12
	s_cbranch_execnz .LBB70_239
.LBB70_217:
	s_or_b32 exec_lo, exec_lo, s9
	s_and_b32 s12, s6, s8
	s_and_saveexec_b32 s9, s12
	s_cbranch_execnz .LBB70_243
.LBB70_218:
	s_or_b32 exec_lo, exec_lo, s9
	s_and_b32 s9, s7, s8
	s_and_saveexec_b32 s8, s9
	s_cbranch_execnz .LBB70_247
	s_branch .LBB70_251
.LBB70_219:
	v_cmp_ne_u32_e32 vcc_lo, 1, v123
	v_lshlrev_b64 v[50:51], 2, v[0:1]
	s_cbranch_vccnz .LBB70_221
; %bb.220:
	v_add_co_u32 v56, vcc_lo, v54, v50
	v_add_co_ci_u32_e64 v57, null, v55, v51, vcc_lo
	global_load_dword v56, v[56:57], off
	s_waitcnt vmcnt(0)
	v_mul_f32_e32 v56, s15, v56
	s_branch .LBB70_222
.LBB70_221:
	v_mov_b32_e32 v56, 0
.LBB70_222:
	v_add_f32_e32 v57, v35, v47
	v_add_f32_e32 v58, v34, v46
	;; [unrolled: 1-line block ×4, first 2 shown]
	v_add_co_u32 v50, vcc_lo, v52, v50
	v_min3_f32 v57, v58, v57, v113
	v_add_co_ci_u32_e64 v51, null, v53, v51, vcc_lo
	v_min_f32_e32 v58, v60, v59
	v_min3_f32 v56, v56, v58, v57
	global_store_dword v[50:51], v56, off
	s_or_b32 exec_lo, exec_lo, s9
	s_and_b32 s12, s1, s8
	s_and_saveexec_b32 s9, s12
	s_cbranch_execz .LBB70_213
.LBB70_223:
	v_cmp_ne_u32_e32 vcc_lo, 1, v123
	v_lshlrev_b64 v[50:51], 2, v[66:67]
	s_cbranch_vccnz .LBB70_225
; %bb.224:
	v_add_co_u32 v56, vcc_lo, v54, v50
	v_add_co_ci_u32_e64 v57, null, v55, v51, vcc_lo
	global_load_dword v56, v[56:57], off
	s_waitcnt vmcnt(0)
	v_mul_f32_e32 v56, s15, v56
	s_branch .LBB70_226
.LBB70_225:
	v_mov_b32_e32 v56, 0
.LBB70_226:
	v_add_f32_e32 v57, v31, v47
	v_add_f32_e32 v58, v30, v46
	;; [unrolled: 1-line block ×4, first 2 shown]
	v_add_co_u32 v50, vcc_lo, v52, v50
	v_min3_f32 v57, v58, v57, v112
	v_add_co_ci_u32_e64 v51, null, v53, v51, vcc_lo
	v_min_f32_e32 v58, v60, v59
	v_min3_f32 v56, v56, v58, v57
	global_store_dword v[50:51], v56, off
	s_or_b32 exec_lo, exec_lo, s9
	s_and_b32 s12, s2, s8
	s_and_saveexec_b32 s9, s12
	s_cbranch_execz .LBB70_214
.LBB70_227:
	v_cmp_ne_u32_e32 vcc_lo, 1, v123
	v_lshlrev_b64 v[50:51], 2, v[68:69]
	s_cbranch_vccnz .LBB70_229
; %bb.228:
	v_add_co_u32 v56, vcc_lo, v54, v50
	v_add_co_ci_u32_e64 v57, null, v55, v51, vcc_lo
	global_load_dword v56, v[56:57], off
	s_waitcnt vmcnt(0)
	v_mul_f32_e32 v56, s15, v56
	s_branch .LBB70_230
.LBB70_229:
	v_mov_b32_e32 v56, 0
.LBB70_230:
	v_add_f32_e32 v57, v27, v47
	v_add_f32_e32 v58, v26, v46
	;; [unrolled: 1-line block ×4, first 2 shown]
	v_add_co_u32 v50, vcc_lo, v52, v50
	v_min3_f32 v57, v58, v57, v111
	v_add_co_ci_u32_e64 v51, null, v53, v51, vcc_lo
	v_min_f32_e32 v58, v60, v59
	v_min3_f32 v56, v56, v58, v57
	global_store_dword v[50:51], v56, off
	s_or_b32 exec_lo, exec_lo, s9
	s_and_b32 s12, s3, s8
	s_and_saveexec_b32 s9, s12
	s_cbranch_execz .LBB70_215
.LBB70_231:
	v_cmp_ne_u32_e32 vcc_lo, 1, v123
	v_lshlrev_b64 v[50:51], 2, v[70:71]
	s_cbranch_vccnz .LBB70_233
; %bb.232:
	v_add_co_u32 v56, vcc_lo, v54, v50
	v_add_co_ci_u32_e64 v57, null, v55, v51, vcc_lo
	global_load_dword v56, v[56:57], off
	s_waitcnt vmcnt(0)
	v_mul_f32_e32 v56, s15, v56
	s_branch .LBB70_234
.LBB70_233:
	v_mov_b32_e32 v56, 0
.LBB70_234:
	v_add_f32_e32 v57, v23, v47
	v_add_f32_e32 v58, v22, v46
	;; [unrolled: 1-line block ×4, first 2 shown]
	v_add_co_u32 v50, vcc_lo, v52, v50
	v_min3_f32 v57, v58, v57, v110
	v_add_co_ci_u32_e64 v51, null, v53, v51, vcc_lo
	v_min_f32_e32 v58, v60, v59
	v_min3_f32 v56, v56, v58, v57
	global_store_dword v[50:51], v56, off
	s_or_b32 exec_lo, exec_lo, s9
	s_and_b32 s12, s4, s8
	s_and_saveexec_b32 s9, s12
	s_cbranch_execz .LBB70_216
.LBB70_235:
	v_cmp_ne_u32_e32 vcc_lo, 1, v123
	v_lshlrev_b64 v[50:51], 2, v[72:73]
	s_cbranch_vccnz .LBB70_237
; %bb.236:
	v_add_co_u32 v56, vcc_lo, v54, v50
	v_add_co_ci_u32_e64 v57, null, v55, v51, vcc_lo
	global_load_dword v56, v[56:57], off
	s_waitcnt vmcnt(0)
	v_mul_f32_e32 v56, s15, v56
	s_branch .LBB70_238
.LBB70_237:
	v_mov_b32_e32 v56, 0
.LBB70_238:
	v_add_f32_e32 v57, v19, v47
	v_add_f32_e32 v58, v18, v46
	;; [unrolled: 1-line block ×4, first 2 shown]
	v_add_co_u32 v50, vcc_lo, v52, v50
	v_min3_f32 v57, v58, v57, v109
	v_add_co_ci_u32_e64 v51, null, v53, v51, vcc_lo
	v_min_f32_e32 v58, v60, v59
	v_min3_f32 v56, v56, v58, v57
	global_store_dword v[50:51], v56, off
	s_or_b32 exec_lo, exec_lo, s9
	s_and_b32 s12, s5, s8
	s_and_saveexec_b32 s9, s12
	s_cbranch_execz .LBB70_217
.LBB70_239:
	v_cmp_ne_u32_e32 vcc_lo, 1, v123
	v_lshlrev_b64 v[50:51], 2, v[74:75]
	s_cbranch_vccnz .LBB70_241
; %bb.240:
	v_add_co_u32 v56, vcc_lo, v54, v50
	v_add_co_ci_u32_e64 v57, null, v55, v51, vcc_lo
	global_load_dword v56, v[56:57], off
	s_waitcnt vmcnt(0)
	v_mul_f32_e32 v56, s15, v56
	s_branch .LBB70_242
.LBB70_241:
	v_mov_b32_e32 v56, 0
.LBB70_242:
	v_add_f32_e32 v57, v15, v47
	v_add_f32_e32 v58, v14, v46
	;; [unrolled: 1-line block ×4, first 2 shown]
	v_add_co_u32 v50, vcc_lo, v52, v50
	v_min3_f32 v57, v58, v57, v108
	v_add_co_ci_u32_e64 v51, null, v53, v51, vcc_lo
	v_min_f32_e32 v58, v60, v59
	v_min3_f32 v56, v56, v58, v57
	global_store_dword v[50:51], v56, off
	s_or_b32 exec_lo, exec_lo, s9
	s_and_b32 s12, s6, s8
	s_and_saveexec_b32 s9, s12
	s_cbranch_execz .LBB70_218
.LBB70_243:
	v_cmp_ne_u32_e32 vcc_lo, 1, v123
	v_lshlrev_b64 v[50:51], 2, v[76:77]
	s_cbranch_vccnz .LBB70_245
; %bb.244:
	v_add_co_u32 v56, vcc_lo, v54, v50
	v_add_co_ci_u32_e64 v57, null, v55, v51, vcc_lo
	global_load_dword v56, v[56:57], off
	s_waitcnt vmcnt(0)
	v_mul_f32_e32 v56, s15, v56
	s_branch .LBB70_246
.LBB70_245:
	v_mov_b32_e32 v56, 0
.LBB70_246:
	v_add_f32_e32 v57, v11, v47
	v_add_f32_e32 v58, v10, v46
	;; [unrolled: 1-line block ×4, first 2 shown]
	v_add_co_u32 v50, vcc_lo, v52, v50
	v_min3_f32 v57, v58, v57, v107
	v_add_co_ci_u32_e64 v51, null, v53, v51, vcc_lo
	v_min_f32_e32 v58, v60, v59
	v_min3_f32 v56, v56, v58, v57
	global_store_dword v[50:51], v56, off
	s_or_b32 exec_lo, exec_lo, s9
	s_and_b32 s9, s7, s8
	s_and_saveexec_b32 s8, s9
	s_cbranch_execz .LBB70_251
.LBB70_247:
	v_cmp_ne_u32_e32 vcc_lo, 1, v123
	v_lshlrev_b64 v[50:51], 2, v[78:79]
	s_cbranch_vccnz .LBB70_249
; %bb.248:
	v_add_co_u32 v54, vcc_lo, v54, v50
	v_add_co_ci_u32_e64 v55, null, v55, v51, vcc_lo
	global_load_dword v54, v[54:55], off
	s_waitcnt vmcnt(0)
	v_mul_f32_e32 v54, s15, v54
	s_branch .LBB70_250
.LBB70_249:
	v_mov_b32_e32 v54, 0
.LBB70_250:
	v_add_f32_e32 v47, v3, v47
	v_add_f32_e32 v46, v2, v46
	v_add_f32_e32 v49, v5, v49
	v_add_f32_e32 v48, v4, v48
	v_min3_f32 v46, v46, v47, v106
	v_min_f32_e32 v47, v48, v49
	v_min3_f32 v48, v54, v47, v46
	v_add_co_u32 v46, vcc_lo, v52, v50
	v_add_co_ci_u32_e64 v47, null, v53, v51, vcc_lo
	global_store_dword v[46:47], v48, off
.LBB70_251:
	s_or_b32 exec_lo, exec_lo, s8
	v_add_nc_u32_e32 v50, 0xa0, v133
	v_mad_i64_i32 v[46:47], null, v50, s18, 0
	v_mad_i64_i32 v[48:49], null, v50, s14, 0
	v_cmp_gt_i32_e64 s8, s13, v50
	v_lshlrev_b64 v[46:47], 2, v[46:47]
	s_and_b32 s12, s0, s8
	v_lshlrev_b64 v[48:49], 2, v[48:49]
	v_add_co_u32 v50, vcc_lo, s16, v46
	v_add_co_ci_u32_e64 v51, null, s17, v47, vcc_lo
	v_add_co_u32 v48, vcc_lo, s10, v48
	v_add_co_ci_u32_e64 v49, null, s11, v49, vcc_lo
	s_and_saveexec_b32 s9, s12
	s_cbranch_execnz .LBB70_259
; %bb.252:
	s_or_b32 exec_lo, exec_lo, s9
	s_and_b32 s12, s1, s8
	s_and_saveexec_b32 s9, s12
	s_cbranch_execnz .LBB70_263
.LBB70_253:
	s_or_b32 exec_lo, exec_lo, s9
	s_and_b32 s12, s2, s8
	s_and_saveexec_b32 s9, s12
	s_cbranch_execnz .LBB70_267
.LBB70_254:
	s_or_b32 exec_lo, exec_lo, s9
	s_and_b32 s12, s3, s8
	s_and_saveexec_b32 s9, s12
	s_cbranch_execnz .LBB70_271
.LBB70_255:
	s_or_b32 exec_lo, exec_lo, s9
	s_and_b32 s12, s4, s8
	s_and_saveexec_b32 s9, s12
	s_cbranch_execnz .LBB70_275
.LBB70_256:
	s_or_b32 exec_lo, exec_lo, s9
	s_and_b32 s12, s5, s8
	s_and_saveexec_b32 s9, s12
	s_cbranch_execnz .LBB70_279
.LBB70_257:
	s_or_b32 exec_lo, exec_lo, s9
	s_and_b32 s12, s6, s8
	s_and_saveexec_b32 s9, s12
	s_cbranch_execnz .LBB70_283
.LBB70_258:
	s_or_b32 exec_lo, exec_lo, s9
	s_and_b32 s9, s7, s8
	s_and_saveexec_b32 s8, s9
	s_cbranch_execnz .LBB70_287
	s_branch .LBB70_291
.LBB70_259:
	v_cmp_ne_u32_e32 vcc_lo, 1, v123
	v_lshlrev_b64 v[46:47], 2, v[0:1]
	s_cbranch_vccnz .LBB70_261
; %bb.260:
	v_add_co_u32 v52, vcc_lo, v50, v46
	v_add_co_ci_u32_e64 v53, null, v51, v47, vcc_lo
	global_load_dword v52, v[52:53], off
	s_waitcnt vmcnt(0)
	v_mul_f32_e32 v52, s15, v52
	s_branch .LBB70_262
.LBB70_261:
	v_mov_b32_e32 v52, 0
.LBB70_262:
	v_add_f32_e32 v53, v35, v43
	v_add_f32_e32 v54, v34, v42
	v_add_f32_e32 v55, v37, v45
	v_add_f32_e32 v56, v36, v44
	v_add_co_u32 v46, vcc_lo, v48, v46
	v_min3_f32 v53, v54, v53, v105
	v_add_co_ci_u32_e64 v47, null, v49, v47, vcc_lo
	v_min_f32_e32 v54, v56, v55
	v_min3_f32 v52, v52, v54, v53
	global_store_dword v[46:47], v52, off
	s_or_b32 exec_lo, exec_lo, s9
	s_and_b32 s12, s1, s8
	s_and_saveexec_b32 s9, s12
	s_cbranch_execz .LBB70_253
.LBB70_263:
	v_cmp_ne_u32_e32 vcc_lo, 1, v123
	v_lshlrev_b64 v[46:47], 2, v[66:67]
	s_cbranch_vccnz .LBB70_265
; %bb.264:
	v_add_co_u32 v52, vcc_lo, v50, v46
	v_add_co_ci_u32_e64 v53, null, v51, v47, vcc_lo
	global_load_dword v52, v[52:53], off
	s_waitcnt vmcnt(0)
	v_mul_f32_e32 v52, s15, v52
	s_branch .LBB70_266
.LBB70_265:
	v_mov_b32_e32 v52, 0
.LBB70_266:
	v_add_f32_e32 v53, v31, v43
	v_add_f32_e32 v54, v30, v42
	;; [unrolled: 1-line block ×4, first 2 shown]
	v_add_co_u32 v46, vcc_lo, v48, v46
	v_min3_f32 v53, v54, v53, v104
	v_add_co_ci_u32_e64 v47, null, v49, v47, vcc_lo
	v_min_f32_e32 v54, v56, v55
	v_min3_f32 v52, v52, v54, v53
	global_store_dword v[46:47], v52, off
	s_or_b32 exec_lo, exec_lo, s9
	s_and_b32 s12, s2, s8
	s_and_saveexec_b32 s9, s12
	s_cbranch_execz .LBB70_254
.LBB70_267:
	v_cmp_ne_u32_e32 vcc_lo, 1, v123
	v_lshlrev_b64 v[46:47], 2, v[68:69]
	s_cbranch_vccnz .LBB70_269
; %bb.268:
	v_add_co_u32 v52, vcc_lo, v50, v46
	v_add_co_ci_u32_e64 v53, null, v51, v47, vcc_lo
	global_load_dword v52, v[52:53], off
	s_waitcnt vmcnt(0)
	v_mul_f32_e32 v52, s15, v52
	s_branch .LBB70_270
.LBB70_269:
	v_mov_b32_e32 v52, 0
.LBB70_270:
	v_add_f32_e32 v53, v27, v43
	v_add_f32_e32 v54, v26, v42
	;; [unrolled: 1-line block ×4, first 2 shown]
	v_add_co_u32 v46, vcc_lo, v48, v46
	v_min3_f32 v53, v54, v53, v103
	v_add_co_ci_u32_e64 v47, null, v49, v47, vcc_lo
	v_min_f32_e32 v54, v56, v55
	v_min3_f32 v52, v52, v54, v53
	global_store_dword v[46:47], v52, off
	s_or_b32 exec_lo, exec_lo, s9
	s_and_b32 s12, s3, s8
	s_and_saveexec_b32 s9, s12
	s_cbranch_execz .LBB70_255
.LBB70_271:
	v_cmp_ne_u32_e32 vcc_lo, 1, v123
	v_lshlrev_b64 v[46:47], 2, v[70:71]
	s_cbranch_vccnz .LBB70_273
; %bb.272:
	v_add_co_u32 v52, vcc_lo, v50, v46
	v_add_co_ci_u32_e64 v53, null, v51, v47, vcc_lo
	global_load_dword v52, v[52:53], off
	s_waitcnt vmcnt(0)
	v_mul_f32_e32 v52, s15, v52
	s_branch .LBB70_274
.LBB70_273:
	v_mov_b32_e32 v52, 0
.LBB70_274:
	v_add_f32_e32 v53, v23, v43
	v_add_f32_e32 v54, v22, v42
	;; [unrolled: 1-line block ×4, first 2 shown]
	v_add_co_u32 v46, vcc_lo, v48, v46
	v_min3_f32 v53, v54, v53, v102
	v_add_co_ci_u32_e64 v47, null, v49, v47, vcc_lo
	v_min_f32_e32 v54, v56, v55
	v_min3_f32 v52, v52, v54, v53
	global_store_dword v[46:47], v52, off
	s_or_b32 exec_lo, exec_lo, s9
	s_and_b32 s12, s4, s8
	s_and_saveexec_b32 s9, s12
	s_cbranch_execz .LBB70_256
.LBB70_275:
	v_cmp_ne_u32_e32 vcc_lo, 1, v123
	v_lshlrev_b64 v[46:47], 2, v[72:73]
	s_cbranch_vccnz .LBB70_277
; %bb.276:
	v_add_co_u32 v52, vcc_lo, v50, v46
	v_add_co_ci_u32_e64 v53, null, v51, v47, vcc_lo
	global_load_dword v52, v[52:53], off
	s_waitcnt vmcnt(0)
	v_mul_f32_e32 v52, s15, v52
	s_branch .LBB70_278
.LBB70_277:
	v_mov_b32_e32 v52, 0
.LBB70_278:
	v_add_f32_e32 v53, v19, v43
	v_add_f32_e32 v54, v18, v42
	;; [unrolled: 1-line block ×4, first 2 shown]
	v_add_co_u32 v46, vcc_lo, v48, v46
	v_min3_f32 v53, v54, v53, v101
	v_add_co_ci_u32_e64 v47, null, v49, v47, vcc_lo
	v_min_f32_e32 v54, v56, v55
	v_min3_f32 v52, v52, v54, v53
	global_store_dword v[46:47], v52, off
	s_or_b32 exec_lo, exec_lo, s9
	s_and_b32 s12, s5, s8
	s_and_saveexec_b32 s9, s12
	s_cbranch_execz .LBB70_257
.LBB70_279:
	v_cmp_ne_u32_e32 vcc_lo, 1, v123
	v_lshlrev_b64 v[46:47], 2, v[74:75]
	s_cbranch_vccnz .LBB70_281
; %bb.280:
	v_add_co_u32 v52, vcc_lo, v50, v46
	v_add_co_ci_u32_e64 v53, null, v51, v47, vcc_lo
	global_load_dword v52, v[52:53], off
	s_waitcnt vmcnt(0)
	v_mul_f32_e32 v52, s15, v52
	s_branch .LBB70_282
.LBB70_281:
	v_mov_b32_e32 v52, 0
.LBB70_282:
	v_add_f32_e32 v53, v15, v43
	v_add_f32_e32 v54, v14, v42
	;; [unrolled: 1-line block ×4, first 2 shown]
	v_add_co_u32 v46, vcc_lo, v48, v46
	v_min3_f32 v53, v54, v53, v100
	v_add_co_ci_u32_e64 v47, null, v49, v47, vcc_lo
	v_min_f32_e32 v54, v56, v55
	v_min3_f32 v52, v52, v54, v53
	global_store_dword v[46:47], v52, off
	s_or_b32 exec_lo, exec_lo, s9
	s_and_b32 s12, s6, s8
	s_and_saveexec_b32 s9, s12
	s_cbranch_execz .LBB70_258
.LBB70_283:
	v_cmp_ne_u32_e32 vcc_lo, 1, v123
	v_lshlrev_b64 v[46:47], 2, v[76:77]
	s_cbranch_vccnz .LBB70_285
; %bb.284:
	v_add_co_u32 v52, vcc_lo, v50, v46
	v_add_co_ci_u32_e64 v53, null, v51, v47, vcc_lo
	global_load_dword v52, v[52:53], off
	s_waitcnt vmcnt(0)
	v_mul_f32_e32 v52, s15, v52
	s_branch .LBB70_286
.LBB70_285:
	v_mov_b32_e32 v52, 0
.LBB70_286:
	v_add_f32_e32 v53, v11, v43
	v_add_f32_e32 v54, v10, v42
	;; [unrolled: 1-line block ×4, first 2 shown]
	v_add_co_u32 v46, vcc_lo, v48, v46
	v_min3_f32 v53, v54, v53, v99
	v_add_co_ci_u32_e64 v47, null, v49, v47, vcc_lo
	v_min_f32_e32 v54, v56, v55
	v_min3_f32 v52, v52, v54, v53
	global_store_dword v[46:47], v52, off
	s_or_b32 exec_lo, exec_lo, s9
	s_and_b32 s9, s7, s8
	s_and_saveexec_b32 s8, s9
	s_cbranch_execz .LBB70_291
.LBB70_287:
	v_cmp_ne_u32_e32 vcc_lo, 1, v123
	v_lshlrev_b64 v[46:47], 2, v[78:79]
	s_cbranch_vccnz .LBB70_289
; %bb.288:
	v_add_co_u32 v50, vcc_lo, v50, v46
	v_add_co_ci_u32_e64 v51, null, v51, v47, vcc_lo
	global_load_dword v50, v[50:51], off
	s_waitcnt vmcnt(0)
	v_mul_f32_e32 v50, s15, v50
	s_branch .LBB70_290
.LBB70_289:
	v_mov_b32_e32 v50, 0
.LBB70_290:
	v_add_f32_e32 v43, v3, v43
	v_add_f32_e32 v42, v2, v42
	;; [unrolled: 1-line block ×4, first 2 shown]
	v_min3_f32 v42, v42, v43, v98
	v_min_f32_e32 v43, v44, v45
	v_min3_f32 v44, v50, v43, v42
	v_add_co_u32 v42, vcc_lo, v48, v46
	v_add_co_ci_u32_e64 v43, null, v49, v47, vcc_lo
	global_store_dword v[42:43], v44, off
.LBB70_291:
	s_or_b32 exec_lo, exec_lo, s8
	v_add_nc_u32_e32 v46, 0xc0, v133
	v_mad_i64_i32 v[42:43], null, v46, s18, 0
	v_mad_i64_i32 v[44:45], null, v46, s14, 0
	v_cmp_gt_i32_e64 s8, s13, v46
	v_lshlrev_b64 v[42:43], 2, v[42:43]
	s_and_b32 s12, s0, s8
	v_lshlrev_b64 v[44:45], 2, v[44:45]
	v_add_co_u32 v46, vcc_lo, s16, v42
	v_add_co_ci_u32_e64 v47, null, s17, v43, vcc_lo
	v_add_co_u32 v44, vcc_lo, s10, v44
	v_add_co_ci_u32_e64 v45, null, s11, v45, vcc_lo
	s_and_saveexec_b32 s9, s12
	s_cbranch_execnz .LBB70_299
; %bb.292:
	s_or_b32 exec_lo, exec_lo, s9
	s_and_b32 s12, s1, s8
	s_and_saveexec_b32 s9, s12
	s_cbranch_execnz .LBB70_303
.LBB70_293:
	s_or_b32 exec_lo, exec_lo, s9
	s_and_b32 s12, s2, s8
	s_and_saveexec_b32 s9, s12
	s_cbranch_execnz .LBB70_307
.LBB70_294:
	s_or_b32 exec_lo, exec_lo, s9
	s_and_b32 s12, s3, s8
	s_and_saveexec_b32 s9, s12
	s_cbranch_execnz .LBB70_311
.LBB70_295:
	s_or_b32 exec_lo, exec_lo, s9
	s_and_b32 s12, s4, s8
	s_and_saveexec_b32 s9, s12
	s_cbranch_execnz .LBB70_315
.LBB70_296:
	s_or_b32 exec_lo, exec_lo, s9
	s_and_b32 s12, s5, s8
	s_and_saveexec_b32 s9, s12
	s_cbranch_execnz .LBB70_319
.LBB70_297:
	s_or_b32 exec_lo, exec_lo, s9
	s_and_b32 s12, s6, s8
	s_and_saveexec_b32 s9, s12
	s_cbranch_execnz .LBB70_323
.LBB70_298:
	s_or_b32 exec_lo, exec_lo, s9
	s_and_b32 s9, s7, s8
	s_and_saveexec_b32 s8, s9
	s_cbranch_execnz .LBB70_327
	s_branch .LBB70_331
.LBB70_299:
	v_cmp_ne_u32_e32 vcc_lo, 1, v123
	v_lshlrev_b64 v[42:43], 2, v[0:1]
	s_cbranch_vccnz .LBB70_301
; %bb.300:
	v_add_co_u32 v48, vcc_lo, v46, v42
	v_add_co_ci_u32_e64 v49, null, v47, v43, vcc_lo
	global_load_dword v48, v[48:49], off
	s_waitcnt vmcnt(0)
	v_mul_f32_e32 v48, s15, v48
	s_branch .LBB70_302
.LBB70_301:
	v_mov_b32_e32 v48, 0
.LBB70_302:
	v_add_f32_e32 v49, v35, v39
	v_add_f32_e32 v50, v34, v38
	;; [unrolled: 1-line block ×4, first 2 shown]
	v_add_co_u32 v42, vcc_lo, v44, v42
	v_min3_f32 v49, v50, v49, v97
	v_add_co_ci_u32_e64 v43, null, v45, v43, vcc_lo
	v_min_f32_e32 v50, v52, v51
	v_min3_f32 v48, v48, v50, v49
	global_store_dword v[42:43], v48, off
	s_or_b32 exec_lo, exec_lo, s9
	s_and_b32 s12, s1, s8
	s_and_saveexec_b32 s9, s12
	s_cbranch_execz .LBB70_293
.LBB70_303:
	v_cmp_ne_u32_e32 vcc_lo, 1, v123
	v_lshlrev_b64 v[42:43], 2, v[66:67]
	s_cbranch_vccnz .LBB70_305
; %bb.304:
	v_add_co_u32 v48, vcc_lo, v46, v42
	v_add_co_ci_u32_e64 v49, null, v47, v43, vcc_lo
	global_load_dword v48, v[48:49], off
	s_waitcnt vmcnt(0)
	v_mul_f32_e32 v48, s15, v48
	s_branch .LBB70_306
.LBB70_305:
	v_mov_b32_e32 v48, 0
.LBB70_306:
	v_add_f32_e32 v49, v31, v39
	v_add_f32_e32 v50, v30, v38
	;; [unrolled: 1-line block ×4, first 2 shown]
	v_add_co_u32 v42, vcc_lo, v44, v42
	v_min3_f32 v49, v50, v49, v96
	v_add_co_ci_u32_e64 v43, null, v45, v43, vcc_lo
	v_min_f32_e32 v50, v52, v51
	v_min3_f32 v48, v48, v50, v49
	global_store_dword v[42:43], v48, off
	s_or_b32 exec_lo, exec_lo, s9
	s_and_b32 s12, s2, s8
	s_and_saveexec_b32 s9, s12
	s_cbranch_execz .LBB70_294
.LBB70_307:
	v_cmp_ne_u32_e32 vcc_lo, 1, v123
	v_lshlrev_b64 v[42:43], 2, v[68:69]
	s_cbranch_vccnz .LBB70_309
; %bb.308:
	v_add_co_u32 v48, vcc_lo, v46, v42
	v_add_co_ci_u32_e64 v49, null, v47, v43, vcc_lo
	global_load_dword v48, v[48:49], off
	s_waitcnt vmcnt(0)
	v_mul_f32_e32 v48, s15, v48
	s_branch .LBB70_310
.LBB70_309:
	v_mov_b32_e32 v48, 0
.LBB70_310:
	v_add_f32_e32 v49, v27, v39
	v_add_f32_e32 v50, v26, v38
	;; [unrolled: 1-line block ×4, first 2 shown]
	v_add_co_u32 v42, vcc_lo, v44, v42
	v_min3_f32 v49, v50, v49, v95
	v_add_co_ci_u32_e64 v43, null, v45, v43, vcc_lo
	v_min_f32_e32 v50, v52, v51
	v_min3_f32 v48, v48, v50, v49
	global_store_dword v[42:43], v48, off
	s_or_b32 exec_lo, exec_lo, s9
	s_and_b32 s12, s3, s8
	s_and_saveexec_b32 s9, s12
	s_cbranch_execz .LBB70_295
.LBB70_311:
	v_cmp_ne_u32_e32 vcc_lo, 1, v123
	v_lshlrev_b64 v[42:43], 2, v[70:71]
	s_cbranch_vccnz .LBB70_313
; %bb.312:
	v_add_co_u32 v48, vcc_lo, v46, v42
	v_add_co_ci_u32_e64 v49, null, v47, v43, vcc_lo
	global_load_dword v48, v[48:49], off
	s_waitcnt vmcnt(0)
	v_mul_f32_e32 v48, s15, v48
	s_branch .LBB70_314
.LBB70_313:
	v_mov_b32_e32 v48, 0
.LBB70_314:
	v_add_f32_e32 v49, v23, v39
	v_add_f32_e32 v50, v22, v38
	v_add_f32_e32 v51, v25, v41
	v_add_f32_e32 v52, v24, v40
	v_add_co_u32 v42, vcc_lo, v44, v42
	v_min3_f32 v49, v50, v49, v94
	v_add_co_ci_u32_e64 v43, null, v45, v43, vcc_lo
	v_min_f32_e32 v50, v52, v51
	v_min3_f32 v48, v48, v50, v49
	global_store_dword v[42:43], v48, off
	s_or_b32 exec_lo, exec_lo, s9
	s_and_b32 s12, s4, s8
	s_and_saveexec_b32 s9, s12
	s_cbranch_execz .LBB70_296
.LBB70_315:
	v_cmp_ne_u32_e32 vcc_lo, 1, v123
	v_lshlrev_b64 v[42:43], 2, v[72:73]
	s_cbranch_vccnz .LBB70_317
; %bb.316:
	v_add_co_u32 v48, vcc_lo, v46, v42
	v_add_co_ci_u32_e64 v49, null, v47, v43, vcc_lo
	global_load_dword v48, v[48:49], off
	s_waitcnt vmcnt(0)
	v_mul_f32_e32 v48, s15, v48
	s_branch .LBB70_318
.LBB70_317:
	v_mov_b32_e32 v48, 0
.LBB70_318:
	v_add_f32_e32 v49, v19, v39
	v_add_f32_e32 v50, v18, v38
	;; [unrolled: 1-line block ×4, first 2 shown]
	v_add_co_u32 v42, vcc_lo, v44, v42
	v_min3_f32 v49, v50, v49, v93
	v_add_co_ci_u32_e64 v43, null, v45, v43, vcc_lo
	v_min_f32_e32 v50, v52, v51
	v_min3_f32 v48, v48, v50, v49
	global_store_dword v[42:43], v48, off
	s_or_b32 exec_lo, exec_lo, s9
	s_and_b32 s12, s5, s8
	s_and_saveexec_b32 s9, s12
	s_cbranch_execz .LBB70_297
.LBB70_319:
	v_cmp_ne_u32_e32 vcc_lo, 1, v123
	v_lshlrev_b64 v[42:43], 2, v[74:75]
	s_cbranch_vccnz .LBB70_321
; %bb.320:
	v_add_co_u32 v48, vcc_lo, v46, v42
	v_add_co_ci_u32_e64 v49, null, v47, v43, vcc_lo
	global_load_dword v48, v[48:49], off
	s_waitcnt vmcnt(0)
	v_mul_f32_e32 v48, s15, v48
	s_branch .LBB70_322
.LBB70_321:
	v_mov_b32_e32 v48, 0
.LBB70_322:
	v_add_f32_e32 v49, v15, v39
	v_add_f32_e32 v50, v14, v38
	;; [unrolled: 1-line block ×4, first 2 shown]
	v_add_co_u32 v42, vcc_lo, v44, v42
	v_min3_f32 v49, v50, v49, v91
	v_add_co_ci_u32_e64 v43, null, v45, v43, vcc_lo
	v_min_f32_e32 v50, v52, v51
	v_min3_f32 v48, v48, v50, v49
	global_store_dword v[42:43], v48, off
	s_or_b32 exec_lo, exec_lo, s9
	s_and_b32 s12, s6, s8
	s_and_saveexec_b32 s9, s12
	s_cbranch_execz .LBB70_298
.LBB70_323:
	v_cmp_ne_u32_e32 vcc_lo, 1, v123
	v_lshlrev_b64 v[42:43], 2, v[76:77]
	s_cbranch_vccnz .LBB70_325
; %bb.324:
	v_add_co_u32 v48, vcc_lo, v46, v42
	v_add_co_ci_u32_e64 v49, null, v47, v43, vcc_lo
	global_load_dword v48, v[48:49], off
	s_waitcnt vmcnt(0)
	v_mul_f32_e32 v48, s15, v48
	s_branch .LBB70_326
.LBB70_325:
	v_mov_b32_e32 v48, 0
.LBB70_326:
	v_add_f32_e32 v49, v11, v39
	v_add_f32_e32 v50, v10, v38
	;; [unrolled: 1-line block ×4, first 2 shown]
	v_add_co_u32 v42, vcc_lo, v44, v42
	v_min3_f32 v49, v50, v49, v90
	v_add_co_ci_u32_e64 v43, null, v45, v43, vcc_lo
	v_min_f32_e32 v50, v52, v51
	v_min3_f32 v48, v48, v50, v49
	global_store_dword v[42:43], v48, off
	s_or_b32 exec_lo, exec_lo, s9
	s_and_b32 s9, s7, s8
	s_and_saveexec_b32 s8, s9
	s_cbranch_execz .LBB70_331
.LBB70_327:
	v_cmp_ne_u32_e32 vcc_lo, 1, v123
	v_lshlrev_b64 v[42:43], 2, v[78:79]
	s_cbranch_vccnz .LBB70_329
; %bb.328:
	v_add_co_u32 v46, vcc_lo, v46, v42
	v_add_co_ci_u32_e64 v47, null, v47, v43, vcc_lo
	global_load_dword v46, v[46:47], off
	s_waitcnt vmcnt(0)
	v_mul_f32_e32 v46, s15, v46
	s_branch .LBB70_330
.LBB70_329:
	v_mov_b32_e32 v46, 0
.LBB70_330:
	v_add_f32_e32 v39, v3, v39
	v_add_f32_e32 v38, v2, v38
	;; [unrolled: 1-line block ×4, first 2 shown]
	v_min3_f32 v38, v38, v39, v89
	v_min_f32_e32 v39, v40, v41
	v_min3_f32 v40, v46, v39, v38
	v_add_co_u32 v38, vcc_lo, v44, v42
	v_add_co_ci_u32_e64 v39, null, v45, v43, vcc_lo
	global_store_dword v[38:39], v40, off
.LBB70_331:
	s_or_b32 exec_lo, exec_lo, s8
	v_add_nc_u32_e32 v42, 0xe0, v133
	v_mad_i64_i32 v[38:39], null, v42, s18, 0
	v_mad_i64_i32 v[40:41], null, v42, s14, 0
	v_cmp_gt_i32_e64 s8, s13, v42
	v_lshlrev_b64 v[38:39], 2, v[38:39]
	s_and_b32 s9, s0, s8
	v_lshlrev_b64 v[42:43], 2, v[40:41]
	v_add_co_u32 v40, vcc_lo, s16, v38
	v_add_co_ci_u32_e64 v41, null, s17, v39, vcc_lo
	v_add_co_u32 v38, vcc_lo, s10, v42
	v_add_co_ci_u32_e64 v39, null, s11, v43, vcc_lo
	s_and_saveexec_b32 s0, s9
	s_cbranch_execnz .LBB70_340
; %bb.332:
	s_or_b32 exec_lo, exec_lo, s0
	s_and_b32 s1, s1, s8
	s_and_saveexec_b32 s0, s1
	s_cbranch_execnz .LBB70_344
.LBB70_333:
	s_or_b32 exec_lo, exec_lo, s0
	s_and_b32 s1, s2, s8
	s_and_saveexec_b32 s0, s1
	s_cbranch_execnz .LBB70_348
.LBB70_334:
	s_or_b32 exec_lo, exec_lo, s0
	s_and_b32 s1, s3, s8
	s_and_saveexec_b32 s0, s1
	s_cbranch_execnz .LBB70_352
.LBB70_335:
	s_or_b32 exec_lo, exec_lo, s0
	s_and_b32 s1, s4, s8
	s_and_saveexec_b32 s0, s1
	s_cbranch_execnz .LBB70_356
.LBB70_336:
	s_or_b32 exec_lo, exec_lo, s0
	s_and_b32 s1, s5, s8
	s_and_saveexec_b32 s0, s1
	s_cbranch_execnz .LBB70_360
.LBB70_337:
	s_or_b32 exec_lo, exec_lo, s0
	s_and_b32 s1, s6, s8
	s_and_saveexec_b32 s0, s1
	s_cbranch_execnz .LBB70_364
.LBB70_338:
	s_or_b32 exec_lo, exec_lo, s0
	s_and_b32 s0, s7, s8
	s_and_saveexec_b32 s1, s0
	s_cbranch_execnz .LBB70_368
.LBB70_339:
	s_endpgm
.LBB70_340:
	v_cmp_ne_u32_e32 vcc_lo, 1, v123
	v_lshlrev_b64 v[0:1], 2, v[0:1]
	s_cbranch_vccnz .LBB70_342
; %bb.341:
	v_add_co_u32 v42, vcc_lo, v40, v0
	v_add_co_ci_u32_e64 v43, null, v41, v1, vcc_lo
	global_load_dword v42, v[42:43], off
	s_waitcnt vmcnt(0)
	v_mul_f32_e32 v42, s15, v42
	s_branch .LBB70_343
.LBB70_342:
	v_mov_b32_e32 v42, 0
.LBB70_343:
	v_add_f32_e32 v35, v35, v7
	v_add_f32_e32 v34, v34, v6
	;; [unrolled: 1-line block ×4, first 2 shown]
	v_add_co_u32 v0, vcc_lo, v38, v0
	v_min3_f32 v34, v34, v35, v88
	v_add_co_ci_u32_e64 v1, null, v39, v1, vcc_lo
	v_min_f32_e32 v35, v36, v37
	v_min3_f32 v34, v42, v35, v34
	global_store_dword v[0:1], v34, off
	s_or_b32 exec_lo, exec_lo, s0
	s_and_b32 s1, s1, s8
	s_and_saveexec_b32 s0, s1
	s_cbranch_execz .LBB70_333
.LBB70_344:
	v_cmp_ne_u32_e32 vcc_lo, 1, v123
	v_lshlrev_b64 v[0:1], 2, v[66:67]
	s_cbranch_vccnz .LBB70_346
; %bb.345:
	v_add_co_u32 v34, vcc_lo, v40, v0
	v_add_co_ci_u32_e64 v35, null, v41, v1, vcc_lo
	global_load_dword v34, v[34:35], off
	s_waitcnt vmcnt(0)
	v_mul_f32_e32 v34, s15, v34
	s_branch .LBB70_347
.LBB70_346:
	v_mov_b32_e32 v34, 0
.LBB70_347:
	v_add_f32_e32 v31, v31, v7
	v_add_f32_e32 v30, v30, v6
	;; [unrolled: 1-line block ×4, first 2 shown]
	v_add_co_u32 v0, vcc_lo, v38, v0
	v_min3_f32 v30, v30, v31, v87
	v_add_co_ci_u32_e64 v1, null, v39, v1, vcc_lo
	v_min_f32_e32 v31, v32, v33
	v_min3_f32 v30, v34, v31, v30
	global_store_dword v[0:1], v30, off
	s_or_b32 exec_lo, exec_lo, s0
	s_and_b32 s1, s2, s8
	s_and_saveexec_b32 s0, s1
	s_cbranch_execz .LBB70_334
.LBB70_348:
	v_cmp_ne_u32_e32 vcc_lo, 1, v123
	v_lshlrev_b64 v[0:1], 2, v[68:69]
	s_cbranch_vccnz .LBB70_350
; %bb.349:
	v_add_co_u32 v30, vcc_lo, v40, v0
	v_add_co_ci_u32_e64 v31, null, v41, v1, vcc_lo
	global_load_dword v30, v[30:31], off
	s_waitcnt vmcnt(0)
	v_mul_f32_e32 v30, s15, v30
	s_branch .LBB70_351
.LBB70_350:
	v_mov_b32_e32 v30, 0
.LBB70_351:
	v_add_f32_e32 v27, v27, v7
	v_add_f32_e32 v26, v26, v6
	;; [unrolled: 1-line block ×4, first 2 shown]
	v_add_co_u32 v0, vcc_lo, v38, v0
	v_min3_f32 v26, v26, v27, v86
	v_add_co_ci_u32_e64 v1, null, v39, v1, vcc_lo
	v_min_f32_e32 v27, v28, v29
	v_min3_f32 v26, v30, v27, v26
	global_store_dword v[0:1], v26, off
	s_or_b32 exec_lo, exec_lo, s0
	s_and_b32 s1, s3, s8
	s_and_saveexec_b32 s0, s1
	s_cbranch_execz .LBB70_335
.LBB70_352:
	v_cmp_ne_u32_e32 vcc_lo, 1, v123
	v_lshlrev_b64 v[0:1], 2, v[70:71]
	s_cbranch_vccnz .LBB70_354
; %bb.353:
	v_add_co_u32 v26, vcc_lo, v40, v0
	v_add_co_ci_u32_e64 v27, null, v41, v1, vcc_lo
	global_load_dword v26, v[26:27], off
	s_waitcnt vmcnt(0)
	v_mul_f32_e32 v26, s15, v26
	s_branch .LBB70_355
.LBB70_354:
	v_mov_b32_e32 v26, 0
.LBB70_355:
	v_add_f32_e32 v23, v23, v7
	v_add_f32_e32 v22, v22, v6
	;; [unrolled: 1-line block ×4, first 2 shown]
	v_add_co_u32 v0, vcc_lo, v38, v0
	v_min3_f32 v22, v22, v23, v85
	v_add_co_ci_u32_e64 v1, null, v39, v1, vcc_lo
	v_min_f32_e32 v23, v24, v25
	v_min3_f32 v22, v26, v23, v22
	global_store_dword v[0:1], v22, off
	s_or_b32 exec_lo, exec_lo, s0
	s_and_b32 s1, s4, s8
	s_and_saveexec_b32 s0, s1
	s_cbranch_execz .LBB70_336
.LBB70_356:
	v_cmp_ne_u32_e32 vcc_lo, 1, v123
	v_lshlrev_b64 v[0:1], 2, v[72:73]
	s_cbranch_vccnz .LBB70_358
; %bb.357:
	v_add_co_u32 v22, vcc_lo, v40, v0
	v_add_co_ci_u32_e64 v23, null, v41, v1, vcc_lo
	global_load_dword v22, v[22:23], off
	s_waitcnt vmcnt(0)
	v_mul_f32_e32 v22, s15, v22
	s_branch .LBB70_359
.LBB70_358:
	v_mov_b32_e32 v22, 0
.LBB70_359:
	v_add_f32_e32 v19, v19, v7
	v_add_f32_e32 v18, v18, v6
	;; [unrolled: 1-line block ×4, first 2 shown]
	v_add_co_u32 v0, vcc_lo, v38, v0
	v_min3_f32 v18, v18, v19, v84
	v_add_co_ci_u32_e64 v1, null, v39, v1, vcc_lo
	v_min_f32_e32 v19, v20, v21
	v_min3_f32 v18, v22, v19, v18
	global_store_dword v[0:1], v18, off
	s_or_b32 exec_lo, exec_lo, s0
	s_and_b32 s1, s5, s8
	s_and_saveexec_b32 s0, s1
	s_cbranch_execz .LBB70_337
.LBB70_360:
	v_cmp_ne_u32_e32 vcc_lo, 1, v123
	v_lshlrev_b64 v[0:1], 2, v[74:75]
	s_cbranch_vccnz .LBB70_362
; %bb.361:
	v_add_co_u32 v18, vcc_lo, v40, v0
	v_add_co_ci_u32_e64 v19, null, v41, v1, vcc_lo
	global_load_dword v18, v[18:19], off
	s_waitcnt vmcnt(0)
	v_mul_f32_e32 v18, s15, v18
	s_branch .LBB70_363
.LBB70_362:
	v_mov_b32_e32 v18, 0
.LBB70_363:
	v_add_f32_e32 v15, v15, v7
	v_add_f32_e32 v14, v14, v6
	;; [unrolled: 1-line block ×4, first 2 shown]
	v_add_co_u32 v0, vcc_lo, v38, v0
	v_min3_f32 v14, v14, v15, v83
	v_add_co_ci_u32_e64 v1, null, v39, v1, vcc_lo
	v_min_f32_e32 v15, v16, v17
	v_min3_f32 v14, v18, v15, v14
	global_store_dword v[0:1], v14, off
	s_or_b32 exec_lo, exec_lo, s0
	s_and_b32 s1, s6, s8
	s_and_saveexec_b32 s0, s1
	s_cbranch_execz .LBB70_338
.LBB70_364:
	v_cmp_ne_u32_e32 vcc_lo, 1, v123
	v_lshlrev_b64 v[0:1], 2, v[76:77]
	s_cbranch_vccnz .LBB70_366
; %bb.365:
	v_add_co_u32 v14, vcc_lo, v40, v0
	v_add_co_ci_u32_e64 v15, null, v41, v1, vcc_lo
	global_load_dword v14, v[14:15], off
	s_waitcnt vmcnt(0)
	v_mul_f32_e32 v14, s15, v14
	s_branch .LBB70_367
.LBB70_366:
	v_mov_b32_e32 v14, 0
.LBB70_367:
	v_add_f32_e32 v11, v11, v7
	v_add_f32_e32 v10, v10, v6
	;; [unrolled: 1-line block ×4, first 2 shown]
	v_add_co_u32 v0, vcc_lo, v38, v0
	v_min3_f32 v10, v10, v11, v82
	v_add_co_ci_u32_e64 v1, null, v39, v1, vcc_lo
	v_min_f32_e32 v11, v12, v13
	v_min3_f32 v10, v14, v11, v10
	global_store_dword v[0:1], v10, off
	s_or_b32 exec_lo, exec_lo, s0
	s_and_b32 s0, s7, s8
	s_and_saveexec_b32 s1, s0
	s_cbranch_execz .LBB70_339
.LBB70_368:
	v_cmp_ne_u32_e32 vcc_lo, 1, v123
	v_lshlrev_b64 v[0:1], 2, v[78:79]
	s_cbranch_vccnz .LBB70_370
; %bb.369:
	v_add_co_u32 v10, vcc_lo, v40, v0
	v_add_co_ci_u32_e64 v11, null, v41, v1, vcc_lo
	global_load_dword v10, v[10:11], off
	s_waitcnt vmcnt(0)
	v_mul_f32_e32 v10, s15, v10
	s_branch .LBB70_371
.LBB70_370:
	v_mov_b32_e32 v10, 0
.LBB70_371:
	v_add_f32_e32 v3, v3, v7
	v_add_f32_e32 v2, v2, v6
	;; [unrolled: 1-line block ×4, first 2 shown]
	v_add_co_u32 v0, vcc_lo, v38, v0
	v_min3_f32 v2, v2, v3, v92
	v_add_co_ci_u32_e64 v1, null, v39, v1, vcc_lo
	v_min_f32_e32 v3, v4, v5
	v_min3_f32 v2, v10, v3, v2
	global_store_dword v[0:1], v2, off
	s_endpgm
	.section	.rodata,"a",@progbits
	.p2align	6, 0x0
	.amdhsa_kernel _ZN12_GLOBAL__N_120geam_min_plus_kernelIf15HIP_vector_typeIfLj2EEfLi8ELi32ELi64ELi256ELi4ELi64ELi4ELi64ELi4ELc78ELc84ELb1ELb1ELb1EfKffEEviiiT16_PT17_ilS6_ilS4_S6_ilPT18_ili26rocblas_geam_ex_operation_
		.amdhsa_group_segment_fixed_size 10240
		.amdhsa_private_segment_fixed_size 0
		.amdhsa_kernarg_size 128
		.amdhsa_user_sgpr_count 6
		.amdhsa_user_sgpr_private_segment_buffer 1
		.amdhsa_user_sgpr_dispatch_ptr 0
		.amdhsa_user_sgpr_queue_ptr 0
		.amdhsa_user_sgpr_kernarg_segment_ptr 1
		.amdhsa_user_sgpr_dispatch_id 0
		.amdhsa_user_sgpr_flat_scratch_init 0
		.amdhsa_user_sgpr_private_segment_size 0
		.amdhsa_wavefront_size32 1
		.amdhsa_uses_dynamic_stack 0
		.amdhsa_system_sgpr_private_segment_wavefront_offset 0
		.amdhsa_system_sgpr_workgroup_id_x 1
		.amdhsa_system_sgpr_workgroup_id_y 0
		.amdhsa_system_sgpr_workgroup_id_z 1
		.amdhsa_system_sgpr_workgroup_info 0
		.amdhsa_system_vgpr_workitem_id 1
		.amdhsa_next_free_vgpr 159
		.amdhsa_next_free_sgpr 29
		.amdhsa_reserve_vcc 1
		.amdhsa_reserve_flat_scratch 0
		.amdhsa_float_round_mode_32 0
		.amdhsa_float_round_mode_16_64 0
		.amdhsa_float_denorm_mode_32 3
		.amdhsa_float_denorm_mode_16_64 3
		.amdhsa_dx10_clamp 1
		.amdhsa_ieee_mode 1
		.amdhsa_fp16_overflow 0
		.amdhsa_workgroup_processor_mode 1
		.amdhsa_memory_ordered 1
		.amdhsa_forward_progress 1
		.amdhsa_shared_vgpr_count 0
		.amdhsa_exception_fp_ieee_invalid_op 0
		.amdhsa_exception_fp_denorm_src 0
		.amdhsa_exception_fp_ieee_div_zero 0
		.amdhsa_exception_fp_ieee_overflow 0
		.amdhsa_exception_fp_ieee_underflow 0
		.amdhsa_exception_fp_ieee_inexact 0
		.amdhsa_exception_int_div_zero 0
	.end_amdhsa_kernel
	.section	.text._ZN12_GLOBAL__N_120geam_min_plus_kernelIf15HIP_vector_typeIfLj2EEfLi8ELi32ELi64ELi256ELi4ELi64ELi4ELi64ELi4ELc78ELc84ELb1ELb1ELb1EfKffEEviiiT16_PT17_ilS6_ilS4_S6_ilPT18_ili26rocblas_geam_ex_operation_,"axG",@progbits,_ZN12_GLOBAL__N_120geam_min_plus_kernelIf15HIP_vector_typeIfLj2EEfLi8ELi32ELi64ELi256ELi4ELi64ELi4ELi64ELi4ELc78ELc84ELb1ELb1ELb1EfKffEEviiiT16_PT17_ilS6_ilS4_S6_ilPT18_ili26rocblas_geam_ex_operation_,comdat
.Lfunc_end70:
	.size	_ZN12_GLOBAL__N_120geam_min_plus_kernelIf15HIP_vector_typeIfLj2EEfLi8ELi32ELi64ELi256ELi4ELi64ELi4ELi64ELi4ELc78ELc84ELb1ELb1ELb1EfKffEEviiiT16_PT17_ilS6_ilS4_S6_ilPT18_ili26rocblas_geam_ex_operation_, .Lfunc_end70-_ZN12_GLOBAL__N_120geam_min_plus_kernelIf15HIP_vector_typeIfLj2EEfLi8ELi32ELi64ELi256ELi4ELi64ELi4ELi64ELi4ELc78ELc84ELb1ELb1ELb1EfKffEEviiiT16_PT17_ilS6_ilS4_S6_ilPT18_ili26rocblas_geam_ex_operation_
                                        ; -- End function
	.set _ZN12_GLOBAL__N_120geam_min_plus_kernelIf15HIP_vector_typeIfLj2EEfLi8ELi32ELi64ELi256ELi4ELi64ELi4ELi64ELi4ELc78ELc84ELb1ELb1ELb1EfKffEEviiiT16_PT17_ilS6_ilS4_S6_ilPT18_ili26rocblas_geam_ex_operation_.num_vgpr, 159
	.set _ZN12_GLOBAL__N_120geam_min_plus_kernelIf15HIP_vector_typeIfLj2EEfLi8ELi32ELi64ELi256ELi4ELi64ELi4ELi64ELi4ELc78ELc84ELb1ELb1ELb1EfKffEEviiiT16_PT17_ilS6_ilS4_S6_ilPT18_ili26rocblas_geam_ex_operation_.num_agpr, 0
	.set _ZN12_GLOBAL__N_120geam_min_plus_kernelIf15HIP_vector_typeIfLj2EEfLi8ELi32ELi64ELi256ELi4ELi64ELi4ELi64ELi4ELc78ELc84ELb1ELb1ELb1EfKffEEviiiT16_PT17_ilS6_ilS4_S6_ilPT18_ili26rocblas_geam_ex_operation_.numbered_sgpr, 29
	.set _ZN12_GLOBAL__N_120geam_min_plus_kernelIf15HIP_vector_typeIfLj2EEfLi8ELi32ELi64ELi256ELi4ELi64ELi4ELi64ELi4ELc78ELc84ELb1ELb1ELb1EfKffEEviiiT16_PT17_ilS6_ilS4_S6_ilPT18_ili26rocblas_geam_ex_operation_.num_named_barrier, 0
	.set _ZN12_GLOBAL__N_120geam_min_plus_kernelIf15HIP_vector_typeIfLj2EEfLi8ELi32ELi64ELi256ELi4ELi64ELi4ELi64ELi4ELc78ELc84ELb1ELb1ELb1EfKffEEviiiT16_PT17_ilS6_ilS4_S6_ilPT18_ili26rocblas_geam_ex_operation_.private_seg_size, 0
	.set _ZN12_GLOBAL__N_120geam_min_plus_kernelIf15HIP_vector_typeIfLj2EEfLi8ELi32ELi64ELi256ELi4ELi64ELi4ELi64ELi4ELc78ELc84ELb1ELb1ELb1EfKffEEviiiT16_PT17_ilS6_ilS4_S6_ilPT18_ili26rocblas_geam_ex_operation_.uses_vcc, 1
	.set _ZN12_GLOBAL__N_120geam_min_plus_kernelIf15HIP_vector_typeIfLj2EEfLi8ELi32ELi64ELi256ELi4ELi64ELi4ELi64ELi4ELc78ELc84ELb1ELb1ELb1EfKffEEviiiT16_PT17_ilS6_ilS4_S6_ilPT18_ili26rocblas_geam_ex_operation_.uses_flat_scratch, 0
	.set _ZN12_GLOBAL__N_120geam_min_plus_kernelIf15HIP_vector_typeIfLj2EEfLi8ELi32ELi64ELi256ELi4ELi64ELi4ELi64ELi4ELc78ELc84ELb1ELb1ELb1EfKffEEviiiT16_PT17_ilS6_ilS4_S6_ilPT18_ili26rocblas_geam_ex_operation_.has_dyn_sized_stack, 0
	.set _ZN12_GLOBAL__N_120geam_min_plus_kernelIf15HIP_vector_typeIfLj2EEfLi8ELi32ELi64ELi256ELi4ELi64ELi4ELi64ELi4ELc78ELc84ELb1ELb1ELb1EfKffEEviiiT16_PT17_ilS6_ilS4_S6_ilPT18_ili26rocblas_geam_ex_operation_.has_recursion, 0
	.set _ZN12_GLOBAL__N_120geam_min_plus_kernelIf15HIP_vector_typeIfLj2EEfLi8ELi32ELi64ELi256ELi4ELi64ELi4ELi64ELi4ELc78ELc84ELb1ELb1ELb1EfKffEEviiiT16_PT17_ilS6_ilS4_S6_ilPT18_ili26rocblas_geam_ex_operation_.has_indirect_call, 0
	.section	.AMDGPU.csdata,"",@progbits
; Kernel info:
; codeLenInByte = 19208
; TotalNumSgprs: 31
; NumVgprs: 159
; ScratchSize: 0
; MemoryBound: 0
; FloatMode: 240
; IeeeMode: 1
; LDSByteSize: 10240 bytes/workgroup (compile time only)
; SGPRBlocks: 0
; VGPRBlocks: 19
; NumSGPRsForWavesPerEU: 31
; NumVGPRsForWavesPerEU: 159
; Occupancy: 6
; WaveLimiterHint : 0
; COMPUTE_PGM_RSRC2:SCRATCH_EN: 0
; COMPUTE_PGM_RSRC2:USER_SGPR: 6
; COMPUTE_PGM_RSRC2:TRAP_HANDLER: 0
; COMPUTE_PGM_RSRC2:TGID_X_EN: 1
; COMPUTE_PGM_RSRC2:TGID_Y_EN: 0
; COMPUTE_PGM_RSRC2:TGID_Z_EN: 1
; COMPUTE_PGM_RSRC2:TIDIG_COMP_CNT: 1
	.section	.text._ZN12_GLOBAL__N_120geam_min_plus_kernelIf15HIP_vector_typeIfLj2EEfLi8ELi32ELi64ELi256ELi4ELi64ELi4ELi64ELi4ELc78ELc84ELb0ELb1ELb1EfKffEEviiiT16_PT17_ilS6_ilS4_S6_ilPT18_ili26rocblas_geam_ex_operation_,"axG",@progbits,_ZN12_GLOBAL__N_120geam_min_plus_kernelIf15HIP_vector_typeIfLj2EEfLi8ELi32ELi64ELi256ELi4ELi64ELi4ELi64ELi4ELc78ELc84ELb0ELb1ELb1EfKffEEviiiT16_PT17_ilS6_ilS4_S6_ilPT18_ili26rocblas_geam_ex_operation_,comdat
	.globl	_ZN12_GLOBAL__N_120geam_min_plus_kernelIf15HIP_vector_typeIfLj2EEfLi8ELi32ELi64ELi256ELi4ELi64ELi4ELi64ELi4ELc78ELc84ELb0ELb1ELb1EfKffEEviiiT16_PT17_ilS6_ilS4_S6_ilPT18_ili26rocblas_geam_ex_operation_ ; -- Begin function _ZN12_GLOBAL__N_120geam_min_plus_kernelIf15HIP_vector_typeIfLj2EEfLi8ELi32ELi64ELi256ELi4ELi64ELi4ELi64ELi4ELc78ELc84ELb0ELb1ELb1EfKffEEviiiT16_PT17_ilS6_ilS4_S6_ilPT18_ili26rocblas_geam_ex_operation_
	.p2align	8
	.type	_ZN12_GLOBAL__N_120geam_min_plus_kernelIf15HIP_vector_typeIfLj2EEfLi8ELi32ELi64ELi256ELi4ELi64ELi4ELi64ELi4ELc78ELc84ELb0ELb1ELb1EfKffEEviiiT16_PT17_ilS6_ilS4_S6_ilPT18_ili26rocblas_geam_ex_operation_,@function
_ZN12_GLOBAL__N_120geam_min_plus_kernelIf15HIP_vector_typeIfLj2EEfLi8ELi32ELi64ELi256ELi4ELi64ELi4ELi64ELi4ELc78ELc84ELb0ELb1ELb1EfKffEEviiiT16_PT17_ilS6_ilS4_S6_ilPT18_ili26rocblas_geam_ex_operation_: ; @_ZN12_GLOBAL__N_120geam_min_plus_kernelIf15HIP_vector_typeIfLj2EEfLi8ELi32ELi64ELi256ELi4ELi64ELi4ELi64ELi4ELc78ELc84ELb0ELb1ELb1EfKffEEviiiT16_PT17_ilS6_ilS4_S6_ilPT18_ili26rocblas_geam_ex_operation_
; %bb.0:
	s_clause 0x1
	s_load_dwordx4 s[12:15], s[4:5], 0x0
	s_load_dwordx4 s[0:3], s[4:5], 0x20
	s_waitcnt lgkmcnt(0)
	v_cmp_eq_f32_e64 s8, s15, 0
	s_and_b32 vcc_lo, exec_lo, s8
	s_cbranch_vccnz .LBB71_61
; %bb.1:
	s_load_dwordx2 s[10:11], s[4:5], 0x10
	s_mul_i32 s1, s1, s7
	s_mul_hi_u32 s9, s0, s7
	s_mul_i32 s0, s0, s7
	s_add_i32 s1, s9, s1
	s_lshl_b64 s[0:1], s[0:1], 2
	s_waitcnt lgkmcnt(0)
	s_add_u32 s20, s10, s0
	s_addc_u32 s21, s11, s1
	s_andn2_b32 vcc_lo, exec_lo, s8
	s_mov_b32 s0, -1
	s_cbranch_vccnz .LBB71_3
.LBB71_2:
	s_mov_b32 s0, 0
.LBB71_3:
	s_mov_b64 s[16:17], 0
	s_andn2_b32 vcc_lo, exec_lo, s0
	s_mov_b64 s[18:19], 0
	s_cbranch_vccnz .LBB71_5
; %bb.4:
	s_load_dwordx2 s[0:1], s[4:5], 0x38
	s_waitcnt lgkmcnt(0)
	s_mul_i32 s1, s1, s7
	s_mul_hi_u32 s8, s0, s7
	s_mul_i32 s0, s0, s7
	s_add_i32 s1, s8, s1
	s_lshl_b64 s[0:1], s[0:1], 2
	s_add_u32 s18, s2, s0
	s_addc_u32 s19, s3, s1
.LBB71_5:
	s_clause 0x1
	s_load_dword s24, s[4:5], 0x40
	s_load_dwordx4 s[8:11], s[4:5], 0x58
	s_waitcnt lgkmcnt(0)
	v_cmp_eq_f32_e64 s0, s24, 0
	v_cmp_neq_f32_e64 s25, s24, 0
	s_and_b32 vcc_lo, exec_lo, s0
	s_cbranch_vccnz .LBB71_7
; %bb.6:
	s_load_dwordx2 s[0:1], s[4:5], 0x48
	s_mul_i32 s2, s9, s7
	s_mul_hi_u32 s3, s8, s7
	s_add_i32 s3, s3, s2
	s_mul_i32 s2, s8, s7
	s_lshl_b64 s[2:3], s[2:3], 2
	s_waitcnt lgkmcnt(0)
	s_add_u32 s16, s0, s2
	s_addc_u32 s17, s1, s3
.LBB71_7:
	s_add_i32 s0, s12, -1
	s_load_dword s22, s[4:5], 0x18
	s_ashr_i32 s1, s0, 31
	v_lshl_add_u32 v3, v1, 3, v0
	s_lshr_b32 s1, s1, 26
	v_cmp_eq_f32_e64 s27, s15, 0
	s_add_i32 s0, s0, s1
	v_lshrrev_b32_e32 v72, 6, v3
	s_ashr_i32 s0, s0, 6
	s_add_i32 s2, s0, 1
	s_not_b32 s0, s0
	v_cvt_f32_u32_e32 v2, s2
	v_rcp_iflag_f32_e32 v2, v2
	s_waitcnt lgkmcnt(0)
	s_ashr_i32 s23, s22, 31
	v_mul_f32_e32 v2, 0x4f7ffffe, v2
	v_cvt_u32_f32_e32 v2, v2
	v_readfirstlane_b32 s1, v2
	v_and_b32_e32 v2, 63, v3
                                        ; implicit-def: $vgpr3
	s_mul_i32 s0, s0, s1
	s_mul_hi_u32 s0, s1, s0
	s_add_i32 s1, s1, s0
	s_mul_hi_u32 s0, s6, s1
	s_mul_i32 s1, s0, s2
	s_add_i32 s3, s0, 1
	s_sub_i32 s1, s6, s1
	s_sub_i32 s8, s1, s2
	s_cmp_ge_u32 s1, s2
	s_cselect_b32 s0, s3, s0
	s_cselect_b32 s1, s8, s1
	s_add_i32 s3, s0, 1
	s_cmp_ge_u32 s1, s2
	s_cselect_b32 s1, s3, s0
                                        ; implicit-def: $sgpr3
	s_mul_i32 s0, s1, s2
	s_sub_i32 s0, s6, s0
	v_cmp_le_i32_e64 s6, s14, v72
	s_lshl_b32 s9, s0, 6
	v_or_b32_e32 v66, s9, v2
	v_cmp_le_i32_e32 vcc_lo, s12, v66
	v_ashrrev_i32_e32 v67, 31, v66
	s_or_b32 s2, vcc_lo, s6
	s_nor_b32 s0, s27, s2
	s_and_saveexec_b32 s8, s0
	s_xor_b32 s8, exec_lo, s8
	s_cbranch_execz .LBB71_9
; %bb.8:
	s_add_i32 s3, s14, -1
	v_lshlrev_b64 v[5:6], 2, v[66:67]
	v_min_u32_e32 v3, s3, v72
	v_mad_i64_i32 v[3:4], null, s22, v3, 0
	v_lshlrev_b64 v[3:4], 2, v[3:4]
	v_add_co_u32 v3, s0, s20, v3
	v_add_co_ci_u32_e64 v4, null, s21, v4, s0
	v_add_co_u32 v3, s0, v3, v5
	v_add_co_ci_u32_e64 v4, null, v4, v6, s0
	global_load_dword v3, v[3:4], off
	s_waitcnt vmcnt(0)
	v_mul_f32_e32 v3, s15, v3
.LBB71_9:
	s_or_saveexec_b32 s0, s8
	v_mov_b32_e32 v4, s3
	s_xor_b32 exec_lo, exec_lo, s0
; %bb.10:
	s_add_i32 s3, s14, -1
	v_cndmask_b32_e64 v3, 0, 0x7f7fffff, s2
	v_mov_b32_e32 v4, s3
; %bb.11:
	s_or_b32 exec_lo, exec_lo, s0
	s_load_dword s28, s[4:5], 0x30
	v_min_i32_e32 v4, v72, v4
	s_lshl_b32 s26, s1, 8
	v_or_b32_e32 v68, s26, v2
	v_cmp_le_i32_e64 s0, s13, v68
	v_ashrrev_i32_e32 v69, 31, v68
	s_or_b32 s2, s0, s6
	s_waitcnt lgkmcnt(0)
	v_mad_i64_i32 v[4:5], null, v4, s28, 0
	v_lshlrev_b64 v[5:6], 2, v[4:5]
	v_cndmask_b32_e64 v4, 0, 0x7f7fffff, s2
	v_add_co_u32 v8, s1, s18, v5
	v_add_co_ci_u32_e64 v9, null, s19, v6, s1
	s_nor_b32 s1, s27, s2
	s_and_saveexec_b32 s2, s1
	s_cbranch_execz .LBB71_13
; %bb.12:
	v_lshlrev_b64 v[4:5], 2, v[68:69]
	v_add_co_u32 v4, s1, v8, v4
	v_add_co_ci_u32_e64 v5, null, v9, v5, s1
	global_load_dword v4, v[4:5], off
	s_waitcnt vmcnt(0)
	v_mul_f32_e32 v4, s15, v4
.LBB71_13:
	s_or_b32 exec_lo, exec_lo, s2
	v_or_b32_e32 v5, 64, v68
	v_cmp_le_i32_e64 s1, s13, v5
	s_or_b32 s2, s1, s6
	v_cndmask_b32_e64 v5, 0, 0x7f7fffff, s2
	s_nor_b32 s2, s27, s2
	s_and_saveexec_b32 s3, s2
	s_cbranch_execz .LBB71_15
; %bb.14:
	v_lshlrev_b64 v[5:6], 2, v[68:69]
	v_add_co_u32 v5, s2, v8, v5
	v_add_co_ci_u32_e64 v6, null, v9, v6, s2
	global_load_dword v5, v[5:6], off offset:256
	s_waitcnt vmcnt(0)
	v_mul_f32_e32 v5, s15, v5
.LBB71_15:
	s_or_b32 exec_lo, exec_lo, s3
	v_or_b32_e32 v6, 0x80, v68
	v_cmp_le_i32_e64 s2, s13, v6
	s_or_b32 s3, s2, s6
	v_cndmask_b32_e64 v6, 0, 0x7f7fffff, s3
	s_nor_b32 s3, s27, s3
	s_and_saveexec_b32 s8, s3
	s_cbranch_execz .LBB71_17
; %bb.16:
	v_lshlrev_b64 v[6:7], 2, v[68:69]
	v_add_co_u32 v6, s3, v8, v6
	v_add_co_ci_u32_e64 v7, null, v9, v7, s3
	global_load_dword v6, v[6:7], off offset:512
	s_waitcnt vmcnt(0)
	v_mul_f32_e32 v6, s15, v6
.LBB71_17:
	;; [unrolled: 16-line block ×3, first 2 shown]
	s_or_b32 exec_lo, exec_lo, s8
	v_add_nc_u32_e32 v8, 4, v72
                                        ; implicit-def: $vgpr70
                                        ; implicit-def: $sgpr30
	v_cmp_le_i32_e64 s6, s14, v8
	s_or_b32 s29, vcc_lo, s6
	s_nor_b32 s8, s27, s29
	s_and_saveexec_b32 s31, s8
	s_xor_b32 s31, exec_lo, s31
	s_cbranch_execz .LBB71_21
; %bb.20:
	s_add_i32 s30, s14, -1
	v_min_u32_e32 v11, s30, v8
	v_mad_u64_u32 v[9:10], null, s22, v11, 0
	v_mad_u64_u32 v[10:11], null, s23, v11, v[10:11]
	v_lshlrev_b64 v[11:12], 2, v[66:67]
	v_lshlrev_b64 v[9:10], 2, v[9:10]
	v_add_co_u32 v9, s8, s20, v9
	v_add_co_ci_u32_e64 v10, null, s21, v10, s8
	v_add_co_u32 v9, s8, v9, v11
	v_add_co_ci_u32_e64 v10, null, v10, v12, s8
	global_load_dword v9, v[9:10], off
	s_waitcnt vmcnt(0)
	v_mul_f32_e32 v70, s15, v9
.LBB71_21:
	s_or_saveexec_b32 s8, s31
	v_mov_b32_e32 v9, s30
	s_xor_b32 exec_lo, exec_lo, s8
; %bb.22:
	s_add_i32 s30, s14, -1
	v_cndmask_b32_e64 v70, 0, 0x7f7fffff, s29
	v_mov_b32_e32 v9, s30
; %bb.23:
	s_or_b32 exec_lo, exec_lo, s8
	v_min_i32_e32 v8, v8, v9
	v_mad_i64_i32 v[8:9], null, v8, s28, 0
	v_lshlrev_b64 v[8:9], 2, v[8:9]
	v_add_co_u32 v8, s8, s18, v8
	v_add_co_ci_u32_e64 v9, null, s19, v9, s8
	s_or_b32 s8, s0, s6
	v_cndmask_b32_e64 v71, 0, 0x7f7fffff, s8
	s_nor_b32 s8, s27, s8
	s_and_saveexec_b32 s29, s8
	s_cbranch_execz .LBB71_25
; %bb.24:
	v_lshlrev_b64 v[10:11], 2, v[68:69]
	v_add_co_u32 v10, s8, v8, v10
	v_add_co_ci_u32_e64 v11, null, v9, v11, s8
	global_load_dword v10, v[10:11], off
	s_waitcnt vmcnt(0)
	v_mul_f32_e32 v71, s15, v10
.LBB71_25:
	s_or_b32 exec_lo, exec_lo, s29
	s_or_b32 s8, s1, s6
	v_cndmask_b32_e64 v124, 0, 0x7f7fffff, s8
	s_nor_b32 s8, s27, s8
	s_and_saveexec_b32 s29, s8
	s_cbranch_execz .LBB71_27
; %bb.26:
	v_lshlrev_b64 v[10:11], 2, v[68:69]
	v_add_co_u32 v10, s8, v8, v10
	v_add_co_ci_u32_e64 v11, null, v9, v11, s8
	global_load_dword v10, v[10:11], off offset:256
	s_waitcnt vmcnt(0)
	v_mul_f32_e32 v124, s15, v10
.LBB71_27:
	s_or_b32 exec_lo, exec_lo, s29
	s_or_b32 s8, s2, s6
	v_cndmask_b32_e64 v134, 0, 0x7f7fffff, s8
	s_nor_b32 s8, s27, s8
	s_and_saveexec_b32 s29, s8
	s_cbranch_execz .LBB71_29
; %bb.28:
	v_lshlrev_b64 v[10:11], 2, v[68:69]
	v_add_co_u32 v10, s8, v8, v10
	v_add_co_ci_u32_e64 v11, null, v9, v11, s8
	global_load_dword v10, v[10:11], off offset:512
	s_waitcnt vmcnt(0)
	v_mul_f32_e32 v134, s15, v10
.LBB71_29:
	;; [unrolled: 14-line block ×3, first 2 shown]
	s_or_b32 exec_lo, exec_lo, s8
	v_lshlrev_b32_e32 v2, 4, v2
	v_lshlrev_b32_e32 v74, 4, v0
	;; [unrolled: 1-line block ×3, first 2 shown]
	s_cmp_lt_i32 s14, 9
	v_lshl_add_u32 v75, v72, 2, v2
	ds_write_b32 v75, v3 offset:8192
	ds_write2st64_b32 v75, v4, v5 offset1:4
	ds_write2st64_b32 v75, v6, v7 offset0:8 offset1:12
	s_waitcnt lgkmcnt(0)
	s_barrier
	buffer_gl0_inv
	ds_read_b128 v[34:37], v74 offset:8192
	ds_read_b128 v[30:33], v74 offset:8320
	;; [unrolled: 1-line block ×8, first 2 shown]
	ds_read_b128 v[62:65], v73
	ds_read_b128 v[58:61], v73 offset:512
	ds_read_b128 v[54:57], v73 offset:1024
	;; [unrolled: 1-line block ×7, first 2 shown]
	ds_write_b32 v75, v70 offset:9216
	ds_write2st64_b32 v75, v71, v124 offset0:16 offset1:20
	ds_write2st64_b32 v75, v134, v142 offset0:24 offset1:28
	s_waitcnt lgkmcnt(0)
	s_barrier
	buffer_gl0_inv
	v_add_f32_e32 v76, v35, v63
	v_add_f32_e32 v77, v34, v62
	v_add_f32_e32 v78, v30, v62
	v_add_f32_e32 v79, v26, v62
	v_add_f32_e32 v80, v18, v62
	v_add_f32_e32 v81, v14, v62
	v_min3_f32 v76, v77, v76, 0x7f7fffff
	v_add_f32_e32 v77, v31, v63
	v_min3_f32 v77, v78, v77, 0x7f7fffff
	v_add_f32_e32 v78, v27, v63
	;; [unrolled: 2-line block ×5, first 2 shown]
	v_add_f32_e32 v81, v10, v62
	v_min3_f32 v118, v81, v79, 0x7f7fffff
	v_add_f32_e32 v79, v7, v63
	v_add_f32_e32 v81, v6, v62
	;; [unrolled: 1-line block ×4, first 2 shown]
	v_min3_f32 v119, v81, v79, 0x7f7fffff
	v_add_f32_e32 v79, v6, v38
	v_min3_f32 v120, v62, v63, 0x7f7fffff
	v_add_f32_e32 v62, v35, v59
	v_add_f32_e32 v63, v34, v58
	v_min3_f32 v116, v63, v62, 0x7f7fffff
	v_add_f32_e32 v62, v31, v59
	;; [unrolled: 3-line block ×7, first 2 shown]
	v_add_f32_e32 v63, v6, v58
	v_add_f32_e32 v59, v3, v59
	v_add_f32_e32 v58, v2, v58
	v_min3_f32 v110, v63, v62, 0x7f7fffff
	v_min3_f32 v109, v58, v59, 0x7f7fffff
	v_add_f32_e32 v58, v35, v55
	v_add_f32_e32 v59, v34, v54
	v_min3_f32 v108, v59, v58, 0x7f7fffff
	v_add_f32_e32 v58, v31, v55
	v_add_f32_e32 v59, v30, v54
	v_min3_f32 v107, v59, v58, 0x7f7fffff
	v_add_f32_e32 v58, v27, v55
	v_add_f32_e32 v59, v26, v54
	v_min3_f32 v106, v59, v58, 0x7f7fffff
	v_add_f32_e32 v58, v19, v55
	v_add_f32_e32 v59, v18, v54
	v_min3_f32 v105, v59, v58, 0x7f7fffff
	v_add_f32_e32 v58, v15, v55
	v_add_f32_e32 v59, v14, v54
	v_min3_f32 v104, v59, v58, 0x7f7fffff
	v_add_f32_e32 v58, v11, v55
	v_add_f32_e32 v59, v10, v54
	v_min3_f32 v103, v59, v58, 0x7f7fffff
	v_add_f32_e32 v58, v7, v55
	v_add_f32_e32 v59, v6, v54
	v_add_f32_e32 v55, v3, v55
	v_add_f32_e32 v54, v2, v54
	v_min3_f32 v102, v59, v58, 0x7f7fffff
	v_min3_f32 v101, v54, v55, 0x7f7fffff
	v_add_f32_e32 v54, v35, v51
	v_add_f32_e32 v55, v34, v50
	v_min3_f32 v100, v55, v54, 0x7f7fffff
	v_add_f32_e32 v54, v31, v51
	v_add_f32_e32 v55, v30, v50
	v_min3_f32 v99, v55, v54, 0x7f7fffff
	v_add_f32_e32 v54, v27, v51
	v_add_f32_e32 v55, v26, v50
	v_min3_f32 v98, v55, v54, 0x7f7fffff
	v_add_f32_e32 v54, v19, v51
	v_add_f32_e32 v55, v18, v50
	v_min3_f32 v97, v55, v54, 0x7f7fffff
	v_add_f32_e32 v54, v15, v51
	v_add_f32_e32 v55, v14, v50
	v_min3_f32 v96, v55, v54, 0x7f7fffff
	v_add_f32_e32 v54, v11, v51
	v_add_f32_e32 v55, v10, v50
	v_min3_f32 v95, v55, v54, 0x7f7fffff
	v_add_f32_e32 v54, v7, v51
	v_add_f32_e32 v55, v6, v50
	v_add_f32_e32 v51, v3, v51
	v_add_f32_e32 v50, v2, v50
	v_min3_f32 v94, v55, v54, 0x7f7fffff
	v_min3_f32 v93, v50, v51, 0x7f7fffff
	v_add_f32_e32 v50, v35, v47
	v_add_f32_e32 v51, v34, v46
	v_min3_f32 v92, v51, v50, 0x7f7fffff
	v_add_f32_e32 v50, v31, v47
	v_add_f32_e32 v51, v30, v46
	v_min3_f32 v91, v51, v50, 0x7f7fffff
	v_add_f32_e32 v50, v27, v47
	v_add_f32_e32 v51, v26, v46
	v_min3_f32 v90, v51, v50, 0x7f7fffff
	v_add_f32_e32 v50, v19, v47
	v_add_f32_e32 v51, v18, v46
	v_min3_f32 v89, v51, v50, 0x7f7fffff
	v_add_f32_e32 v50, v15, v47
	v_add_f32_e32 v51, v14, v46
	v_min3_f32 v88, v51, v50, 0x7f7fffff
	v_add_f32_e32 v50, v11, v47
	v_add_f32_e32 v51, v10, v46
	v_min3_f32 v87, v51, v50, 0x7f7fffff
	v_add_f32_e32 v50, v7, v47
	v_add_f32_e32 v51, v6, v46
	v_add_f32_e32 v47, v3, v47
	v_add_f32_e32 v46, v2, v46
	v_min3_f32 v86, v51, v50, 0x7f7fffff
	v_min3_f32 v85, v46, v47, 0x7f7fffff
	v_add_f32_e32 v46, v35, v43
	v_add_f32_e32 v47, v34, v42
	v_min3_f32 v84, v47, v46, 0x7f7fffff
	v_add_f32_e32 v46, v31, v43
	v_add_f32_e32 v47, v30, v42
	v_min3_f32 v83, v47, v46, 0x7f7fffff
	v_add_f32_e32 v46, v27, v43
	v_add_f32_e32 v47, v26, v42
	v_min3_f32 v82, v47, v46, 0x7f7fffff
	v_add_f32_e32 v46, v19, v43
	v_add_f32_e32 v47, v18, v42
	v_min3_f32 v63, v47, v46, 0x7f7fffff
	v_add_f32_e32 v46, v15, v43
	v_add_f32_e32 v47, v14, v42
	v_min3_f32 v62, v47, v46, 0x7f7fffff
	v_add_f32_e32 v46, v11, v43
	v_add_f32_e32 v47, v10, v42
	v_min3_f32 v59, v47, v46, 0x7f7fffff
	v_add_f32_e32 v46, v7, v43
	v_add_f32_e32 v47, v6, v42
	v_add_f32_e32 v43, v3, v43
	;; [unrolled: 1-line block ×4, first 2 shown]
	v_min3_f32 v58, v47, v46, 0x7f7fffff
	v_min3_f32 v55, v42, v43, 0x7f7fffff
	v_add_f32_e32 v42, v35, v39
	v_add_f32_e32 v43, v34, v38
	v_add_f32_e32 v35, v35, v23
	v_add_f32_e32 v34, v34, v22
	v_min3_f32 v54, v43, v42, 0x7f7fffff
	v_add_f32_e32 v42, v31, v39
	v_add_f32_e32 v43, v30, v38
	v_min3_f32 v34, v34, v35, 0x7f7fffff
	v_add_f32_e32 v31, v31, v23
	v_add_f32_e32 v30, v30, v22
	;; [unrolled: 3-line block ×9, first 2 shown]
	v_add_f32_e32 v38, v2, v38
	v_add_f32_e32 v2, v2, v22
	v_min3_f32 v14, v14, v15, 0x7f7fffff
	v_add_f32_e32 v11, v11, v23
	v_min3_f32 v43, v43, v42, 0x7f7fffff
	v_add_f32_e32 v42, v7, v39
	v_add_f32_e32 v39, v3, v39
	;; [unrolled: 1-line block ×5, first 2 shown]
	v_min3_f32 v42, v79, v42, 0x7f7fffff
	v_min3_f32 v38, v38, v39, 0x7f7fffff
	;; [unrolled: 1-line block ×4, first 2 shown]
	v_add_f32_e32 v3, v37, v65
	v_add_f32_e32 v7, v36, v64
	v_min3_f32 v10, v10, v11, 0x7f7fffff
	v_min3_f32 v141, v7, v3, v76
	v_add_f32_e32 v3, v33, v65
	v_add_f32_e32 v7, v32, v64
	v_min3_f32 v81, v7, v3, v77
	v_add_f32_e32 v3, v29, v65
	v_add_f32_e32 v7, v28, v64
	;; [unrolled: 3-line block ×55, first 2 shown]
	v_add_f32_e32 v4, v4, v24
	v_min3_f32 v89, v7, v3, v38
	v_add_f32_e32 v3, v37, v25
	v_add_f32_e32 v7, v36, v24
	v_min3_f32 v88, v7, v3, v34
	v_add_f32_e32 v3, v33, v25
	;; [unrolled: 3-line block ×8, first 2 shown]
	v_min3_f32 v92, v4, v3, v2
	s_cbranch_scc1 .LBB71_58
; %bb.32:
	v_add_nc_u32_e32 v4, 12, v72
	v_add_nc_u32_e32 v6, 8, v72
	v_lshlrev_b64 v[2:3], 2, v[66:67]
	v_lshlrev_b64 v[68:69], 2, v[68:69]
	v_or_b32_e32 v124, 0x2000, v75
	v_mad_i64_i32 v[4:5], null, v4, s22, 0
	v_mad_i64_i32 v[6:7], null, v6, s22, 0
	v_add_co_u32 v144, s6, s20, v2
	v_or_b32_e32 v134, 0x2000, v74
	v_add_nc_u32_e32 v142, 0x2400, v75
	v_lshlrev_b64 v[66:67], 2, v[4:5]
	v_or_b32_e32 v143, 0x1000, v75
	v_lshlrev_b64 v[70:71], 2, v[6:7]
	v_add_co_ci_u32_e64 v145, null, s21, v3, s6
	v_lshl_add_u32 v146, v0, 4, 0x2400
	v_lshl_or_b32 v147, v1, 4, 0x1000
	s_add_i32 s29, s14, -8
	s_add_i32 s30, s14, -1
	s_lshl_b64 s[20:21], s[22:23], 5
	s_mov_b32 s22, 0
	s_branch .LBB71_34
.LBB71_33:                              ;   in Loop: Header=BB71_34 Depth=1
	s_or_b32 exec_lo, exec_lo, s8
	v_add_f32_e32 v153, v35, v63
	v_add_f32_e32 v154, v34, v62
	v_add_co_u32 v144, s6, v144, s20
	v_add_co_ci_u32_e64 v145, null, s21, v145, s6
	v_min3_f32 v141, v154, v153, v141
	v_add_f32_e32 v153, v31, v63
	v_add_f32_e32 v154, v30, v62
	s_add_i32 s22, s22, 8
	s_cmp_ge_i32 s22, s29
	v_min3_f32 v81, v154, v153, v81
	v_add_f32_e32 v153, v27, v63
	v_add_f32_e32 v154, v26, v62
	v_min3_f32 v79, v154, v153, v79
	v_add_f32_e32 v153, v23, v63
	v_add_f32_e32 v154, v22, v62
	v_min3_f32 v77, v154, v153, v77
	v_add_f32_e32 v153, v15, v63
	v_add_f32_e32 v154, v14, v62
	v_min3_f32 v76, v154, v153, v76
	v_add_f32_e32 v153, v11, v63
	v_add_f32_e32 v154, v10, v62
	v_min3_f32 v78, v154, v153, v78
	v_add_f32_e32 v153, v7, v63
	v_add_f32_e32 v154, v6, v62
	v_add_f32_e32 v63, v3, v63
	v_add_f32_e32 v62, v2, v62
	v_min3_f32 v80, v154, v153, v80
	v_min3_f32 v62, v62, v63, v140
	v_add_f32_e32 v63, v35, v59
	v_add_f32_e32 v140, v34, v58
	v_min3_f32 v63, v140, v63, v139
	v_add_f32_e32 v139, v31, v59
	v_add_f32_e32 v140, v30, v58
	v_min3_f32 v138, v140, v139, v138
	v_add_f32_e32 v139, v27, v59
	v_add_f32_e32 v140, v26, v58
	v_min3_f32 v137, v140, v139, v137
	v_add_f32_e32 v139, v23, v59
	v_add_f32_e32 v140, v22, v58
	v_min3_f32 v136, v140, v139, v136
	v_add_f32_e32 v139, v15, v59
	v_add_f32_e32 v140, v14, v58
	v_min3_f32 v135, v140, v139, v135
	v_add_f32_e32 v139, v11, v59
	v_add_f32_e32 v140, v10, v58
	v_min3_f32 v133, v140, v139, v133
	v_add_f32_e32 v139, v7, v59
	v_add_f32_e32 v140, v6, v58
	v_add_f32_e32 v59, v3, v59
	v_add_f32_e32 v58, v2, v58
	v_min3_f32 v132, v140, v139, v132
	v_min3_f32 v58, v58, v59, v131
	v_add_f32_e32 v59, v35, v55
	v_add_f32_e32 v131, v34, v54
	v_min3_f32 v59, v131, v59, v130
	v_add_f32_e32 v130, v31, v55
	v_add_f32_e32 v131, v30, v54
	;; [unrolled: 24-line block ×5, first 2 shown]
	v_min3_f32 v104, v106, v105, v104
	v_add_f32_e32 v105, v27, v43
	v_add_f32_e32 v106, v26, v42
	v_min3_f32 v103, v106, v105, v103
	v_add_f32_e32 v105, v23, v43
	v_add_f32_e32 v106, v22, v42
	;; [unrolled: 3-line block ×5, first 2 shown]
	v_add_f32_e32 v43, v3, v43
	v_add_f32_e32 v42, v2, v42
	v_min3_f32 v99, v106, v105, v99
	v_min3_f32 v42, v42, v43, v98
	v_add_f32_e32 v43, v35, v39
	v_add_f32_e32 v98, v34, v38
	v_add_f32_e32 v35, v35, v19
	v_add_f32_e32 v34, v34, v18
	v_min3_f32 v43, v98, v43, v97
	v_add_f32_e32 v97, v31, v39
	v_add_f32_e32 v98, v30, v38
	v_add_f32_e32 v31, v31, v19
	v_add_f32_e32 v30, v30, v18
	v_min3_f32 v34, v34, v35, v88
	v_min3_f32 v96, v98, v97, v96
	v_add_f32_e32 v97, v27, v39
	v_add_f32_e32 v98, v26, v38
	v_add_f32_e32 v27, v27, v19
	v_add_f32_e32 v26, v26, v18
	v_min3_f32 v30, v30, v31, v87
	;; [unrolled: 6-line block ×5, first 2 shown]
	v_min3_f32 v91, v98, v97, v91
	v_add_f32_e32 v97, v7, v39
	v_add_f32_e32 v98, v6, v38
	v_add_f32_e32 v39, v3, v39
	v_add_f32_e32 v38, v2, v38
	v_add_f32_e32 v7, v7, v19
	v_add_f32_e32 v6, v6, v18
	v_add_f32_e32 v3, v3, v19
	v_add_f32_e32 v2, v2, v18
	v_min3_f32 v10, v10, v11, v83
	v_min3_f32 v38, v38, v39, v89
	;; [unrolled: 1-line block ×3, first 2 shown]
	v_add_f32_e32 v7, v36, v64
	v_min3_f32 v2, v2, v3, v92
	v_add_f32_e32 v3, v37, v65
	v_min3_f32 v90, v98, v97, v90
	v_min3_f32 v82, v7, v3, v141
	v_add_f32_e32 v3, v33, v65
	v_add_f32_e32 v7, v32, v64
	v_min3_f32 v81, v7, v3, v81
	v_add_f32_e32 v3, v29, v65
	v_add_f32_e32 v7, v28, v64
	v_min3_f32 v79, v7, v3, v79
	v_add_f32_e32 v3, v25, v65
	v_add_f32_e32 v7, v24, v64
	v_min3_f32 v77, v7, v3, v77
	v_add_f32_e32 v3, v17, v65
	v_add_f32_e32 v7, v16, v64
	v_min3_f32 v76, v7, v3, v76
	v_add_f32_e32 v3, v13, v65
	v_add_f32_e32 v7, v12, v64
	v_min3_f32 v78, v7, v3, v78
	v_add_f32_e32 v3, v9, v65
	v_add_f32_e32 v7, v8, v64
	v_min3_f32 v80, v7, v3, v80
	v_add_f32_e32 v3, v5, v65
	v_add_f32_e32 v7, v4, v64
	v_min3_f32 v83, v7, v3, v62
	v_add_f32_e32 v3, v37, v61
	v_add_f32_e32 v7, v36, v60
	v_min3_f32 v84, v7, v3, v63
	v_add_f32_e32 v3, v33, v61
	v_add_f32_e32 v7, v32, v60
	v_min3_f32 v85, v7, v3, v138
	v_add_f32_e32 v3, v29, v61
	v_add_f32_e32 v7, v28, v60
	v_min3_f32 v86, v7, v3, v137
	v_add_f32_e32 v3, v25, v61
	v_add_f32_e32 v7, v24, v60
	v_min3_f32 v87, v7, v3, v136
	v_add_f32_e32 v3, v17, v61
	v_add_f32_e32 v7, v16, v60
	v_min3_f32 v88, v7, v3, v135
	v_add_f32_e32 v3, v13, v61
	v_add_f32_e32 v7, v12, v60
	v_min3_f32 v89, v7, v3, v133
	v_add_f32_e32 v3, v9, v61
	v_add_f32_e32 v7, v8, v60
	v_min3_f32 v92, v7, v3, v132
	v_add_f32_e32 v3, v5, v61
	v_add_f32_e32 v7, v4, v60
	v_min3_f32 v97, v7, v3, v58
	v_add_f32_e32 v3, v37, v57
	v_add_f32_e32 v7, v36, v56
	v_min3_f32 v98, v7, v3, v59
	v_add_f32_e32 v3, v33, v57
	v_add_f32_e32 v7, v32, v56
	v_min3_f32 v105, v7, v3, v129
	v_add_f32_e32 v3, v29, v57
	v_add_f32_e32 v7, v28, v56
	v_min3_f32 v106, v7, v3, v128
	v_add_f32_e32 v3, v25, v57
	v_add_f32_e32 v7, v24, v56
	v_min3_f32 v113, v7, v3, v127
	v_add_f32_e32 v3, v17, v57
	v_add_f32_e32 v7, v16, v56
	v_min3_f32 v114, v7, v3, v126
	v_add_f32_e32 v3, v13, v57
	v_add_f32_e32 v7, v12, v56
	v_min3_f32 v121, v7, v3, v125
	v_add_f32_e32 v3, v9, v57
	v_add_f32_e32 v7, v8, v56
	v_min3_f32 v122, v7, v3, v123
	v_add_f32_e32 v3, v5, v57
	v_add_f32_e32 v7, v4, v56
	v_min3_f32 v123, v7, v3, v54
	v_add_f32_e32 v3, v37, v53
	v_add_f32_e32 v7, v36, v52
	v_min3_f32 v125, v7, v3, v55
	v_add_f32_e32 v3, v33, v53
	v_add_f32_e32 v7, v32, v52
	v_min3_f32 v120, v7, v3, v120
	v_add_f32_e32 v3, v29, v53
	v_add_f32_e32 v7, v28, v52
	v_min3_f32 v119, v7, v3, v119
	v_add_f32_e32 v3, v25, v53
	v_add_f32_e32 v7, v24, v52
	v_min3_f32 v118, v7, v3, v118
	v_add_f32_e32 v3, v17, v53
	v_add_f32_e32 v7, v16, v52
	v_min3_f32 v117, v7, v3, v117
	v_add_f32_e32 v3, v13, v53
	v_add_f32_e32 v7, v12, v52
	v_min3_f32 v116, v7, v3, v116
	v_add_f32_e32 v3, v9, v53
	v_add_f32_e32 v7, v8, v52
	v_min3_f32 v115, v7, v3, v115
	v_add_f32_e32 v3, v5, v53
	v_add_f32_e32 v7, v4, v52
	v_min3_f32 v126, v7, v3, v50
	v_add_f32_e32 v3, v37, v49
	v_add_f32_e32 v7, v36, v48
	v_min3_f32 v127, v7, v3, v51
	v_add_f32_e32 v3, v33, v49
	v_add_f32_e32 v7, v32, v48
	v_min3_f32 v112, v7, v3, v112
	v_add_f32_e32 v3, v29, v49
	v_add_f32_e32 v7, v28, v48
	v_min3_f32 v111, v7, v3, v111
	v_add_f32_e32 v3, v25, v49
	v_add_f32_e32 v7, v24, v48
	v_min3_f32 v110, v7, v3, v110
	v_add_f32_e32 v3, v17, v49
	v_add_f32_e32 v7, v16, v48
	v_min3_f32 v109, v7, v3, v109
	v_add_f32_e32 v3, v13, v49
	v_add_f32_e32 v7, v12, v48
	v_min3_f32 v108, v7, v3, v108
	v_add_f32_e32 v3, v9, v49
	v_add_f32_e32 v7, v8, v48
	v_min3_f32 v107, v7, v3, v107
	v_add_f32_e32 v3, v5, v49
	v_add_f32_e32 v7, v4, v48
	v_min3_f32 v128, v7, v3, v46
	v_add_f32_e32 v3, v37, v45
	v_add_f32_e32 v7, v36, v44
	v_min3_f32 v129, v7, v3, v47
	v_add_f32_e32 v3, v33, v45
	v_add_f32_e32 v7, v32, v44
	v_min3_f32 v104, v7, v3, v104
	v_add_f32_e32 v3, v29, v45
	v_add_f32_e32 v7, v28, v44
	v_min3_f32 v103, v7, v3, v103
	v_add_f32_e32 v3, v25, v45
	v_add_f32_e32 v7, v24, v44
	v_min3_f32 v102, v7, v3, v102
	v_add_f32_e32 v3, v17, v45
	v_add_f32_e32 v7, v16, v44
	v_min3_f32 v101, v7, v3, v101
	v_add_f32_e32 v3, v13, v45
	v_add_f32_e32 v7, v12, v44
	v_min3_f32 v100, v7, v3, v100
	v_add_f32_e32 v3, v9, v45
	v_add_f32_e32 v7, v8, v44
	v_min3_f32 v99, v7, v3, v99
	v_add_f32_e32 v3, v5, v45
	v_add_f32_e32 v7, v4, v44
	v_min3_f32 v130, v7, v3, v42
	v_add_f32_e32 v3, v37, v41
	v_add_f32_e32 v7, v36, v40
	v_min3_f32 v131, v7, v3, v43
	v_add_f32_e32 v3, v33, v41
	v_add_f32_e32 v7, v32, v40
	v_min3_f32 v96, v7, v3, v96
	v_add_f32_e32 v3, v29, v41
	v_add_f32_e32 v7, v28, v40
	v_min3_f32 v95, v7, v3, v95
	v_add_f32_e32 v3, v25, v41
	v_add_f32_e32 v7, v24, v40
	v_min3_f32 v94, v7, v3, v94
	v_add_f32_e32 v3, v17, v41
	v_add_f32_e32 v7, v16, v40
	v_min3_f32 v93, v7, v3, v93
	v_add_f32_e32 v3, v13, v41
	v_add_f32_e32 v7, v12, v40
	v_min3_f32 v91, v7, v3, v91
	v_add_f32_e32 v3, v9, v41
	v_add_f32_e32 v7, v8, v40
	v_min3_f32 v90, v7, v3, v90
	v_add_f32_e32 v3, v5, v41
	v_add_f32_e32 v7, v4, v40
	v_add_f32_e32 v4, v4, v20
	v_min3_f32 v132, v7, v3, v38
	v_add_f32_e32 v3, v37, v21
	v_add_f32_e32 v7, v36, v20
	v_min3_f32 v133, v7, v3, v34
	v_add_f32_e32 v3, v33, v21
	;; [unrolled: 3-line block ×8, first 2 shown]
	v_min3_f32 v141, v4, v3, v2
	ds_read_b128 v[30:33], v134
	ds_read_b128 v[26:29], v134 offset:128
	ds_read_b128 v[22:25], v134 offset:256
	ds_read_b128 v[18:21], v134 offset:384
	ds_read_b128 v[14:17], v134 offset:512
	ds_read_b128 v[10:13], v134 offset:640
	ds_read_b128 v[6:9], v134 offset:768
	ds_read_b128 v[2:5], v134 offset:896
	ds_read_b128 v[46:49], v73
	ds_read_b128 v[50:53], v73 offset:512
	ds_read_b128 v[54:57], v73 offset:1024
	;; [unrolled: 1-line block ×7, first 2 shown]
	ds_write_b32 v142, v148
	ds_write2st64_b32 v143, v149, v150 offset1:4
	ds_write2st64_b32 v143, v151, v152 offset0:8 offset1:12
	s_waitcnt lgkmcnt(0)
	s_barrier
	buffer_gl0_inv
	v_add_f32_e32 v153, v31, v47
	v_add_f32_e32 v154, v30, v46
	v_min3_f32 v82, v154, v153, v82
	v_add_f32_e32 v153, v27, v47
	v_add_f32_e32 v154, v26, v46
	v_min3_f32 v81, v154, v153, v81
	;; [unrolled: 3-line block ×6, first 2 shown]
	v_add_f32_e32 v153, v7, v47
	v_add_f32_e32 v154, v6, v46
	;; [unrolled: 1-line block ×4, first 2 shown]
	v_min3_f32 v80, v154, v153, v80
	v_min3_f32 v46, v46, v47, v83
	v_add_f32_e32 v47, v31, v51
	v_add_f32_e32 v83, v30, v50
	v_min3_f32 v47, v83, v47, v84
	v_add_f32_e32 v83, v27, v51
	v_add_f32_e32 v84, v26, v50
	;; [unrolled: 3-line block ×7, first 2 shown]
	v_add_f32_e32 v51, v3, v51
	v_add_f32_e32 v50, v2, v50
	v_min3_f32 v88, v89, v88, v92
	v_add_f32_e32 v89, v30, v54
	v_min3_f32 v50, v50, v51, v97
	v_add_f32_e32 v51, v31, v55
	v_add_f32_e32 v92, v26, v54
	;; [unrolled: 1-line block ×3, first 2 shown]
	v_min3_f32 v51, v89, v51, v98
	v_add_f32_e32 v89, v27, v55
	v_add_f32_e32 v98, v18, v54
	v_min3_f32 v89, v92, v89, v105
	v_add_f32_e32 v92, v23, v55
	v_add_f32_e32 v105, v14, v54
	;; [unrolled: 3-line block ×4, first 2 shown]
	v_add_f32_e32 v54, v2, v54
	v_min3_f32 v98, v105, v98, v114
	v_add_f32_e32 v105, v11, v55
	v_add_f32_e32 v114, v26, v58
	v_min3_f32 v105, v106, v105, v121
	v_add_f32_e32 v106, v7, v55
	v_add_f32_e32 v55, v3, v55
	v_min3_f32 v106, v113, v106, v122
	v_min3_f32 v54, v54, v55, v123
	v_add_f32_e32 v55, v31, v59
	v_add_f32_e32 v113, v30, v58
	v_min3_f32 v55, v113, v55, v125
	v_add_f32_e32 v113, v27, v59
	v_min3_f32 v113, v114, v113, v120
	v_add_f32_e32 v114, v23, v59
	v_add_f32_e32 v120, v22, v58
	v_min3_f32 v114, v120, v114, v119
	v_add_f32_e32 v119, v19, v59
	v_add_f32_e32 v120, v18, v58
	v_min3_f32 v118, v120, v119, v118
	v_add_f32_e32 v119, v15, v59
	v_add_f32_e32 v120, v14, v58
	v_min3_f32 v117, v120, v119, v117
	v_add_f32_e32 v119, v11, v59
	v_add_f32_e32 v120, v10, v58
	v_min3_f32 v116, v120, v119, v116
	v_add_f32_e32 v119, v7, v59
	v_add_f32_e32 v120, v6, v58
	v_add_f32_e32 v59, v3, v59
	v_add_f32_e32 v58, v2, v58
	v_min3_f32 v115, v120, v119, v115
	v_add_f32_e32 v119, v30, v62
	v_min3_f32 v58, v58, v59, v126
	v_add_f32_e32 v59, v31, v63
	v_add_f32_e32 v120, v26, v62
	v_min3_f32 v59, v119, v59, v127
	v_add_f32_e32 v119, v27, v63
	v_min3_f32 v112, v120, v119, v112
	v_add_f32_e32 v119, v23, v63
	v_add_f32_e32 v120, v22, v62
	v_min3_f32 v111, v120, v119, v111
	v_add_f32_e32 v119, v19, v63
	v_add_f32_e32 v120, v18, v62
	v_min3_f32 v110, v120, v119, v110
	v_add_f32_e32 v119, v15, v63
	v_add_f32_e32 v120, v14, v62
	v_min3_f32 v109, v120, v119, v109
	v_add_f32_e32 v119, v11, v63
	v_add_f32_e32 v120, v10, v62
	v_min3_f32 v108, v120, v119, v108
	v_add_f32_e32 v119, v7, v63
	v_add_f32_e32 v120, v6, v62
	v_add_f32_e32 v63, v3, v63
	v_add_f32_e32 v62, v2, v62
	v_min3_f32 v107, v120, v119, v107
	v_add_f32_e32 v119, v30, v42
	;; [unrolled: 24-line block ×3, first 2 shown]
	v_min3_f32 v42, v42, v43, v130
	v_add_f32_e32 v43, v31, v39
	v_add_f32_e32 v120, v26, v38
	;; [unrolled: 1-line block ×5, first 2 shown]
	v_min3_f32 v43, v119, v43, v131
	v_add_f32_e32 v119, v27, v39
	v_add_f32_e32 v27, v27, v35
	v_min3_f32 v30, v30, v31, v133
	v_min3_f32 v96, v120, v119, v96
	v_add_f32_e32 v119, v23, v39
	v_add_f32_e32 v120, v22, v38
	v_add_f32_e32 v23, v23, v35
	v_add_f32_e32 v22, v22, v34
	v_min3_f32 v26, v26, v27, v135
	v_min3_f32 v95, v120, v119, v95
	v_add_f32_e32 v119, v19, v39
	v_add_f32_e32 v120, v18, v38
	;; [unrolled: 6-line block ×5, first 2 shown]
	v_add_f32_e32 v39, v3, v39
	v_add_f32_e32 v38, v2, v38
	;; [unrolled: 1-line block ×6, first 2 shown]
	v_min3_f32 v10, v10, v11, v139
	v_min3_f32 v38, v38, v39, v132
	;; [unrolled: 1-line block ×3, first 2 shown]
	v_add_f32_e32 v7, v32, v48
	v_min3_f32 v2, v2, v3, v141
	v_add_f32_e32 v3, v33, v49
	v_min3_f32 v90, v120, v119, v90
	v_min3_f32 v141, v7, v3, v82
	v_add_f32_e32 v3, v29, v49
	v_add_f32_e32 v7, v28, v48
	v_min3_f32 v81, v7, v3, v81
	v_add_f32_e32 v3, v25, v49
	v_add_f32_e32 v7, v24, v48
	;; [unrolled: 3-line block ×55, first 2 shown]
	v_add_f32_e32 v4, v4, v36
	v_min3_f32 v89, v7, v3, v38
	v_add_f32_e32 v3, v33, v37
	v_add_f32_e32 v7, v32, v36
	v_min3_f32 v88, v7, v3, v30
	v_add_f32_e32 v3, v29, v37
	;; [unrolled: 3-line block ×8, first 2 shown]
	v_min3_f32 v92, v4, v3, v2
	s_cbranch_scc1 .LBB71_58
.LBB71_34:                              ; =>This Inner Loop Header: Depth=1
	v_add_nc_u32_e32 v148, s22, v72
                                        ; implicit-def: $vgpr149
	v_add_nc_u32_e32 v2, 8, v148
	v_cmp_le_i32_e64 s6, s14, v2
	s_or_b32 s23, vcc_lo, s6
	s_nor_b32 s8, s27, s23
	s_and_saveexec_b32 s31, s8
	s_xor_b32 s31, exec_lo, s31
	s_cbranch_execz .LBB71_36
; %bb.35:                               ;   in Loop: Header=BB71_34 Depth=1
	v_add_co_u32 v3, s8, v144, v70
	v_add_co_ci_u32_e64 v4, null, v145, v71, s8
	global_load_dword v3, v[3:4], off
	s_waitcnt vmcnt(0)
	v_mul_f32_e32 v149, s15, v3
.LBB71_36:                              ;   in Loop: Header=BB71_34 Depth=1
	s_andn2_saveexec_b32 s8, s31
; %bb.37:                               ;   in Loop: Header=BB71_34 Depth=1
	v_cndmask_b32_e64 v149, 0, 0x7f7fffff, s23
; %bb.38:                               ;   in Loop: Header=BB71_34 Depth=1
	s_or_b32 exec_lo, exec_lo, s8
	v_min_i32_e32 v2, s30, v2
	v_mad_i64_i32 v[2:3], null, v2, s28, 0
	v_lshlrev_b64 v[2:3], 2, v[2:3]
	v_add_co_u32 v2, s8, s18, v2
	v_add_co_ci_u32_e64 v3, null, s19, v3, s8
	s_or_b32 s8, s0, s6
	v_cndmask_b32_e64 v150, 0, 0x7f7fffff, s8
	s_nor_b32 s8, s27, s8
	s_and_saveexec_b32 s23, s8
	s_cbranch_execz .LBB71_40
; %bb.39:                               ;   in Loop: Header=BB71_34 Depth=1
	v_add_co_u32 v4, s8, v2, v68
	v_add_co_ci_u32_e64 v5, null, v3, v69, s8
	global_load_dword v4, v[4:5], off
	s_waitcnt vmcnt(0)
	v_mul_f32_e32 v150, s15, v4
.LBB71_40:                              ;   in Loop: Header=BB71_34 Depth=1
	s_or_b32 exec_lo, exec_lo, s23
	s_or_b32 s8, s1, s6
	v_cndmask_b32_e64 v151, 0, 0x7f7fffff, s8
	s_nor_b32 s8, s27, s8
	s_and_saveexec_b32 s23, s8
	s_cbranch_execz .LBB71_42
; %bb.41:                               ;   in Loop: Header=BB71_34 Depth=1
	v_add_co_u32 v4, s8, v2, v68
	v_add_co_ci_u32_e64 v5, null, v3, v69, s8
	global_load_dword v4, v[4:5], off offset:256
	s_waitcnt vmcnt(0)
	v_mul_f32_e32 v151, s15, v4
.LBB71_42:                              ;   in Loop: Header=BB71_34 Depth=1
	s_or_b32 exec_lo, exec_lo, s23
	s_or_b32 s8, s2, s6
	v_cndmask_b32_e64 v152, 0, 0x7f7fffff, s8
	s_nor_b32 s8, s27, s8
	s_and_saveexec_b32 s23, s8
	s_cbranch_execz .LBB71_44
; %bb.43:                               ;   in Loop: Header=BB71_34 Depth=1
	v_add_co_u32 v4, s8, v2, v68
	v_add_co_ci_u32_e64 v5, null, v3, v69, s8
	global_load_dword v4, v[4:5], off offset:512
	s_waitcnt vmcnt(0)
	v_mul_f32_e32 v152, s15, v4
.LBB71_44:                              ;   in Loop: Header=BB71_34 Depth=1
	;; [unrolled: 13-line block ×3, first 2 shown]
	s_or_b32 exec_lo, exec_lo, s8
	ds_read_b128 v[34:37], v146
	ds_read_b128 v[30:33], v146 offset:128
	ds_read_b128 v[26:29], v146 offset:256
	ds_read_b128 v[22:25], v146 offset:384
	ds_read_b128 v[14:17], v146 offset:512
	ds_read_b128 v[10:13], v146 offset:640
	ds_read_b128 v[6:9], v146 offset:768
	ds_read_b128 v[2:5], v146 offset:896
	ds_read_b128 v[62:65], v147
	ds_read_b128 v[58:61], v147 offset:512
	ds_read_b128 v[54:57], v147 offset:1024
	;; [unrolled: 1-line block ×7, first 2 shown]
	v_add_nc_u32_e32 v153, 12, v148
	ds_write_b32 v124, v149
	ds_write2st64_b32 v75, v150, v151 offset1:4
	ds_write2st64_b32 v75, v152, v154 offset0:8 offset1:12
	s_waitcnt lgkmcnt(0)
	s_barrier
	buffer_gl0_inv
	v_cmp_le_i32_e64 s6, s14, v153
                                        ; implicit-def: $vgpr148
	s_or_b32 s23, vcc_lo, s6
	s_nor_b32 s8, s27, s23
	s_and_saveexec_b32 s31, s8
	s_xor_b32 s31, exec_lo, s31
	s_cbranch_execz .LBB71_48
; %bb.47:                               ;   in Loop: Header=BB71_34 Depth=1
	v_add_co_u32 v148, s8, v144, v66
	v_add_co_ci_u32_e64 v149, null, v145, v67, s8
	global_load_dword v148, v[148:149], off
	s_waitcnt vmcnt(0)
	v_mul_f32_e32 v148, s15, v148
.LBB71_48:                              ;   in Loop: Header=BB71_34 Depth=1
	s_andn2_saveexec_b32 s8, s31
; %bb.49:                               ;   in Loop: Header=BB71_34 Depth=1
	v_cndmask_b32_e64 v148, 0, 0x7f7fffff, s23
; %bb.50:                               ;   in Loop: Header=BB71_34 Depth=1
	s_or_b32 exec_lo, exec_lo, s8
	v_min_i32_e32 v149, s30, v153
	v_mad_i64_i32 v[149:150], null, v149, s28, 0
	v_lshlrev_b64 v[149:150], 2, v[149:150]
	v_add_co_u32 v153, s8, s18, v149
	v_add_co_ci_u32_e64 v154, null, s19, v150, s8
	s_or_b32 s8, s0, s6
	v_cndmask_b32_e64 v149, 0, 0x7f7fffff, s8
	s_nor_b32 s8, s27, s8
	s_and_saveexec_b32 s23, s8
	s_cbranch_execz .LBB71_52
; %bb.51:                               ;   in Loop: Header=BB71_34 Depth=1
	v_add_co_u32 v149, s8, v153, v68
	v_add_co_ci_u32_e64 v150, null, v154, v69, s8
	global_load_dword v149, v[149:150], off
	s_waitcnt vmcnt(0)
	v_mul_f32_e32 v149, s15, v149
.LBB71_52:                              ;   in Loop: Header=BB71_34 Depth=1
	s_or_b32 exec_lo, exec_lo, s23
	s_or_b32 s8, s1, s6
	v_cndmask_b32_e64 v150, 0, 0x7f7fffff, s8
	s_nor_b32 s8, s27, s8
	s_and_saveexec_b32 s23, s8
	s_cbranch_execz .LBB71_54
; %bb.53:                               ;   in Loop: Header=BB71_34 Depth=1
	v_add_co_u32 v150, s8, v153, v68
	v_add_co_ci_u32_e64 v151, null, v154, v69, s8
	global_load_dword v150, v[150:151], off offset:256
	s_waitcnt vmcnt(0)
	v_mul_f32_e32 v150, s15, v150
.LBB71_54:                              ;   in Loop: Header=BB71_34 Depth=1
	s_or_b32 exec_lo, exec_lo, s23
	s_or_b32 s8, s2, s6
	v_cndmask_b32_e64 v151, 0, 0x7f7fffff, s8
	s_nor_b32 s8, s27, s8
	s_and_saveexec_b32 s23, s8
	s_cbranch_execz .LBB71_56
; %bb.55:                               ;   in Loop: Header=BB71_34 Depth=1
	v_add_co_u32 v151, s8, v153, v68
	v_add_co_ci_u32_e64 v152, null, v154, v69, s8
	global_load_dword v151, v[151:152], off offset:512
	s_waitcnt vmcnt(0)
	v_mul_f32_e32 v151, s15, v151
.LBB71_56:                              ;   in Loop: Header=BB71_34 Depth=1
	s_or_b32 exec_lo, exec_lo, s23
	s_or_b32 s6, s3, s6
	v_cndmask_b32_e64 v152, 0, 0x7f7fffff, s6
	s_nor_b32 s6, s27, s6
	s_and_saveexec_b32 s8, s6
	s_cbranch_execz .LBB71_33
; %bb.57:                               ;   in Loop: Header=BB71_34 Depth=1
	v_add_co_u32 v152, s6, v153, v68
	v_add_co_ci_u32_e64 v153, null, v154, v69, s6
	global_load_dword v152, v[152:153], off offset:768
	s_waitcnt vmcnt(0)
	v_mul_f32_e32 v152, s15, v152
	s_branch .LBB71_33
.LBB71_58:
	s_clause 0x2
	s_load_dwordx2 s[0:1], s[4:5], 0x70
	s_load_dword s15, s[4:5], 0x50
	s_load_dword s14, s[4:5], 0x68
	ds_read_b128 v[34:37], v74 offset:9216
	ds_read_b128 v[30:33], v74 offset:9344
	;; [unrolled: 1-line block ×12, first 2 shown]
	v_add_nc_u32_e32 v134, s26, v1
	ds_read_b128 v[46:49], v73 offset:6144
	ds_read_b128 v[42:45], v73 offset:6656
	;; [unrolled: 1-line block ×4, first 2 shown]
	v_add_nc_u32_e32 v0, s9, v0
	v_cndmask_b32_e64 v124, 0, 1, s25
	v_cmp_gt_i32_e64 s8, s13, v134
	v_ashrrev_i32_e32 v1, 31, v0
	s_waitcnt lgkmcnt(0)
	s_mul_i32 s1, s1, s7
	v_mad_i64_i32 v[66:67], null, v134, s15, 0
	v_mad_i64_i32 v[68:69], null, v134, s14, 0
	s_mul_hi_u32 s2, s0, s7
	s_mul_i32 s0, s0, s7
	s_add_i32 s1, s2, s1
	s_lshl_b64 s[0:1], s[0:1], 2
	v_lshlrev_b64 v[66:67], 2, v[66:67]
	v_lshlrev_b64 v[68:69], 2, v[68:69]
	s_add_u32 s10, s10, s0
	s_addc_u32 s11, s11, s1
	v_cmp_gt_i32_e64 s0, s12, v0
	v_add_co_u32 v144, vcc_lo, s16, v66
	v_add_co_ci_u32_e64 v145, null, s17, v67, vcc_lo
	v_add_co_u32 v142, vcc_lo, s10, v68
	v_add_co_ci_u32_e64 v143, null, s11, v69, vcc_lo
	s_and_b32 s2, s0, s8
	s_and_saveexec_b32 s1, s2
	s_cbranch_execz .LBB71_64
; %bb.59:
	v_lshlrev_b64 v[66:67], 2, v[0:1]
	s_andn2_b32 vcc_lo, exec_lo, s25
	s_cbranch_vccnz .LBB71_62
; %bb.60:
	v_add_co_u32 v68, vcc_lo, v144, v66
	v_add_co_ci_u32_e64 v69, null, v145, v67, vcc_lo
	global_load_dword v68, v[68:69], off
	s_waitcnt vmcnt(0)
	v_mul_f32_e32 v68, s24, v68
	s_branch .LBB71_63
.LBB71_61:
	s_mov_b64 s[20:21], 0
	s_andn2_b32 vcc_lo, exec_lo, s8
	s_mov_b32 s0, -1
	s_cbranch_vccz .LBB71_2
	s_branch .LBB71_3
.LBB71_62:
	v_mov_b32_e32 v68, 0
.LBB71_63:
	v_add_f32_e32 v69, v35, v63
	v_add_f32_e32 v70, v34, v62
	;; [unrolled: 1-line block ×4, first 2 shown]
	v_add_co_u32 v66, vcc_lo, v142, v66
	v_min3_f32 v69, v70, v69, v141
	v_add_co_ci_u32_e64 v67, null, v143, v67, vcc_lo
	v_min_f32_e32 v70, v72, v71
	v_min3_f32 v68, v68, v70, v69
	global_store_dword v[66:67], v68, off
.LBB71_64:
	s_or_b32 exec_lo, exec_lo, s1
	v_add_nc_u32_e32 v66, 8, v0
	v_cmp_gt_i32_e64 s1, s12, v66
	v_ashrrev_i32_e32 v67, 31, v66
	s_and_b32 s3, s1, s8
	s_and_saveexec_b32 s2, s3
	s_cbranch_execz .LBB71_69
; %bb.65:
	v_cmp_ne_u32_e32 vcc_lo, 1, v124
	v_lshlrev_b64 v[68:69], 2, v[66:67]
	s_cbranch_vccnz .LBB71_67
; %bb.66:
	v_add_co_u32 v70, vcc_lo, v144, v68
	v_add_co_ci_u32_e64 v71, null, v145, v69, vcc_lo
	global_load_dword v70, v[70:71], off
	s_waitcnt vmcnt(0)
	v_mul_f32_e32 v70, s24, v70
	s_branch .LBB71_68
.LBB71_67:
	v_mov_b32_e32 v70, 0
.LBB71_68:
	v_add_f32_e32 v71, v31, v63
	v_add_f32_e32 v72, v30, v62
	v_add_f32_e32 v73, v33, v65
	v_add_f32_e32 v74, v32, v64
	v_add_co_u32 v68, vcc_lo, v142, v68
	v_min3_f32 v71, v72, v71, v81
	v_add_co_ci_u32_e64 v69, null, v143, v69, vcc_lo
	v_min_f32_e32 v72, v74, v73
	v_min3_f32 v70, v70, v72, v71
	global_store_dword v[68:69], v70, off
.LBB71_69:
	s_or_b32 exec_lo, exec_lo, s2
	v_add_nc_u32_e32 v68, 16, v0
	v_cmp_gt_i32_e64 s2, s12, v68
	v_ashrrev_i32_e32 v69, 31, v68
	s_and_b32 s4, s2, s8
	s_and_saveexec_b32 s3, s4
	s_cbranch_execz .LBB71_74
; %bb.70:
	v_cmp_ne_u32_e32 vcc_lo, 1, v124
	v_lshlrev_b64 v[70:71], 2, v[68:69]
	s_cbranch_vccnz .LBB71_72
; %bb.71:
	v_add_co_u32 v72, vcc_lo, v144, v70
	v_add_co_ci_u32_e64 v73, null, v145, v71, vcc_lo
	global_load_dword v72, v[72:73], off
	s_waitcnt vmcnt(0)
	v_mul_f32_e32 v72, s24, v72
	s_branch .LBB71_73
.LBB71_72:
	v_mov_b32_e32 v72, 0
.LBB71_73:
	v_add_f32_e32 v73, v27, v63
	v_add_f32_e32 v74, v26, v62
	v_add_f32_e32 v75, v29, v65
	v_add_f32_e32 v81, v28, v64
	v_add_co_u32 v70, vcc_lo, v142, v70
	v_min3_f32 v73, v74, v73, v79
	v_add_co_ci_u32_e64 v71, null, v143, v71, vcc_lo
	v_min_f32_e32 v74, v81, v75
	v_min3_f32 v72, v72, v74, v73
	global_store_dword v[70:71], v72, off
.LBB71_74:
	;; [unrolled: 32-line block ×6, first 2 shown]
	s_or_b32 exec_lo, exec_lo, s7
	v_add_nc_u32_e32 v78, 56, v0
	v_cmp_gt_i32_e64 s7, s12, v78
	v_ashrrev_i32_e32 v79, 31, v78
	s_and_b32 s9, s7, s8
	s_and_saveexec_b32 s8, s9
	s_cbranch_execz .LBB71_99
; %bb.95:
	v_cmp_ne_u32_e32 vcc_lo, 1, v124
	v_lshlrev_b64 v[80:81], 2, v[78:79]
	s_cbranch_vccnz .LBB71_97
; %bb.96:
	v_add_co_u32 v144, vcc_lo, v144, v80
	v_add_co_ci_u32_e64 v145, null, v145, v81, vcc_lo
	global_load_dword v141, v[144:145], off
	s_waitcnt vmcnt(0)
	v_mul_f32_e32 v141, s24, v141
	s_branch .LBB71_98
.LBB71_97:
	v_mov_b32_e32 v141, 0
.LBB71_98:
	v_add_f32_e32 v63, v3, v63
	v_add_f32_e32 v62, v2, v62
	;; [unrolled: 1-line block ×4, first 2 shown]
	v_min3_f32 v62, v62, v63, v140
	v_min_f32_e32 v63, v64, v65
	v_min3_f32 v64, v141, v63, v62
	v_add_co_u32 v62, vcc_lo, v142, v80
	v_add_co_ci_u32_e64 v63, null, v143, v81, vcc_lo
	global_store_dword v[62:63], v64, off
.LBB71_99:
	s_or_b32 exec_lo, exec_lo, s8
	v_add_nc_u32_e32 v80, 32, v134
	v_mad_i64_i32 v[62:63], null, v80, s15, 0
	v_mad_i64_i32 v[64:65], null, v80, s14, 0
	v_cmp_gt_i32_e64 s8, s13, v80
	v_lshlrev_b64 v[62:63], 2, v[62:63]
	s_and_b32 s12, s0, s8
	v_lshlrev_b64 v[64:65], 2, v[64:65]
	v_add_co_u32 v80, vcc_lo, s16, v62
	v_add_co_ci_u32_e64 v81, null, s17, v63, vcc_lo
	v_add_co_u32 v64, vcc_lo, s10, v64
	v_add_co_ci_u32_e64 v65, null, s11, v65, vcc_lo
	s_and_saveexec_b32 s9, s12
	s_cbranch_execnz .LBB71_107
; %bb.100:
	s_or_b32 exec_lo, exec_lo, s9
	s_and_b32 s12, s1, s8
	s_and_saveexec_b32 s9, s12
	s_cbranch_execnz .LBB71_111
.LBB71_101:
	s_or_b32 exec_lo, exec_lo, s9
	s_and_b32 s12, s2, s8
	s_and_saveexec_b32 s9, s12
	s_cbranch_execnz .LBB71_115
.LBB71_102:
	s_or_b32 exec_lo, exec_lo, s9
	s_and_b32 s12, s3, s8
	s_and_saveexec_b32 s9, s12
	s_cbranch_execnz .LBB71_119
.LBB71_103:
	s_or_b32 exec_lo, exec_lo, s9
	s_and_b32 s12, s4, s8
	s_and_saveexec_b32 s9, s12
	s_cbranch_execnz .LBB71_123
.LBB71_104:
	s_or_b32 exec_lo, exec_lo, s9
	s_and_b32 s12, s5, s8
	s_and_saveexec_b32 s9, s12
	s_cbranch_execnz .LBB71_127
.LBB71_105:
	s_or_b32 exec_lo, exec_lo, s9
	s_and_b32 s12, s6, s8
	s_and_saveexec_b32 s9, s12
	s_cbranch_execnz .LBB71_131
.LBB71_106:
	s_or_b32 exec_lo, exec_lo, s9
	s_and_b32 s9, s7, s8
	s_and_saveexec_b32 s8, s9
	s_cbranch_execnz .LBB71_135
	s_branch .LBB71_139
.LBB71_107:
	v_cmp_ne_u32_e32 vcc_lo, 1, v124
	v_lshlrev_b64 v[62:63], 2, v[0:1]
	s_cbranch_vccnz .LBB71_109
; %bb.108:
	v_add_co_u32 v140, vcc_lo, v80, v62
	v_add_co_ci_u32_e64 v141, null, v81, v63, vcc_lo
	global_load_dword v140, v[140:141], off
	s_waitcnt vmcnt(0)
	v_mul_f32_e32 v140, s24, v140
	s_branch .LBB71_110
.LBB71_109:
	v_mov_b32_e32 v140, 0
.LBB71_110:
	v_add_f32_e32 v141, v35, v59
	v_add_f32_e32 v142, v34, v58
	;; [unrolled: 1-line block ×4, first 2 shown]
	v_add_co_u32 v62, vcc_lo, v64, v62
	v_min3_f32 v139, v142, v141, v139
	v_add_co_ci_u32_e64 v63, null, v65, v63, vcc_lo
	v_min_f32_e32 v141, v144, v143
	v_min3_f32 v139, v140, v141, v139
	global_store_dword v[62:63], v139, off
	s_or_b32 exec_lo, exec_lo, s9
	s_and_b32 s12, s1, s8
	s_and_saveexec_b32 s9, s12
	s_cbranch_execz .LBB71_101
.LBB71_111:
	v_cmp_ne_u32_e32 vcc_lo, 1, v124
	v_lshlrev_b64 v[62:63], 2, v[66:67]
	s_cbranch_vccnz .LBB71_113
; %bb.112:
	v_add_co_u32 v139, vcc_lo, v80, v62
	v_add_co_ci_u32_e64 v140, null, v81, v63, vcc_lo
	global_load_dword v139, v[139:140], off
	s_waitcnt vmcnt(0)
	v_mul_f32_e32 v139, s24, v139
	s_branch .LBB71_114
.LBB71_113:
	v_mov_b32_e32 v139, 0
.LBB71_114:
	v_add_f32_e32 v140, v31, v59
	v_add_f32_e32 v141, v30, v58
	;; [unrolled: 1-line block ×4, first 2 shown]
	v_add_co_u32 v62, vcc_lo, v64, v62
	v_min3_f32 v138, v141, v140, v138
	v_add_co_ci_u32_e64 v63, null, v65, v63, vcc_lo
	v_min_f32_e32 v140, v143, v142
	v_min3_f32 v138, v139, v140, v138
	global_store_dword v[62:63], v138, off
	s_or_b32 exec_lo, exec_lo, s9
	s_and_b32 s12, s2, s8
	s_and_saveexec_b32 s9, s12
	s_cbranch_execz .LBB71_102
.LBB71_115:
	v_cmp_ne_u32_e32 vcc_lo, 1, v124
	v_lshlrev_b64 v[62:63], 2, v[68:69]
	s_cbranch_vccnz .LBB71_117
; %bb.116:
	v_add_co_u32 v138, vcc_lo, v80, v62
	v_add_co_ci_u32_e64 v139, null, v81, v63, vcc_lo
	global_load_dword v138, v[138:139], off
	s_waitcnt vmcnt(0)
	v_mul_f32_e32 v138, s24, v138
	s_branch .LBB71_118
.LBB71_117:
	v_mov_b32_e32 v138, 0
.LBB71_118:
	v_add_f32_e32 v139, v27, v59
	v_add_f32_e32 v140, v26, v58
	;; [unrolled: 1-line block ×4, first 2 shown]
	v_add_co_u32 v62, vcc_lo, v64, v62
	v_min3_f32 v137, v140, v139, v137
	v_add_co_ci_u32_e64 v63, null, v65, v63, vcc_lo
	v_min_f32_e32 v139, v142, v141
	v_min3_f32 v137, v138, v139, v137
	global_store_dword v[62:63], v137, off
	s_or_b32 exec_lo, exec_lo, s9
	s_and_b32 s12, s3, s8
	s_and_saveexec_b32 s9, s12
	s_cbranch_execz .LBB71_103
.LBB71_119:
	v_cmp_ne_u32_e32 vcc_lo, 1, v124
	v_lshlrev_b64 v[62:63], 2, v[70:71]
	s_cbranch_vccnz .LBB71_121
; %bb.120:
	v_add_co_u32 v137, vcc_lo, v80, v62
	v_add_co_ci_u32_e64 v138, null, v81, v63, vcc_lo
	global_load_dword v137, v[137:138], off
	s_waitcnt vmcnt(0)
	v_mul_f32_e32 v137, s24, v137
	s_branch .LBB71_122
.LBB71_121:
	v_mov_b32_e32 v137, 0
.LBB71_122:
	v_add_f32_e32 v138, v23, v59
	v_add_f32_e32 v139, v22, v58
	;; [unrolled: 1-line block ×4, first 2 shown]
	v_add_co_u32 v62, vcc_lo, v64, v62
	v_min3_f32 v136, v139, v138, v136
	v_add_co_ci_u32_e64 v63, null, v65, v63, vcc_lo
	v_min_f32_e32 v138, v141, v140
	v_min3_f32 v136, v137, v138, v136
	global_store_dword v[62:63], v136, off
	s_or_b32 exec_lo, exec_lo, s9
	s_and_b32 s12, s4, s8
	s_and_saveexec_b32 s9, s12
	s_cbranch_execz .LBB71_104
.LBB71_123:
	v_cmp_ne_u32_e32 vcc_lo, 1, v124
	v_lshlrev_b64 v[62:63], 2, v[72:73]
	s_cbranch_vccnz .LBB71_125
; %bb.124:
	v_add_co_u32 v136, vcc_lo, v80, v62
	v_add_co_ci_u32_e64 v137, null, v81, v63, vcc_lo
	global_load_dword v136, v[136:137], off
	s_waitcnt vmcnt(0)
	v_mul_f32_e32 v136, s24, v136
	s_branch .LBB71_126
.LBB71_125:
	v_mov_b32_e32 v136, 0
.LBB71_126:
	v_add_f32_e32 v137, v19, v59
	v_add_f32_e32 v138, v18, v58
	;; [unrolled: 1-line block ×4, first 2 shown]
	v_add_co_u32 v62, vcc_lo, v64, v62
	v_min3_f32 v135, v138, v137, v135
	v_add_co_ci_u32_e64 v63, null, v65, v63, vcc_lo
	v_min_f32_e32 v137, v140, v139
	v_min3_f32 v135, v136, v137, v135
	global_store_dword v[62:63], v135, off
	s_or_b32 exec_lo, exec_lo, s9
	s_and_b32 s12, s5, s8
	s_and_saveexec_b32 s9, s12
	s_cbranch_execz .LBB71_105
.LBB71_127:
	v_cmp_ne_u32_e32 vcc_lo, 1, v124
	v_lshlrev_b64 v[62:63], 2, v[74:75]
	s_cbranch_vccnz .LBB71_129
; %bb.128:
	v_add_co_u32 v135, vcc_lo, v80, v62
	v_add_co_ci_u32_e64 v136, null, v81, v63, vcc_lo
	global_load_dword v135, v[135:136], off
	s_waitcnt vmcnt(0)
	v_mul_f32_e32 v135, s24, v135
	s_branch .LBB71_130
.LBB71_129:
	v_mov_b32_e32 v135, 0
.LBB71_130:
	v_add_f32_e32 v136, v15, v59
	v_add_f32_e32 v137, v14, v58
	;; [unrolled: 1-line block ×4, first 2 shown]
	v_add_co_u32 v62, vcc_lo, v64, v62
	v_min3_f32 v133, v137, v136, v133
	v_add_co_ci_u32_e64 v63, null, v65, v63, vcc_lo
	v_min_f32_e32 v136, v139, v138
	v_min3_f32 v133, v135, v136, v133
	global_store_dword v[62:63], v133, off
	s_or_b32 exec_lo, exec_lo, s9
	s_and_b32 s12, s6, s8
	s_and_saveexec_b32 s9, s12
	s_cbranch_execz .LBB71_106
.LBB71_131:
	v_cmp_ne_u32_e32 vcc_lo, 1, v124
	v_lshlrev_b64 v[62:63], 2, v[76:77]
	s_cbranch_vccnz .LBB71_133
; %bb.132:
	v_add_co_u32 v135, vcc_lo, v80, v62
	v_add_co_ci_u32_e64 v136, null, v81, v63, vcc_lo
	global_load_dword v133, v[135:136], off
	s_waitcnt vmcnt(0)
	v_mul_f32_e32 v133, s24, v133
	s_branch .LBB71_134
.LBB71_133:
	v_mov_b32_e32 v133, 0
.LBB71_134:
	v_add_f32_e32 v135, v11, v59
	v_add_f32_e32 v136, v10, v58
	;; [unrolled: 1-line block ×4, first 2 shown]
	v_add_co_u32 v62, vcc_lo, v64, v62
	v_min3_f32 v132, v136, v135, v132
	v_add_co_ci_u32_e64 v63, null, v65, v63, vcc_lo
	v_min_f32_e32 v135, v138, v137
	v_min3_f32 v132, v133, v135, v132
	global_store_dword v[62:63], v132, off
	s_or_b32 exec_lo, exec_lo, s9
	s_and_b32 s9, s7, s8
	s_and_saveexec_b32 s8, s9
	s_cbranch_execz .LBB71_139
.LBB71_135:
	v_cmp_ne_u32_e32 vcc_lo, 1, v124
	v_lshlrev_b64 v[62:63], 2, v[78:79]
	s_cbranch_vccnz .LBB71_137
; %bb.136:
	v_add_co_u32 v80, vcc_lo, v80, v62
	v_add_co_ci_u32_e64 v81, null, v81, v63, vcc_lo
	global_load_dword v80, v[80:81], off
	s_waitcnt vmcnt(0)
	v_mul_f32_e32 v80, s24, v80
	s_branch .LBB71_138
.LBB71_137:
	v_mov_b32_e32 v80, 0
.LBB71_138:
	v_add_f32_e32 v59, v3, v59
	v_add_f32_e32 v58, v2, v58
	;; [unrolled: 1-line block ×4, first 2 shown]
	v_min3_f32 v58, v58, v59, v131
	v_min_f32_e32 v59, v60, v61
	v_min3_f32 v60, v80, v59, v58
	v_add_co_u32 v58, vcc_lo, v64, v62
	v_add_co_ci_u32_e64 v59, null, v65, v63, vcc_lo
	global_store_dword v[58:59], v60, off
.LBB71_139:
	s_or_b32 exec_lo, exec_lo, s8
	v_add_nc_u32_e32 v62, 64, v134
	v_mad_i64_i32 v[58:59], null, v62, s15, 0
	v_mad_i64_i32 v[60:61], null, v62, s14, 0
	v_cmp_gt_i32_e64 s8, s13, v62
	v_lshlrev_b64 v[58:59], 2, v[58:59]
	s_and_b32 s12, s0, s8
	v_lshlrev_b64 v[60:61], 2, v[60:61]
	v_add_co_u32 v62, vcc_lo, s16, v58
	v_add_co_ci_u32_e64 v63, null, s17, v59, vcc_lo
	v_add_co_u32 v60, vcc_lo, s10, v60
	v_add_co_ci_u32_e64 v61, null, s11, v61, vcc_lo
	s_and_saveexec_b32 s9, s12
	s_cbranch_execnz .LBB71_147
; %bb.140:
	s_or_b32 exec_lo, exec_lo, s9
	s_and_b32 s12, s1, s8
	s_and_saveexec_b32 s9, s12
	s_cbranch_execnz .LBB71_151
.LBB71_141:
	s_or_b32 exec_lo, exec_lo, s9
	s_and_b32 s12, s2, s8
	s_and_saveexec_b32 s9, s12
	s_cbranch_execnz .LBB71_155
.LBB71_142:
	s_or_b32 exec_lo, exec_lo, s9
	s_and_b32 s12, s3, s8
	s_and_saveexec_b32 s9, s12
	s_cbranch_execnz .LBB71_159
.LBB71_143:
	s_or_b32 exec_lo, exec_lo, s9
	s_and_b32 s12, s4, s8
	s_and_saveexec_b32 s9, s12
	s_cbranch_execnz .LBB71_163
.LBB71_144:
	s_or_b32 exec_lo, exec_lo, s9
	s_and_b32 s12, s5, s8
	s_and_saveexec_b32 s9, s12
	s_cbranch_execnz .LBB71_167
.LBB71_145:
	s_or_b32 exec_lo, exec_lo, s9
	s_and_b32 s12, s6, s8
	s_and_saveexec_b32 s9, s12
	s_cbranch_execnz .LBB71_171
.LBB71_146:
	s_or_b32 exec_lo, exec_lo, s9
	s_and_b32 s9, s7, s8
	s_and_saveexec_b32 s8, s9
	s_cbranch_execnz .LBB71_175
	s_branch .LBB71_179
.LBB71_147:
	v_cmp_ne_u32_e32 vcc_lo, 1, v124
	v_lshlrev_b64 v[58:59], 2, v[0:1]
	s_cbranch_vccnz .LBB71_149
; %bb.148:
	v_add_co_u32 v64, vcc_lo, v62, v58
	v_add_co_ci_u32_e64 v65, null, v63, v59, vcc_lo
	global_load_dword v64, v[64:65], off
	s_waitcnt vmcnt(0)
	v_mul_f32_e32 v64, s24, v64
	s_branch .LBB71_150
.LBB71_149:
	v_mov_b32_e32 v64, 0
.LBB71_150:
	v_add_f32_e32 v65, v35, v55
	v_add_f32_e32 v80, v34, v54
	;; [unrolled: 1-line block ×4, first 2 shown]
	v_add_co_u32 v58, vcc_lo, v60, v58
	v_min3_f32 v65, v80, v65, v130
	v_add_co_ci_u32_e64 v59, null, v61, v59, vcc_lo
	v_min_f32_e32 v80, v131, v81
	v_min3_f32 v64, v64, v80, v65
	global_store_dword v[58:59], v64, off
	s_or_b32 exec_lo, exec_lo, s9
	s_and_b32 s12, s1, s8
	s_and_saveexec_b32 s9, s12
	s_cbranch_execz .LBB71_141
.LBB71_151:
	v_cmp_ne_u32_e32 vcc_lo, 1, v124
	v_lshlrev_b64 v[58:59], 2, v[66:67]
	s_cbranch_vccnz .LBB71_153
; %bb.152:
	v_add_co_u32 v64, vcc_lo, v62, v58
	v_add_co_ci_u32_e64 v65, null, v63, v59, vcc_lo
	global_load_dword v64, v[64:65], off
	s_waitcnt vmcnt(0)
	v_mul_f32_e32 v64, s24, v64
	s_branch .LBB71_154
.LBB71_153:
	v_mov_b32_e32 v64, 0
.LBB71_154:
	v_add_f32_e32 v65, v31, v55
	v_add_f32_e32 v80, v30, v54
	v_add_f32_e32 v81, v33, v57
	v_add_f32_e32 v130, v32, v56
	v_add_co_u32 v58, vcc_lo, v60, v58
	v_min3_f32 v65, v80, v65, v129
	v_add_co_ci_u32_e64 v59, null, v61, v59, vcc_lo
	v_min_f32_e32 v80, v130, v81
	v_min3_f32 v64, v64, v80, v65
	global_store_dword v[58:59], v64, off
	s_or_b32 exec_lo, exec_lo, s9
	s_and_b32 s12, s2, s8
	s_and_saveexec_b32 s9, s12
	s_cbranch_execz .LBB71_142
.LBB71_155:
	v_cmp_ne_u32_e32 vcc_lo, 1, v124
	v_lshlrev_b64 v[58:59], 2, v[68:69]
	s_cbranch_vccnz .LBB71_157
; %bb.156:
	v_add_co_u32 v64, vcc_lo, v62, v58
	v_add_co_ci_u32_e64 v65, null, v63, v59, vcc_lo
	global_load_dword v64, v[64:65], off
	s_waitcnt vmcnt(0)
	v_mul_f32_e32 v64, s24, v64
	s_branch .LBB71_158
.LBB71_157:
	v_mov_b32_e32 v64, 0
.LBB71_158:
	v_add_f32_e32 v65, v27, v55
	v_add_f32_e32 v80, v26, v54
	;; [unrolled: 1-line block ×4, first 2 shown]
	v_add_co_u32 v58, vcc_lo, v60, v58
	v_min3_f32 v65, v80, v65, v128
	v_add_co_ci_u32_e64 v59, null, v61, v59, vcc_lo
	v_min_f32_e32 v80, v129, v81
	v_min3_f32 v64, v64, v80, v65
	global_store_dword v[58:59], v64, off
	s_or_b32 exec_lo, exec_lo, s9
	s_and_b32 s12, s3, s8
	s_and_saveexec_b32 s9, s12
	s_cbranch_execz .LBB71_143
.LBB71_159:
	v_cmp_ne_u32_e32 vcc_lo, 1, v124
	v_lshlrev_b64 v[58:59], 2, v[70:71]
	s_cbranch_vccnz .LBB71_161
; %bb.160:
	v_add_co_u32 v64, vcc_lo, v62, v58
	v_add_co_ci_u32_e64 v65, null, v63, v59, vcc_lo
	global_load_dword v64, v[64:65], off
	s_waitcnt vmcnt(0)
	v_mul_f32_e32 v64, s24, v64
	s_branch .LBB71_162
.LBB71_161:
	v_mov_b32_e32 v64, 0
.LBB71_162:
	v_add_f32_e32 v65, v23, v55
	v_add_f32_e32 v80, v22, v54
	;; [unrolled: 1-line block ×4, first 2 shown]
	v_add_co_u32 v58, vcc_lo, v60, v58
	v_min3_f32 v65, v80, v65, v127
	v_add_co_ci_u32_e64 v59, null, v61, v59, vcc_lo
	v_min_f32_e32 v80, v128, v81
	v_min3_f32 v64, v64, v80, v65
	global_store_dword v[58:59], v64, off
	s_or_b32 exec_lo, exec_lo, s9
	s_and_b32 s12, s4, s8
	s_and_saveexec_b32 s9, s12
	s_cbranch_execz .LBB71_144
.LBB71_163:
	v_cmp_ne_u32_e32 vcc_lo, 1, v124
	v_lshlrev_b64 v[58:59], 2, v[72:73]
	s_cbranch_vccnz .LBB71_165
; %bb.164:
	v_add_co_u32 v64, vcc_lo, v62, v58
	v_add_co_ci_u32_e64 v65, null, v63, v59, vcc_lo
	global_load_dword v64, v[64:65], off
	s_waitcnt vmcnt(0)
	v_mul_f32_e32 v64, s24, v64
	s_branch .LBB71_166
.LBB71_165:
	v_mov_b32_e32 v64, 0
.LBB71_166:
	v_add_f32_e32 v65, v19, v55
	v_add_f32_e32 v80, v18, v54
	v_add_f32_e32 v81, v21, v57
	v_add_f32_e32 v127, v20, v56
	v_add_co_u32 v58, vcc_lo, v60, v58
	v_min3_f32 v65, v80, v65, v126
	v_add_co_ci_u32_e64 v59, null, v61, v59, vcc_lo
	v_min_f32_e32 v80, v127, v81
	v_min3_f32 v64, v64, v80, v65
	global_store_dword v[58:59], v64, off
	s_or_b32 exec_lo, exec_lo, s9
	s_and_b32 s12, s5, s8
	s_and_saveexec_b32 s9, s12
	s_cbranch_execz .LBB71_145
.LBB71_167:
	v_cmp_ne_u32_e32 vcc_lo, 1, v124
	v_lshlrev_b64 v[58:59], 2, v[74:75]
	s_cbranch_vccnz .LBB71_169
; %bb.168:
	v_add_co_u32 v64, vcc_lo, v62, v58
	v_add_co_ci_u32_e64 v65, null, v63, v59, vcc_lo
	global_load_dword v64, v[64:65], off
	s_waitcnt vmcnt(0)
	v_mul_f32_e32 v64, s24, v64
	s_branch .LBB71_170
.LBB71_169:
	v_mov_b32_e32 v64, 0
.LBB71_170:
	v_add_f32_e32 v65, v15, v55
	v_add_f32_e32 v80, v14, v54
	;; [unrolled: 1-line block ×4, first 2 shown]
	v_add_co_u32 v58, vcc_lo, v60, v58
	v_min3_f32 v65, v80, v65, v125
	v_add_co_ci_u32_e64 v59, null, v61, v59, vcc_lo
	v_min_f32_e32 v80, v126, v81
	v_min3_f32 v64, v64, v80, v65
	global_store_dword v[58:59], v64, off
	s_or_b32 exec_lo, exec_lo, s9
	s_and_b32 s12, s6, s8
	s_and_saveexec_b32 s9, s12
	s_cbranch_execz .LBB71_146
.LBB71_171:
	v_cmp_ne_u32_e32 vcc_lo, 1, v124
	v_lshlrev_b64 v[58:59], 2, v[76:77]
	s_cbranch_vccnz .LBB71_173
; %bb.172:
	v_add_co_u32 v64, vcc_lo, v62, v58
	v_add_co_ci_u32_e64 v65, null, v63, v59, vcc_lo
	global_load_dword v64, v[64:65], off
	s_waitcnt vmcnt(0)
	v_mul_f32_e32 v64, s24, v64
	s_branch .LBB71_174
.LBB71_173:
	v_mov_b32_e32 v64, 0
.LBB71_174:
	v_add_f32_e32 v65, v11, v55
	v_add_f32_e32 v80, v10, v54
	;; [unrolled: 1-line block ×4, first 2 shown]
	v_add_co_u32 v58, vcc_lo, v60, v58
	v_min3_f32 v65, v80, v65, v123
	v_add_co_ci_u32_e64 v59, null, v61, v59, vcc_lo
	v_min_f32_e32 v80, v125, v81
	v_min3_f32 v64, v64, v80, v65
	global_store_dword v[58:59], v64, off
	s_or_b32 exec_lo, exec_lo, s9
	s_and_b32 s9, s7, s8
	s_and_saveexec_b32 s8, s9
	s_cbranch_execz .LBB71_179
.LBB71_175:
	v_cmp_ne_u32_e32 vcc_lo, 1, v124
	v_lshlrev_b64 v[58:59], 2, v[78:79]
	s_cbranch_vccnz .LBB71_177
; %bb.176:
	v_add_co_u32 v62, vcc_lo, v62, v58
	v_add_co_ci_u32_e64 v63, null, v63, v59, vcc_lo
	global_load_dword v62, v[62:63], off
	s_waitcnt vmcnt(0)
	v_mul_f32_e32 v62, s24, v62
	s_branch .LBB71_178
.LBB71_177:
	v_mov_b32_e32 v62, 0
.LBB71_178:
	v_add_f32_e32 v55, v3, v55
	v_add_f32_e32 v54, v2, v54
	;; [unrolled: 1-line block ×4, first 2 shown]
	v_min3_f32 v54, v54, v55, v122
	v_min_f32_e32 v55, v56, v57
	v_min3_f32 v56, v62, v55, v54
	v_add_co_u32 v54, vcc_lo, v60, v58
	v_add_co_ci_u32_e64 v55, null, v61, v59, vcc_lo
	global_store_dword v[54:55], v56, off
.LBB71_179:
	s_or_b32 exec_lo, exec_lo, s8
	v_add_nc_u32_e32 v58, 0x60, v134
	v_mad_i64_i32 v[54:55], null, v58, s15, 0
	v_mad_i64_i32 v[56:57], null, v58, s14, 0
	v_cmp_gt_i32_e64 s8, s13, v58
	v_lshlrev_b64 v[54:55], 2, v[54:55]
	s_and_b32 s12, s0, s8
	v_lshlrev_b64 v[56:57], 2, v[56:57]
	v_add_co_u32 v58, vcc_lo, s16, v54
	v_add_co_ci_u32_e64 v59, null, s17, v55, vcc_lo
	v_add_co_u32 v56, vcc_lo, s10, v56
	v_add_co_ci_u32_e64 v57, null, s11, v57, vcc_lo
	s_and_saveexec_b32 s9, s12
	s_cbranch_execnz .LBB71_187
; %bb.180:
	s_or_b32 exec_lo, exec_lo, s9
	s_and_b32 s12, s1, s8
	s_and_saveexec_b32 s9, s12
	s_cbranch_execnz .LBB71_191
.LBB71_181:
	s_or_b32 exec_lo, exec_lo, s9
	s_and_b32 s12, s2, s8
	s_and_saveexec_b32 s9, s12
	s_cbranch_execnz .LBB71_195
.LBB71_182:
	s_or_b32 exec_lo, exec_lo, s9
	s_and_b32 s12, s3, s8
	s_and_saveexec_b32 s9, s12
	s_cbranch_execnz .LBB71_199
.LBB71_183:
	s_or_b32 exec_lo, exec_lo, s9
	s_and_b32 s12, s4, s8
	s_and_saveexec_b32 s9, s12
	s_cbranch_execnz .LBB71_203
.LBB71_184:
	s_or_b32 exec_lo, exec_lo, s9
	s_and_b32 s12, s5, s8
	s_and_saveexec_b32 s9, s12
	s_cbranch_execnz .LBB71_207
.LBB71_185:
	s_or_b32 exec_lo, exec_lo, s9
	s_and_b32 s12, s6, s8
	s_and_saveexec_b32 s9, s12
	s_cbranch_execnz .LBB71_211
.LBB71_186:
	s_or_b32 exec_lo, exec_lo, s9
	s_and_b32 s9, s7, s8
	s_and_saveexec_b32 s8, s9
	s_cbranch_execnz .LBB71_215
	s_branch .LBB71_219
.LBB71_187:
	v_cmp_ne_u32_e32 vcc_lo, 1, v124
	v_lshlrev_b64 v[54:55], 2, v[0:1]
	s_cbranch_vccnz .LBB71_189
; %bb.188:
	v_add_co_u32 v60, vcc_lo, v58, v54
	v_add_co_ci_u32_e64 v61, null, v59, v55, vcc_lo
	global_load_dword v60, v[60:61], off
	s_waitcnt vmcnt(0)
	v_mul_f32_e32 v60, s24, v60
	s_branch .LBB71_190
.LBB71_189:
	v_mov_b32_e32 v60, 0
.LBB71_190:
	v_add_f32_e32 v61, v35, v51
	v_add_f32_e32 v62, v34, v50
	;; [unrolled: 1-line block ×4, first 2 shown]
	v_add_co_u32 v54, vcc_lo, v56, v54
	v_min3_f32 v61, v62, v61, v121
	v_add_co_ci_u32_e64 v55, null, v57, v55, vcc_lo
	v_min_f32_e32 v62, v64, v63
	v_min3_f32 v60, v60, v62, v61
	global_store_dword v[54:55], v60, off
	s_or_b32 exec_lo, exec_lo, s9
	s_and_b32 s12, s1, s8
	s_and_saveexec_b32 s9, s12
	s_cbranch_execz .LBB71_181
.LBB71_191:
	v_cmp_ne_u32_e32 vcc_lo, 1, v124
	v_lshlrev_b64 v[54:55], 2, v[66:67]
	s_cbranch_vccnz .LBB71_193
; %bb.192:
	v_add_co_u32 v60, vcc_lo, v58, v54
	v_add_co_ci_u32_e64 v61, null, v59, v55, vcc_lo
	global_load_dword v60, v[60:61], off
	s_waitcnt vmcnt(0)
	v_mul_f32_e32 v60, s24, v60
	s_branch .LBB71_194
.LBB71_193:
	v_mov_b32_e32 v60, 0
.LBB71_194:
	v_add_f32_e32 v61, v31, v51
	v_add_f32_e32 v62, v30, v50
	;; [unrolled: 1-line block ×4, first 2 shown]
	v_add_co_u32 v54, vcc_lo, v56, v54
	v_min3_f32 v61, v62, v61, v120
	v_add_co_ci_u32_e64 v55, null, v57, v55, vcc_lo
	v_min_f32_e32 v62, v64, v63
	v_min3_f32 v60, v60, v62, v61
	global_store_dword v[54:55], v60, off
	s_or_b32 exec_lo, exec_lo, s9
	s_and_b32 s12, s2, s8
	s_and_saveexec_b32 s9, s12
	s_cbranch_execz .LBB71_182
.LBB71_195:
	v_cmp_ne_u32_e32 vcc_lo, 1, v124
	v_lshlrev_b64 v[54:55], 2, v[68:69]
	s_cbranch_vccnz .LBB71_197
; %bb.196:
	v_add_co_u32 v60, vcc_lo, v58, v54
	v_add_co_ci_u32_e64 v61, null, v59, v55, vcc_lo
	global_load_dword v60, v[60:61], off
	s_waitcnt vmcnt(0)
	v_mul_f32_e32 v60, s24, v60
	s_branch .LBB71_198
.LBB71_197:
	v_mov_b32_e32 v60, 0
.LBB71_198:
	v_add_f32_e32 v61, v27, v51
	v_add_f32_e32 v62, v26, v50
	;; [unrolled: 1-line block ×4, first 2 shown]
	v_add_co_u32 v54, vcc_lo, v56, v54
	v_min3_f32 v61, v62, v61, v119
	v_add_co_ci_u32_e64 v55, null, v57, v55, vcc_lo
	v_min_f32_e32 v62, v64, v63
	v_min3_f32 v60, v60, v62, v61
	global_store_dword v[54:55], v60, off
	s_or_b32 exec_lo, exec_lo, s9
	s_and_b32 s12, s3, s8
	s_and_saveexec_b32 s9, s12
	s_cbranch_execz .LBB71_183
.LBB71_199:
	v_cmp_ne_u32_e32 vcc_lo, 1, v124
	v_lshlrev_b64 v[54:55], 2, v[70:71]
	s_cbranch_vccnz .LBB71_201
; %bb.200:
	v_add_co_u32 v60, vcc_lo, v58, v54
	v_add_co_ci_u32_e64 v61, null, v59, v55, vcc_lo
	global_load_dword v60, v[60:61], off
	s_waitcnt vmcnt(0)
	v_mul_f32_e32 v60, s24, v60
	s_branch .LBB71_202
.LBB71_201:
	v_mov_b32_e32 v60, 0
.LBB71_202:
	v_add_f32_e32 v61, v23, v51
	v_add_f32_e32 v62, v22, v50
	v_add_f32_e32 v63, v25, v53
	v_add_f32_e32 v64, v24, v52
	v_add_co_u32 v54, vcc_lo, v56, v54
	v_min3_f32 v61, v62, v61, v118
	v_add_co_ci_u32_e64 v55, null, v57, v55, vcc_lo
	v_min_f32_e32 v62, v64, v63
	v_min3_f32 v60, v60, v62, v61
	global_store_dword v[54:55], v60, off
	s_or_b32 exec_lo, exec_lo, s9
	s_and_b32 s12, s4, s8
	s_and_saveexec_b32 s9, s12
	s_cbranch_execz .LBB71_184
.LBB71_203:
	v_cmp_ne_u32_e32 vcc_lo, 1, v124
	v_lshlrev_b64 v[54:55], 2, v[72:73]
	s_cbranch_vccnz .LBB71_205
; %bb.204:
	v_add_co_u32 v60, vcc_lo, v58, v54
	v_add_co_ci_u32_e64 v61, null, v59, v55, vcc_lo
	global_load_dword v60, v[60:61], off
	s_waitcnt vmcnt(0)
	v_mul_f32_e32 v60, s24, v60
	s_branch .LBB71_206
.LBB71_205:
	v_mov_b32_e32 v60, 0
.LBB71_206:
	v_add_f32_e32 v61, v19, v51
	v_add_f32_e32 v62, v18, v50
	;; [unrolled: 1-line block ×4, first 2 shown]
	v_add_co_u32 v54, vcc_lo, v56, v54
	v_min3_f32 v61, v62, v61, v117
	v_add_co_ci_u32_e64 v55, null, v57, v55, vcc_lo
	v_min_f32_e32 v62, v64, v63
	v_min3_f32 v60, v60, v62, v61
	global_store_dword v[54:55], v60, off
	s_or_b32 exec_lo, exec_lo, s9
	s_and_b32 s12, s5, s8
	s_and_saveexec_b32 s9, s12
	s_cbranch_execz .LBB71_185
.LBB71_207:
	v_cmp_ne_u32_e32 vcc_lo, 1, v124
	v_lshlrev_b64 v[54:55], 2, v[74:75]
	s_cbranch_vccnz .LBB71_209
; %bb.208:
	v_add_co_u32 v60, vcc_lo, v58, v54
	v_add_co_ci_u32_e64 v61, null, v59, v55, vcc_lo
	global_load_dword v60, v[60:61], off
	s_waitcnt vmcnt(0)
	v_mul_f32_e32 v60, s24, v60
	s_branch .LBB71_210
.LBB71_209:
	v_mov_b32_e32 v60, 0
.LBB71_210:
	v_add_f32_e32 v61, v15, v51
	v_add_f32_e32 v62, v14, v50
	;; [unrolled: 1-line block ×4, first 2 shown]
	v_add_co_u32 v54, vcc_lo, v56, v54
	v_min3_f32 v61, v62, v61, v116
	v_add_co_ci_u32_e64 v55, null, v57, v55, vcc_lo
	v_min_f32_e32 v62, v64, v63
	v_min3_f32 v60, v60, v62, v61
	global_store_dword v[54:55], v60, off
	s_or_b32 exec_lo, exec_lo, s9
	s_and_b32 s12, s6, s8
	s_and_saveexec_b32 s9, s12
	s_cbranch_execz .LBB71_186
.LBB71_211:
	v_cmp_ne_u32_e32 vcc_lo, 1, v124
	v_lshlrev_b64 v[54:55], 2, v[76:77]
	s_cbranch_vccnz .LBB71_213
; %bb.212:
	v_add_co_u32 v60, vcc_lo, v58, v54
	v_add_co_ci_u32_e64 v61, null, v59, v55, vcc_lo
	global_load_dword v60, v[60:61], off
	s_waitcnt vmcnt(0)
	v_mul_f32_e32 v60, s24, v60
	s_branch .LBB71_214
.LBB71_213:
	v_mov_b32_e32 v60, 0
.LBB71_214:
	v_add_f32_e32 v61, v11, v51
	v_add_f32_e32 v62, v10, v50
	;; [unrolled: 1-line block ×4, first 2 shown]
	v_add_co_u32 v54, vcc_lo, v56, v54
	v_min3_f32 v61, v62, v61, v115
	v_add_co_ci_u32_e64 v55, null, v57, v55, vcc_lo
	v_min_f32_e32 v62, v64, v63
	v_min3_f32 v60, v60, v62, v61
	global_store_dword v[54:55], v60, off
	s_or_b32 exec_lo, exec_lo, s9
	s_and_b32 s9, s7, s8
	s_and_saveexec_b32 s8, s9
	s_cbranch_execz .LBB71_219
.LBB71_215:
	v_cmp_ne_u32_e32 vcc_lo, 1, v124
	v_lshlrev_b64 v[54:55], 2, v[78:79]
	s_cbranch_vccnz .LBB71_217
; %bb.216:
	v_add_co_u32 v58, vcc_lo, v58, v54
	v_add_co_ci_u32_e64 v59, null, v59, v55, vcc_lo
	global_load_dword v58, v[58:59], off
	s_waitcnt vmcnt(0)
	v_mul_f32_e32 v58, s24, v58
	s_branch .LBB71_218
.LBB71_217:
	v_mov_b32_e32 v58, 0
.LBB71_218:
	v_add_f32_e32 v51, v3, v51
	v_add_f32_e32 v50, v2, v50
	;; [unrolled: 1-line block ×4, first 2 shown]
	v_min3_f32 v50, v50, v51, v114
	v_min_f32_e32 v51, v52, v53
	v_min3_f32 v52, v58, v51, v50
	v_add_co_u32 v50, vcc_lo, v56, v54
	v_add_co_ci_u32_e64 v51, null, v57, v55, vcc_lo
	global_store_dword v[50:51], v52, off
.LBB71_219:
	s_or_b32 exec_lo, exec_lo, s8
	v_add_nc_u32_e32 v54, 0x80, v134
	v_mad_i64_i32 v[50:51], null, v54, s15, 0
	v_mad_i64_i32 v[52:53], null, v54, s14, 0
	v_cmp_gt_i32_e64 s8, s13, v54
	v_lshlrev_b64 v[50:51], 2, v[50:51]
	s_and_b32 s12, s0, s8
	v_lshlrev_b64 v[52:53], 2, v[52:53]
	v_add_co_u32 v54, vcc_lo, s16, v50
	v_add_co_ci_u32_e64 v55, null, s17, v51, vcc_lo
	v_add_co_u32 v52, vcc_lo, s10, v52
	v_add_co_ci_u32_e64 v53, null, s11, v53, vcc_lo
	s_and_saveexec_b32 s9, s12
	s_cbranch_execnz .LBB71_227
; %bb.220:
	s_or_b32 exec_lo, exec_lo, s9
	s_and_b32 s12, s1, s8
	s_and_saveexec_b32 s9, s12
	s_cbranch_execnz .LBB71_231
.LBB71_221:
	s_or_b32 exec_lo, exec_lo, s9
	s_and_b32 s12, s2, s8
	s_and_saveexec_b32 s9, s12
	s_cbranch_execnz .LBB71_235
.LBB71_222:
	s_or_b32 exec_lo, exec_lo, s9
	s_and_b32 s12, s3, s8
	s_and_saveexec_b32 s9, s12
	s_cbranch_execnz .LBB71_239
.LBB71_223:
	s_or_b32 exec_lo, exec_lo, s9
	s_and_b32 s12, s4, s8
	s_and_saveexec_b32 s9, s12
	s_cbranch_execnz .LBB71_243
.LBB71_224:
	s_or_b32 exec_lo, exec_lo, s9
	s_and_b32 s12, s5, s8
	s_and_saveexec_b32 s9, s12
	s_cbranch_execnz .LBB71_247
.LBB71_225:
	s_or_b32 exec_lo, exec_lo, s9
	s_and_b32 s12, s6, s8
	s_and_saveexec_b32 s9, s12
	s_cbranch_execnz .LBB71_251
.LBB71_226:
	s_or_b32 exec_lo, exec_lo, s9
	s_and_b32 s9, s7, s8
	s_and_saveexec_b32 s8, s9
	s_cbranch_execnz .LBB71_255
	s_branch .LBB71_259
.LBB71_227:
	v_cmp_ne_u32_e32 vcc_lo, 1, v124
	v_lshlrev_b64 v[50:51], 2, v[0:1]
	s_cbranch_vccnz .LBB71_229
; %bb.228:
	v_add_co_u32 v56, vcc_lo, v54, v50
	v_add_co_ci_u32_e64 v57, null, v55, v51, vcc_lo
	global_load_dword v56, v[56:57], off
	s_waitcnt vmcnt(0)
	v_mul_f32_e32 v56, s24, v56
	s_branch .LBB71_230
.LBB71_229:
	v_mov_b32_e32 v56, 0
.LBB71_230:
	v_add_f32_e32 v57, v35, v47
	v_add_f32_e32 v58, v34, v46
	;; [unrolled: 1-line block ×4, first 2 shown]
	v_add_co_u32 v50, vcc_lo, v52, v50
	v_min3_f32 v57, v58, v57, v113
	v_add_co_ci_u32_e64 v51, null, v53, v51, vcc_lo
	v_min_f32_e32 v58, v60, v59
	v_min3_f32 v56, v56, v58, v57
	global_store_dword v[50:51], v56, off
	s_or_b32 exec_lo, exec_lo, s9
	s_and_b32 s12, s1, s8
	s_and_saveexec_b32 s9, s12
	s_cbranch_execz .LBB71_221
.LBB71_231:
	v_cmp_ne_u32_e32 vcc_lo, 1, v124
	v_lshlrev_b64 v[50:51], 2, v[66:67]
	s_cbranch_vccnz .LBB71_233
; %bb.232:
	v_add_co_u32 v56, vcc_lo, v54, v50
	v_add_co_ci_u32_e64 v57, null, v55, v51, vcc_lo
	global_load_dword v56, v[56:57], off
	s_waitcnt vmcnt(0)
	v_mul_f32_e32 v56, s24, v56
	s_branch .LBB71_234
.LBB71_233:
	v_mov_b32_e32 v56, 0
.LBB71_234:
	v_add_f32_e32 v57, v31, v47
	v_add_f32_e32 v58, v30, v46
	;; [unrolled: 1-line block ×4, first 2 shown]
	v_add_co_u32 v50, vcc_lo, v52, v50
	v_min3_f32 v57, v58, v57, v112
	v_add_co_ci_u32_e64 v51, null, v53, v51, vcc_lo
	v_min_f32_e32 v58, v60, v59
	v_min3_f32 v56, v56, v58, v57
	global_store_dword v[50:51], v56, off
	s_or_b32 exec_lo, exec_lo, s9
	s_and_b32 s12, s2, s8
	s_and_saveexec_b32 s9, s12
	s_cbranch_execz .LBB71_222
.LBB71_235:
	v_cmp_ne_u32_e32 vcc_lo, 1, v124
	v_lshlrev_b64 v[50:51], 2, v[68:69]
	s_cbranch_vccnz .LBB71_237
; %bb.236:
	v_add_co_u32 v56, vcc_lo, v54, v50
	v_add_co_ci_u32_e64 v57, null, v55, v51, vcc_lo
	global_load_dword v56, v[56:57], off
	s_waitcnt vmcnt(0)
	v_mul_f32_e32 v56, s24, v56
	s_branch .LBB71_238
.LBB71_237:
	v_mov_b32_e32 v56, 0
.LBB71_238:
	v_add_f32_e32 v57, v27, v47
	v_add_f32_e32 v58, v26, v46
	;; [unrolled: 1-line block ×4, first 2 shown]
	v_add_co_u32 v50, vcc_lo, v52, v50
	v_min3_f32 v57, v58, v57, v111
	v_add_co_ci_u32_e64 v51, null, v53, v51, vcc_lo
	v_min_f32_e32 v58, v60, v59
	v_min3_f32 v56, v56, v58, v57
	global_store_dword v[50:51], v56, off
	s_or_b32 exec_lo, exec_lo, s9
	s_and_b32 s12, s3, s8
	s_and_saveexec_b32 s9, s12
	s_cbranch_execz .LBB71_223
.LBB71_239:
	v_cmp_ne_u32_e32 vcc_lo, 1, v124
	v_lshlrev_b64 v[50:51], 2, v[70:71]
	s_cbranch_vccnz .LBB71_241
; %bb.240:
	v_add_co_u32 v56, vcc_lo, v54, v50
	v_add_co_ci_u32_e64 v57, null, v55, v51, vcc_lo
	global_load_dword v56, v[56:57], off
	s_waitcnt vmcnt(0)
	v_mul_f32_e32 v56, s24, v56
	s_branch .LBB71_242
.LBB71_241:
	v_mov_b32_e32 v56, 0
.LBB71_242:
	v_add_f32_e32 v57, v23, v47
	v_add_f32_e32 v58, v22, v46
	v_add_f32_e32 v59, v25, v49
	v_add_f32_e32 v60, v24, v48
	v_add_co_u32 v50, vcc_lo, v52, v50
	v_min3_f32 v57, v58, v57, v110
	v_add_co_ci_u32_e64 v51, null, v53, v51, vcc_lo
	v_min_f32_e32 v58, v60, v59
	v_min3_f32 v56, v56, v58, v57
	global_store_dword v[50:51], v56, off
	s_or_b32 exec_lo, exec_lo, s9
	s_and_b32 s12, s4, s8
	s_and_saveexec_b32 s9, s12
	s_cbranch_execz .LBB71_224
.LBB71_243:
	v_cmp_ne_u32_e32 vcc_lo, 1, v124
	v_lshlrev_b64 v[50:51], 2, v[72:73]
	s_cbranch_vccnz .LBB71_245
; %bb.244:
	v_add_co_u32 v56, vcc_lo, v54, v50
	v_add_co_ci_u32_e64 v57, null, v55, v51, vcc_lo
	global_load_dword v56, v[56:57], off
	s_waitcnt vmcnt(0)
	v_mul_f32_e32 v56, s24, v56
	s_branch .LBB71_246
.LBB71_245:
	v_mov_b32_e32 v56, 0
.LBB71_246:
	v_add_f32_e32 v57, v19, v47
	v_add_f32_e32 v58, v18, v46
	;; [unrolled: 1-line block ×4, first 2 shown]
	v_add_co_u32 v50, vcc_lo, v52, v50
	v_min3_f32 v57, v58, v57, v109
	v_add_co_ci_u32_e64 v51, null, v53, v51, vcc_lo
	v_min_f32_e32 v58, v60, v59
	v_min3_f32 v56, v56, v58, v57
	global_store_dword v[50:51], v56, off
	s_or_b32 exec_lo, exec_lo, s9
	s_and_b32 s12, s5, s8
	s_and_saveexec_b32 s9, s12
	s_cbranch_execz .LBB71_225
.LBB71_247:
	v_cmp_ne_u32_e32 vcc_lo, 1, v124
	v_lshlrev_b64 v[50:51], 2, v[74:75]
	s_cbranch_vccnz .LBB71_249
; %bb.248:
	v_add_co_u32 v56, vcc_lo, v54, v50
	v_add_co_ci_u32_e64 v57, null, v55, v51, vcc_lo
	global_load_dword v56, v[56:57], off
	s_waitcnt vmcnt(0)
	v_mul_f32_e32 v56, s24, v56
	s_branch .LBB71_250
.LBB71_249:
	v_mov_b32_e32 v56, 0
.LBB71_250:
	v_add_f32_e32 v57, v15, v47
	v_add_f32_e32 v58, v14, v46
	;; [unrolled: 1-line block ×4, first 2 shown]
	v_add_co_u32 v50, vcc_lo, v52, v50
	v_min3_f32 v57, v58, v57, v108
	v_add_co_ci_u32_e64 v51, null, v53, v51, vcc_lo
	v_min_f32_e32 v58, v60, v59
	v_min3_f32 v56, v56, v58, v57
	global_store_dword v[50:51], v56, off
	s_or_b32 exec_lo, exec_lo, s9
	s_and_b32 s12, s6, s8
	s_and_saveexec_b32 s9, s12
	s_cbranch_execz .LBB71_226
.LBB71_251:
	v_cmp_ne_u32_e32 vcc_lo, 1, v124
	v_lshlrev_b64 v[50:51], 2, v[76:77]
	s_cbranch_vccnz .LBB71_253
; %bb.252:
	v_add_co_u32 v56, vcc_lo, v54, v50
	v_add_co_ci_u32_e64 v57, null, v55, v51, vcc_lo
	global_load_dword v56, v[56:57], off
	s_waitcnt vmcnt(0)
	v_mul_f32_e32 v56, s24, v56
	s_branch .LBB71_254
.LBB71_253:
	v_mov_b32_e32 v56, 0
.LBB71_254:
	v_add_f32_e32 v57, v11, v47
	v_add_f32_e32 v58, v10, v46
	;; [unrolled: 1-line block ×4, first 2 shown]
	v_add_co_u32 v50, vcc_lo, v52, v50
	v_min3_f32 v57, v58, v57, v107
	v_add_co_ci_u32_e64 v51, null, v53, v51, vcc_lo
	v_min_f32_e32 v58, v60, v59
	v_min3_f32 v56, v56, v58, v57
	global_store_dword v[50:51], v56, off
	s_or_b32 exec_lo, exec_lo, s9
	s_and_b32 s9, s7, s8
	s_and_saveexec_b32 s8, s9
	s_cbranch_execz .LBB71_259
.LBB71_255:
	v_cmp_ne_u32_e32 vcc_lo, 1, v124
	v_lshlrev_b64 v[50:51], 2, v[78:79]
	s_cbranch_vccnz .LBB71_257
; %bb.256:
	v_add_co_u32 v54, vcc_lo, v54, v50
	v_add_co_ci_u32_e64 v55, null, v55, v51, vcc_lo
	global_load_dword v54, v[54:55], off
	s_waitcnt vmcnt(0)
	v_mul_f32_e32 v54, s24, v54
	s_branch .LBB71_258
.LBB71_257:
	v_mov_b32_e32 v54, 0
.LBB71_258:
	v_add_f32_e32 v47, v3, v47
	v_add_f32_e32 v46, v2, v46
	;; [unrolled: 1-line block ×4, first 2 shown]
	v_min3_f32 v46, v46, v47, v106
	v_min_f32_e32 v47, v48, v49
	v_min3_f32 v48, v54, v47, v46
	v_add_co_u32 v46, vcc_lo, v52, v50
	v_add_co_ci_u32_e64 v47, null, v53, v51, vcc_lo
	global_store_dword v[46:47], v48, off
.LBB71_259:
	s_or_b32 exec_lo, exec_lo, s8
	v_add_nc_u32_e32 v50, 0xa0, v134
	v_mad_i64_i32 v[46:47], null, v50, s15, 0
	v_mad_i64_i32 v[48:49], null, v50, s14, 0
	v_cmp_gt_i32_e64 s8, s13, v50
	v_lshlrev_b64 v[46:47], 2, v[46:47]
	s_and_b32 s12, s0, s8
	v_lshlrev_b64 v[48:49], 2, v[48:49]
	v_add_co_u32 v50, vcc_lo, s16, v46
	v_add_co_ci_u32_e64 v51, null, s17, v47, vcc_lo
	v_add_co_u32 v48, vcc_lo, s10, v48
	v_add_co_ci_u32_e64 v49, null, s11, v49, vcc_lo
	s_and_saveexec_b32 s9, s12
	s_cbranch_execnz .LBB71_267
; %bb.260:
	s_or_b32 exec_lo, exec_lo, s9
	s_and_b32 s12, s1, s8
	s_and_saveexec_b32 s9, s12
	s_cbranch_execnz .LBB71_271
.LBB71_261:
	s_or_b32 exec_lo, exec_lo, s9
	s_and_b32 s12, s2, s8
	s_and_saveexec_b32 s9, s12
	s_cbranch_execnz .LBB71_275
.LBB71_262:
	s_or_b32 exec_lo, exec_lo, s9
	s_and_b32 s12, s3, s8
	s_and_saveexec_b32 s9, s12
	s_cbranch_execnz .LBB71_279
.LBB71_263:
	s_or_b32 exec_lo, exec_lo, s9
	s_and_b32 s12, s4, s8
	s_and_saveexec_b32 s9, s12
	s_cbranch_execnz .LBB71_283
.LBB71_264:
	s_or_b32 exec_lo, exec_lo, s9
	s_and_b32 s12, s5, s8
	s_and_saveexec_b32 s9, s12
	s_cbranch_execnz .LBB71_287
.LBB71_265:
	s_or_b32 exec_lo, exec_lo, s9
	s_and_b32 s12, s6, s8
	s_and_saveexec_b32 s9, s12
	s_cbranch_execnz .LBB71_291
.LBB71_266:
	s_or_b32 exec_lo, exec_lo, s9
	s_and_b32 s9, s7, s8
	s_and_saveexec_b32 s8, s9
	s_cbranch_execnz .LBB71_295
	s_branch .LBB71_299
.LBB71_267:
	v_cmp_ne_u32_e32 vcc_lo, 1, v124
	v_lshlrev_b64 v[46:47], 2, v[0:1]
	s_cbranch_vccnz .LBB71_269
; %bb.268:
	v_add_co_u32 v52, vcc_lo, v50, v46
	v_add_co_ci_u32_e64 v53, null, v51, v47, vcc_lo
	global_load_dword v52, v[52:53], off
	s_waitcnt vmcnt(0)
	v_mul_f32_e32 v52, s24, v52
	s_branch .LBB71_270
.LBB71_269:
	v_mov_b32_e32 v52, 0
.LBB71_270:
	v_add_f32_e32 v53, v35, v43
	v_add_f32_e32 v54, v34, v42
	;; [unrolled: 1-line block ×4, first 2 shown]
	v_add_co_u32 v46, vcc_lo, v48, v46
	v_min3_f32 v53, v54, v53, v105
	v_add_co_ci_u32_e64 v47, null, v49, v47, vcc_lo
	v_min_f32_e32 v54, v56, v55
	v_min3_f32 v52, v52, v54, v53
	global_store_dword v[46:47], v52, off
	s_or_b32 exec_lo, exec_lo, s9
	s_and_b32 s12, s1, s8
	s_and_saveexec_b32 s9, s12
	s_cbranch_execz .LBB71_261
.LBB71_271:
	v_cmp_ne_u32_e32 vcc_lo, 1, v124
	v_lshlrev_b64 v[46:47], 2, v[66:67]
	s_cbranch_vccnz .LBB71_273
; %bb.272:
	v_add_co_u32 v52, vcc_lo, v50, v46
	v_add_co_ci_u32_e64 v53, null, v51, v47, vcc_lo
	global_load_dword v52, v[52:53], off
	s_waitcnt vmcnt(0)
	v_mul_f32_e32 v52, s24, v52
	s_branch .LBB71_274
.LBB71_273:
	v_mov_b32_e32 v52, 0
.LBB71_274:
	v_add_f32_e32 v53, v31, v43
	v_add_f32_e32 v54, v30, v42
	;; [unrolled: 1-line block ×4, first 2 shown]
	v_add_co_u32 v46, vcc_lo, v48, v46
	v_min3_f32 v53, v54, v53, v104
	v_add_co_ci_u32_e64 v47, null, v49, v47, vcc_lo
	v_min_f32_e32 v54, v56, v55
	v_min3_f32 v52, v52, v54, v53
	global_store_dword v[46:47], v52, off
	s_or_b32 exec_lo, exec_lo, s9
	s_and_b32 s12, s2, s8
	s_and_saveexec_b32 s9, s12
	s_cbranch_execz .LBB71_262
.LBB71_275:
	v_cmp_ne_u32_e32 vcc_lo, 1, v124
	v_lshlrev_b64 v[46:47], 2, v[68:69]
	s_cbranch_vccnz .LBB71_277
; %bb.276:
	v_add_co_u32 v52, vcc_lo, v50, v46
	v_add_co_ci_u32_e64 v53, null, v51, v47, vcc_lo
	global_load_dword v52, v[52:53], off
	s_waitcnt vmcnt(0)
	v_mul_f32_e32 v52, s24, v52
	s_branch .LBB71_278
.LBB71_277:
	v_mov_b32_e32 v52, 0
.LBB71_278:
	v_add_f32_e32 v53, v27, v43
	v_add_f32_e32 v54, v26, v42
	v_add_f32_e32 v55, v29, v45
	v_add_f32_e32 v56, v28, v44
	v_add_co_u32 v46, vcc_lo, v48, v46
	v_min3_f32 v53, v54, v53, v103
	v_add_co_ci_u32_e64 v47, null, v49, v47, vcc_lo
	v_min_f32_e32 v54, v56, v55
	v_min3_f32 v52, v52, v54, v53
	global_store_dword v[46:47], v52, off
	s_or_b32 exec_lo, exec_lo, s9
	s_and_b32 s12, s3, s8
	s_and_saveexec_b32 s9, s12
	s_cbranch_execz .LBB71_263
.LBB71_279:
	v_cmp_ne_u32_e32 vcc_lo, 1, v124
	v_lshlrev_b64 v[46:47], 2, v[70:71]
	s_cbranch_vccnz .LBB71_281
; %bb.280:
	v_add_co_u32 v52, vcc_lo, v50, v46
	v_add_co_ci_u32_e64 v53, null, v51, v47, vcc_lo
	global_load_dword v52, v[52:53], off
	s_waitcnt vmcnt(0)
	v_mul_f32_e32 v52, s24, v52
	s_branch .LBB71_282
.LBB71_281:
	v_mov_b32_e32 v52, 0
.LBB71_282:
	v_add_f32_e32 v53, v23, v43
	v_add_f32_e32 v54, v22, v42
	;; [unrolled: 1-line block ×4, first 2 shown]
	v_add_co_u32 v46, vcc_lo, v48, v46
	v_min3_f32 v53, v54, v53, v102
	v_add_co_ci_u32_e64 v47, null, v49, v47, vcc_lo
	v_min_f32_e32 v54, v56, v55
	v_min3_f32 v52, v52, v54, v53
	global_store_dword v[46:47], v52, off
	s_or_b32 exec_lo, exec_lo, s9
	s_and_b32 s12, s4, s8
	s_and_saveexec_b32 s9, s12
	s_cbranch_execz .LBB71_264
.LBB71_283:
	v_cmp_ne_u32_e32 vcc_lo, 1, v124
	v_lshlrev_b64 v[46:47], 2, v[72:73]
	s_cbranch_vccnz .LBB71_285
; %bb.284:
	v_add_co_u32 v52, vcc_lo, v50, v46
	v_add_co_ci_u32_e64 v53, null, v51, v47, vcc_lo
	global_load_dword v52, v[52:53], off
	s_waitcnt vmcnt(0)
	v_mul_f32_e32 v52, s24, v52
	s_branch .LBB71_286
.LBB71_285:
	v_mov_b32_e32 v52, 0
.LBB71_286:
	v_add_f32_e32 v53, v19, v43
	v_add_f32_e32 v54, v18, v42
	;; [unrolled: 1-line block ×4, first 2 shown]
	v_add_co_u32 v46, vcc_lo, v48, v46
	v_min3_f32 v53, v54, v53, v101
	v_add_co_ci_u32_e64 v47, null, v49, v47, vcc_lo
	v_min_f32_e32 v54, v56, v55
	v_min3_f32 v52, v52, v54, v53
	global_store_dword v[46:47], v52, off
	s_or_b32 exec_lo, exec_lo, s9
	s_and_b32 s12, s5, s8
	s_and_saveexec_b32 s9, s12
	s_cbranch_execz .LBB71_265
.LBB71_287:
	v_cmp_ne_u32_e32 vcc_lo, 1, v124
	v_lshlrev_b64 v[46:47], 2, v[74:75]
	s_cbranch_vccnz .LBB71_289
; %bb.288:
	v_add_co_u32 v52, vcc_lo, v50, v46
	v_add_co_ci_u32_e64 v53, null, v51, v47, vcc_lo
	global_load_dword v52, v[52:53], off
	s_waitcnt vmcnt(0)
	v_mul_f32_e32 v52, s24, v52
	s_branch .LBB71_290
.LBB71_289:
	v_mov_b32_e32 v52, 0
.LBB71_290:
	v_add_f32_e32 v53, v15, v43
	v_add_f32_e32 v54, v14, v42
	;; [unrolled: 1-line block ×4, first 2 shown]
	v_add_co_u32 v46, vcc_lo, v48, v46
	v_min3_f32 v53, v54, v53, v100
	v_add_co_ci_u32_e64 v47, null, v49, v47, vcc_lo
	v_min_f32_e32 v54, v56, v55
	v_min3_f32 v52, v52, v54, v53
	global_store_dword v[46:47], v52, off
	s_or_b32 exec_lo, exec_lo, s9
	s_and_b32 s12, s6, s8
	s_and_saveexec_b32 s9, s12
	s_cbranch_execz .LBB71_266
.LBB71_291:
	v_cmp_ne_u32_e32 vcc_lo, 1, v124
	v_lshlrev_b64 v[46:47], 2, v[76:77]
	s_cbranch_vccnz .LBB71_293
; %bb.292:
	v_add_co_u32 v52, vcc_lo, v50, v46
	v_add_co_ci_u32_e64 v53, null, v51, v47, vcc_lo
	global_load_dword v52, v[52:53], off
	s_waitcnt vmcnt(0)
	v_mul_f32_e32 v52, s24, v52
	s_branch .LBB71_294
.LBB71_293:
	v_mov_b32_e32 v52, 0
.LBB71_294:
	v_add_f32_e32 v53, v11, v43
	v_add_f32_e32 v54, v10, v42
	;; [unrolled: 1-line block ×4, first 2 shown]
	v_add_co_u32 v46, vcc_lo, v48, v46
	v_min3_f32 v53, v54, v53, v99
	v_add_co_ci_u32_e64 v47, null, v49, v47, vcc_lo
	v_min_f32_e32 v54, v56, v55
	v_min3_f32 v52, v52, v54, v53
	global_store_dword v[46:47], v52, off
	s_or_b32 exec_lo, exec_lo, s9
	s_and_b32 s9, s7, s8
	s_and_saveexec_b32 s8, s9
	s_cbranch_execz .LBB71_299
.LBB71_295:
	v_cmp_ne_u32_e32 vcc_lo, 1, v124
	v_lshlrev_b64 v[46:47], 2, v[78:79]
	s_cbranch_vccnz .LBB71_297
; %bb.296:
	v_add_co_u32 v50, vcc_lo, v50, v46
	v_add_co_ci_u32_e64 v51, null, v51, v47, vcc_lo
	global_load_dword v50, v[50:51], off
	s_waitcnt vmcnt(0)
	v_mul_f32_e32 v50, s24, v50
	s_branch .LBB71_298
.LBB71_297:
	v_mov_b32_e32 v50, 0
.LBB71_298:
	v_add_f32_e32 v43, v3, v43
	v_add_f32_e32 v42, v2, v42
	;; [unrolled: 1-line block ×4, first 2 shown]
	v_min3_f32 v42, v42, v43, v98
	v_min_f32_e32 v43, v44, v45
	v_min3_f32 v44, v50, v43, v42
	v_add_co_u32 v42, vcc_lo, v48, v46
	v_add_co_ci_u32_e64 v43, null, v49, v47, vcc_lo
	global_store_dword v[42:43], v44, off
.LBB71_299:
	s_or_b32 exec_lo, exec_lo, s8
	v_add_nc_u32_e32 v46, 0xc0, v134
	v_mad_i64_i32 v[42:43], null, v46, s15, 0
	v_mad_i64_i32 v[44:45], null, v46, s14, 0
	v_cmp_gt_i32_e64 s8, s13, v46
	v_lshlrev_b64 v[42:43], 2, v[42:43]
	s_and_b32 s12, s0, s8
	v_lshlrev_b64 v[44:45], 2, v[44:45]
	v_add_co_u32 v46, vcc_lo, s16, v42
	v_add_co_ci_u32_e64 v47, null, s17, v43, vcc_lo
	v_add_co_u32 v44, vcc_lo, s10, v44
	v_add_co_ci_u32_e64 v45, null, s11, v45, vcc_lo
	s_and_saveexec_b32 s9, s12
	s_cbranch_execnz .LBB71_307
; %bb.300:
	s_or_b32 exec_lo, exec_lo, s9
	s_and_b32 s12, s1, s8
	s_and_saveexec_b32 s9, s12
	s_cbranch_execnz .LBB71_311
.LBB71_301:
	s_or_b32 exec_lo, exec_lo, s9
	s_and_b32 s12, s2, s8
	s_and_saveexec_b32 s9, s12
	s_cbranch_execnz .LBB71_315
.LBB71_302:
	s_or_b32 exec_lo, exec_lo, s9
	s_and_b32 s12, s3, s8
	s_and_saveexec_b32 s9, s12
	s_cbranch_execnz .LBB71_319
.LBB71_303:
	s_or_b32 exec_lo, exec_lo, s9
	s_and_b32 s12, s4, s8
	s_and_saveexec_b32 s9, s12
	s_cbranch_execnz .LBB71_323
.LBB71_304:
	s_or_b32 exec_lo, exec_lo, s9
	s_and_b32 s12, s5, s8
	s_and_saveexec_b32 s9, s12
	s_cbranch_execnz .LBB71_327
.LBB71_305:
	s_or_b32 exec_lo, exec_lo, s9
	s_and_b32 s12, s6, s8
	s_and_saveexec_b32 s9, s12
	s_cbranch_execnz .LBB71_331
.LBB71_306:
	s_or_b32 exec_lo, exec_lo, s9
	s_and_b32 s9, s7, s8
	s_and_saveexec_b32 s8, s9
	s_cbranch_execnz .LBB71_335
	s_branch .LBB71_339
.LBB71_307:
	v_cmp_ne_u32_e32 vcc_lo, 1, v124
	v_lshlrev_b64 v[42:43], 2, v[0:1]
	s_cbranch_vccnz .LBB71_309
; %bb.308:
	v_add_co_u32 v48, vcc_lo, v46, v42
	v_add_co_ci_u32_e64 v49, null, v47, v43, vcc_lo
	global_load_dword v48, v[48:49], off
	s_waitcnt vmcnt(0)
	v_mul_f32_e32 v48, s24, v48
	s_branch .LBB71_310
.LBB71_309:
	v_mov_b32_e32 v48, 0
.LBB71_310:
	v_add_f32_e32 v49, v35, v39
	v_add_f32_e32 v50, v34, v38
	;; [unrolled: 1-line block ×4, first 2 shown]
	v_add_co_u32 v42, vcc_lo, v44, v42
	v_min3_f32 v49, v50, v49, v97
	v_add_co_ci_u32_e64 v43, null, v45, v43, vcc_lo
	v_min_f32_e32 v50, v52, v51
	v_min3_f32 v48, v48, v50, v49
	global_store_dword v[42:43], v48, off
	s_or_b32 exec_lo, exec_lo, s9
	s_and_b32 s12, s1, s8
	s_and_saveexec_b32 s9, s12
	s_cbranch_execz .LBB71_301
.LBB71_311:
	v_cmp_ne_u32_e32 vcc_lo, 1, v124
	v_lshlrev_b64 v[42:43], 2, v[66:67]
	s_cbranch_vccnz .LBB71_313
; %bb.312:
	v_add_co_u32 v48, vcc_lo, v46, v42
	v_add_co_ci_u32_e64 v49, null, v47, v43, vcc_lo
	global_load_dword v48, v[48:49], off
	s_waitcnt vmcnt(0)
	v_mul_f32_e32 v48, s24, v48
	s_branch .LBB71_314
.LBB71_313:
	v_mov_b32_e32 v48, 0
.LBB71_314:
	v_add_f32_e32 v49, v31, v39
	v_add_f32_e32 v50, v30, v38
	;; [unrolled: 1-line block ×4, first 2 shown]
	v_add_co_u32 v42, vcc_lo, v44, v42
	v_min3_f32 v49, v50, v49, v96
	v_add_co_ci_u32_e64 v43, null, v45, v43, vcc_lo
	v_min_f32_e32 v50, v52, v51
	v_min3_f32 v48, v48, v50, v49
	global_store_dword v[42:43], v48, off
	s_or_b32 exec_lo, exec_lo, s9
	s_and_b32 s12, s2, s8
	s_and_saveexec_b32 s9, s12
	s_cbranch_execz .LBB71_302
.LBB71_315:
	v_cmp_ne_u32_e32 vcc_lo, 1, v124
	v_lshlrev_b64 v[42:43], 2, v[68:69]
	s_cbranch_vccnz .LBB71_317
; %bb.316:
	v_add_co_u32 v48, vcc_lo, v46, v42
	v_add_co_ci_u32_e64 v49, null, v47, v43, vcc_lo
	global_load_dword v48, v[48:49], off
	s_waitcnt vmcnt(0)
	v_mul_f32_e32 v48, s24, v48
	s_branch .LBB71_318
.LBB71_317:
	v_mov_b32_e32 v48, 0
.LBB71_318:
	v_add_f32_e32 v49, v27, v39
	v_add_f32_e32 v50, v26, v38
	;; [unrolled: 1-line block ×4, first 2 shown]
	v_add_co_u32 v42, vcc_lo, v44, v42
	v_min3_f32 v49, v50, v49, v95
	v_add_co_ci_u32_e64 v43, null, v45, v43, vcc_lo
	v_min_f32_e32 v50, v52, v51
	v_min3_f32 v48, v48, v50, v49
	global_store_dword v[42:43], v48, off
	s_or_b32 exec_lo, exec_lo, s9
	s_and_b32 s12, s3, s8
	s_and_saveexec_b32 s9, s12
	s_cbranch_execz .LBB71_303
.LBB71_319:
	v_cmp_ne_u32_e32 vcc_lo, 1, v124
	v_lshlrev_b64 v[42:43], 2, v[70:71]
	s_cbranch_vccnz .LBB71_321
; %bb.320:
	v_add_co_u32 v48, vcc_lo, v46, v42
	v_add_co_ci_u32_e64 v49, null, v47, v43, vcc_lo
	global_load_dword v48, v[48:49], off
	s_waitcnt vmcnt(0)
	v_mul_f32_e32 v48, s24, v48
	s_branch .LBB71_322
.LBB71_321:
	v_mov_b32_e32 v48, 0
.LBB71_322:
	v_add_f32_e32 v49, v23, v39
	v_add_f32_e32 v50, v22, v38
	;; [unrolled: 1-line block ×4, first 2 shown]
	v_add_co_u32 v42, vcc_lo, v44, v42
	v_min3_f32 v49, v50, v49, v94
	v_add_co_ci_u32_e64 v43, null, v45, v43, vcc_lo
	v_min_f32_e32 v50, v52, v51
	v_min3_f32 v48, v48, v50, v49
	global_store_dword v[42:43], v48, off
	s_or_b32 exec_lo, exec_lo, s9
	s_and_b32 s12, s4, s8
	s_and_saveexec_b32 s9, s12
	s_cbranch_execz .LBB71_304
.LBB71_323:
	v_cmp_ne_u32_e32 vcc_lo, 1, v124
	v_lshlrev_b64 v[42:43], 2, v[72:73]
	s_cbranch_vccnz .LBB71_325
; %bb.324:
	v_add_co_u32 v48, vcc_lo, v46, v42
	v_add_co_ci_u32_e64 v49, null, v47, v43, vcc_lo
	global_load_dword v48, v[48:49], off
	s_waitcnt vmcnt(0)
	v_mul_f32_e32 v48, s24, v48
	s_branch .LBB71_326
.LBB71_325:
	v_mov_b32_e32 v48, 0
.LBB71_326:
	v_add_f32_e32 v49, v19, v39
	v_add_f32_e32 v50, v18, v38
	;; [unrolled: 1-line block ×4, first 2 shown]
	v_add_co_u32 v42, vcc_lo, v44, v42
	v_min3_f32 v49, v50, v49, v93
	v_add_co_ci_u32_e64 v43, null, v45, v43, vcc_lo
	v_min_f32_e32 v50, v52, v51
	v_min3_f32 v48, v48, v50, v49
	global_store_dword v[42:43], v48, off
	s_or_b32 exec_lo, exec_lo, s9
	s_and_b32 s12, s5, s8
	s_and_saveexec_b32 s9, s12
	s_cbranch_execz .LBB71_305
.LBB71_327:
	v_cmp_ne_u32_e32 vcc_lo, 1, v124
	v_lshlrev_b64 v[42:43], 2, v[74:75]
	s_cbranch_vccnz .LBB71_329
; %bb.328:
	v_add_co_u32 v48, vcc_lo, v46, v42
	v_add_co_ci_u32_e64 v49, null, v47, v43, vcc_lo
	global_load_dword v48, v[48:49], off
	s_waitcnt vmcnt(0)
	v_mul_f32_e32 v48, s24, v48
	s_branch .LBB71_330
.LBB71_329:
	v_mov_b32_e32 v48, 0
.LBB71_330:
	v_add_f32_e32 v49, v15, v39
	v_add_f32_e32 v50, v14, v38
	;; [unrolled: 1-line block ×4, first 2 shown]
	v_add_co_u32 v42, vcc_lo, v44, v42
	v_min3_f32 v49, v50, v49, v91
	v_add_co_ci_u32_e64 v43, null, v45, v43, vcc_lo
	v_min_f32_e32 v50, v52, v51
	v_min3_f32 v48, v48, v50, v49
	global_store_dword v[42:43], v48, off
	s_or_b32 exec_lo, exec_lo, s9
	s_and_b32 s12, s6, s8
	s_and_saveexec_b32 s9, s12
	s_cbranch_execz .LBB71_306
.LBB71_331:
	v_cmp_ne_u32_e32 vcc_lo, 1, v124
	v_lshlrev_b64 v[42:43], 2, v[76:77]
	s_cbranch_vccnz .LBB71_333
; %bb.332:
	v_add_co_u32 v48, vcc_lo, v46, v42
	v_add_co_ci_u32_e64 v49, null, v47, v43, vcc_lo
	global_load_dword v48, v[48:49], off
	s_waitcnt vmcnt(0)
	v_mul_f32_e32 v48, s24, v48
	s_branch .LBB71_334
.LBB71_333:
	v_mov_b32_e32 v48, 0
.LBB71_334:
	v_add_f32_e32 v49, v11, v39
	v_add_f32_e32 v50, v10, v38
	;; [unrolled: 1-line block ×4, first 2 shown]
	v_add_co_u32 v42, vcc_lo, v44, v42
	v_min3_f32 v49, v50, v49, v90
	v_add_co_ci_u32_e64 v43, null, v45, v43, vcc_lo
	v_min_f32_e32 v50, v52, v51
	v_min3_f32 v48, v48, v50, v49
	global_store_dword v[42:43], v48, off
	s_or_b32 exec_lo, exec_lo, s9
	s_and_b32 s9, s7, s8
	s_and_saveexec_b32 s8, s9
	s_cbranch_execz .LBB71_339
.LBB71_335:
	v_cmp_ne_u32_e32 vcc_lo, 1, v124
	v_lshlrev_b64 v[42:43], 2, v[78:79]
	s_cbranch_vccnz .LBB71_337
; %bb.336:
	v_add_co_u32 v46, vcc_lo, v46, v42
	v_add_co_ci_u32_e64 v47, null, v47, v43, vcc_lo
	global_load_dword v46, v[46:47], off
	s_waitcnt vmcnt(0)
	v_mul_f32_e32 v46, s24, v46
	s_branch .LBB71_338
.LBB71_337:
	v_mov_b32_e32 v46, 0
.LBB71_338:
	v_add_f32_e32 v39, v3, v39
	v_add_f32_e32 v38, v2, v38
	;; [unrolled: 1-line block ×4, first 2 shown]
	v_min3_f32 v38, v38, v39, v89
	v_min_f32_e32 v39, v40, v41
	v_min3_f32 v40, v46, v39, v38
	v_add_co_u32 v38, vcc_lo, v44, v42
	v_add_co_ci_u32_e64 v39, null, v45, v43, vcc_lo
	global_store_dword v[38:39], v40, off
.LBB71_339:
	s_or_b32 exec_lo, exec_lo, s8
	v_add_nc_u32_e32 v42, 0xe0, v134
	v_mad_i64_i32 v[38:39], null, v42, s15, 0
	v_mad_i64_i32 v[40:41], null, v42, s14, 0
	v_cmp_gt_i32_e64 s8, s13, v42
	v_lshlrev_b64 v[38:39], 2, v[38:39]
	s_and_b32 s9, s0, s8
	v_lshlrev_b64 v[42:43], 2, v[40:41]
	v_add_co_u32 v40, vcc_lo, s16, v38
	v_add_co_ci_u32_e64 v41, null, s17, v39, vcc_lo
	v_add_co_u32 v38, vcc_lo, s10, v42
	v_add_co_ci_u32_e64 v39, null, s11, v43, vcc_lo
	s_and_saveexec_b32 s0, s9
	s_cbranch_execnz .LBB71_348
; %bb.340:
	s_or_b32 exec_lo, exec_lo, s0
	s_and_b32 s1, s1, s8
	s_and_saveexec_b32 s0, s1
	s_cbranch_execnz .LBB71_352
.LBB71_341:
	s_or_b32 exec_lo, exec_lo, s0
	s_and_b32 s1, s2, s8
	s_and_saveexec_b32 s0, s1
	s_cbranch_execnz .LBB71_356
.LBB71_342:
	s_or_b32 exec_lo, exec_lo, s0
	s_and_b32 s1, s3, s8
	s_and_saveexec_b32 s0, s1
	s_cbranch_execnz .LBB71_360
.LBB71_343:
	s_or_b32 exec_lo, exec_lo, s0
	s_and_b32 s1, s4, s8
	s_and_saveexec_b32 s0, s1
	s_cbranch_execnz .LBB71_364
.LBB71_344:
	s_or_b32 exec_lo, exec_lo, s0
	s_and_b32 s1, s5, s8
	s_and_saveexec_b32 s0, s1
	s_cbranch_execnz .LBB71_368
.LBB71_345:
	s_or_b32 exec_lo, exec_lo, s0
	s_and_b32 s1, s6, s8
	s_and_saveexec_b32 s0, s1
	s_cbranch_execnz .LBB71_372
.LBB71_346:
	s_or_b32 exec_lo, exec_lo, s0
	s_and_b32 s0, s7, s8
	s_and_saveexec_b32 s1, s0
	s_cbranch_execnz .LBB71_376
.LBB71_347:
	s_endpgm
.LBB71_348:
	v_cmp_ne_u32_e32 vcc_lo, 1, v124
	v_lshlrev_b64 v[0:1], 2, v[0:1]
	s_cbranch_vccnz .LBB71_350
; %bb.349:
	v_add_co_u32 v42, vcc_lo, v40, v0
	v_add_co_ci_u32_e64 v43, null, v41, v1, vcc_lo
	global_load_dword v42, v[42:43], off
	s_waitcnt vmcnt(0)
	v_mul_f32_e32 v42, s24, v42
	s_branch .LBB71_351
.LBB71_350:
	v_mov_b32_e32 v42, 0
.LBB71_351:
	v_add_f32_e32 v35, v35, v7
	v_add_f32_e32 v34, v34, v6
	;; [unrolled: 1-line block ×4, first 2 shown]
	v_add_co_u32 v0, vcc_lo, v38, v0
	v_min3_f32 v34, v34, v35, v88
	v_add_co_ci_u32_e64 v1, null, v39, v1, vcc_lo
	v_min_f32_e32 v35, v36, v37
	v_min3_f32 v34, v42, v35, v34
	global_store_dword v[0:1], v34, off
	s_or_b32 exec_lo, exec_lo, s0
	s_and_b32 s1, s1, s8
	s_and_saveexec_b32 s0, s1
	s_cbranch_execz .LBB71_341
.LBB71_352:
	v_cmp_ne_u32_e32 vcc_lo, 1, v124
	v_lshlrev_b64 v[0:1], 2, v[66:67]
	s_cbranch_vccnz .LBB71_354
; %bb.353:
	v_add_co_u32 v34, vcc_lo, v40, v0
	v_add_co_ci_u32_e64 v35, null, v41, v1, vcc_lo
	global_load_dword v34, v[34:35], off
	s_waitcnt vmcnt(0)
	v_mul_f32_e32 v34, s24, v34
	s_branch .LBB71_355
.LBB71_354:
	v_mov_b32_e32 v34, 0
.LBB71_355:
	v_add_f32_e32 v31, v31, v7
	v_add_f32_e32 v30, v30, v6
	v_add_f32_e32 v33, v33, v9
	v_add_f32_e32 v32, v32, v8
	v_add_co_u32 v0, vcc_lo, v38, v0
	v_min3_f32 v30, v30, v31, v87
	v_add_co_ci_u32_e64 v1, null, v39, v1, vcc_lo
	v_min_f32_e32 v31, v32, v33
	v_min3_f32 v30, v34, v31, v30
	global_store_dword v[0:1], v30, off
	s_or_b32 exec_lo, exec_lo, s0
	s_and_b32 s1, s2, s8
	s_and_saveexec_b32 s0, s1
	s_cbranch_execz .LBB71_342
.LBB71_356:
	v_cmp_ne_u32_e32 vcc_lo, 1, v124
	v_lshlrev_b64 v[0:1], 2, v[68:69]
	s_cbranch_vccnz .LBB71_358
; %bb.357:
	v_add_co_u32 v30, vcc_lo, v40, v0
	v_add_co_ci_u32_e64 v31, null, v41, v1, vcc_lo
	global_load_dword v30, v[30:31], off
	s_waitcnt vmcnt(0)
	v_mul_f32_e32 v30, s24, v30
	s_branch .LBB71_359
.LBB71_358:
	v_mov_b32_e32 v30, 0
.LBB71_359:
	v_add_f32_e32 v27, v27, v7
	v_add_f32_e32 v26, v26, v6
	;; [unrolled: 1-line block ×4, first 2 shown]
	v_add_co_u32 v0, vcc_lo, v38, v0
	v_min3_f32 v26, v26, v27, v86
	v_add_co_ci_u32_e64 v1, null, v39, v1, vcc_lo
	v_min_f32_e32 v27, v28, v29
	v_min3_f32 v26, v30, v27, v26
	global_store_dword v[0:1], v26, off
	s_or_b32 exec_lo, exec_lo, s0
	s_and_b32 s1, s3, s8
	s_and_saveexec_b32 s0, s1
	s_cbranch_execz .LBB71_343
.LBB71_360:
	v_cmp_ne_u32_e32 vcc_lo, 1, v124
	v_lshlrev_b64 v[0:1], 2, v[70:71]
	s_cbranch_vccnz .LBB71_362
; %bb.361:
	v_add_co_u32 v26, vcc_lo, v40, v0
	v_add_co_ci_u32_e64 v27, null, v41, v1, vcc_lo
	global_load_dword v26, v[26:27], off
	s_waitcnt vmcnt(0)
	v_mul_f32_e32 v26, s24, v26
	s_branch .LBB71_363
.LBB71_362:
	v_mov_b32_e32 v26, 0
.LBB71_363:
	v_add_f32_e32 v23, v23, v7
	v_add_f32_e32 v22, v22, v6
	;; [unrolled: 1-line block ×4, first 2 shown]
	v_add_co_u32 v0, vcc_lo, v38, v0
	v_min3_f32 v22, v22, v23, v85
	v_add_co_ci_u32_e64 v1, null, v39, v1, vcc_lo
	v_min_f32_e32 v23, v24, v25
	v_min3_f32 v22, v26, v23, v22
	global_store_dword v[0:1], v22, off
	s_or_b32 exec_lo, exec_lo, s0
	s_and_b32 s1, s4, s8
	s_and_saveexec_b32 s0, s1
	s_cbranch_execz .LBB71_344
.LBB71_364:
	v_cmp_ne_u32_e32 vcc_lo, 1, v124
	v_lshlrev_b64 v[0:1], 2, v[72:73]
	s_cbranch_vccnz .LBB71_366
; %bb.365:
	v_add_co_u32 v22, vcc_lo, v40, v0
	v_add_co_ci_u32_e64 v23, null, v41, v1, vcc_lo
	global_load_dword v22, v[22:23], off
	s_waitcnt vmcnt(0)
	v_mul_f32_e32 v22, s24, v22
	s_branch .LBB71_367
.LBB71_366:
	v_mov_b32_e32 v22, 0
.LBB71_367:
	v_add_f32_e32 v19, v19, v7
	v_add_f32_e32 v18, v18, v6
	;; [unrolled: 1-line block ×4, first 2 shown]
	v_add_co_u32 v0, vcc_lo, v38, v0
	v_min3_f32 v18, v18, v19, v84
	v_add_co_ci_u32_e64 v1, null, v39, v1, vcc_lo
	v_min_f32_e32 v19, v20, v21
	v_min3_f32 v18, v22, v19, v18
	global_store_dword v[0:1], v18, off
	s_or_b32 exec_lo, exec_lo, s0
	s_and_b32 s1, s5, s8
	s_and_saveexec_b32 s0, s1
	s_cbranch_execz .LBB71_345
.LBB71_368:
	v_cmp_ne_u32_e32 vcc_lo, 1, v124
	v_lshlrev_b64 v[0:1], 2, v[74:75]
	s_cbranch_vccnz .LBB71_370
; %bb.369:
	v_add_co_u32 v18, vcc_lo, v40, v0
	v_add_co_ci_u32_e64 v19, null, v41, v1, vcc_lo
	global_load_dword v18, v[18:19], off
	s_waitcnt vmcnt(0)
	v_mul_f32_e32 v18, s24, v18
	s_branch .LBB71_371
.LBB71_370:
	v_mov_b32_e32 v18, 0
.LBB71_371:
	v_add_f32_e32 v15, v15, v7
	v_add_f32_e32 v14, v14, v6
	;; [unrolled: 1-line block ×4, first 2 shown]
	v_add_co_u32 v0, vcc_lo, v38, v0
	v_min3_f32 v14, v14, v15, v83
	v_add_co_ci_u32_e64 v1, null, v39, v1, vcc_lo
	v_min_f32_e32 v15, v16, v17
	v_min3_f32 v14, v18, v15, v14
	global_store_dword v[0:1], v14, off
	s_or_b32 exec_lo, exec_lo, s0
	s_and_b32 s1, s6, s8
	s_and_saveexec_b32 s0, s1
	s_cbranch_execz .LBB71_346
.LBB71_372:
	v_cmp_ne_u32_e32 vcc_lo, 1, v124
	v_lshlrev_b64 v[0:1], 2, v[76:77]
	s_cbranch_vccnz .LBB71_374
; %bb.373:
	v_add_co_u32 v14, vcc_lo, v40, v0
	v_add_co_ci_u32_e64 v15, null, v41, v1, vcc_lo
	global_load_dword v14, v[14:15], off
	s_waitcnt vmcnt(0)
	v_mul_f32_e32 v14, s24, v14
	s_branch .LBB71_375
.LBB71_374:
	v_mov_b32_e32 v14, 0
.LBB71_375:
	v_add_f32_e32 v11, v11, v7
	v_add_f32_e32 v10, v10, v6
	;; [unrolled: 1-line block ×4, first 2 shown]
	v_add_co_u32 v0, vcc_lo, v38, v0
	v_min3_f32 v10, v10, v11, v82
	v_add_co_ci_u32_e64 v1, null, v39, v1, vcc_lo
	v_min_f32_e32 v11, v12, v13
	v_min3_f32 v10, v14, v11, v10
	global_store_dword v[0:1], v10, off
	s_or_b32 exec_lo, exec_lo, s0
	s_and_b32 s0, s7, s8
	s_and_saveexec_b32 s1, s0
	s_cbranch_execz .LBB71_347
.LBB71_376:
	v_cmp_ne_u32_e32 vcc_lo, 1, v124
	v_lshlrev_b64 v[0:1], 2, v[78:79]
	s_cbranch_vccnz .LBB71_378
; %bb.377:
	v_add_co_u32 v10, vcc_lo, v40, v0
	v_add_co_ci_u32_e64 v11, null, v41, v1, vcc_lo
	global_load_dword v10, v[10:11], off
	s_waitcnt vmcnt(0)
	v_mul_f32_e32 v10, s24, v10
	s_branch .LBB71_379
.LBB71_378:
	v_mov_b32_e32 v10, 0
.LBB71_379:
	v_add_f32_e32 v3, v3, v7
	v_add_f32_e32 v2, v2, v6
	;; [unrolled: 1-line block ×4, first 2 shown]
	v_add_co_u32 v0, vcc_lo, v38, v0
	v_min3_f32 v2, v2, v3, v92
	v_add_co_ci_u32_e64 v1, null, v39, v1, vcc_lo
	v_min_f32_e32 v3, v4, v5
	v_min3_f32 v2, v10, v3, v2
	global_store_dword v[0:1], v2, off
	s_endpgm
	.section	.rodata,"a",@progbits
	.p2align	6, 0x0
	.amdhsa_kernel _ZN12_GLOBAL__N_120geam_min_plus_kernelIf15HIP_vector_typeIfLj2EEfLi8ELi32ELi64ELi256ELi4ELi64ELi4ELi64ELi4ELc78ELc84ELb0ELb1ELb1EfKffEEviiiT16_PT17_ilS6_ilS4_S6_ilPT18_ili26rocblas_geam_ex_operation_
		.amdhsa_group_segment_fixed_size 10240
		.amdhsa_private_segment_fixed_size 0
		.amdhsa_kernarg_size 128
		.amdhsa_user_sgpr_count 6
		.amdhsa_user_sgpr_private_segment_buffer 1
		.amdhsa_user_sgpr_dispatch_ptr 0
		.amdhsa_user_sgpr_queue_ptr 0
		.amdhsa_user_sgpr_kernarg_segment_ptr 1
		.amdhsa_user_sgpr_dispatch_id 0
		.amdhsa_user_sgpr_flat_scratch_init 0
		.amdhsa_user_sgpr_private_segment_size 0
		.amdhsa_wavefront_size32 1
		.amdhsa_uses_dynamic_stack 0
		.amdhsa_system_sgpr_private_segment_wavefront_offset 0
		.amdhsa_system_sgpr_workgroup_id_x 1
		.amdhsa_system_sgpr_workgroup_id_y 0
		.amdhsa_system_sgpr_workgroup_id_z 1
		.amdhsa_system_sgpr_workgroup_info 0
		.amdhsa_system_vgpr_workitem_id 1
		.amdhsa_next_free_vgpr 155
		.amdhsa_next_free_sgpr 32
		.amdhsa_reserve_vcc 1
		.amdhsa_reserve_flat_scratch 0
		.amdhsa_float_round_mode_32 0
		.amdhsa_float_round_mode_16_64 0
		.amdhsa_float_denorm_mode_32 3
		.amdhsa_float_denorm_mode_16_64 3
		.amdhsa_dx10_clamp 1
		.amdhsa_ieee_mode 1
		.amdhsa_fp16_overflow 0
		.amdhsa_workgroup_processor_mode 1
		.amdhsa_memory_ordered 1
		.amdhsa_forward_progress 1
		.amdhsa_shared_vgpr_count 0
		.amdhsa_exception_fp_ieee_invalid_op 0
		.amdhsa_exception_fp_denorm_src 0
		.amdhsa_exception_fp_ieee_div_zero 0
		.amdhsa_exception_fp_ieee_overflow 0
		.amdhsa_exception_fp_ieee_underflow 0
		.amdhsa_exception_fp_ieee_inexact 0
		.amdhsa_exception_int_div_zero 0
	.end_amdhsa_kernel
	.section	.text._ZN12_GLOBAL__N_120geam_min_plus_kernelIf15HIP_vector_typeIfLj2EEfLi8ELi32ELi64ELi256ELi4ELi64ELi4ELi64ELi4ELc78ELc84ELb0ELb1ELb1EfKffEEviiiT16_PT17_ilS6_ilS4_S6_ilPT18_ili26rocblas_geam_ex_operation_,"axG",@progbits,_ZN12_GLOBAL__N_120geam_min_plus_kernelIf15HIP_vector_typeIfLj2EEfLi8ELi32ELi64ELi256ELi4ELi64ELi4ELi64ELi4ELc78ELc84ELb0ELb1ELb1EfKffEEviiiT16_PT17_ilS6_ilS4_S6_ilPT18_ili26rocblas_geam_ex_operation_,comdat
.Lfunc_end71:
	.size	_ZN12_GLOBAL__N_120geam_min_plus_kernelIf15HIP_vector_typeIfLj2EEfLi8ELi32ELi64ELi256ELi4ELi64ELi4ELi64ELi4ELc78ELc84ELb0ELb1ELb1EfKffEEviiiT16_PT17_ilS6_ilS4_S6_ilPT18_ili26rocblas_geam_ex_operation_, .Lfunc_end71-_ZN12_GLOBAL__N_120geam_min_plus_kernelIf15HIP_vector_typeIfLj2EEfLi8ELi32ELi64ELi256ELi4ELi64ELi4ELi64ELi4ELc78ELc84ELb0ELb1ELb1EfKffEEviiiT16_PT17_ilS6_ilS4_S6_ilPT18_ili26rocblas_geam_ex_operation_
                                        ; -- End function
	.set _ZN12_GLOBAL__N_120geam_min_plus_kernelIf15HIP_vector_typeIfLj2EEfLi8ELi32ELi64ELi256ELi4ELi64ELi4ELi64ELi4ELc78ELc84ELb0ELb1ELb1EfKffEEviiiT16_PT17_ilS6_ilS4_S6_ilPT18_ili26rocblas_geam_ex_operation_.num_vgpr, 155
	.set _ZN12_GLOBAL__N_120geam_min_plus_kernelIf15HIP_vector_typeIfLj2EEfLi8ELi32ELi64ELi256ELi4ELi64ELi4ELi64ELi4ELc78ELc84ELb0ELb1ELb1EfKffEEviiiT16_PT17_ilS6_ilS4_S6_ilPT18_ili26rocblas_geam_ex_operation_.num_agpr, 0
	.set _ZN12_GLOBAL__N_120geam_min_plus_kernelIf15HIP_vector_typeIfLj2EEfLi8ELi32ELi64ELi256ELi4ELi64ELi4ELi64ELi4ELc78ELc84ELb0ELb1ELb1EfKffEEviiiT16_PT17_ilS6_ilS4_S6_ilPT18_ili26rocblas_geam_ex_operation_.numbered_sgpr, 32
	.set _ZN12_GLOBAL__N_120geam_min_plus_kernelIf15HIP_vector_typeIfLj2EEfLi8ELi32ELi64ELi256ELi4ELi64ELi4ELi64ELi4ELc78ELc84ELb0ELb1ELb1EfKffEEviiiT16_PT17_ilS6_ilS4_S6_ilPT18_ili26rocblas_geam_ex_operation_.num_named_barrier, 0
	.set _ZN12_GLOBAL__N_120geam_min_plus_kernelIf15HIP_vector_typeIfLj2EEfLi8ELi32ELi64ELi256ELi4ELi64ELi4ELi64ELi4ELc78ELc84ELb0ELb1ELb1EfKffEEviiiT16_PT17_ilS6_ilS4_S6_ilPT18_ili26rocblas_geam_ex_operation_.private_seg_size, 0
	.set _ZN12_GLOBAL__N_120geam_min_plus_kernelIf15HIP_vector_typeIfLj2EEfLi8ELi32ELi64ELi256ELi4ELi64ELi4ELi64ELi4ELc78ELc84ELb0ELb1ELb1EfKffEEviiiT16_PT17_ilS6_ilS4_S6_ilPT18_ili26rocblas_geam_ex_operation_.uses_vcc, 1
	.set _ZN12_GLOBAL__N_120geam_min_plus_kernelIf15HIP_vector_typeIfLj2EEfLi8ELi32ELi64ELi256ELi4ELi64ELi4ELi64ELi4ELc78ELc84ELb0ELb1ELb1EfKffEEviiiT16_PT17_ilS6_ilS4_S6_ilPT18_ili26rocblas_geam_ex_operation_.uses_flat_scratch, 0
	.set _ZN12_GLOBAL__N_120geam_min_plus_kernelIf15HIP_vector_typeIfLj2EEfLi8ELi32ELi64ELi256ELi4ELi64ELi4ELi64ELi4ELc78ELc84ELb0ELb1ELb1EfKffEEviiiT16_PT17_ilS6_ilS4_S6_ilPT18_ili26rocblas_geam_ex_operation_.has_dyn_sized_stack, 0
	.set _ZN12_GLOBAL__N_120geam_min_plus_kernelIf15HIP_vector_typeIfLj2EEfLi8ELi32ELi64ELi256ELi4ELi64ELi4ELi64ELi4ELc78ELc84ELb0ELb1ELb1EfKffEEviiiT16_PT17_ilS6_ilS4_S6_ilPT18_ili26rocblas_geam_ex_operation_.has_recursion, 0
	.set _ZN12_GLOBAL__N_120geam_min_plus_kernelIf15HIP_vector_typeIfLj2EEfLi8ELi32ELi64ELi256ELi4ELi64ELi4ELi64ELi4ELc78ELc84ELb0ELb1ELb1EfKffEEviiiT16_PT17_ilS6_ilS4_S6_ilPT18_ili26rocblas_geam_ex_operation_.has_indirect_call, 0
	.section	.AMDGPU.csdata,"",@progbits
; Kernel info:
; codeLenInByte = 19576
; TotalNumSgprs: 34
; NumVgprs: 155
; ScratchSize: 0
; MemoryBound: 0
; FloatMode: 240
; IeeeMode: 1
; LDSByteSize: 10240 bytes/workgroup (compile time only)
; SGPRBlocks: 0
; VGPRBlocks: 19
; NumSGPRsForWavesPerEU: 34
; NumVGPRsForWavesPerEU: 155
; Occupancy: 6
; WaveLimiterHint : 0
; COMPUTE_PGM_RSRC2:SCRATCH_EN: 0
; COMPUTE_PGM_RSRC2:USER_SGPR: 6
; COMPUTE_PGM_RSRC2:TRAP_HANDLER: 0
; COMPUTE_PGM_RSRC2:TGID_X_EN: 1
; COMPUTE_PGM_RSRC2:TGID_Y_EN: 0
; COMPUTE_PGM_RSRC2:TGID_Z_EN: 1
; COMPUTE_PGM_RSRC2:TIDIG_COMP_CNT: 1
	.section	.text._ZN12_GLOBAL__N_120geam_min_plus_kernelIf15HIP_vector_typeIfLj2EEfLi8ELi32ELi64ELi256ELi4ELi4ELi64ELi64ELi4ELc84ELc84ELb0ELb0ELb1EPKfS3_fEEviiiT16_PT17_ilS7_ilS5_S7_ilPT18_ili26rocblas_geam_ex_operation_,"axG",@progbits,_ZN12_GLOBAL__N_120geam_min_plus_kernelIf15HIP_vector_typeIfLj2EEfLi8ELi32ELi64ELi256ELi4ELi4ELi64ELi64ELi4ELc84ELc84ELb0ELb0ELb1EPKfS3_fEEviiiT16_PT17_ilS7_ilS5_S7_ilPT18_ili26rocblas_geam_ex_operation_,comdat
	.globl	_ZN12_GLOBAL__N_120geam_min_plus_kernelIf15HIP_vector_typeIfLj2EEfLi8ELi32ELi64ELi256ELi4ELi4ELi64ELi64ELi4ELc84ELc84ELb0ELb0ELb1EPKfS3_fEEviiiT16_PT17_ilS7_ilS5_S7_ilPT18_ili26rocblas_geam_ex_operation_ ; -- Begin function _ZN12_GLOBAL__N_120geam_min_plus_kernelIf15HIP_vector_typeIfLj2EEfLi8ELi32ELi64ELi256ELi4ELi4ELi64ELi64ELi4ELc84ELc84ELb0ELb0ELb1EPKfS3_fEEviiiT16_PT17_ilS7_ilS5_S7_ilPT18_ili26rocblas_geam_ex_operation_
	.p2align	8
	.type	_ZN12_GLOBAL__N_120geam_min_plus_kernelIf15HIP_vector_typeIfLj2EEfLi8ELi32ELi64ELi256ELi4ELi4ELi64ELi64ELi4ELc84ELc84ELb0ELb0ELb1EPKfS3_fEEviiiT16_PT17_ilS7_ilS5_S7_ilPT18_ili26rocblas_geam_ex_operation_,@function
_ZN12_GLOBAL__N_120geam_min_plus_kernelIf15HIP_vector_typeIfLj2EEfLi8ELi32ELi64ELi256ELi4ELi4ELi64ELi64ELi4ELc84ELc84ELb0ELb0ELb1EPKfS3_fEEviiiT16_PT17_ilS7_ilS5_S7_ilPT18_ili26rocblas_geam_ex_operation_: ; @_ZN12_GLOBAL__N_120geam_min_plus_kernelIf15HIP_vector_typeIfLj2EEfLi8ELi32ELi64ELi256ELi4ELi4ELi64ELi64ELi4ELc84ELc84ELb0ELb0ELb1EPKfS3_fEEviiiT16_PT17_ilS7_ilS5_S7_ilPT18_ili26rocblas_geam_ex_operation_
; %bb.0:
	s_clause 0x1
	s_load_dwordx4 s[0:3], s[4:5], 0x10
	s_load_dwordx4 s[8:11], s[4:5], 0x28
	s_mov_b32 s16, s7
	s_mov_b32 s17, 0
	s_lshl_b64 s[18:19], s[16:17], 2
	s_waitcnt lgkmcnt(0)
	s_add_u32 s0, s0, s18
	s_addc_u32 s1, s1, s19
	s_load_dword s24, s[0:1], 0x0
	s_clause 0x1
	s_load_dwordx4 s[12:15], s[4:5], 0x40
	s_load_dwordx2 s[20:21], s[4:5], 0x50
	s_waitcnt lgkmcnt(0)
	v_cmp_eq_f32_e64 s1, s24, 0
	s_add_u32 s22, s14, s18
	v_cmp_neq_f32_e64 s0, s24, 0
	s_addc_u32 s23, s15, s19
	s_mov_b64 s[14:15], 0
	s_and_b32 s1, exec_lo, s1
	s_mov_b64 s[18:19], 0
	s_mov_b32 vcc_lo, s1
	s_cbranch_vccnz .LBB72_2
; %bb.1:
	s_mul_i32 s7, s9, s16
	s_mul_hi_u32 s9, s8, s16
	s_mul_i32 s8, s8, s16
	s_add_i32 s9, s9, s7
	s_lshl_b64 s[8:9], s[8:9], 2
	s_add_u32 s18, s2, s8
	s_addc_u32 s19, s3, s9
.LBB72_2:
	s_load_dword s3, s[22:23], 0x0
	v_cndmask_b32_e64 v2, 0, 1, s0
	s_andn2_b32 vcc_lo, exec_lo, s0
	v_cmp_ne_u32_e64 s2, 1, v2
	s_cbranch_vccnz .LBB72_4
; %bb.3:
	s_mul_i32 s0, s13, s16
	s_mul_hi_u32 s7, s12, s16
	s_mul_i32 s8, s12, s16
	s_add_i32 s9, s7, s0
	s_lshl_b64 s[8:9], s[8:9], 2
	s_add_u32 s14, s10, s8
	s_addc_u32 s15, s11, s9
.LBB72_4:
	s_load_dwordx4 s[8:11], s[4:5], 0x60
	s_waitcnt lgkmcnt(0)
	v_cmp_eq_f32_e64 s0, s3, 0
	s_and_b32 s0, exec_lo, s0
	s_mov_b32 vcc_lo, s0
	s_cbranch_vccnz .LBB72_6
; %bb.5:
	s_mul_i32 s7, s9, s16
	s_mul_hi_u32 s9, s8, s16
	s_mul_i32 s8, s8, s16
	s_add_i32 s9, s9, s7
	s_lshl_b64 s[8:9], s[8:9], 2
	s_add_u32 s8, s20, s8
	s_addc_u32 s9, s21, s9
	s_branch .LBB72_7
.LBB72_6:
	s_mov_b64 s[8:9], 0
.LBB72_7:
	s_clause 0x1
	s_load_dword s12, s[4:5], 0x0
	s_load_dword s7, s[4:5], 0x20
	v_and_b32_e32 v3, 3, v0
	v_mov_b32_e32 v4, 0
	v_mov_b32_e32 v5, 0
	v_lshlrev_b32_e32 v66, 2, v3
	s_waitcnt lgkmcnt(0)
	s_add_i32 s12, s12, -1
	s_ashr_i32 s13, s12, 31
	s_lshr_b32 s13, s13, 26
	s_add_i32 s12, s12, s13
	s_ashr_i32 s12, s12, 6
	s_add_i32 s17, s12, 1
	s_not_b32 s12, s12
	v_cvt_f32_u32_e32 v2, s17
	v_rcp_iflag_f32_e32 v2, v2
	v_mul_f32_e32 v2, 0x4f7ffffe, v2
	v_cvt_u32_f32_e32 v2, v2
	v_readfirstlane_b32 s13, v2
	v_lshl_add_u32 v2, v1, 3, v0
	s_mul_i32 s12, s12, s13
	v_lshrrev_b32_e32 v68, 2, v2
	s_mul_hi_u32 s12, s13, s12
	s_add_i32 s13, s13, s12
	s_mul_hi_u32 s12, s6, s13
	s_mul_i32 s13, s12, s17
	s_add_i32 s20, s12, 1
	s_sub_i32 s13, s6, s13
	s_sub_i32 s21, s13, s17
	s_cmp_ge_u32 s13, s17
	s_cselect_b32 s12, s20, s12
	s_cselect_b32 s13, s21, s13
	s_add_i32 s20, s12, 1
	s_cmp_ge_u32 s13, s17
	s_cselect_b32 s13, s20, s12
	s_and_b32 vcc_lo, exec_lo, s2
	s_mul_i32 s21, s13, s17
	s_sub_i32 s12, s6, s21
	s_lshl_b32 s17, s12, 6
	v_add_nc_u32_e32 v9, s17, v68
	s_cbranch_vccnz .LBB72_9
; %bb.8:
	v_mad_i64_i32 v[5:6], null, v9, s7, 0
	v_lshlrev_b64 v[5:6], 2, v[5:6]
	v_add_co_u32 v3, vcc_lo, s18, v5
	v_add_co_ci_u32_e64 v6, null, s19, v6, vcc_lo
	v_add_co_u32 v5, vcc_lo, v3, v66
	v_add_co_ci_u32_e64 v6, null, 0, v6, vcc_lo
	global_load_dword v3, v[5:6], off
	s_waitcnt vmcnt(0)
	v_mul_f32_e32 v5, s24, v3
.LBB72_9:
	s_load_dword s12, s[4:5], 0x38
	v_lshrrev_b32_e32 v67, 6, v2
	v_and_b32_e32 v69, 63, v2
	s_lshl_b32 s20, s13, 8
	v_or_b32_e32 v2, s20, v69
	v_ashrrev_i32_e32 v3, 31, v2
	s_waitcnt lgkmcnt(0)
	v_mad_i64_i32 v[6:7], null, s12, v67, 0
	v_lshlrev_b64 v[6:7], 2, v[6:7]
	v_add_co_u32 v10, vcc_lo, s14, v6
	v_add_co_ci_u32_e64 v11, null, s15, v7, vcc_lo
	v_mov_b32_e32 v6, 0
	s_and_b32 vcc_lo, exec_lo, s2
	s_cbranch_vccnz .LBB72_11
; %bb.10:
	v_lshlrev_b64 v[6:7], 2, v[2:3]
	v_add_co_u32 v6, vcc_lo, v10, v6
	v_add_co_ci_u32_e64 v7, null, v11, v7, vcc_lo
	s_clause 0x1
	global_load_dword v4, v[6:7], off
	global_load_dword v7, v[6:7], off offset:256
	s_waitcnt vmcnt(1)
	v_mul_f32_e32 v6, s24, v4
	s_waitcnt vmcnt(0)
	v_mul_f32_e32 v4, s24, v7
.LBB72_11:
	v_mov_b32_e32 v7, 0
	s_ashr_i32 s13, s12, 31
	s_mov_b32 vcc_lo, s1
	s_cbranch_vccz .LBB72_13
; %bb.12:
	s_mov_b32 s22, 0
	v_mov_b32_e32 v8, s22
	s_cbranch_execz .LBB72_14
	s_branch .LBB72_15
.LBB72_13:
                                        ; implicit-def: $vgpr8
.LBB72_14:
	v_lshlrev_b64 v[7:8], 2, v[2:3]
	v_add_co_u32 v7, vcc_lo, v10, v7
	v_add_co_ci_u32_e64 v8, null, v11, v8, vcc_lo
	s_clause 0x1
	global_load_dword v10, v[7:8], off offset:512
	global_load_dword v7, v[7:8], off offset:768
	s_waitcnt vmcnt(1)
	v_mul_f32_e32 v8, s24, v10
	s_waitcnt vmcnt(0)
	v_mul_f32_e32 v7, s24, v7
.LBB72_15:
	v_mov_b32_e32 v70, 0
	v_mov_b32_e32 v71, 0
	s_and_b32 vcc_lo, exec_lo, s2
	s_cbranch_vccnz .LBB72_17
; %bb.16:
	v_mad_i64_i32 v[9:10], null, v9, s7, 0
	v_lshlrev_b64 v[9:10], 2, v[9:10]
	v_add_co_u32 v9, vcc_lo, s18, v9
	v_add_co_ci_u32_e64 v10, null, s19, v10, vcc_lo
	v_add_co_u32 v9, vcc_lo, v9, v66
	v_add_co_ci_u32_e64 v10, null, 0, v10, vcc_lo
	global_load_dword v9, v[9:10], off offset:16
	s_waitcnt vmcnt(0)
	v_mul_f32_e32 v71, s24, v9
.LBB72_17:
	v_add_nc_u32_e32 v9, 4, v67
	v_mov_b32_e32 v72, 0
	v_mad_i64_i32 v[9:10], null, s12, v9, 0
	v_lshlrev_b64 v[9:10], 2, v[9:10]
	v_add_co_u32 v9, vcc_lo, s14, v9
	v_add_co_ci_u32_e64 v10, null, s15, v10, vcc_lo
	s_and_b32 vcc_lo, exec_lo, s2
	s_cbranch_vccnz .LBB72_19
; %bb.18:
	v_lshlrev_b64 v[11:12], 2, v[2:3]
	v_add_co_u32 v11, vcc_lo, v9, v11
	v_add_co_ci_u32_e64 v12, null, v10, v12, vcc_lo
	s_clause 0x1
	global_load_dword v13, v[11:12], off
	global_load_dword v11, v[11:12], off offset:256
	s_waitcnt vmcnt(1)
	v_mul_f32_e32 v72, s24, v13
	s_waitcnt vmcnt(0)
	v_mul_f32_e32 v70, s24, v11
.LBB72_19:
	v_mov_b32_e32 v77, 0
	s_mov_b32 vcc_lo, s1
	s_cbranch_vccz .LBB72_21
; %bb.20:
	s_mov_b32 s22, 0
	v_mov_b32_e32 v138, s22
	s_cbranch_execz .LBB72_22
	s_branch .LBB72_23
.LBB72_21:
                                        ; implicit-def: $vgpr138
.LBB72_22:
	v_lshlrev_b64 v[2:3], 2, v[2:3]
	v_add_co_u32 v2, vcc_lo, v9, v2
	v_add_co_ci_u32_e64 v3, null, v10, v3, vcc_lo
	s_clause 0x1
	global_load_dword v9, v[2:3], off offset:512
	global_load_dword v2, v[2:3], off offset:768
	s_waitcnt vmcnt(1)
	v_mul_f32_e32 v138, s24, v9
	s_waitcnt vmcnt(0)
	v_mul_f32_e32 v77, s24, v2
.LBB72_23:
	v_lshlrev_b32_e32 v2, 4, v69
	v_lshl_or_b32 v73, v68, 4, v66
	v_lshlrev_b32_e32 v75, 4, v0
	v_lshlrev_b32_e32 v74, 4, v1
	s_load_dword s22, s[4:5], 0x8
	v_lshl_add_u32 v76, v67, 2, v2
	ds_write_b32 v73, v5 offset:8192
	ds_write2st64_b32 v76, v6, v4 offset1:4
	ds_write2st64_b32 v76, v8, v7 offset0:8 offset1:12
	s_waitcnt lgkmcnt(0)
	s_barrier
	buffer_gl0_inv
	ds_read_b128 v[34:37], v75 offset:8192
	ds_read_b128 v[30:33], v75 offset:8320
	;; [unrolled: 1-line block ×8, first 2 shown]
	ds_read_b128 v[62:65], v74
	ds_read_b128 v[58:61], v74 offset:512
	ds_read_b128 v[54:57], v74 offset:1024
	;; [unrolled: 1-line block ×7, first 2 shown]
	ds_write_b32 v73, v71 offset:9216
	ds_write2st64_b32 v76, v72, v70 offset0:16 offset1:20
	ds_write2st64_b32 v76, v138, v77 offset0:24 offset1:28
	s_waitcnt lgkmcnt(0)
	s_barrier
	buffer_gl0_inv
	s_cmp_lt_i32 s22, 9
	v_add_f32_e32 v78, v35, v63
	v_add_f32_e32 v79, v34, v62
	v_add_f32_e32 v80, v30, v62
	v_add_f32_e32 v81, v26, v62
	v_min3_f32 v78, v79, v78, 0x7f7fffff
	v_add_f32_e32 v79, v31, v63
	v_add_f32_e32 v121, v6, v38
	v_min3_f32 v79, v80, v79, 0x7f7fffff
	v_add_f32_e32 v80, v27, v63
	v_min3_f32 v115, v81, v80, 0x7f7fffff
	v_add_f32_e32 v80, v19, v63
	v_add_f32_e32 v81, v18, v62
	v_min3_f32 v116, v81, v80, 0x7f7fffff
	v_add_f32_e32 v80, v15, v63
	v_add_f32_e32 v81, v14, v62
	v_min3_f32 v117, v81, v80, 0x7f7fffff
	v_add_f32_e32 v80, v11, v63
	v_add_f32_e32 v81, v10, v62
	v_min3_f32 v118, v81, v80, 0x7f7fffff
	v_add_f32_e32 v80, v7, v63
	v_add_f32_e32 v81, v6, v62
	v_add_f32_e32 v63, v3, v63
	v_add_f32_e32 v62, v2, v62
	v_min3_f32 v119, v81, v80, 0x7f7fffff
	v_min3_f32 v120, v62, v63, 0x7f7fffff
	v_add_f32_e32 v62, v35, v59
	v_add_f32_e32 v63, v34, v58
	v_min3_f32 v114, v63, v62, 0x7f7fffff
	v_add_f32_e32 v62, v31, v59
	v_add_f32_e32 v63, v30, v58
	v_min3_f32 v113, v63, v62, 0x7f7fffff
	v_add_f32_e32 v62, v27, v59
	v_add_f32_e32 v63, v26, v58
	v_min3_f32 v112, v63, v62, 0x7f7fffff
	v_add_f32_e32 v62, v19, v59
	v_add_f32_e32 v63, v18, v58
	v_min3_f32 v111, v63, v62, 0x7f7fffff
	v_add_f32_e32 v62, v15, v59
	v_add_f32_e32 v63, v14, v58
	v_min3_f32 v110, v63, v62, 0x7f7fffff
	v_add_f32_e32 v62, v11, v59
	v_add_f32_e32 v63, v10, v58
	v_min3_f32 v109, v63, v62, 0x7f7fffff
	v_add_f32_e32 v62, v7, v59
	v_add_f32_e32 v63, v6, v58
	v_add_f32_e32 v59, v3, v59
	v_add_f32_e32 v58, v2, v58
	v_min3_f32 v108, v63, v62, 0x7f7fffff
	v_min3_f32 v107, v58, v59, 0x7f7fffff
	v_add_f32_e32 v58, v35, v55
	v_add_f32_e32 v59, v34, v54
	v_min3_f32 v106, v59, v58, 0x7f7fffff
	v_add_f32_e32 v58, v31, v55
	v_add_f32_e32 v59, v30, v54
	v_min3_f32 v105, v59, v58, 0x7f7fffff
	v_add_f32_e32 v58, v27, v55
	v_add_f32_e32 v59, v26, v54
	v_min3_f32 v104, v59, v58, 0x7f7fffff
	v_add_f32_e32 v58, v19, v55
	v_add_f32_e32 v59, v18, v54
	v_min3_f32 v103, v59, v58, 0x7f7fffff
	v_add_f32_e32 v58, v15, v55
	v_add_f32_e32 v59, v14, v54
	v_min3_f32 v102, v59, v58, 0x7f7fffff
	v_add_f32_e32 v58, v11, v55
	v_add_f32_e32 v59, v10, v54
	v_min3_f32 v101, v59, v58, 0x7f7fffff
	v_add_f32_e32 v58, v7, v55
	v_add_f32_e32 v59, v6, v54
	v_add_f32_e32 v55, v3, v55
	v_add_f32_e32 v54, v2, v54
	v_min3_f32 v100, v59, v58, 0x7f7fffff
	v_min3_f32 v99, v54, v55, 0x7f7fffff
	v_add_f32_e32 v54, v35, v51
	v_add_f32_e32 v55, v34, v50
	v_min3_f32 v98, v55, v54, 0x7f7fffff
	v_add_f32_e32 v54, v31, v51
	v_add_f32_e32 v55, v30, v50
	v_min3_f32 v97, v55, v54, 0x7f7fffff
	v_add_f32_e32 v54, v27, v51
	v_add_f32_e32 v55, v26, v50
	v_min3_f32 v96, v55, v54, 0x7f7fffff
	v_add_f32_e32 v54, v19, v51
	v_add_f32_e32 v55, v18, v50
	v_min3_f32 v95, v55, v54, 0x7f7fffff
	v_add_f32_e32 v54, v15, v51
	v_add_f32_e32 v55, v14, v50
	v_min3_f32 v94, v55, v54, 0x7f7fffff
	v_add_f32_e32 v54, v11, v51
	v_add_f32_e32 v55, v10, v50
	v_min3_f32 v93, v55, v54, 0x7f7fffff
	v_add_f32_e32 v54, v7, v51
	v_add_f32_e32 v55, v6, v50
	v_add_f32_e32 v51, v3, v51
	v_add_f32_e32 v50, v2, v50
	v_min3_f32 v92, v55, v54, 0x7f7fffff
	v_min3_f32 v91, v50, v51, 0x7f7fffff
	v_add_f32_e32 v50, v35, v47
	v_add_f32_e32 v51, v34, v46
	v_min3_f32 v90, v51, v50, 0x7f7fffff
	v_add_f32_e32 v50, v31, v47
	v_add_f32_e32 v51, v30, v46
	v_min3_f32 v89, v51, v50, 0x7f7fffff
	v_add_f32_e32 v50, v27, v47
	v_add_f32_e32 v51, v26, v46
	v_min3_f32 v88, v51, v50, 0x7f7fffff
	v_add_f32_e32 v50, v19, v47
	v_add_f32_e32 v51, v18, v46
	v_min3_f32 v87, v51, v50, 0x7f7fffff
	v_add_f32_e32 v50, v15, v47
	v_add_f32_e32 v51, v14, v46
	v_min3_f32 v86, v51, v50, 0x7f7fffff
	v_add_f32_e32 v50, v11, v47
	v_add_f32_e32 v51, v10, v46
	v_min3_f32 v85, v51, v50, 0x7f7fffff
	v_add_f32_e32 v50, v7, v47
	v_add_f32_e32 v51, v6, v46
	v_add_f32_e32 v47, v3, v47
	v_add_f32_e32 v46, v2, v46
	v_min3_f32 v84, v51, v50, 0x7f7fffff
	v_min3_f32 v83, v46, v47, 0x7f7fffff
	v_add_f32_e32 v46, v35, v43
	v_add_f32_e32 v47, v34, v42
	v_min3_f32 v82, v47, v46, 0x7f7fffff
	v_add_f32_e32 v46, v31, v43
	v_add_f32_e32 v47, v30, v42
	v_min3_f32 v81, v47, v46, 0x7f7fffff
	v_add_f32_e32 v46, v27, v43
	v_add_f32_e32 v47, v26, v42
	v_min3_f32 v80, v47, v46, 0x7f7fffff
	v_add_f32_e32 v46, v19, v43
	v_add_f32_e32 v47, v18, v42
	v_min3_f32 v63, v47, v46, 0x7f7fffff
	v_add_f32_e32 v46, v15, v43
	;; [unrolled: 3-line block ×4, first 2 shown]
	v_add_f32_e32 v47, v6, v42
	v_add_f32_e32 v43, v3, v43
	;; [unrolled: 1-line block ×4, first 2 shown]
	v_min3_f32 v58, v47, v46, 0x7f7fffff
	v_min3_f32 v55, v42, v43, 0x7f7fffff
	v_add_f32_e32 v42, v35, v39
	v_add_f32_e32 v43, v34, v38
	;; [unrolled: 1-line block ×4, first 2 shown]
	v_min3_f32 v54, v43, v42, 0x7f7fffff
	v_add_f32_e32 v42, v31, v39
	v_add_f32_e32 v43, v30, v38
	v_min3_f32 v34, v34, v35, 0x7f7fffff
	v_add_f32_e32 v31, v31, v23
	v_add_f32_e32 v30, v30, v22
	;; [unrolled: 3-line block ×9, first 2 shown]
	v_add_f32_e32 v38, v2, v38
	v_add_f32_e32 v2, v2, v22
	v_min3_f32 v14, v14, v15, 0x7f7fffff
	v_add_f32_e32 v11, v11, v23
	v_min3_f32 v43, v43, v42, 0x7f7fffff
	v_add_f32_e32 v42, v7, v39
	v_add_f32_e32 v39, v3, v39
	;; [unrolled: 1-line block ×5, first 2 shown]
	v_min3_f32 v42, v121, v42, 0x7f7fffff
	v_min3_f32 v38, v38, v39, 0x7f7fffff
	;; [unrolled: 1-line block ×4, first 2 shown]
	v_add_f32_e32 v3, v37, v65
	v_add_f32_e32 v7, v36, v64
	v_min3_f32 v10, v10, v11, 0x7f7fffff
	v_min3_f32 v142, v7, v3, v78
	v_add_f32_e32 v3, v33, v65
	v_add_f32_e32 v7, v32, v64
	v_min3_f32 v139, v7, v3, v79
	v_add_f32_e32 v3, v29, v65
	v_add_f32_e32 v7, v28, v64
	;; [unrolled: 3-line block ×55, first 2 shown]
	v_add_f32_e32 v4, v4, v24
	v_min3_f32 v87, v7, v3, v38
	v_add_f32_e32 v3, v37, v25
	v_add_f32_e32 v7, v36, v24
	v_min3_f32 v88, v7, v3, v34
	v_add_f32_e32 v3, v33, v25
	;; [unrolled: 3-line block ×8, first 2 shown]
	v_min3_f32 v84, v4, v3, v2
	s_cbranch_scc1 .LBB72_46
; %bb.24:
	v_lshl_add_u32 v2, s6, 6, v68
	s_lshl_b32 s6, s21, 6
	v_add_nc_u32_e32 v4, s20, v69
	v_add_nc_u32_e32 v6, 8, v67
	;; [unrolled: 1-line block ×3, first 2 shown]
	v_subrev_nc_u32_e32 v2, s6, v2
	v_add_nc_u32_e32 v77, 0x2000, v73
	v_ashrrev_i32_e32 v5, 31, v4
	v_mad_i64_i32 v[6:7], null, v6, s12, 0
	v_mad_i64_i32 v[2:3], null, s7, v2, 0
	;; [unrolled: 1-line block ×3, first 2 shown]
	v_lshlrev_b64 v[70:71], 2, v[4:5]
	v_add_nc_u32_e32 v143, 0x2400, v73
	v_or_b32_e32 v138, 0x2000, v75
	v_or_b32_e32 v144, 0x1000, v76
	v_lshlrev_b64 v[2:3], 2, v[2:3]
	v_lshl_add_u32 v145, v0, 4, 0x2400
	v_lshl_or_b32 v146, v1, 4, 0x1000
	s_add_i32 s21, s22, -8
	s_lshl_b64 s[6:7], s[12:13], 5
	s_mov_b32 s12, 0
	v_add_co_u32 v2, vcc_lo, v2, v66
	v_add_co_ci_u32_e64 v3, null, 0, v3, vcc_lo
	s_mov_b32 s13, 0
	v_add_co_u32 v4, vcc_lo, s18, v2
	v_add_co_ci_u32_e64 v5, null, s19, v3, vcc_lo
	v_lshlrev_b64 v[2:3], 2, v[6:7]
	v_add_co_u32 v72, vcc_lo, v4, 32
	v_add_co_ci_u32_e64 v73, null, 0, v5, vcc_lo
	v_lshlrev_b64 v[4:5], 2, v[8:9]
	v_add_co_u32 v147, vcc_lo, s14, v2
	v_add_co_ci_u32_e64 v148, null, s15, v3, vcc_lo
	v_add_co_u32 v149, vcc_lo, s14, v4
	v_add_co_ci_u32_e64 v150, null, s15, v5, vcc_lo
	s_branch .LBB72_26
.LBB72_25:                              ;   in Loop: Header=BB72_26 Depth=1
	v_add_f32_e32 v3, v39, v67
	v_add_f32_e32 v4, v38, v66
	;; [unrolled: 1-line block ×6, first 2 shown]
	v_min3_f32 v142, v4, v3, v142
	v_add_f32_e32 v3, v27, v67
	v_min3_f32 v155, v155, v5, v139
	v_add_f32_e32 v4, v26, v66
	;; [unrolled: 2-line block ×3, first 2 shown]
	v_add_f32_e32 v139, v22, v66
	v_add_f32_e32 v140, v19, v67
	;; [unrolled: 1-line block ×7, first 2 shown]
	v_min3_f32 v160, v4, v3, v78
	v_min3_f32 v141, v139, v5, v141
	v_add_f32_e32 v3, v39, v63
	v_add_f32_e32 v4, v38, v62
	v_min3_f32 v139, v66, v67, v135
	v_add_f32_e32 v5, v35, v63
	v_add_f32_e32 v66, v34, v62
	v_min3_f32 v140, v157, v140, v79
	v_min3_f32 v137, v159, v158, v137
	v_add_f32_e32 v67, v31, v63
	v_add_f32_e32 v78, v30, v62
	v_add_f32_e32 v79, v27, v63
	v_add_f32_e32 v157, v26, v62
	v_add_f32_e32 v158, v23, v63
	v_add_f32_e32 v159, v22, v62
	v_min3_f32 v136, v4, v3, v136
	v_min3_f32 v135, v66, v5, v133
	v_add_f32_e32 v3, v19, v63
	v_add_f32_e32 v4, v18, v62
	v_add_f32_e32 v5, v15, v63
	v_add_f32_e32 v66, v14, v62
	;; [unrolled: 8-line block ×3, first 2 shown]
	v_min3_f32 v134, v4, v3, v128
	v_min3_f32 v128, v66, v5, v130
	;; [unrolled: 1-line block ×3, first 2 shown]
	v_add_f32_e32 v3, v31, v59
	v_add_f32_e32 v4, v30, v58
	v_add_f32_e32 v5, v27, v59
	v_add_f32_e32 v62, v26, v58
	v_min3_f32 v129, v78, v67, v129
	v_min3_f32 v126, v157, v79, v126
	v_add_f32_e32 v63, v23, v59
	v_add_f32_e32 v66, v22, v58
	v_add_f32_e32 v67, v19, v59
	v_add_f32_e32 v78, v18, v58
	v_add_f32_e32 v79, v15, v59
	v_add_f32_e32 v157, v14, v58
	v_min3_f32 v130, v4, v3, v125
	v_min3_f32 v123, v62, v5, v123
	v_add_f32_e32 v3, v7, v59
	v_add_f32_e32 v4, v6, v58
	;; [unrolled: 8-line block ×3, first 2 shown]
	v_add_f32_e32 v67, v27, v55
	v_add_f32_e32 v78, v26, v54
	v_min3_f32 v125, v4, v3, v119
	v_min3_f32 v119, v58, v5, v120
	;; [unrolled: 1-line block ×3, first 2 shown]
	v_add_f32_e32 v3, v23, v55
	v_add_f32_e32 v4, v22, v54
	;; [unrolled: 1-line block ×8, first 2 shown]
	v_min3_f32 v118, v66, v63, v118
	v_add_f32_e32 v63, v39, v51
	v_add_f32_e32 v66, v38, v50
	v_min3_f32 v115, v4, v3, v115
	v_min3_f32 v113, v58, v5, v113
	;; [unrolled: 1-line block ×4, first 2 shown]
	v_add_f32_e32 v3, v35, v51
	v_add_f32_e32 v4, v34, v50
	;; [unrolled: 1-line block ×8, first 2 shown]
	v_min3_f32 v122, v157, v79, v122
	v_min3_f32 v116, v78, v67, v116
	;; [unrolled: 1-line block ×3, first 2 shown]
	v_add_f32_e32 v63, v19, v51
	v_add_f32_e32 v66, v18, v50
	v_min3_f32 v109, v4, v3, v109
	v_min3_f32 v78, v54, v5, v110
	;; [unrolled: 1-line block ×4, first 2 shown]
	v_add_f32_e32 v3, v15, v51
	v_add_f32_e32 v4, v14, v50
	;; [unrolled: 1-line block ×10, first 2 shown]
	v_min3_f32 v106, v66, v63, v106
	v_min3_f32 v105, v4, v3, v105
	v_min3_f32 v62, v50, v5, v103
	v_min3_f32 v63, v54, v51, v104
	v_min3_f32 v66, v58, v55, v101
	v_min3_f32 v67, v67, v59, v102
	v_add_f32_e32 v3, v27, v47
	v_add_f32_e32 v4, v26, v46
	;; [unrolled: 1-line block ×10, first 2 shown]
	v_min3_f32 v99, v4, v3, v99
	v_min3_f32 v54, v50, v5, v100
	;; [unrolled: 1-line block ×5, first 2 shown]
	v_add_f32_e32 v3, v39, v43
	v_add_f32_e32 v4, v38, v42
	;; [unrolled: 1-line block ×10, first 2 shown]
	v_min3_f32 v95, v4, v3, v96
	v_min3_f32 v46, v46, v5, v93
	;; [unrolled: 1-line block ×4, first 2 shown]
	v_add_f32_e32 v3, v19, v43
	v_add_f32_e32 v4, v18, v42
	v_add_f32_e32 v5, v15, v43
	v_add_f32_e32 v91, v14, v42
	v_add_f32_e32 v39, v39, v11
	v_add_f32_e32 v38, v38, v10
	v_min3_f32 v51, v100, v98, v92
	v_add_f32_e32 v92, v35, v11
	v_min3_f32 v35, v4, v3, v89
	v_min3_f32 v3, v91, v5, v90
	;; [unrolled: 1-line block ×3, first 2 shown]
	v_add_f32_e32 v31, v31, v11
	v_add_f32_e32 v30, v30, v10
	;; [unrolled: 1-line block ×13, first 2 shown]
	v_min3_f32 v14, v30, v31, v85
	v_min3_f32 v22, v26, v27, v82
	;; [unrolled: 1-line block ×5, first 2 shown]
	v_add_f32_e32 v7, v7, v11
	v_add_f32_e32 v6, v6, v10
	v_add_f32_e32 v10, v41, v69
	v_add_f32_e32 v11, v40, v68
	v_add_f32_e32 v15, v37, v69
	v_add_f32_e32 v18, v36, v68
	v_add_f32_e32 v19, v33, v69
	v_add_f32_e32 v30, v32, v68
	v_add_f32_e32 v31, v29, v69
	v_add_f32_e32 v38, v28, v68
	v_min3_f32 v4, v42, v43, v87
	v_min3_f32 v7, v6, v7, v84
	v_min3_f32 v11, v11, v10, v142
	v_min3_f32 v80, v18, v15, v155
	v_min3_f32 v81, v30, v19, v156
	v_min3_f32 v82, v38, v31, v160
	v_add_f32_e32 v6, v25, v69
	v_add_f32_e32 v10, v24, v68
	;; [unrolled: 1-line block ×10, first 2 shown]
	v_min3_f32 v132, v159, v158, v132
	v_min3_f32 v34, v34, v92, v86
	;; [unrolled: 1-line block ×7, first 2 shown]
	v_add_f32_e32 v6, v37, v65
	v_add_f32_e32 v10, v36, v64
	v_add_f32_e32 v15, v33, v65
	v_add_f32_e32 v18, v32, v64
	v_add_f32_e32 v19, v29, v65
	v_add_f32_e32 v30, v28, v64
	v_add_f32_e32 v31, v25, v65
	v_add_f32_e32 v38, v24, v64
	v_add_f32_e32 v39, v21, v65
	v_add_f32_e32 v42, v20, v64
	v_min3_f32 v87, v10, v6, v135
	v_min3_f32 v88, v18, v15, v133
	v_min3_f32 v89, v30, v19, v131
	v_min3_f32 v90, v38, v31, v132
	v_min3_f32 v91, v42, v39, v134
	v_add_f32_e32 v6, v17, v65
	v_add_f32_e32 v10, v16, v64
	v_add_f32_e32 v15, v9, v65
	v_add_f32_e32 v18, v8, v64
	v_add_f32_e32 v19, v41, v61
	v_add_f32_e32 v30, v40, v60
	v_add_f32_e32 v31, v37, v61
	v_add_f32_e32 v38, v36, v60
	v_add_f32_e32 v39, v33, v61
	v_add_f32_e32 v42, v32, v60
	v_min3_f32 v92, v10, v6, v128
	v_min3_f32 v93, v18, v15, v127
	v_min3_f32 v94, v30, v19, v129
	v_min3_f32 v96, v38, v31, v126
	v_min3_f32 v97, v42, v39, v130
	;; [unrolled: 15-line block ×10, first 2 shown]
	v_add_f32_e32 v10, v29, v13
	v_add_f32_e32 v25, v25, v13
	;; [unrolled: 1-line block ×6, first 2 shown]
	ds_read_b128 v[3:6], v138
	ds_read_b128 v[61:64], v74
	v_add_f32_e32 v9, v9, v13
	ds_read_b128 v[13:16], v138 offset:128
	ds_read_b128 v[17:20], v138 offset:256
	v_add_f32_e32 v28, v28, v12
	v_add_f32_e32 v24, v24, v12
	v_add_f32_e32 v8, v8, v12
	v_min3_f32 v136, v29, v21, v26
	v_min3_f32 v137, v31, v30, v27
	;; [unrolled: 1-line block ×5, first 2 shown]
	ds_read_b128 v[33:36], v138 offset:384
	ds_read_b128 v[29:32], v138 offset:512
	;; [unrolled: 1-line block ×12, first 2 shown]
	v_add_co_u32 v72, vcc_lo, v72, 32
	v_add_co_ci_u32_e64 v73, null, 0, v73, vcc_lo
	v_add_co_u32 v147, vcc_lo, v147, s6
	s_waitcnt lgkmcnt(14)
	v_add_f32_e32 v140, v4, v62
	v_add_f32_e32 v141, v3, v61
	s_waitcnt lgkmcnt(13)
	v_add_f32_e32 v142, v14, v62
	v_add_f32_e32 v155, v13, v61
	;; [unrolled: 3-line block ×3, first 2 shown]
	v_min3_f32 v11, v141, v140, v11
	s_waitcnt lgkmcnt(11)
	v_add_f32_e32 v140, v34, v62
	v_min3_f32 v80, v155, v142, v80
	v_add_f32_e32 v141, v33, v61
	v_min3_f32 v81, v157, v156, v81
	s_waitcnt lgkmcnt(10)
	v_add_f32_e32 v142, v30, v62
	v_add_f32_e32 v155, v29, v61
	s_waitcnt lgkmcnt(9)
	v_add_f32_e32 v156, v26, v62
	v_add_f32_e32 v157, v25, v61
	;; [unrolled: 3-line block ×4, first 2 shown]
	v_min3_f32 v82, v141, v140, v82
	v_min3_f32 v69, v155, v142, v69
	;; [unrolled: 1-line block ×5, first 2 shown]
	s_waitcnt lgkmcnt(6)
	v_add_f32_e32 v62, v4, v66
	v_add_f32_e32 v85, v3, v65
	;; [unrolled: 1-line block ×10, first 2 shown]
	v_min3_f32 v62, v85, v62, v86
	v_min3_f32 v85, v141, v140, v87
	;; [unrolled: 1-line block ×5, first 2 shown]
	v_add_f32_e32 v89, v26, v66
	v_add_f32_e32 v90, v25, v65
	;; [unrolled: 1-line block ×6, first 2 shown]
	s_waitcnt lgkmcnt(5)
	v_add_f32_e32 v142, v4, v58
	v_add_f32_e32 v155, v3, v57
	;; [unrolled: 1-line block ×4, first 2 shown]
	v_min3_f32 v89, v90, v89, v91
	v_min3_f32 v90, v141, v140, v92
	;; [unrolled: 1-line block ×5, first 2 shown]
	v_add_f32_e32 v92, v18, v58
	v_add_f32_e32 v93, v17, v57
	;; [unrolled: 1-line block ×10, first 2 shown]
	v_min3_f32 v92, v93, v92, v97
	v_min3_f32 v93, v96, v94, v98
	;; [unrolled: 1-line block ×5, first 2 shown]
	v_add_f32_e32 v58, v8, v58
	v_add_f32_e32 v57, v7, v57
	s_waitcnt lgkmcnt(4)
	v_add_f32_e32 v98, v4, v54
	v_add_f32_e32 v100, v3, v53
	;; [unrolled: 1-line block ×8, first 2 shown]
	v_min3_f32 v57, v57, v58, v103
	v_min3_f32 v58, v100, v98, v104
	v_min3_f32 v98, v102, v101, v108
	v_min3_f32 v100, v141, v140, v110
	v_min3_f32 v101, v155, v142, v116
	v_add_f32_e32 v102, v30, v54
	v_add_f32_e32 v103, v29, v53
	;; [unrolled: 1-line block ×8, first 2 shown]
	s_waitcnt lgkmcnt(3)
	v_add_f32_e32 v140, v4, v50
	v_add_f32_e32 v141, v3, v49
	v_min3_f32 v102, v103, v102, v115
	v_min3_f32 v103, v108, v104, v113
	;; [unrolled: 1-line block ×5, first 2 shown]
	v_add_f32_e32 v108, v14, v50
	v_add_f32_e32 v110, v13, v49
	;; [unrolled: 1-line block ×10, first 2 shown]
	v_min3_f32 v108, v110, v108, v109
	v_min3_f32 v110, v112, v111, v78
	;; [unrolled: 1-line block ×4, first 2 shown]
	v_add_f32_e32 v78, v22, v50
	v_add_f32_e32 v79, v21, v49
	;; [unrolled: 1-line block ×4, first 2 shown]
	s_waitcnt lgkmcnt(2)
	v_add_f32_e32 v107, v4, v46
	v_add_f32_e32 v109, v3, v45
	;; [unrolled: 1-line block ×6, first 2 shown]
	v_min3_f32 v105, v79, v78, v105
	v_min3_f32 v49, v49, v50, v117
	;; [unrolled: 1-line block ×5, first 2 shown]
	v_add_f32_e32 v78, v34, v46
	v_add_f32_e32 v79, v33, v45
	;; [unrolled: 1-line block ×10, first 2 shown]
	v_min3_f32 v99, v79, v78, v99
	v_min3_f32 v159, v109, v107, v121
	s_waitcnt lgkmcnt(1)
	v_add_f32_e32 v78, v3, v41
	v_add_f32_e32 v79, v14, v42
	v_min3_f32 v45, v45, v46, v124
	v_add_f32_e32 v46, v4, v42
	v_add_f32_e32 v107, v13, v41
	s_waitcnt lgkmcnt(0)
	v_add_f32_e32 v4, v4, v38
	v_add_f32_e32 v3, v3, v37
	;; [unrolled: 1-line block ×4, first 2 shown]
	v_min3_f32 v160, v112, v111, v122
	v_add_f32_e32 v109, v18, v42
	v_add_f32_e32 v111, v17, v41
	v_min3_f32 v46, v78, v46, v95
	v_min3_f32 v162, v107, v79, v125
	v_add_f32_e32 v95, v22, v42
	v_add_f32_e32 v107, v21, v41
	v_min3_f32 v3, v3, v4, v132
	v_min3_f32 v4, v13, v14, v133
	v_add_f32_e32 v13, v18, v38
	v_add_f32_e32 v14, v17, v37
	;; [unrolled: 1-line block ×6, first 2 shown]
	v_min3_f32 v161, v114, v113, v123
	v_add_f32_e32 v112, v34, v42
	v_add_f32_e32 v113, v33, v41
	;; [unrolled: 1-line block ×8, first 2 shown]
	v_min3_f32 v12, v18, v17, v12
	v_min3_f32 v18, v21, v22, v137
	v_add_f32_e32 v8, v8, v38
	v_add_f32_e32 v7, v7, v37
	;; [unrolled: 1-line block ×8, first 2 shown]
	v_min3_f32 v7, v7, v8, v139
	v_min3_f32 v142, v22, v21, v11
	v_add_f32_e32 v8, v32, v64
	v_add_f32_e32 v11, v31, v63
	v_min3_f32 v106, v141, v140, v106
	v_min3_f32 v13, v14, v13, v134
	;; [unrolled: 1-line block ×4, first 2 shown]
	v_add_f32_e32 v25, v16, v64
	v_add_f32_e32 v26, v15, v63
	;; [unrolled: 1-line block ×8, first 2 shown]
	v_min3_f32 v141, v11, v8, v69
	v_add_f32_e32 v8, v16, v68
	v_add_f32_e32 v11, v15, v67
	v_min3_f32 v166, v79, v78, v129
	v_min3_f32 v139, v26, v25, v80
	;; [unrolled: 1-line block ×4, first 2 shown]
	v_add_f32_e32 v25, v24, v64
	v_add_f32_e32 v26, v23, v63
	;; [unrolled: 1-line block ×6, first 2 shown]
	v_min3_f32 v79, v22, v21, v83
	v_add_f32_e32 v21, v20, v68
	v_add_f32_e32 v22, v19, v67
	v_min3_f32 v133, v11, v8, v85
	v_add_f32_e32 v8, v24, v68
	v_add_f32_e32 v11, v23, v67
	v_min3_f32 v167, v107, v95, v130
	v_min3_f32 v137, v26, v25, v84
	;; [unrolled: 1-line block ×4, first 2 shown]
	v_add_f32_e32 v25, v36, v68
	v_add_f32_e32 v26, v35, v67
	;; [unrolled: 1-line block ×6, first 2 shown]
	v_min3_f32 v134, v22, v21, v86
	v_add_f32_e32 v21, v10, v68
	v_add_f32_e32 v22, v9, v67
	v_min3_f32 v130, v11, v8, v90
	v_add_f32_e32 v8, v36, v60
	v_add_f32_e32 v11, v35, v59
	v_min3_f32 v164, v113, v112, v127
	v_min3_f32 v165, v115, v114, v128
	;; [unrolled: 1-line block ×6, first 2 shown]
	v_add_f32_e32 v25, v6, v60
	v_add_f32_e32 v26, v5, v59
	;; [unrolled: 1-line block ×6, first 2 shown]
	v_min3_f32 v127, v22, v21, v65
	v_add_f32_e32 v21, v32, v60
	v_add_f32_e32 v22, v31, v59
	v_min3_f32 v123, v11, v8, v93
	v_add_f32_e32 v8, v6, v56
	v_add_f32_e32 v11, v5, v55
	v_min3_f32 v163, v111, v109, v126
	v_min3_f32 v129, v26, v25, v66
	;; [unrolled: 1-line block ×4, first 2 shown]
	v_add_f32_e32 v25, v28, v60
	v_add_f32_e32 v26, v27, v59
	v_add_f32_e32 v29, v24, v60
	v_add_f32_e32 v30, v23, v59
	v_add_f32_e32 v33, v10, v60
	v_add_f32_e32 v34, v9, v59
	v_min3_f32 v124, v22, v21, v94
	v_add_f32_e32 v21, v16, v56
	v_add_f32_e32 v22, v15, v55
	v_min3_f32 v120, v11, v8, v58
	v_add_f32_e32 v8, v28, v56
	v_add_f32_e32 v11, v27, v55
	v_min3_f32 v121, v26, v25, v96
	v_min3_f32 v122, v30, v29, v97
	v_min3_f32 v119, v34, v33, v57
	v_add_f32_e32 v25, v20, v56
	v_add_f32_e32 v26, v19, v55
	v_add_f32_e32 v29, v36, v56
	v_add_f32_e32 v30, v35, v55
	v_add_f32_e32 v33, v32, v56
	v_add_f32_e32 v34, v31, v55
	v_min3_f32 v117, v22, v21, v98
	v_add_f32_e32 v21, v24, v56
	v_add_f32_e32 v22, v23, v55
	v_min3_f32 v113, v11, v8, v103
	v_add_f32_e32 v8, v20, v52
	v_add_f32_e32 v11, v19, v51
	v_min3_f32 v118, v26, v25, v100
	v_min3_f32 v116, v30, v29, v101
	v_min3_f32 v115, v34, v33, v102
	;; [unrolled: 15-line block ×5, first 2 shown]
	v_add_f32_e32 v25, v24, v48
	v_add_f32_e32 v26, v23, v47
	;; [unrolled: 1-line block ×6, first 2 shown]
	v_min3_f32 v97, v22, v21, v160
	v_add_f32_e32 v21, v20, v44
	v_add_f32_e32 v22, v19, v43
	v_min3_f32 v93, v11, v8, v162
	v_add_f32_e32 v8, v24, v44
	v_add_f32_e32 v11, v23, v43
	;; [unrolled: 1-line block ×8, first 2 shown]
	v_min3_f32 v98, v26, v25, v161
	v_min3_f32 v95, v30, v29, v45
	;; [unrolled: 1-line block ×3, first 2 shown]
	v_add_f32_e32 v25, v36, v44
	v_add_f32_e32 v26, v35, v43
	;; [unrolled: 1-line block ×6, first 2 shown]
	v_min3_f32 v94, v22, v21, v163
	v_add_f32_e32 v21, v10, v44
	v_add_f32_e32 v22, v9, v43
	v_min3_f32 v90, v11, v8, v167
	v_min3_f32 v88, v5, v6, v3
	;; [unrolled: 1-line block ×4, first 2 shown]
	v_add_f32_e32 v3, v36, v40
	v_add_f32_e32 v4, v35, v39
	;; [unrolled: 1-line block ×10, first 2 shown]
	v_add_co_ci_u32_e64 v148, null, s7, v148, vcc_lo
	v_add_co_u32 v149, vcc_lo, v149, s6
	v_min3_f32 v91, v26, v25, v164
	v_min3_f32 v92, v30, v29, v165
	;; [unrolled: 1-line block ×9, first 2 shown]
	v_add_co_ci_u32_e64 v150, null, s7, v150, vcc_lo
	s_add_i32 s13, s13, 8
	ds_write_b32 v143, v151
	ds_write2st64_b32 v144, v2, v152 offset1:4
	ds_write2st64_b32 v144, v153, v154 offset0:8 offset1:12
	s_cmp_ge_i32 s13, s21
	s_waitcnt lgkmcnt(0)
	s_barrier
	buffer_gl0_inv
	s_cbranch_scc1 .LBB72_46
.LBB72_26:                              ; =>This Inner Loop Header: Depth=1
	v_mov_b32_e32 v152, 0
	s_and_b32 vcc_lo, exec_lo, s2
	s_cbranch_vccnz .LBB72_28
; %bb.27:                               ;   in Loop: Header=BB72_26 Depth=1
	global_load_dword v2, v[72:73], off
	s_waitcnt vmcnt(0)
	v_mul_f32_e32 v152, s24, v2
.LBB72_28:                              ;   in Loop: Header=BB72_26 Depth=1
	s_mov_b32 s14, -1
	s_mov_b32 vcc_lo, s1
                                        ; implicit-def: $vgpr2_vgpr3_vgpr4_vgpr5
	s_cbranch_vccnz .LBB72_39
; %bb.29:                               ;   in Loop: Header=BB72_26 Depth=1
	v_mov_b32_e32 v3, 0
	s_andn2_b32 vcc_lo, exec_lo, s14
	s_cbranch_vccz .LBB72_40
.LBB72_30:                              ;   in Loop: Header=BB72_26 Depth=1
	s_mov_b32 s14, -1
	s_mov_b32 vcc_lo, s1
                                        ; implicit-def: $vgpr4
	s_cbranch_vccnz .LBB72_41
.LBB72_31:                              ;   in Loop: Header=BB72_26 Depth=1
	v_mov_b32_e32 v151, 0
	v_mov_b32_e32 v5, 0
	s_andn2_b32 vcc_lo, exec_lo, s14
	s_cbranch_vccnz .LBB72_33
.LBB72_32:                              ;   in Loop: Header=BB72_26 Depth=1
	v_add_co_u32 v4, vcc_lo, v147, v70
	v_add_co_ci_u32_e64 v5, null, v148, v71, vcc_lo
	s_clause 0x1
	global_load_dword v6, v[4:5], off offset:512
	global_load_dword v5, v[4:5], off offset:768
	s_waitcnt vmcnt(1)
	v_mul_f32_e32 v4, s24, v6
	s_waitcnt vmcnt(0)
	v_mul_f32_e32 v5, s24, v5
.LBB72_33:                              ;   in Loop: Header=BB72_26 Depth=1
	ds_read_b128 v[38:41], v145
	ds_read_b128 v[34:37], v145 offset:128
	ds_read_b128 v[30:33], v145 offset:256
	;; [unrolled: 1-line block ×7, first 2 shown]
	ds_read_b128 v[66:69], v146
	ds_read_b128 v[62:65], v146 offset:512
	ds_read_b128 v[58:61], v146 offset:1024
	;; [unrolled: 1-line block ×7, first 2 shown]
	s_and_b32 vcc_lo, exec_lo, s2
	ds_write_b32 v77, v152
	ds_write2st64_b32 v76, v2, v3 offset1:4
	ds_write2st64_b32 v76, v4, v5 offset0:8 offset1:12
	s_waitcnt lgkmcnt(0)
	s_barrier
	buffer_gl0_inv
	s_cbranch_vccnz .LBB72_35
; %bb.34:                               ;   in Loop: Header=BB72_26 Depth=1
	global_load_dword v2, v[72:73], off offset:16
	s_waitcnt vmcnt(0)
	v_mul_f32_e32 v151, s24, v2
.LBB72_35:                              ;   in Loop: Header=BB72_26 Depth=1
	s_mov_b32 s14, -1
	s_mov_b32 vcc_lo, s1
                                        ; implicit-def: $vgpr2_vgpr3_vgpr4_vgpr5
	s_cbranch_vccnz .LBB72_42
; %bb.36:                               ;   in Loop: Header=BB72_26 Depth=1
	v_mov_b32_e32 v152, 0
	s_andn2_b32 vcc_lo, exec_lo, s14
	s_cbranch_vccz .LBB72_43
.LBB72_37:                              ;   in Loop: Header=BB72_26 Depth=1
	s_mov_b32 s14, -1
	s_mov_b32 vcc_lo, s1
                                        ; implicit-def: $vgpr153
	s_cbranch_vccnz .LBB72_44
.LBB72_38:                              ;   in Loop: Header=BB72_26 Depth=1
	v_mov_b32_e32 v154, 0
	s_andn2_b32 vcc_lo, exec_lo, s14
	s_cbranch_vccnz .LBB72_25
	s_branch .LBB72_45
.LBB72_39:                              ;   in Loop: Header=BB72_26 Depth=1
	v_mov_b32_e32 v2, s12
	v_mov_b32_e32 v3, 0
	s_cbranch_execnz .LBB72_30
.LBB72_40:                              ;   in Loop: Header=BB72_26 Depth=1
	v_add_co_u32 v2, vcc_lo, v147, v70
	v_add_co_ci_u32_e64 v3, null, v148, v71, vcc_lo
	s_clause 0x1
	global_load_dword v4, v[2:3], off
	global_load_dword v3, v[2:3], off offset:256
	s_waitcnt vmcnt(1)
	v_mul_f32_e32 v2, s24, v4
	s_waitcnt vmcnt(0)
	v_mul_f32_e32 v3, s24, v3
	s_mov_b32 s14, -1
	s_mov_b32 vcc_lo, s1
                                        ; implicit-def: $vgpr4
	s_cbranch_vccz .LBB72_31
.LBB72_41:                              ;   in Loop: Header=BB72_26 Depth=1
	v_mov_b32_e32 v4, s12
	v_mov_b32_e32 v151, 0
	;; [unrolled: 1-line block ×3, first 2 shown]
	s_cbranch_execz .LBB72_32
	s_branch .LBB72_33
.LBB72_42:                              ;   in Loop: Header=BB72_26 Depth=1
	v_mov_b32_e32 v2, s12
	v_mov_b32_e32 v152, 0
	s_cbranch_execnz .LBB72_37
.LBB72_43:                              ;   in Loop: Header=BB72_26 Depth=1
	v_add_co_u32 v2, vcc_lo, v149, v70
	v_add_co_ci_u32_e64 v3, null, v150, v71, vcc_lo
	s_clause 0x1
	global_load_dword v4, v[2:3], off
	global_load_dword v3, v[2:3], off offset:256
	s_waitcnt vmcnt(1)
	v_mul_f32_e32 v2, s24, v4
	s_waitcnt vmcnt(0)
	v_mul_f32_e32 v152, s24, v3
	s_mov_b32 s14, -1
	s_mov_b32 vcc_lo, s1
                                        ; implicit-def: $vgpr153
	s_cbranch_vccz .LBB72_38
.LBB72_44:                              ;   in Loop: Header=BB72_26 Depth=1
	v_mov_b32_e32 v153, s12
	v_mov_b32_e32 v154, 0
	s_cbranch_execnz .LBB72_25
.LBB72_45:                              ;   in Loop: Header=BB72_26 Depth=1
	v_add_co_u32 v3, vcc_lo, v149, v70
	v_add_co_ci_u32_e64 v4, null, v150, v71, vcc_lo
	s_clause 0x1
	global_load_dword v5, v[3:4], off offset:512
	global_load_dword v3, v[3:4], off offset:768
	s_waitcnt vmcnt(1)
	v_mul_f32_e32 v153, s24, v5
	s_waitcnt vmcnt(0)
	v_mul_f32_e32 v154, s24, v3
	s_branch .LBB72_25
.LBB72_46:
	ds_read_b128 v[32:35], v75 offset:9216
	ds_read_b128 v[60:63], v74 offset:4096
	s_clause 0x2
	s_load_dword s2, s[4:5], 0x70
	s_load_dword s1, s[4:5], 0x58
	s_load_dwordx2 s[6:7], s[4:5], 0x78
	v_add_nc_u32_e32 v138, s20, v1
	v_add_nc_u32_e32 v76, s17, v0
	v_ashrrev_i32_e32 v77, 31, v76
	v_add_nc_u32_e32 v0, 8, v76
	v_lshlrev_b64 v[66:67], 2, v[76:77]
	v_ashrrev_i32_e32 v1, 31, v0
	s_waitcnt lgkmcnt(0)
	v_mad_i64_i32 v[2:3], null, v138, s2, 0
	v_mad_i64_i32 v[4:5], null, v138, s1, 0
	v_add_f32_e32 v6, v33, v61
	v_add_f32_e32 v7, v32, v60
	s_mul_i32 s5, s7, s16
	s_mul_hi_u32 s7, s6, s16
	s_mul_i32 s4, s6, s16
	v_add_f32_e32 v8, v35, v63
	s_add_i32 s5, s7, s5
	v_add_f32_e32 v9, v34, v62
	v_min3_f32 v6, v7, v6, v142
	v_lshlrev_b64 v[2:3], 2, v[2:3]
	s_lshl_b64 s[4:5], s[4:5], 2
	v_lshlrev_b64 v[4:5], 2, v[4:5]
	s_add_u32 s4, s10, s4
	v_min3_f32 v6, v9, v8, v6
	s_addc_u32 s5, s11, s5
	v_add_co_u32 v142, vcc_lo, s4, v2
	v_add_co_ci_u32_e64 v143, null, s5, v3, vcc_lo
	v_add_co_u32 v144, vcc_lo, s8, v4
	v_add_co_ci_u32_e64 v145, null, s9, v5, vcc_lo
	v_max_f32_e32 v2, v6, v6
	s_mov_b32 s6, -1
	s_mov_b32 vcc_lo, s0
	s_cbranch_vccz .LBB72_48
; %bb.47:
	v_add_co_u32 v3, vcc_lo, v142, v66
	v_min_f32_e32 v5, 0, v2
	v_add_co_ci_u32_e64 v4, null, v143, v67, vcc_lo
	s_mov_b32 s6, 0
	global_store_dword v[3:4], v5, off
.LBB72_48:
	ds_read_b128 v[28:31], v75 offset:9344
	ds_read_b128 v[24:27], v75 offset:9472
	v_lshlrev_b64 v[64:65], 2, v[0:1]
	v_mov_b32_e32 v69, 0
	s_andn2_b32 vcc_lo, exec_lo, s6
	s_cbranch_vccnz .LBB72_50
; %bb.49:
	v_add_co_u32 v0, vcc_lo, v144, v66
	v_add_co_ci_u32_e64 v1, null, v145, v67, vcc_lo
	global_load_dword v0, v[0:1], off
	s_waitcnt vmcnt(0)
	v_mul_f32_e32 v3, s3, v0
	v_add_co_u32 v0, vcc_lo, v142, v66
	v_add_co_ci_u32_e64 v1, null, v143, v67, vcc_lo
	v_min_f32_e32 v4, v3, v2
	v_add_co_u32 v2, vcc_lo, v144, v64
	v_add_co_ci_u32_e64 v3, null, v145, v65, vcc_lo
	global_store_dword v[0:1], v4, off
	global_load_dword v0, v[2:3], off
	s_waitcnt vmcnt(0)
	v_mul_f32_e32 v69, s3, v0
.LBB72_50:
	ds_read_b128 v[16:19], v75 offset:9728
	ds_read_b128 v[12:15], v75 offset:9856
	;; [unrolled: 1-line block ×10, first 2 shown]
	s_waitcnt lgkmcnt(11)
	v_add_f32_e32 v68, v29, v61
	v_add_f32_e32 v70, v28, v60
	s_waitcnt lgkmcnt(10)
	v_add_f32_e32 v71, v25, v61
	v_add_f32_e32 v72, v24, v60
	;; [unrolled: 1-line block ×4, first 2 shown]
	ds_read_b128 v[20:23], v75 offset:9600
	ds_read_b128 v[4:7], v74 offset:7680
	v_min3_f32 v74, v70, v68, v139
	v_min3_f32 v75, v72, v71, v140
	v_add_nc_u32_e32 v70, 16, v76
	v_min_f32_e32 v71, v77, v73
	v_add_f32_e32 v77, v27, v63
	v_add_f32_e32 v139, v26, v62
	v_add_co_u32 v72, vcc_lo, v142, v64
	v_min3_f32 v74, v69, v71, v74
	v_ashrrev_i32_e32 v71, 31, v70
	v_add_nc_u32_e32 v68, 24, v76
	v_add_co_ci_u32_e64 v73, null, v143, v65, vcc_lo
	v_min3_f32 v75, v139, v77, v75
	v_lshlrev_b64 v[70:71], 2, v[70:71]
	v_ashrrev_i32_e32 v69, 31, v68
	global_store_dword v[72:73], v74, off
	s_mov_b32 s6, -1
	v_max_f32_e32 v72, v75, v75
	s_mov_b32 vcc_lo, s0
	s_cbranch_vccz .LBB72_52
; %bb.51:
	v_add_co_u32 v73, vcc_lo, v142, v70
	v_min_f32_e32 v75, 0, v72
	v_add_co_ci_u32_e64 v74, null, v143, v71, vcc_lo
	s_mov_b32 s6, 0
	global_store_dword v[73:74], v75, off
.LBB72_52:
	v_lshlrev_b64 v[68:69], 2, v[68:69]
	v_mov_b32_e32 v73, 0
	s_andn2_b32 vcc_lo, exec_lo, s6
	s_cbranch_vccnz .LBB72_54
; %bb.53:
	v_add_co_u32 v73, vcc_lo, v144, v70
	v_add_co_ci_u32_e64 v74, null, v145, v71, vcc_lo
	global_load_dword v73, v[73:74], off
	s_waitcnt vmcnt(0)
	v_mul_f32_e32 v75, s3, v73
	v_add_co_u32 v73, vcc_lo, v142, v70
	v_add_co_ci_u32_e64 v74, null, v143, v71, vcc_lo
	v_add_co_u32 v139, vcc_lo, v144, v68
	v_min_f32_e32 v72, v75, v72
	v_add_co_ci_u32_e64 v140, null, v145, v69, vcc_lo
	global_store_dword v[73:74], v72, off
	global_load_dword v72, v[139:140], off
	s_waitcnt vmcnt(0)
	v_mul_f32_e32 v73, s3, v72
.LBB72_54:
	s_waitcnt lgkmcnt(1)
	v_add_f32_e32 v72, v21, v61
	v_add_f32_e32 v74, v20, v60
	;; [unrolled: 1-line block ×6, first 2 shown]
	v_min3_f32 v78, v74, v72, v78
	v_add_nc_u32_e32 v74, 32, v76
	v_min3_f32 v141, v77, v75, v141
	v_add_co_u32 v77, vcc_lo, v142, v68
	v_min_f32_e32 v75, v140, v139
	v_add_f32_e32 v139, v19, v63
	v_add_f32_e32 v140, v18, v62
	v_add_nc_u32_e32 v72, 40, v76
	s_mov_b32 s6, -1
	v_min3_f32 v146, v73, v75, v78
	v_ashrrev_i32_e32 v75, 31, v74
	v_add_co_ci_u32_e64 v78, null, v143, v69, vcc_lo
	v_min3_f32 v139, v140, v139, v141
	v_ashrrev_i32_e32 v73, 31, v72
	v_lshlrev_b64 v[74:75], 2, v[74:75]
	global_store_dword v[77:78], v146, off
	s_mov_b32 vcc_lo, s0
	v_max_f32_e32 v77, v139, v139
	s_cbranch_vccz .LBB72_56
; %bb.55:
	v_add_co_u32 v139, vcc_lo, v142, v74
	v_min_f32_e32 v78, 0, v77
	v_add_co_ci_u32_e64 v140, null, v143, v75, vcc_lo
	s_mov_b32 s6, 0
	global_store_dword v[139:140], v78, off
.LBB72_56:
	v_lshlrev_b64 v[72:73], 2, v[72:73]
	v_mov_b32_e32 v139, 0
	s_andn2_b32 vcc_lo, exec_lo, s6
	s_cbranch_vccnz .LBB72_58
; %bb.57:
	v_add_co_u32 v139, vcc_lo, v144, v74
	v_add_co_ci_u32_e64 v140, null, v145, v75, vcc_lo
	global_load_dword v78, v[139:140], off
	v_add_co_u32 v139, vcc_lo, v142, v74
	v_add_co_ci_u32_e64 v140, null, v143, v75, vcc_lo
	s_waitcnt vmcnt(0)
	v_mul_f32_e32 v78, s3, v78
	v_min_f32_e32 v141, v78, v77
	v_add_co_u32 v77, vcc_lo, v144, v72
	v_add_co_ci_u32_e64 v78, null, v145, v73, vcc_lo
	global_store_dword v[139:140], v141, off
	global_load_dword v77, v[77:78], off
	s_waitcnt vmcnt(0)
	v_mul_f32_e32 v139, s3, v77
.LBB72_58:
	v_add_f32_e32 v77, v13, v61
	v_add_f32_e32 v78, v12, v60
	;; [unrolled: 1-line block ×6, first 2 shown]
	v_min3_f32 v77, v78, v77, v79
	v_add_nc_u32_e32 v78, 56, v76
	v_min3_f32 v79, v141, v140, v137
	v_add_nc_u32_e32 v140, 48, v76
	v_min_f32_e32 v137, v147, v146
	v_add_f32_e32 v146, v11, v63
	v_add_f32_e32 v147, v10, v62
	v_add_co_u32 v76, vcc_lo, v142, v72
	v_min3_f32 v137, v139, v137, v77
	v_add_co_ci_u32_e64 v77, null, v143, v73, vcc_lo
	v_ashrrev_i32_e32 v141, 31, v140
	v_min3_f32 v139, v147, v146, v79
	v_ashrrev_i32_e32 v79, 31, v78
	global_store_dword v[76:77], v137, off
	s_mov_b32 s6, -1
	v_lshlrev_b64 v[76:77], 2, v[140:141]
	v_max_f32_e32 v137, v139, v139
	s_mov_b32 vcc_lo, s0
	s_cbranch_vccz .LBB72_60
; %bb.59:
	v_add_co_u32 v139, vcc_lo, v142, v76
	v_min_f32_e32 v141, 0, v137
	v_add_co_ci_u32_e64 v140, null, v143, v77, vcc_lo
	s_mov_b32 s6, 0
	global_store_dword v[139:140], v141, off
.LBB72_60:
	v_lshlrev_b64 v[78:79], 2, v[78:79]
	v_mov_b32_e32 v139, 0
	s_andn2_b32 vcc_lo, exec_lo, s6
	s_cbranch_vccnz .LBB72_62
; %bb.61:
	v_add_co_u32 v139, vcc_lo, v144, v76
	v_add_co_ci_u32_e64 v140, null, v145, v77, vcc_lo
	global_load_dword v139, v[139:140], off
	s_waitcnt vmcnt(0)
	v_mul_f32_e32 v141, s3, v139
	v_add_co_u32 v139, vcc_lo, v142, v76
	v_add_co_ci_u32_e64 v140, null, v143, v77, vcc_lo
	v_add_co_u32 v144, vcc_lo, v144, v78
	v_min_f32_e32 v137, v141, v137
	v_add_co_ci_u32_e64 v145, null, v145, v79, vcc_lo
	global_store_dword v[139:140], v137, off
	global_load_dword v137, v[144:145], off
	s_waitcnt vmcnt(0)
	v_mul_f32_e32 v139, s3, v137
.LBB72_62:
	v_add_f32_e32 v61, v1, v61
	v_add_f32_e32 v60, v0, v60
	;; [unrolled: 1-line block ×6, first 2 shown]
	v_min3_f32 v60, v60, v61, v135
	v_add_f32_e32 v141, v34, v58
	v_min_f32_e32 v61, v62, v63
	v_add_nc_u32_e32 v62, 32, v138
	v_min3_f32 v137, v140, v137, v136
	v_add_f32_e32 v140, v35, v59
	v_add_co_u32 v135, vcc_lo, v142, v78
	v_min3_f32 v139, v139, v61, v60
	v_mad_i64_i32 v[60:61], null, v62, s2, 0
	v_mad_i64_i32 v[62:63], null, v62, s1, 0
	v_add_co_ci_u32_e64 v136, null, v143, v79, vcc_lo
	v_min3_f32 v137, v141, v140, v137
	s_mov_b32 s6, -1
	v_lshlrev_b64 v[60:61], 2, v[60:61]
	global_store_dword v[135:136], v139, off
	v_lshlrev_b64 v[62:63], 2, v[62:63]
	v_max_f32_e32 v135, v137, v137
	v_add_co_u32 v60, vcc_lo, s4, v60
	v_add_co_ci_u32_e64 v61, null, s5, v61, vcc_lo
	v_add_co_u32 v62, vcc_lo, s8, v62
	v_add_co_ci_u32_e64 v63, null, s9, v63, vcc_lo
	s_mov_b32 vcc_lo, s0
	s_cbranch_vccz .LBB72_64
; %bb.63:
	v_add_co_u32 v136, vcc_lo, v60, v66
	v_min_f32_e32 v139, 0, v135
	v_add_co_ci_u32_e64 v137, null, v61, v67, vcc_lo
	s_mov_b32 s6, 0
	global_store_dword v[136:137], v139, off
.LBB72_64:
	v_mov_b32_e32 v136, 0
	s_andn2_b32 vcc_lo, exec_lo, s6
	s_cbranch_vccnz .LBB72_66
; %bb.65:
	v_add_co_u32 v136, vcc_lo, v62, v66
	v_add_co_ci_u32_e64 v137, null, v63, v67, vcc_lo
	global_load_dword v136, v[136:137], off
	s_waitcnt vmcnt(0)
	v_mul_f32_e32 v139, s3, v136
	v_add_co_u32 v136, vcc_lo, v60, v66
	v_add_co_ci_u32_e64 v137, null, v61, v67, vcc_lo
	v_min_f32_e32 v135, v139, v135
	v_add_co_u32 v139, vcc_lo, v62, v64
	v_add_co_ci_u32_e64 v140, null, v63, v65, vcc_lo
	global_store_dword v[136:137], v135, off
	global_load_dword v135, v[139:140], off
	s_waitcnt vmcnt(0)
	v_mul_f32_e32 v136, s3, v135
.LBB72_66:
	v_add_f32_e32 v135, v29, v57
	v_add_f32_e32 v137, v28, v56
	;; [unrolled: 1-line block ×6, first 2 shown]
	v_min3_f32 v133, v137, v135, v133
	s_mov_b32 s6, -1
	v_min_f32_e32 v135, v140, v139
	v_add_f32_e32 v139, v27, v59
	v_min3_f32 v137, v142, v141, v134
	v_add_f32_e32 v140, v26, v58
	v_min3_f32 v135, v136, v135, v133
	v_add_co_u32 v133, vcc_lo, v60, v64
	v_add_co_ci_u32_e64 v134, null, v61, v65, vcc_lo
	v_min3_f32 v136, v140, v139, v137
	s_mov_b32 vcc_lo, s0
	global_store_dword v[133:134], v135, off
	v_max_f32_e32 v133, v136, v136
	s_cbranch_vccz .LBB72_68
; %bb.67:
	v_add_co_u32 v134, vcc_lo, v60, v70
	v_min_f32_e32 v136, 0, v133
	v_add_co_ci_u32_e64 v135, null, v61, v71, vcc_lo
	s_mov_b32 s6, 0
	global_store_dword v[134:135], v136, off
.LBB72_68:
	v_mov_b32_e32 v134, 0
	s_andn2_b32 vcc_lo, exec_lo, s6
	s_cbranch_vccnz .LBB72_70
; %bb.69:
	v_add_co_u32 v134, vcc_lo, v62, v70
	v_add_co_ci_u32_e64 v135, null, v63, v71, vcc_lo
	global_load_dword v134, v[134:135], off
	s_waitcnt vmcnt(0)
	v_mul_f32_e32 v136, s3, v134
	v_add_co_u32 v134, vcc_lo, v60, v70
	v_add_co_ci_u32_e64 v135, null, v61, v71, vcc_lo
	v_min_f32_e32 v133, v136, v133
	v_add_co_u32 v136, vcc_lo, v62, v68
	v_add_co_ci_u32_e64 v137, null, v63, v69, vcc_lo
	global_store_dword v[134:135], v133, off
	global_load_dword v133, v[136:137], off
	s_waitcnt vmcnt(0)
	v_mul_f32_e32 v134, s3, v133
.LBB72_70:
	v_add_f32_e32 v133, v21, v57
	v_add_f32_e32 v135, v20, v56
	;; [unrolled: 1-line block ×6, first 2 shown]
	v_min3_f32 v131, v135, v133, v131
	s_mov_b32 s6, -1
	v_min_f32_e32 v133, v137, v136
	v_add_f32_e32 v136, v19, v59
	v_min3_f32 v135, v140, v139, v132
	v_add_f32_e32 v137, v18, v58
	v_min3_f32 v133, v134, v133, v131
	v_add_co_u32 v131, vcc_lo, v60, v68
	v_add_co_ci_u32_e64 v132, null, v61, v69, vcc_lo
	v_min3_f32 v134, v137, v136, v135
	s_mov_b32 vcc_lo, s0
	global_store_dword v[131:132], v133, off
	v_max_f32_e32 v131, v134, v134
	s_cbranch_vccz .LBB72_72
; %bb.71:
	v_add_co_u32 v132, vcc_lo, v60, v74
	v_min_f32_e32 v134, 0, v131
	v_add_co_ci_u32_e64 v133, null, v61, v75, vcc_lo
	s_mov_b32 s6, 0
	global_store_dword v[132:133], v134, off
.LBB72_72:
	v_mov_b32_e32 v132, 0
	s_andn2_b32 vcc_lo, exec_lo, s6
	s_cbranch_vccnz .LBB72_74
; %bb.73:
	v_add_co_u32 v132, vcc_lo, v62, v74
	v_add_co_ci_u32_e64 v133, null, v63, v75, vcc_lo
	global_load_dword v132, v[132:133], off
	s_waitcnt vmcnt(0)
	v_mul_f32_e32 v134, s3, v132
	v_add_co_u32 v132, vcc_lo, v60, v74
	v_add_co_ci_u32_e64 v133, null, v61, v75, vcc_lo
	v_min_f32_e32 v131, v134, v131
	v_add_co_u32 v134, vcc_lo, v62, v72
	v_add_co_ci_u32_e64 v135, null, v63, v73, vcc_lo
	global_store_dword v[132:133], v131, off
	global_load_dword v131, v[134:135], off
	s_waitcnt vmcnt(0)
	v_mul_f32_e32 v132, s3, v131
.LBB72_74:
	v_add_f32_e32 v131, v13, v57
	v_add_f32_e32 v133, v12, v56
	;; [unrolled: 1-line block ×6, first 2 shown]
	v_min3_f32 v128, v133, v131, v128
	s_mov_b32 s6, -1
	v_min_f32_e32 v131, v135, v134
	v_add_f32_e32 v134, v11, v59
	v_min3_f32 v133, v137, v136, v130
	v_add_f32_e32 v135, v10, v58
	v_add_co_u32 v130, vcc_lo, v60, v72
	v_min3_f32 v128, v132, v131, v128
	v_add_co_ci_u32_e64 v131, null, v61, v73, vcc_lo
	v_min3_f32 v132, v135, v134, v133
	s_mov_b32 vcc_lo, s0
	global_store_dword v[130:131], v128, off
	v_max_f32_e32 v128, v132, v132
	s_cbranch_vccz .LBB72_76
; %bb.75:
	v_add_co_u32 v130, vcc_lo, v60, v76
	v_min_f32_e32 v132, 0, v128
	v_add_co_ci_u32_e64 v131, null, v61, v77, vcc_lo
	s_mov_b32 s6, 0
	global_store_dword v[130:131], v132, off
.LBB72_76:
	v_mov_b32_e32 v130, 0
	s_andn2_b32 vcc_lo, exec_lo, s6
	s_cbranch_vccnz .LBB72_78
; %bb.77:
	v_add_co_u32 v130, vcc_lo, v62, v76
	v_add_co_ci_u32_e64 v131, null, v63, v77, vcc_lo
	global_load_dword v130, v[130:131], off
	s_waitcnt vmcnt(0)
	v_mul_f32_e32 v132, s3, v130
	v_add_co_u32 v130, vcc_lo, v60, v76
	v_add_co_ci_u32_e64 v131, null, v61, v77, vcc_lo
	v_add_co_u32 v62, vcc_lo, v62, v78
	v_min_f32_e32 v128, v132, v128
	v_add_co_ci_u32_e64 v63, null, v63, v79, vcc_lo
	global_store_dword v[130:131], v128, off
	global_load_dword v62, v[62:63], off
	s_waitcnt vmcnt(0)
	v_mul_f32_e32 v130, s3, v62
.LBB72_78:
	v_add_f32_e32 v57, v1, v57
	v_add_f32_e32 v56, v0, v56
	v_add_f32_e32 v59, v3, v59
	v_add_f32_e32 v58, v2, v58
	v_add_f32_e32 v62, v33, v53
	v_add_f32_e32 v63, v32, v52
	v_min3_f32 v56, v56, v57, v127
	v_add_f32_e32 v127, v34, v54
	v_min_f32_e32 v57, v58, v59
	v_add_nc_u32_e32 v58, 64, v138
	v_min3_f32 v62, v63, v62, v129
	v_add_f32_e32 v63, v35, v55
	v_add_co_u32 v60, vcc_lo, v60, v78
	v_min3_f32 v128, v130, v57, v56
	v_mad_i64_i32 v[56:57], null, v58, s2, 0
	v_mad_i64_i32 v[58:59], null, v58, s1, 0
	v_add_co_ci_u32_e64 v61, null, v61, v79, vcc_lo
	v_min3_f32 v62, v127, v63, v62
	s_mov_b32 s6, -1
	v_lshlrev_b64 v[56:57], 2, v[56:57]
	global_store_dword v[60:61], v128, off
	v_lshlrev_b64 v[58:59], 2, v[58:59]
	v_max_f32_e32 v60, v62, v62
	v_add_co_u32 v56, vcc_lo, s4, v56
	v_add_co_ci_u32_e64 v57, null, s5, v57, vcc_lo
	v_add_co_u32 v58, vcc_lo, s8, v58
	v_add_co_ci_u32_e64 v59, null, s9, v59, vcc_lo
	s_mov_b32 vcc_lo, s0
	s_cbranch_vccz .LBB72_80
; %bb.79:
	v_add_co_u32 v61, vcc_lo, v56, v66
	v_min_f32_e32 v63, 0, v60
	v_add_co_ci_u32_e64 v62, null, v57, v67, vcc_lo
	s_mov_b32 s6, 0
	global_store_dword v[61:62], v63, off
.LBB72_80:
	v_mov_b32_e32 v61, 0
	s_andn2_b32 vcc_lo, exec_lo, s6
	s_cbranch_vccnz .LBB72_82
; %bb.81:
	v_add_co_u32 v61, vcc_lo, v58, v66
	v_add_co_ci_u32_e64 v62, null, v59, v67, vcc_lo
	global_load_dword v61, v[61:62], off
	s_waitcnt vmcnt(0)
	v_mul_f32_e32 v63, s3, v61
	v_add_co_u32 v61, vcc_lo, v56, v66
	v_add_co_ci_u32_e64 v62, null, v57, v67, vcc_lo
	v_add_co_u32 v127, vcc_lo, v58, v64
	v_min_f32_e32 v60, v63, v60
	v_add_co_ci_u32_e64 v128, null, v59, v65, vcc_lo
	global_store_dword v[61:62], v60, off
	global_load_dword v60, v[127:128], off
	s_waitcnt vmcnt(0)
	v_mul_f32_e32 v61, s3, v60
.LBB72_82:
	v_add_f32_e32 v60, v29, v53
	v_add_f32_e32 v62, v28, v52
	v_add_f32_e32 v63, v31, v55
	v_add_f32_e32 v127, v30, v54
	v_add_f32_e32 v128, v25, v53
	v_add_f32_e32 v129, v24, v52
	v_min3_f32 v60, v62, v60, v126
	v_add_f32_e32 v126, v26, v54
	v_min_f32_e32 v62, v127, v63
	s_mov_b32 s6, -1
	v_min3_f32 v63, v129, v128, v125
	v_add_f32_e32 v125, v27, v55
	v_min3_f32 v62, v61, v62, v60
	v_add_co_u32 v60, vcc_lo, v56, v64
	v_add_co_ci_u32_e64 v61, null, v57, v65, vcc_lo
	v_min3_f32 v63, v126, v125, v63
	s_mov_b32 vcc_lo, s0
	global_store_dword v[60:61], v62, off
	v_max_f32_e32 v60, v63, v63
	s_cbranch_vccz .LBB72_84
; %bb.83:
	v_add_co_u32 v61, vcc_lo, v56, v70
	v_min_f32_e32 v63, 0, v60
	v_add_co_ci_u32_e64 v62, null, v57, v71, vcc_lo
	s_mov_b32 s6, 0
	global_store_dword v[61:62], v63, off
.LBB72_84:
	v_mov_b32_e32 v61, 0
	s_andn2_b32 vcc_lo, exec_lo, s6
	s_cbranch_vccnz .LBB72_86
; %bb.85:
	v_add_co_u32 v61, vcc_lo, v58, v70
	v_add_co_ci_u32_e64 v62, null, v59, v71, vcc_lo
	global_load_dword v61, v[61:62], off
	s_waitcnt vmcnt(0)
	v_mul_f32_e32 v63, s3, v61
	v_add_co_u32 v61, vcc_lo, v56, v70
	v_add_co_ci_u32_e64 v62, null, v57, v71, vcc_lo
	v_add_co_u32 v125, vcc_lo, v58, v68
	v_min_f32_e32 v60, v63, v60
	v_add_co_ci_u32_e64 v126, null, v59, v69, vcc_lo
	global_store_dword v[61:62], v60, off
	global_load_dword v60, v[125:126], off
	s_waitcnt vmcnt(0)
	v_mul_f32_e32 v61, s3, v60
.LBB72_86:
	v_add_f32_e32 v60, v21, v53
	v_add_f32_e32 v62, v20, v52
	v_add_f32_e32 v63, v23, v55
	v_add_f32_e32 v125, v22, v54
	v_add_f32_e32 v126, v17, v53
	v_add_f32_e32 v127, v16, v52
	v_min3_f32 v60, v62, v60, v123
	v_add_f32_e32 v123, v19, v55
	v_min_f32_e32 v62, v125, v63
	s_mov_b32 s6, -1
	v_min3_f32 v63, v127, v126, v124
	v_add_f32_e32 v124, v18, v54
	v_min3_f32 v62, v61, v62, v60
	v_add_co_u32 v60, vcc_lo, v56, v68
	v_add_co_ci_u32_e64 v61, null, v57, v69, vcc_lo
	v_min3_f32 v63, v124, v123, v63
	s_mov_b32 vcc_lo, s0
	global_store_dword v[60:61], v62, off
	v_max_f32_e32 v60, v63, v63
	;; [unrolled: 46-line block ×3, first 2 shown]
	s_cbranch_vccz .LBB72_92
; %bb.91:
	v_add_co_u32 v61, vcc_lo, v56, v76
	v_min_f32_e32 v63, 0, v60
	v_add_co_ci_u32_e64 v62, null, v57, v77, vcc_lo
	s_mov_b32 s6, 0
	global_store_dword v[61:62], v63, off
.LBB72_92:
	v_mov_b32_e32 v61, 0
	s_andn2_b32 vcc_lo, exec_lo, s6
	s_cbranch_vccnz .LBB72_94
; %bb.93:
	v_add_co_u32 v61, vcc_lo, v58, v76
	v_add_co_ci_u32_e64 v62, null, v59, v77, vcc_lo
	global_load_dword v61, v[61:62], off
	s_waitcnt vmcnt(0)
	v_mul_f32_e32 v63, s3, v61
	v_add_co_u32 v61, vcc_lo, v56, v76
	v_add_co_ci_u32_e64 v62, null, v57, v77, vcc_lo
	v_add_co_u32 v58, vcc_lo, v58, v78
	v_min_f32_e32 v60, v63, v60
	v_add_co_ci_u32_e64 v59, null, v59, v79, vcc_lo
	global_store_dword v[61:62], v60, off
	global_load_dword v58, v[58:59], off
	s_waitcnt vmcnt(0)
	v_mul_f32_e32 v61, s3, v58
.LBB72_94:
	v_add_f32_e32 v53, v1, v53
	v_add_f32_e32 v52, v0, v52
	;; [unrolled: 1-line block ×6, first 2 shown]
	v_min3_f32 v52, v52, v53, v119
	v_add_f32_e32 v60, v34, v50
	v_min_f32_e32 v53, v54, v55
	v_add_nc_u32_e32 v54, 0x60, v138
	v_min3_f32 v58, v59, v58, v120
	v_add_f32_e32 v59, v35, v51
	v_add_co_u32 v56, vcc_lo, v56, v78
	v_min3_f32 v61, v61, v53, v52
	v_mad_i64_i32 v[52:53], null, v54, s2, 0
	v_mad_i64_i32 v[54:55], null, v54, s1, 0
	v_add_co_ci_u32_e64 v57, null, v57, v79, vcc_lo
	v_min3_f32 v58, v60, v59, v58
	s_mov_b32 s6, -1
	v_lshlrev_b64 v[52:53], 2, v[52:53]
	global_store_dword v[56:57], v61, off
	v_lshlrev_b64 v[54:55], 2, v[54:55]
	v_max_f32_e32 v56, v58, v58
	v_add_co_u32 v52, vcc_lo, s4, v52
	v_add_co_ci_u32_e64 v53, null, s5, v53, vcc_lo
	v_add_co_u32 v54, vcc_lo, s8, v54
	v_add_co_ci_u32_e64 v55, null, s9, v55, vcc_lo
	s_mov_b32 vcc_lo, s0
	s_cbranch_vccz .LBB72_96
; %bb.95:
	v_add_co_u32 v57, vcc_lo, v52, v66
	v_min_f32_e32 v59, 0, v56
	v_add_co_ci_u32_e64 v58, null, v53, v67, vcc_lo
	s_mov_b32 s6, 0
	global_store_dword v[57:58], v59, off
.LBB72_96:
	v_mov_b32_e32 v57, 0
	s_andn2_b32 vcc_lo, exec_lo, s6
	s_cbranch_vccnz .LBB72_98
; %bb.97:
	v_add_co_u32 v57, vcc_lo, v54, v66
	v_add_co_ci_u32_e64 v58, null, v55, v67, vcc_lo
	global_load_dword v57, v[57:58], off
	s_waitcnt vmcnt(0)
	v_mul_f32_e32 v59, s3, v57
	v_add_co_u32 v57, vcc_lo, v52, v66
	v_add_co_ci_u32_e64 v58, null, v53, v67, vcc_lo
	v_min_f32_e32 v56, v59, v56
	v_add_co_u32 v59, vcc_lo, v54, v64
	v_add_co_ci_u32_e64 v60, null, v55, v65, vcc_lo
	global_store_dword v[57:58], v56, off
	global_load_dword v56, v[59:60], off
	s_waitcnt vmcnt(0)
	v_mul_f32_e32 v57, s3, v56
.LBB72_98:
	v_add_f32_e32 v56, v29, v49
	v_add_f32_e32 v58, v28, v48
	v_add_f32_e32 v59, v31, v51
	v_add_f32_e32 v60, v30, v50
	v_add_f32_e32 v61, v25, v49
	v_add_f32_e32 v62, v24, v48
	v_min3_f32 v56, v58, v56, v117
	s_mov_b32 s6, -1
	v_min_f32_e32 v58, v60, v59
	v_add_f32_e32 v60, v27, v51
	v_min3_f32 v59, v62, v61, v118
	v_add_f32_e32 v61, v26, v50
	v_min3_f32 v58, v57, v58, v56
	v_add_co_u32 v56, vcc_lo, v52, v64
	v_add_co_ci_u32_e64 v57, null, v53, v65, vcc_lo
	v_min3_f32 v59, v61, v60, v59
	s_mov_b32 vcc_lo, s0
	global_store_dword v[56:57], v58, off
	v_max_f32_e32 v56, v59, v59
	s_cbranch_vccz .LBB72_100
; %bb.99:
	v_add_co_u32 v57, vcc_lo, v52, v70
	v_min_f32_e32 v59, 0, v56
	v_add_co_ci_u32_e64 v58, null, v53, v71, vcc_lo
	s_mov_b32 s6, 0
	global_store_dword v[57:58], v59, off
.LBB72_100:
	v_mov_b32_e32 v57, 0
	s_andn2_b32 vcc_lo, exec_lo, s6
	s_cbranch_vccnz .LBB72_102
; %bb.101:
	v_add_co_u32 v57, vcc_lo, v54, v70
	v_add_co_ci_u32_e64 v58, null, v55, v71, vcc_lo
	global_load_dword v57, v[57:58], off
	s_waitcnt vmcnt(0)
	v_mul_f32_e32 v59, s3, v57
	v_add_co_u32 v57, vcc_lo, v52, v70
	v_add_co_ci_u32_e64 v58, null, v53, v71, vcc_lo
	v_min_f32_e32 v56, v59, v56
	v_add_co_u32 v59, vcc_lo, v54, v68
	v_add_co_ci_u32_e64 v60, null, v55, v69, vcc_lo
	global_store_dword v[57:58], v56, off
	global_load_dword v56, v[59:60], off
	s_waitcnt vmcnt(0)
	v_mul_f32_e32 v57, s3, v56
.LBB72_102:
	v_add_f32_e32 v56, v21, v49
	v_add_f32_e32 v58, v20, v48
	v_add_f32_e32 v59, v23, v51
	v_add_f32_e32 v60, v22, v50
	v_add_f32_e32 v61, v17, v49
	v_add_f32_e32 v62, v16, v48
	v_min3_f32 v56, v58, v56, v116
	s_mov_b32 s6, -1
	v_min_f32_e32 v58, v60, v59
	v_add_f32_e32 v60, v19, v51
	v_min3_f32 v59, v62, v61, v115
	v_add_f32_e32 v61, v18, v50
	v_min3_f32 v58, v57, v58, v56
	v_add_co_u32 v56, vcc_lo, v52, v68
	v_add_co_ci_u32_e64 v57, null, v53, v69, vcc_lo
	v_min3_f32 v59, v61, v60, v59
	s_mov_b32 vcc_lo, s0
	global_store_dword v[56:57], v58, off
	v_max_f32_e32 v56, v59, v59
	;; [unrolled: 46-line block ×3, first 2 shown]
	s_cbranch_vccz .LBB72_108
; %bb.107:
	v_add_co_u32 v57, vcc_lo, v52, v76
	v_min_f32_e32 v59, 0, v56
	v_add_co_ci_u32_e64 v58, null, v53, v77, vcc_lo
	s_mov_b32 s6, 0
	global_store_dword v[57:58], v59, off
.LBB72_108:
	v_mov_b32_e32 v57, 0
	s_andn2_b32 vcc_lo, exec_lo, s6
	s_cbranch_vccnz .LBB72_110
; %bb.109:
	v_add_co_u32 v57, vcc_lo, v54, v76
	v_add_co_ci_u32_e64 v58, null, v55, v77, vcc_lo
	global_load_dword v57, v[57:58], off
	s_waitcnt vmcnt(0)
	v_mul_f32_e32 v59, s3, v57
	v_add_co_u32 v57, vcc_lo, v52, v76
	v_add_co_ci_u32_e64 v58, null, v53, v77, vcc_lo
	v_add_co_u32 v54, vcc_lo, v54, v78
	v_min_f32_e32 v56, v59, v56
	v_add_co_ci_u32_e64 v55, null, v55, v79, vcc_lo
	global_store_dword v[57:58], v56, off
	global_load_dword v54, v[54:55], off
	s_waitcnt vmcnt(0)
	v_mul_f32_e32 v57, s3, v54
.LBB72_110:
	v_add_f32_e32 v49, v1, v49
	v_add_f32_e32 v48, v0, v48
	;; [unrolled: 1-line block ×6, first 2 shown]
	v_min3_f32 v48, v48, v49, v111
	v_add_f32_e32 v56, v34, v46
	v_min_f32_e32 v49, v50, v51
	v_add_nc_u32_e32 v50, 0x80, v138
	v_min3_f32 v54, v55, v54, v112
	v_add_f32_e32 v55, v35, v47
	v_add_co_u32 v52, vcc_lo, v52, v78
	v_min3_f32 v57, v57, v49, v48
	v_mad_i64_i32 v[48:49], null, v50, s2, 0
	v_mad_i64_i32 v[50:51], null, v50, s1, 0
	v_add_co_ci_u32_e64 v53, null, v53, v79, vcc_lo
	v_min3_f32 v54, v56, v55, v54
	s_mov_b32 s6, -1
	v_lshlrev_b64 v[48:49], 2, v[48:49]
	global_store_dword v[52:53], v57, off
	v_lshlrev_b64 v[50:51], 2, v[50:51]
	v_max_f32_e32 v52, v54, v54
	v_add_co_u32 v48, vcc_lo, s4, v48
	v_add_co_ci_u32_e64 v49, null, s5, v49, vcc_lo
	v_add_co_u32 v50, vcc_lo, s8, v50
	v_add_co_ci_u32_e64 v51, null, s9, v51, vcc_lo
	s_mov_b32 vcc_lo, s0
	s_cbranch_vccz .LBB72_112
; %bb.111:
	v_add_co_u32 v53, vcc_lo, v48, v66
	v_min_f32_e32 v55, 0, v52
	v_add_co_ci_u32_e64 v54, null, v49, v67, vcc_lo
	s_mov_b32 s6, 0
	global_store_dword v[53:54], v55, off
.LBB72_112:
	v_mov_b32_e32 v53, 0
	s_andn2_b32 vcc_lo, exec_lo, s6
	s_cbranch_vccnz .LBB72_114
; %bb.113:
	v_add_co_u32 v53, vcc_lo, v50, v66
	v_add_co_ci_u32_e64 v54, null, v51, v67, vcc_lo
	global_load_dword v53, v[53:54], off
	s_waitcnt vmcnt(0)
	v_mul_f32_e32 v55, s3, v53
	v_add_co_u32 v53, vcc_lo, v48, v66
	v_add_co_ci_u32_e64 v54, null, v49, v67, vcc_lo
	v_min_f32_e32 v52, v55, v52
	v_add_co_u32 v55, vcc_lo, v50, v64
	v_add_co_ci_u32_e64 v56, null, v51, v65, vcc_lo
	global_store_dword v[53:54], v52, off
	global_load_dword v52, v[55:56], off
	s_waitcnt vmcnt(0)
	v_mul_f32_e32 v53, s3, v52
.LBB72_114:
	v_add_f32_e32 v52, v29, v45
	v_add_f32_e32 v54, v28, v44
	v_add_f32_e32 v55, v31, v47
	v_add_f32_e32 v56, v30, v46
	v_add_f32_e32 v57, v25, v45
	v_add_f32_e32 v58, v24, v44
	v_min3_f32 v52, v54, v52, v109
	s_mov_b32 s6, -1
	v_min_f32_e32 v54, v56, v55
	v_add_f32_e32 v56, v27, v47
	v_min3_f32 v55, v58, v57, v110
	v_add_f32_e32 v57, v26, v46
	v_min3_f32 v54, v53, v54, v52
	v_add_co_u32 v52, vcc_lo, v48, v64
	v_add_co_ci_u32_e64 v53, null, v49, v65, vcc_lo
	v_min3_f32 v55, v57, v56, v55
	s_mov_b32 vcc_lo, s0
	global_store_dword v[52:53], v54, off
	v_max_f32_e32 v52, v55, v55
	s_cbranch_vccz .LBB72_116
; %bb.115:
	v_add_co_u32 v53, vcc_lo, v48, v70
	v_min_f32_e32 v55, 0, v52
	v_add_co_ci_u32_e64 v54, null, v49, v71, vcc_lo
	s_mov_b32 s6, 0
	global_store_dword v[53:54], v55, off
.LBB72_116:
	v_mov_b32_e32 v53, 0
	s_andn2_b32 vcc_lo, exec_lo, s6
	s_cbranch_vccnz .LBB72_118
; %bb.117:
	v_add_co_u32 v53, vcc_lo, v50, v70
	v_add_co_ci_u32_e64 v54, null, v51, v71, vcc_lo
	global_load_dword v53, v[53:54], off
	s_waitcnt vmcnt(0)
	v_mul_f32_e32 v55, s3, v53
	v_add_co_u32 v53, vcc_lo, v48, v70
	v_add_co_ci_u32_e64 v54, null, v49, v71, vcc_lo
	v_min_f32_e32 v52, v55, v52
	v_add_co_u32 v55, vcc_lo, v50, v68
	v_add_co_ci_u32_e64 v56, null, v51, v69, vcc_lo
	global_store_dword v[53:54], v52, off
	global_load_dword v52, v[55:56], off
	s_waitcnt vmcnt(0)
	v_mul_f32_e32 v53, s3, v52
.LBB72_118:
	v_add_f32_e32 v52, v21, v45
	v_add_f32_e32 v54, v20, v44
	v_add_f32_e32 v55, v23, v47
	v_add_f32_e32 v56, v22, v46
	v_add_f32_e32 v57, v17, v45
	v_add_f32_e32 v58, v16, v44
	v_min3_f32 v52, v54, v52, v107
	s_mov_b32 s6, -1
	v_min_f32_e32 v54, v56, v55
	v_add_f32_e32 v56, v19, v47
	v_min3_f32 v55, v58, v57, v108
	v_add_f32_e32 v57, v18, v46
	v_min3_f32 v54, v53, v54, v52
	v_add_co_u32 v52, vcc_lo, v48, v68
	v_add_co_ci_u32_e64 v53, null, v49, v69, vcc_lo
	v_min3_f32 v55, v57, v56, v55
	s_mov_b32 vcc_lo, s0
	global_store_dword v[52:53], v54, off
	v_max_f32_e32 v52, v55, v55
	;; [unrolled: 46-line block ×3, first 2 shown]
	s_cbranch_vccz .LBB72_124
; %bb.123:
	v_add_co_u32 v53, vcc_lo, v48, v76
	v_min_f32_e32 v55, 0, v52
	v_add_co_ci_u32_e64 v54, null, v49, v77, vcc_lo
	s_mov_b32 s6, 0
	global_store_dword v[53:54], v55, off
.LBB72_124:
	v_mov_b32_e32 v53, 0
	s_andn2_b32 vcc_lo, exec_lo, s6
	s_cbranch_vccnz .LBB72_126
; %bb.125:
	v_add_co_u32 v53, vcc_lo, v50, v76
	v_add_co_ci_u32_e64 v54, null, v51, v77, vcc_lo
	global_load_dword v53, v[53:54], off
	s_waitcnt vmcnt(0)
	v_mul_f32_e32 v55, s3, v53
	v_add_co_u32 v53, vcc_lo, v48, v76
	v_add_co_ci_u32_e64 v54, null, v49, v77, vcc_lo
	v_add_co_u32 v50, vcc_lo, v50, v78
	v_min_f32_e32 v52, v55, v52
	v_add_co_ci_u32_e64 v51, null, v51, v79, vcc_lo
	global_store_dword v[53:54], v52, off
	global_load_dword v50, v[50:51], off
	s_waitcnt vmcnt(0)
	v_mul_f32_e32 v53, s3, v50
.LBB72_126:
	v_add_f32_e32 v45, v1, v45
	v_add_f32_e32 v44, v0, v44
	;; [unrolled: 1-line block ×6, first 2 shown]
	v_min3_f32 v44, v44, v45, v103
	v_add_f32_e32 v52, v34, v42
	v_min_f32_e32 v45, v46, v47
	v_add_nc_u32_e32 v46, 0xa0, v138
	v_min3_f32 v50, v51, v50, v104
	v_add_f32_e32 v51, v35, v43
	v_add_co_u32 v48, vcc_lo, v48, v78
	v_min3_f32 v53, v53, v45, v44
	v_mad_i64_i32 v[44:45], null, v46, s2, 0
	v_mad_i64_i32 v[46:47], null, v46, s1, 0
	v_add_co_ci_u32_e64 v49, null, v49, v79, vcc_lo
	v_min3_f32 v50, v52, v51, v50
	s_mov_b32 s6, -1
	v_lshlrev_b64 v[44:45], 2, v[44:45]
	global_store_dword v[48:49], v53, off
	v_lshlrev_b64 v[46:47], 2, v[46:47]
	v_max_f32_e32 v48, v50, v50
	v_add_co_u32 v44, vcc_lo, s4, v44
	v_add_co_ci_u32_e64 v45, null, s5, v45, vcc_lo
	v_add_co_u32 v46, vcc_lo, s8, v46
	v_add_co_ci_u32_e64 v47, null, s9, v47, vcc_lo
	s_mov_b32 vcc_lo, s0
	s_cbranch_vccz .LBB72_128
; %bb.127:
	v_add_co_u32 v49, vcc_lo, v44, v66
	v_min_f32_e32 v51, 0, v48
	v_add_co_ci_u32_e64 v50, null, v45, v67, vcc_lo
	s_mov_b32 s6, 0
	global_store_dword v[49:50], v51, off
.LBB72_128:
	v_mov_b32_e32 v49, 0
	s_andn2_b32 vcc_lo, exec_lo, s6
	s_cbranch_vccnz .LBB72_130
; %bb.129:
	v_add_co_u32 v49, vcc_lo, v46, v66
	v_add_co_ci_u32_e64 v50, null, v47, v67, vcc_lo
	global_load_dword v49, v[49:50], off
	s_waitcnt vmcnt(0)
	v_mul_f32_e32 v51, s3, v49
	v_add_co_u32 v49, vcc_lo, v44, v66
	v_add_co_ci_u32_e64 v50, null, v45, v67, vcc_lo
	v_min_f32_e32 v48, v51, v48
	v_add_co_u32 v51, vcc_lo, v46, v64
	v_add_co_ci_u32_e64 v52, null, v47, v65, vcc_lo
	global_store_dword v[49:50], v48, off
	global_load_dword v48, v[51:52], off
	s_waitcnt vmcnt(0)
	v_mul_f32_e32 v49, s3, v48
.LBB72_130:
	v_add_f32_e32 v48, v29, v41
	v_add_f32_e32 v50, v28, v40
	v_add_f32_e32 v51, v31, v43
	v_add_f32_e32 v52, v30, v42
	v_add_f32_e32 v53, v25, v41
	v_add_f32_e32 v54, v24, v40
	v_min3_f32 v48, v50, v48, v101
	s_mov_b32 s6, -1
	v_min_f32_e32 v50, v52, v51
	v_add_f32_e32 v52, v27, v43
	v_min3_f32 v51, v54, v53, v102
	v_add_f32_e32 v53, v26, v42
	v_min3_f32 v50, v49, v50, v48
	v_add_co_u32 v48, vcc_lo, v44, v64
	v_add_co_ci_u32_e64 v49, null, v45, v65, vcc_lo
	v_min3_f32 v51, v53, v52, v51
	s_mov_b32 vcc_lo, s0
	global_store_dword v[48:49], v50, off
	v_max_f32_e32 v48, v51, v51
	s_cbranch_vccz .LBB72_132
; %bb.131:
	v_add_co_u32 v49, vcc_lo, v44, v70
	v_min_f32_e32 v51, 0, v48
	v_add_co_ci_u32_e64 v50, null, v45, v71, vcc_lo
	s_mov_b32 s6, 0
	global_store_dword v[49:50], v51, off
.LBB72_132:
	v_mov_b32_e32 v49, 0
	s_andn2_b32 vcc_lo, exec_lo, s6
	s_cbranch_vccnz .LBB72_134
; %bb.133:
	v_add_co_u32 v49, vcc_lo, v46, v70
	v_add_co_ci_u32_e64 v50, null, v47, v71, vcc_lo
	global_load_dword v49, v[49:50], off
	s_waitcnt vmcnt(0)
	v_mul_f32_e32 v51, s3, v49
	v_add_co_u32 v49, vcc_lo, v44, v70
	v_add_co_ci_u32_e64 v50, null, v45, v71, vcc_lo
	v_min_f32_e32 v48, v51, v48
	v_add_co_u32 v51, vcc_lo, v46, v68
	v_add_co_ci_u32_e64 v52, null, v47, v69, vcc_lo
	global_store_dword v[49:50], v48, off
	global_load_dword v48, v[51:52], off
	s_waitcnt vmcnt(0)
	v_mul_f32_e32 v49, s3, v48
.LBB72_134:
	v_add_f32_e32 v48, v21, v41
	v_add_f32_e32 v50, v20, v40
	v_add_f32_e32 v51, v23, v43
	v_add_f32_e32 v52, v22, v42
	v_add_f32_e32 v53, v17, v41
	v_add_f32_e32 v54, v16, v40
	v_min3_f32 v48, v50, v48, v99
	s_mov_b32 s6, -1
	v_min_f32_e32 v50, v52, v51
	v_add_f32_e32 v52, v19, v43
	v_min3_f32 v51, v54, v53, v100
	v_add_f32_e32 v53, v18, v42
	v_min3_f32 v50, v49, v50, v48
	v_add_co_u32 v48, vcc_lo, v44, v68
	v_add_co_ci_u32_e64 v49, null, v45, v69, vcc_lo
	v_min3_f32 v51, v53, v52, v51
	s_mov_b32 vcc_lo, s0
	global_store_dword v[48:49], v50, off
	v_max_f32_e32 v48, v51, v51
	;; [unrolled: 46-line block ×3, first 2 shown]
	s_cbranch_vccz .LBB72_140
; %bb.139:
	v_add_co_u32 v49, vcc_lo, v44, v76
	v_min_f32_e32 v51, 0, v48
	v_add_co_ci_u32_e64 v50, null, v45, v77, vcc_lo
	s_mov_b32 s6, 0
	global_store_dword v[49:50], v51, off
.LBB72_140:
	v_mov_b32_e32 v49, 0
	s_andn2_b32 vcc_lo, exec_lo, s6
	s_cbranch_vccnz .LBB72_142
; %bb.141:
	v_add_co_u32 v49, vcc_lo, v46, v76
	v_add_co_ci_u32_e64 v50, null, v47, v77, vcc_lo
	global_load_dword v49, v[49:50], off
	s_waitcnt vmcnt(0)
	v_mul_f32_e32 v51, s3, v49
	v_add_co_u32 v49, vcc_lo, v44, v76
	v_add_co_ci_u32_e64 v50, null, v45, v77, vcc_lo
	v_add_co_u32 v46, vcc_lo, v46, v78
	v_min_f32_e32 v48, v51, v48
	v_add_co_ci_u32_e64 v47, null, v47, v79, vcc_lo
	global_store_dword v[49:50], v48, off
	global_load_dword v46, v[46:47], off
	s_waitcnt vmcnt(0)
	v_mul_f32_e32 v49, s3, v46
.LBB72_142:
	v_add_f32_e32 v41, v1, v41
	v_add_f32_e32 v40, v0, v40
	;; [unrolled: 1-line block ×6, first 2 shown]
	v_min3_f32 v40, v40, v41, v95
	v_add_f32_e32 v48, v34, v38
	v_min_f32_e32 v41, v42, v43
	v_add_nc_u32_e32 v42, 0xc0, v138
	v_min3_f32 v46, v47, v46, v96
	v_add_f32_e32 v47, v35, v39
	v_add_co_u32 v44, vcc_lo, v44, v78
	v_min3_f32 v49, v49, v41, v40
	v_mad_i64_i32 v[40:41], null, v42, s2, 0
	v_mad_i64_i32 v[42:43], null, v42, s1, 0
	v_add_co_ci_u32_e64 v45, null, v45, v79, vcc_lo
	v_min3_f32 v46, v48, v47, v46
	s_mov_b32 s6, -1
	v_lshlrev_b64 v[40:41], 2, v[40:41]
	global_store_dword v[44:45], v49, off
	v_lshlrev_b64 v[42:43], 2, v[42:43]
	v_max_f32_e32 v44, v46, v46
	v_add_co_u32 v40, vcc_lo, s4, v40
	v_add_co_ci_u32_e64 v41, null, s5, v41, vcc_lo
	v_add_co_u32 v42, vcc_lo, s8, v42
	v_add_co_ci_u32_e64 v43, null, s9, v43, vcc_lo
	s_mov_b32 vcc_lo, s0
	s_cbranch_vccz .LBB72_144
; %bb.143:
	v_add_co_u32 v45, vcc_lo, v40, v66
	v_min_f32_e32 v47, 0, v44
	v_add_co_ci_u32_e64 v46, null, v41, v67, vcc_lo
	s_mov_b32 s6, 0
	global_store_dword v[45:46], v47, off
.LBB72_144:
	v_mov_b32_e32 v45, 0
	s_andn2_b32 vcc_lo, exec_lo, s6
	s_cbranch_vccnz .LBB72_146
; %bb.145:
	v_add_co_u32 v45, vcc_lo, v42, v66
	v_add_co_ci_u32_e64 v46, null, v43, v67, vcc_lo
	global_load_dword v45, v[45:46], off
	s_waitcnt vmcnt(0)
	v_mul_f32_e32 v47, s3, v45
	v_add_co_u32 v45, vcc_lo, v40, v66
	v_add_co_ci_u32_e64 v46, null, v41, v67, vcc_lo
	v_min_f32_e32 v44, v47, v44
	v_add_co_u32 v47, vcc_lo, v42, v64
	v_add_co_ci_u32_e64 v48, null, v43, v65, vcc_lo
	global_store_dword v[45:46], v44, off
	global_load_dword v44, v[47:48], off
	s_waitcnt vmcnt(0)
	v_mul_f32_e32 v45, s3, v44
.LBB72_146:
	v_add_f32_e32 v44, v29, v37
	v_add_f32_e32 v46, v28, v36
	v_add_f32_e32 v47, v31, v39
	v_add_f32_e32 v48, v30, v38
	v_add_f32_e32 v49, v25, v37
	v_add_f32_e32 v50, v24, v36
	v_min3_f32 v44, v46, v44, v93
	s_mov_b32 s6, -1
	v_min_f32_e32 v46, v48, v47
	v_add_f32_e32 v48, v27, v39
	v_min3_f32 v47, v50, v49, v94
	v_add_f32_e32 v49, v26, v38
	v_min3_f32 v46, v45, v46, v44
	v_add_co_u32 v44, vcc_lo, v40, v64
	v_add_co_ci_u32_e64 v45, null, v41, v65, vcc_lo
	v_min3_f32 v47, v49, v48, v47
	s_mov_b32 vcc_lo, s0
	global_store_dword v[44:45], v46, off
	v_max_f32_e32 v44, v47, v47
	s_cbranch_vccz .LBB72_148
; %bb.147:
	v_add_co_u32 v45, vcc_lo, v40, v70
	v_min_f32_e32 v47, 0, v44
	v_add_co_ci_u32_e64 v46, null, v41, v71, vcc_lo
	s_mov_b32 s6, 0
	global_store_dword v[45:46], v47, off
.LBB72_148:
	v_mov_b32_e32 v45, 0
	s_andn2_b32 vcc_lo, exec_lo, s6
	s_cbranch_vccnz .LBB72_150
; %bb.149:
	v_add_co_u32 v45, vcc_lo, v42, v70
	v_add_co_ci_u32_e64 v46, null, v43, v71, vcc_lo
	global_load_dword v45, v[45:46], off
	s_waitcnt vmcnt(0)
	v_mul_f32_e32 v47, s3, v45
	v_add_co_u32 v45, vcc_lo, v40, v70
	v_add_co_ci_u32_e64 v46, null, v41, v71, vcc_lo
	v_min_f32_e32 v44, v47, v44
	v_add_co_u32 v47, vcc_lo, v42, v68
	v_add_co_ci_u32_e64 v48, null, v43, v69, vcc_lo
	global_store_dword v[45:46], v44, off
	global_load_dword v44, v[47:48], off
	s_waitcnt vmcnt(0)
	v_mul_f32_e32 v45, s3, v44
.LBB72_150:
	v_add_f32_e32 v44, v21, v37
	v_add_f32_e32 v46, v20, v36
	v_add_f32_e32 v47, v23, v39
	v_add_f32_e32 v48, v22, v38
	v_add_f32_e32 v49, v17, v37
	v_add_f32_e32 v50, v16, v36
	v_min3_f32 v44, v46, v44, v91
	s_mov_b32 s6, -1
	v_min_f32_e32 v46, v48, v47
	v_add_f32_e32 v48, v19, v39
	v_min3_f32 v47, v50, v49, v92
	v_add_f32_e32 v49, v18, v38
	v_min3_f32 v46, v45, v46, v44
	v_add_co_u32 v44, vcc_lo, v40, v68
	v_add_co_ci_u32_e64 v45, null, v41, v69, vcc_lo
	v_min3_f32 v47, v49, v48, v47
	s_mov_b32 vcc_lo, s0
	global_store_dword v[44:45], v46, off
	v_max_f32_e32 v44, v47, v47
	;; [unrolled: 46-line block ×3, first 2 shown]
	s_cbranch_vccz .LBB72_156
; %bb.155:
	v_add_co_u32 v45, vcc_lo, v40, v76
	v_min_f32_e32 v47, 0, v44
	v_add_co_ci_u32_e64 v46, null, v41, v77, vcc_lo
	s_mov_b32 s6, 0
	global_store_dword v[45:46], v47, off
.LBB72_156:
	v_mov_b32_e32 v45, 0
	s_andn2_b32 vcc_lo, exec_lo, s6
	s_cbranch_vccnz .LBB72_158
; %bb.157:
	v_add_co_u32 v45, vcc_lo, v42, v76
	v_add_co_ci_u32_e64 v46, null, v43, v77, vcc_lo
	global_load_dword v45, v[45:46], off
	s_waitcnt vmcnt(0)
	v_mul_f32_e32 v47, s3, v45
	v_add_co_u32 v45, vcc_lo, v40, v76
	v_add_co_ci_u32_e64 v46, null, v41, v77, vcc_lo
	v_add_co_u32 v42, vcc_lo, v42, v78
	v_min_f32_e32 v44, v47, v44
	v_add_co_ci_u32_e64 v43, null, v43, v79, vcc_lo
	global_store_dword v[45:46], v44, off
	global_load_dword v42, v[42:43], off
	s_waitcnt vmcnt(0)
	v_mul_f32_e32 v45, s3, v42
.LBB72_158:
	v_add_f32_e32 v37, v1, v37
	v_add_f32_e32 v36, v0, v36
	;; [unrolled: 1-line block ×4, first 2 shown]
	s_waitcnt lgkmcnt(0)
	v_add_f32_e32 v33, v33, v5
	v_add_f32_e32 v32, v32, v4
	v_min3_f32 v36, v36, v37, v87
	v_add_f32_e32 v42, v35, v7
	v_min_f32_e32 v37, v38, v39
	v_add_nc_u32_e32 v39, 0xe0, v138
	v_min3_f32 v38, v32, v33, v88
	v_add_f32_e32 v43, v34, v6
	v_min3_f32 v44, v45, v37, v36
	v_mad_i64_i32 v[32:33], null, v39, s2, 0
	v_mad_i64_i32 v[34:35], null, v39, s1, 0
	v_add_co_u32 v36, vcc_lo, v40, v78
	v_add_co_ci_u32_e64 v37, null, v41, v79, vcc_lo
	v_lshlrev_b64 v[32:33], 2, v[32:33]
	v_min3_f32 v38, v43, v42, v38
	v_lshlrev_b64 v[34:35], 2, v[34:35]
	global_store_dword v[36:37], v44, off
	s_mov_b32 s1, -1
	v_add_co_u32 v32, vcc_lo, s4, v32
	v_add_co_ci_u32_e64 v33, null, s5, v33, vcc_lo
	v_add_co_u32 v34, vcc_lo, s8, v34
	v_add_co_ci_u32_e64 v35, null, s9, v35, vcc_lo
	v_max_f32_e32 v36, v38, v38
	s_mov_b32 vcc_lo, s0
	s_cbranch_vccz .LBB72_160
; %bb.159:
	v_add_co_u32 v37, vcc_lo, v32, v66
	v_min_f32_e32 v39, 0, v36
	v_add_co_ci_u32_e64 v38, null, v33, v67, vcc_lo
	s_mov_b32 s1, 0
	global_store_dword v[37:38], v39, off
.LBB72_160:
	v_mov_b32_e32 v37, 0
	s_andn2_b32 vcc_lo, exec_lo, s1
	s_cbranch_vccnz .LBB72_162
; %bb.161:
	v_add_co_u32 v37, vcc_lo, v34, v66
	v_add_co_ci_u32_e64 v38, null, v35, v67, vcc_lo
	global_load_dword v37, v[37:38], off
	s_waitcnt vmcnt(0)
	v_mul_f32_e32 v39, s3, v37
	v_add_co_u32 v37, vcc_lo, v32, v66
	v_add_co_ci_u32_e64 v38, null, v33, v67, vcc_lo
	v_min_f32_e32 v36, v39, v36
	v_add_co_u32 v39, vcc_lo, v34, v64
	v_add_co_ci_u32_e64 v40, null, v35, v65, vcc_lo
	global_store_dword v[37:38], v36, off
	global_load_dword v36, v[39:40], off
	s_waitcnt vmcnt(0)
	v_mul_f32_e32 v37, s3, v36
.LBB72_162:
	v_add_f32_e32 v29, v29, v5
	v_add_f32_e32 v28, v28, v4
	v_add_f32_e32 v31, v31, v7
	v_add_f32_e32 v30, v30, v6
	v_add_f32_e32 v25, v25, v5
	v_add_f32_e32 v24, v24, v4
	v_min3_f32 v28, v28, v29, v86
	v_add_f32_e32 v27, v27, v7
	v_min_f32_e32 v29, v30, v31
	v_add_f32_e32 v26, v26, v6
	v_min3_f32 v30, v24, v25, v85
	v_add_co_u32 v24, vcc_lo, v32, v64
	v_min3_f32 v28, v37, v29, v28
	v_add_co_ci_u32_e64 v25, null, v33, v65, vcc_lo
	v_min3_f32 v26, v26, v27, v30
	s_mov_b32 s1, -1
	s_mov_b32 vcc_lo, s0
	global_store_dword v[24:25], v28, off
	v_max_f32_e32 v24, v26, v26
	s_cbranch_vccz .LBB72_164
; %bb.163:
	v_add_co_u32 v25, vcc_lo, v32, v70
	v_min_f32_e32 v27, 0, v24
	v_add_co_ci_u32_e64 v26, null, v33, v71, vcc_lo
	s_mov_b32 s1, 0
	global_store_dword v[25:26], v27, off
.LBB72_164:
	v_mov_b32_e32 v25, 0
	s_andn2_b32 vcc_lo, exec_lo, s1
	s_cbranch_vccnz .LBB72_166
; %bb.165:
	v_add_co_u32 v25, vcc_lo, v34, v70
	v_add_co_ci_u32_e64 v26, null, v35, v71, vcc_lo
	global_load_dword v25, v[25:26], off
	s_waitcnt vmcnt(0)
	v_mul_f32_e32 v27, s3, v25
	v_add_co_u32 v25, vcc_lo, v32, v70
	v_add_co_ci_u32_e64 v26, null, v33, v71, vcc_lo
	v_min_f32_e32 v24, v27, v24
	v_add_co_u32 v27, vcc_lo, v34, v68
	v_add_co_ci_u32_e64 v28, null, v35, v69, vcc_lo
	global_store_dword v[25:26], v24, off
	global_load_dword v24, v[27:28], off
	s_waitcnt vmcnt(0)
	v_mul_f32_e32 v25, s3, v24
.LBB72_166:
	v_add_f32_e32 v21, v21, v5
	v_add_f32_e32 v20, v20, v4
	v_add_f32_e32 v23, v23, v7
	v_add_f32_e32 v22, v22, v6
	v_add_f32_e32 v17, v17, v5
	v_add_f32_e32 v16, v16, v4
	v_min3_f32 v20, v20, v21, v82
	v_add_f32_e32 v19, v19, v7
	v_min_f32_e32 v21, v22, v23
	v_add_f32_e32 v18, v18, v6
	v_min3_f32 v22, v16, v17, v83
	v_add_co_u32 v16, vcc_lo, v32, v68
	v_min3_f32 v20, v25, v21, v20
	v_add_co_ci_u32_e64 v17, null, v33, v69, vcc_lo
	v_min3_f32 v18, v18, v19, v22
	s_mov_b32 s1, -1
	s_mov_b32 vcc_lo, s0
	global_store_dword v[16:17], v20, off
	v_max_f32_e32 v16, v18, v18
	;; [unrolled: 46-line block ×3, first 2 shown]
	s_cbranch_vccz .LBB72_172
; %bb.171:
	v_add_co_u32 v9, vcc_lo, v32, v76
	v_min_f32_e32 v11, 0, v8
	v_add_co_ci_u32_e64 v10, null, v33, v77, vcc_lo
	s_mov_b32 s1, 0
	global_store_dword v[9:10], v11, off
.LBB72_172:
	v_mov_b32_e32 v9, 0
	s_andn2_b32 vcc_lo, exec_lo, s1
	s_cbranch_vccnz .LBB72_174
; %bb.173:
	v_add_co_u32 v9, vcc_lo, v34, v76
	v_add_co_ci_u32_e64 v10, null, v35, v77, vcc_lo
	global_load_dword v9, v[9:10], off
	s_waitcnt vmcnt(0)
	v_mul_f32_e32 v11, s3, v9
	v_add_co_u32 v9, vcc_lo, v32, v76
	v_add_co_ci_u32_e64 v10, null, v33, v77, vcc_lo
	v_min_f32_e32 v8, v11, v8
	v_add_co_u32 v11, vcc_lo, v34, v78
	v_add_co_ci_u32_e64 v12, null, v35, v79, vcc_lo
	global_store_dword v[9:10], v8, off
	global_load_dword v8, v[11:12], off
	s_waitcnt vmcnt(0)
	v_mul_f32_e32 v9, s3, v8
.LBB72_174:
	v_add_f32_e32 v3, v3, v7
	v_add_f32_e32 v2, v2, v6
	;; [unrolled: 1-line block ×4, first 2 shown]
	v_min_f32_e32 v2, v2, v3
	v_min3_f32 v0, v0, v1, v84
	v_min3_f32 v2, v9, v2, v0
	v_add_co_u32 v0, vcc_lo, v32, v78
	v_add_co_ci_u32_e64 v1, null, v33, v79, vcc_lo
	global_store_dword v[0:1], v2, off
	s_endpgm
	.section	.rodata,"a",@progbits
	.p2align	6, 0x0
	.amdhsa_kernel _ZN12_GLOBAL__N_120geam_min_plus_kernelIf15HIP_vector_typeIfLj2EEfLi8ELi32ELi64ELi256ELi4ELi4ELi64ELi64ELi4ELc84ELc84ELb0ELb0ELb1EPKfS3_fEEviiiT16_PT17_ilS7_ilS5_S7_ilPT18_ili26rocblas_geam_ex_operation_
		.amdhsa_group_segment_fixed_size 10240
		.amdhsa_private_segment_fixed_size 0
		.amdhsa_kernarg_size 136
		.amdhsa_user_sgpr_count 6
		.amdhsa_user_sgpr_private_segment_buffer 1
		.amdhsa_user_sgpr_dispatch_ptr 0
		.amdhsa_user_sgpr_queue_ptr 0
		.amdhsa_user_sgpr_kernarg_segment_ptr 1
		.amdhsa_user_sgpr_dispatch_id 0
		.amdhsa_user_sgpr_flat_scratch_init 0
		.amdhsa_user_sgpr_private_segment_size 0
		.amdhsa_wavefront_size32 1
		.amdhsa_uses_dynamic_stack 0
		.amdhsa_system_sgpr_private_segment_wavefront_offset 0
		.amdhsa_system_sgpr_workgroup_id_x 1
		.amdhsa_system_sgpr_workgroup_id_y 0
		.amdhsa_system_sgpr_workgroup_id_z 1
		.amdhsa_system_sgpr_workgroup_info 0
		.amdhsa_system_vgpr_workitem_id 1
		.amdhsa_next_free_vgpr 168
		.amdhsa_next_free_sgpr 25
		.amdhsa_reserve_vcc 1
		.amdhsa_reserve_flat_scratch 0
		.amdhsa_float_round_mode_32 0
		.amdhsa_float_round_mode_16_64 0
		.amdhsa_float_denorm_mode_32 3
		.amdhsa_float_denorm_mode_16_64 3
		.amdhsa_dx10_clamp 1
		.amdhsa_ieee_mode 1
		.amdhsa_fp16_overflow 0
		.amdhsa_workgroup_processor_mode 1
		.amdhsa_memory_ordered 1
		.amdhsa_forward_progress 1
		.amdhsa_shared_vgpr_count 0
		.amdhsa_exception_fp_ieee_invalid_op 0
		.amdhsa_exception_fp_denorm_src 0
		.amdhsa_exception_fp_ieee_div_zero 0
		.amdhsa_exception_fp_ieee_overflow 0
		.amdhsa_exception_fp_ieee_underflow 0
		.amdhsa_exception_fp_ieee_inexact 0
		.amdhsa_exception_int_div_zero 0
	.end_amdhsa_kernel
	.section	.text._ZN12_GLOBAL__N_120geam_min_plus_kernelIf15HIP_vector_typeIfLj2EEfLi8ELi32ELi64ELi256ELi4ELi4ELi64ELi64ELi4ELc84ELc84ELb0ELb0ELb1EPKfS3_fEEviiiT16_PT17_ilS7_ilS5_S7_ilPT18_ili26rocblas_geam_ex_operation_,"axG",@progbits,_ZN12_GLOBAL__N_120geam_min_plus_kernelIf15HIP_vector_typeIfLj2EEfLi8ELi32ELi64ELi256ELi4ELi4ELi64ELi64ELi4ELc84ELc84ELb0ELb0ELb1EPKfS3_fEEviiiT16_PT17_ilS7_ilS5_S7_ilPT18_ili26rocblas_geam_ex_operation_,comdat
.Lfunc_end72:
	.size	_ZN12_GLOBAL__N_120geam_min_plus_kernelIf15HIP_vector_typeIfLj2EEfLi8ELi32ELi64ELi256ELi4ELi4ELi64ELi64ELi4ELc84ELc84ELb0ELb0ELb1EPKfS3_fEEviiiT16_PT17_ilS7_ilS5_S7_ilPT18_ili26rocblas_geam_ex_operation_, .Lfunc_end72-_ZN12_GLOBAL__N_120geam_min_plus_kernelIf15HIP_vector_typeIfLj2EEfLi8ELi32ELi64ELi256ELi4ELi4ELi64ELi64ELi4ELc84ELc84ELb0ELb0ELb1EPKfS3_fEEviiiT16_PT17_ilS7_ilS5_S7_ilPT18_ili26rocblas_geam_ex_operation_
                                        ; -- End function
	.set _ZN12_GLOBAL__N_120geam_min_plus_kernelIf15HIP_vector_typeIfLj2EEfLi8ELi32ELi64ELi256ELi4ELi4ELi64ELi64ELi4ELc84ELc84ELb0ELb0ELb1EPKfS3_fEEviiiT16_PT17_ilS7_ilS5_S7_ilPT18_ili26rocblas_geam_ex_operation_.num_vgpr, 168
	.set _ZN12_GLOBAL__N_120geam_min_plus_kernelIf15HIP_vector_typeIfLj2EEfLi8ELi32ELi64ELi256ELi4ELi4ELi64ELi64ELi4ELc84ELc84ELb0ELb0ELb1EPKfS3_fEEviiiT16_PT17_ilS7_ilS5_S7_ilPT18_ili26rocblas_geam_ex_operation_.num_agpr, 0
	.set _ZN12_GLOBAL__N_120geam_min_plus_kernelIf15HIP_vector_typeIfLj2EEfLi8ELi32ELi64ELi256ELi4ELi4ELi64ELi64ELi4ELc84ELc84ELb0ELb0ELb1EPKfS3_fEEviiiT16_PT17_ilS7_ilS5_S7_ilPT18_ili26rocblas_geam_ex_operation_.numbered_sgpr, 25
	.set _ZN12_GLOBAL__N_120geam_min_plus_kernelIf15HIP_vector_typeIfLj2EEfLi8ELi32ELi64ELi256ELi4ELi4ELi64ELi64ELi4ELc84ELc84ELb0ELb0ELb1EPKfS3_fEEviiiT16_PT17_ilS7_ilS5_S7_ilPT18_ili26rocblas_geam_ex_operation_.num_named_barrier, 0
	.set _ZN12_GLOBAL__N_120geam_min_plus_kernelIf15HIP_vector_typeIfLj2EEfLi8ELi32ELi64ELi256ELi4ELi4ELi64ELi64ELi4ELc84ELc84ELb0ELb0ELb1EPKfS3_fEEviiiT16_PT17_ilS7_ilS5_S7_ilPT18_ili26rocblas_geam_ex_operation_.private_seg_size, 0
	.set _ZN12_GLOBAL__N_120geam_min_plus_kernelIf15HIP_vector_typeIfLj2EEfLi8ELi32ELi64ELi256ELi4ELi4ELi64ELi64ELi4ELc84ELc84ELb0ELb0ELb1EPKfS3_fEEviiiT16_PT17_ilS7_ilS5_S7_ilPT18_ili26rocblas_geam_ex_operation_.uses_vcc, 1
	.set _ZN12_GLOBAL__N_120geam_min_plus_kernelIf15HIP_vector_typeIfLj2EEfLi8ELi32ELi64ELi256ELi4ELi4ELi64ELi64ELi4ELc84ELc84ELb0ELb0ELb1EPKfS3_fEEviiiT16_PT17_ilS7_ilS5_S7_ilPT18_ili26rocblas_geam_ex_operation_.uses_flat_scratch, 0
	.set _ZN12_GLOBAL__N_120geam_min_plus_kernelIf15HIP_vector_typeIfLj2EEfLi8ELi32ELi64ELi256ELi4ELi4ELi64ELi64ELi4ELc84ELc84ELb0ELb0ELb1EPKfS3_fEEviiiT16_PT17_ilS7_ilS5_S7_ilPT18_ili26rocblas_geam_ex_operation_.has_dyn_sized_stack, 0
	.set _ZN12_GLOBAL__N_120geam_min_plus_kernelIf15HIP_vector_typeIfLj2EEfLi8ELi32ELi64ELi256ELi4ELi4ELi64ELi64ELi4ELc84ELc84ELb0ELb0ELb1EPKfS3_fEEviiiT16_PT17_ilS7_ilS5_S7_ilPT18_ili26rocblas_geam_ex_operation_.has_recursion, 0
	.set _ZN12_GLOBAL__N_120geam_min_plus_kernelIf15HIP_vector_typeIfLj2EEfLi8ELi32ELi64ELi256ELi4ELi4ELi64ELi64ELi4ELc84ELc84ELb0ELb0ELb1EPKfS3_fEEviiiT16_PT17_ilS7_ilS5_S7_ilPT18_ili26rocblas_geam_ex_operation_.has_indirect_call, 0
	.section	.AMDGPU.csdata,"",@progbits
; Kernel info:
; codeLenInByte = 17536
; TotalNumSgprs: 27
; NumVgprs: 168
; ScratchSize: 0
; MemoryBound: 0
; FloatMode: 240
; IeeeMode: 1
; LDSByteSize: 10240 bytes/workgroup (compile time only)
; SGPRBlocks: 0
; VGPRBlocks: 20
; NumSGPRsForWavesPerEU: 27
; NumVGPRsForWavesPerEU: 168
; Occupancy: 5
; WaveLimiterHint : 1
; COMPUTE_PGM_RSRC2:SCRATCH_EN: 0
; COMPUTE_PGM_RSRC2:USER_SGPR: 6
; COMPUTE_PGM_RSRC2:TRAP_HANDLER: 0
; COMPUTE_PGM_RSRC2:TGID_X_EN: 1
; COMPUTE_PGM_RSRC2:TGID_Y_EN: 0
; COMPUTE_PGM_RSRC2:TGID_Z_EN: 1
; COMPUTE_PGM_RSRC2:TIDIG_COMP_CNT: 1
	.section	.text._ZN12_GLOBAL__N_120geam_min_plus_kernelIf15HIP_vector_typeIfLj2EEfLi8ELi32ELi64ELi256ELi4ELi4ELi64ELi64ELi4ELc84ELc84ELb1ELb0ELb1EfKffEEviiiT16_PT17_ilS6_ilS4_S6_ilPT18_ili26rocblas_geam_ex_operation_,"axG",@progbits,_ZN12_GLOBAL__N_120geam_min_plus_kernelIf15HIP_vector_typeIfLj2EEfLi8ELi32ELi64ELi256ELi4ELi4ELi64ELi64ELi4ELc84ELc84ELb1ELb0ELb1EfKffEEviiiT16_PT17_ilS6_ilS4_S6_ilPT18_ili26rocblas_geam_ex_operation_,comdat
	.globl	_ZN12_GLOBAL__N_120geam_min_plus_kernelIf15HIP_vector_typeIfLj2EEfLi8ELi32ELi64ELi256ELi4ELi4ELi64ELi64ELi4ELc84ELc84ELb1ELb0ELb1EfKffEEviiiT16_PT17_ilS6_ilS4_S6_ilPT18_ili26rocblas_geam_ex_operation_ ; -- Begin function _ZN12_GLOBAL__N_120geam_min_plus_kernelIf15HIP_vector_typeIfLj2EEfLi8ELi32ELi64ELi256ELi4ELi4ELi64ELi64ELi4ELc84ELc84ELb1ELb0ELb1EfKffEEviiiT16_PT17_ilS6_ilS4_S6_ilPT18_ili26rocblas_geam_ex_operation_
	.p2align	8
	.type	_ZN12_GLOBAL__N_120geam_min_plus_kernelIf15HIP_vector_typeIfLj2EEfLi8ELi32ELi64ELi256ELi4ELi4ELi64ELi64ELi4ELc84ELc84ELb1ELb0ELb1EfKffEEviiiT16_PT17_ilS6_ilS4_S6_ilPT18_ili26rocblas_geam_ex_operation_,@function
_ZN12_GLOBAL__N_120geam_min_plus_kernelIf15HIP_vector_typeIfLj2EEfLi8ELi32ELi64ELi256ELi4ELi4ELi64ELi64ELi4ELc84ELc84ELb1ELb0ELb1EfKffEEviiiT16_PT17_ilS6_ilS4_S6_ilPT18_ili26rocblas_geam_ex_operation_: ; @_ZN12_GLOBAL__N_120geam_min_plus_kernelIf15HIP_vector_typeIfLj2EEfLi8ELi32ELi64ELi256ELi4ELi4ELi64ELi64ELi4ELc84ELc84ELb1ELb0ELb1EfKffEEviiiT16_PT17_ilS6_ilS4_S6_ilPT18_ili26rocblas_geam_ex_operation_
; %bb.0:
	s_clause 0x1
	s_load_dwordx2 s[14:15], s[4:5], 0x8
	s_load_dwordx4 s[0:3], s[4:5], 0x20
	s_waitcnt lgkmcnt(0)
	v_cmp_eq_f32_e64 s8, s15, 0
	s_and_b32 vcc_lo, exec_lo, s8
	s_cbranch_vccnz .LBB73_139
; %bb.1:
	s_load_dwordx2 s[10:11], s[4:5], 0x10
	s_mul_i32 s1, s1, s7
	s_mul_hi_u32 s9, s0, s7
	s_mul_i32 s0, s0, s7
	s_add_i32 s1, s9, s1
	s_lshl_b64 s[0:1], s[0:1], 2
	s_waitcnt lgkmcnt(0)
	s_add_u32 s16, s10, s0
	s_addc_u32 s17, s11, s1
	s_andn2_b32 vcc_lo, exec_lo, s8
	s_mov_b32 s0, -1
	s_cbranch_vccnz .LBB73_3
.LBB73_2:
	s_mov_b32 s0, 0
.LBB73_3:
	s_mov_b64 s[12:13], 0
	s_andn2_b32 vcc_lo, exec_lo, s0
	s_mov_b64 s[18:19], 0
	s_cbranch_vccnz .LBB73_5
; %bb.4:
	s_load_dwordx2 s[0:1], s[4:5], 0x38
	s_waitcnt lgkmcnt(0)
	s_mul_i32 s1, s1, s7
	s_mul_hi_u32 s8, s0, s7
	s_mul_i32 s0, s0, s7
	s_add_i32 s1, s8, s1
	s_lshl_b64 s[0:1], s[0:1], 2
	s_add_u32 s18, s2, s0
	s_addc_u32 s19, s3, s1
.LBB73_5:
	s_clause 0x1
	s_load_dword s1, s[4:5], 0x40
	s_load_dwordx4 s[8:11], s[4:5], 0x58
	s_waitcnt lgkmcnt(0)
	v_cmp_eq_f32_e64 s0, s1, 0
	s_and_b32 s0, exec_lo, s0
	s_mov_b32 vcc_lo, s0
	s_cbranch_vccnz .LBB73_7
; %bb.6:
	s_load_dwordx2 s[2:3], s[4:5], 0x48
	s_mul_i32 s9, s9, s7
	s_mul_hi_u32 s12, s8, s7
	s_mul_i32 s8, s8, s7
	s_add_i32 s9, s12, s9
	s_lshl_b64 s[8:9], s[8:9], 2
	s_waitcnt lgkmcnt(0)
	s_add_u32 s12, s2, s8
	s_addc_u32 s13, s3, s9
.LBB73_7:
	s_clause 0x2
	s_load_dword s3, s[4:5], 0x0
	s_load_dword s9, s[4:5], 0x18
	;; [unrolled: 1-line block ×3, first 2 shown]
	v_and_b32_e32 v4, 3, v0
	v_lshlrev_b32_e32 v70, 4, v0
	v_lshlrev_b32_e32 v71, 4, v1
	;; [unrolled: 1-line block ×3, first 2 shown]
	s_waitcnt lgkmcnt(0)
	s_add_i32 s3, s3, -1
	s_ashr_i32 s8, s3, 31
	s_lshr_b32 s8, s8, 26
	s_add_i32 s3, s3, s8
	s_ashr_i32 s3, s3, 6
	s_add_i32 s8, s3, 1
	s_not_b32 s3, s3
	v_cvt_f32_u32_e32 v2, s8
	v_rcp_iflag_f32_e32 v2, v2
	v_mul_f32_e32 v2, 0x4f7ffffe, v2
	v_cvt_u32_f32_e32 v2, v2
	v_readfirstlane_b32 s15, v2
	v_lshl_add_u32 v2, v1, 3, v0
	s_mul_i32 s3, s3, s15
	v_lshrrev_b32_e32 v7, 2, v2
	s_mul_hi_u32 s3, s15, s3
	v_and_b32_e32 v8, 63, v2
	s_add_i32 s15, s15, s3
	v_lshrrev_b32_e32 v79, 6, v2
	s_mul_hi_u32 s3, s6, s15
	v_lshl_or_b32 v75, v7, 4, v93
	s_mul_i32 s15, s3, s8
	s_add_i32 s20, s3, 1
	s_sub_i32 s15, s6, s15
	v_mad_i64_i32 v[5:6], null, s2, v79, 0
	s_sub_i32 s21, s15, s8
	s_cmp_ge_u32 s15, s8
	s_cselect_b32 s3, s20, s3
	s_cselect_b32 s15, s21, s15
	s_add_i32 s20, s3, 1
	s_cmp_ge_u32 s15, s8
	v_lshlrev_b64 v[5:6], 2, v[5:6]
	s_cselect_b32 s3, s20, s3
	s_mul_i32 s8, s3, s8
	s_sub_i32 s6, s6, s8
	s_lshl_b32 s8, s6, 6
	s_lshl_b32 s6, s3, 8
	v_add_nc_u32_e32 v2, s8, v7
	v_or_b32_e32 v4, s6, v8
	s_cmp_lt_i32 s14, 9
	v_mad_i64_i32 v[2:3], null, v2, s9, 0
	v_lshlrev_b64 v[68:69], 2, v[2:3]
	v_add_co_u32 v2, vcc_lo, s16, v68
	v_add_co_ci_u32_e64 v3, null, s17, v69, vcc_lo
	v_add_co_u32 v2, vcc_lo, v2, v93
	v_add_co_ci_u32_e64 v3, null, 0, v3, vcc_lo
	v_add_co_u32 v10, vcc_lo, s18, v5
	v_ashrrev_i32_e32 v5, 31, v4
	v_add_co_ci_u32_e64 v6, null, s19, v6, vcc_lo
	global_load_dword v9, v[2:3], off
	v_lshlrev_b64 v[66:67], 2, v[4:5]
	v_add_co_u32 v4, vcc_lo, v10, v66
	v_add_co_ci_u32_e64 v5, null, v6, v67, vcc_lo
	s_clause 0x3
	global_load_dword v6, v[4:5], off
	global_load_dword v10, v[4:5], off offset:256
	global_load_dword v11, v[4:5], off offset:512
	;; [unrolled: 1-line block ×4, first 2 shown]
	v_add_nc_u32_e32 v2, 4, v79
	v_mad_i64_i32 v[2:3], null, s2, v2, 0
	v_lshlrev_b64 v[2:3], 2, v[2:3]
	v_add_co_u32 v2, vcc_lo, s18, v2
	v_add_co_ci_u32_e64 v3, null, s19, v3, vcc_lo
	v_add_co_u32 v2, vcc_lo, v2, v66
	v_add_co_ci_u32_e64 v3, null, v3, v67, vcc_lo
	s_clause 0x3
	global_load_dword v74, v[2:3], off
	global_load_dword v76, v[2:3], off offset:256
	global_load_dword v77, v[2:3], off offset:512
	;; [unrolled: 1-line block ×3, first 2 shown]
	v_lshlrev_b32_e32 v2, 4, v8
	v_lshl_add_u32 v72, v79, 2, v2
	s_waitcnt vmcnt(9)
	ds_write_b32 v75, v9 offset:8192
	s_waitcnt vmcnt(7)
	ds_write2st64_b32 v72, v6, v10 offset1:4
	s_waitcnt vmcnt(5)
	ds_write2st64_b32 v72, v11, v4 offset0:8 offset1:12
	s_waitcnt vmcnt(0) lgkmcnt(0)
	s_barrier
	buffer_gl0_inv
	ds_read_b128 v[34:37], v70 offset:8192
	ds_read_b128 v[30:33], v70 offset:8320
	;; [unrolled: 1-line block ×8, first 2 shown]
	ds_read_b128 v[62:65], v71
	ds_read_b128 v[58:61], v71 offset:512
	ds_read_b128 v[54:57], v71 offset:1024
	;; [unrolled: 1-line block ×7, first 2 shown]
	ds_write_b32 v75, v73 offset:9216
	ds_write2st64_b32 v72, v74, v76 offset0:16 offset1:20
	ds_write2st64_b32 v72, v77, v78 offset0:24 offset1:28
	s_waitcnt lgkmcnt(10)
	v_add_f32_e32 v80, v35, v63
	v_add_f32_e32 v81, v34, v62
	s_waitcnt lgkmcnt(4)
	v_add_f32_e32 v124, v6, v38
	s_waitcnt lgkmcnt(0)
	s_barrier
	buffer_gl0_inv
	v_min3_f32 v116, v81, v80, 0x7f7fffff
	v_add_f32_e32 v80, v31, v63
	v_add_f32_e32 v81, v30, v62
	v_min3_f32 v117, v81, v80, 0x7f7fffff
	v_add_f32_e32 v80, v23, v63
	v_add_f32_e32 v81, v22, v62
	v_min3_f32 v118, v81, v80, 0x7f7fffff
	v_add_f32_e32 v80, v19, v63
	v_add_f32_e32 v81, v18, v62
	v_min3_f32 v119, v81, v80, 0x7f7fffff
	v_add_f32_e32 v80, v15, v63
	v_add_f32_e32 v81, v14, v62
	v_min3_f32 v120, v81, v80, 0x7f7fffff
	v_add_f32_e32 v80, v11, v63
	v_add_f32_e32 v81, v10, v62
	v_min3_f32 v121, v81, v80, 0x7f7fffff
	v_add_f32_e32 v80, v7, v63
	v_add_f32_e32 v81, v6, v62
	v_add_f32_e32 v63, v3, v63
	v_add_f32_e32 v62, v2, v62
	v_min3_f32 v122, v81, v80, 0x7f7fffff
	v_min3_f32 v123, v62, v63, 0x7f7fffff
	v_add_f32_e32 v62, v35, v59
	v_add_f32_e32 v63, v34, v58
	v_min3_f32 v115, v63, v62, 0x7f7fffff
	v_add_f32_e32 v62, v31, v59
	v_add_f32_e32 v63, v30, v58
	v_min3_f32 v114, v63, v62, 0x7f7fffff
	v_add_f32_e32 v62, v23, v59
	v_add_f32_e32 v63, v22, v58
	v_min3_f32 v113, v63, v62, 0x7f7fffff
	v_add_f32_e32 v62, v19, v59
	v_add_f32_e32 v63, v18, v58
	v_min3_f32 v112, v63, v62, 0x7f7fffff
	v_add_f32_e32 v62, v15, v59
	v_add_f32_e32 v63, v14, v58
	v_min3_f32 v111, v63, v62, 0x7f7fffff
	v_add_f32_e32 v62, v11, v59
	v_add_f32_e32 v63, v10, v58
	v_min3_f32 v110, v63, v62, 0x7f7fffff
	v_add_f32_e32 v62, v7, v59
	v_add_f32_e32 v63, v6, v58
	v_add_f32_e32 v59, v3, v59
	v_add_f32_e32 v58, v2, v58
	v_min3_f32 v109, v63, v62, 0x7f7fffff
	v_min3_f32 v108, v58, v59, 0x7f7fffff
	v_add_f32_e32 v58, v35, v55
	v_add_f32_e32 v59, v34, v54
	;; [unrolled: 24-line block ×5, first 2 shown]
	v_min3_f32 v82, v47, v46, 0x7f7fffff
	v_add_f32_e32 v46, v31, v43
	v_add_f32_e32 v47, v30, v42
	v_min3_f32 v81, v47, v46, 0x7f7fffff
	v_add_f32_e32 v46, v23, v43
	v_add_f32_e32 v47, v22, v42
	;; [unrolled: 3-line block ×6, first 2 shown]
	v_add_f32_e32 v43, v3, v43
	v_add_f32_e32 v42, v2, v42
	;; [unrolled: 1-line block ×3, first 2 shown]
	v_min3_f32 v58, v47, v46, 0x7f7fffff
	v_min3_f32 v55, v42, v43, 0x7f7fffff
	v_add_f32_e32 v42, v35, v39
	v_add_f32_e32 v43, v34, v38
	;; [unrolled: 1-line block ×4, first 2 shown]
	v_min3_f32 v54, v43, v42, 0x7f7fffff
	v_add_f32_e32 v42, v31, v39
	v_add_f32_e32 v43, v30, v38
	v_min3_f32 v34, v34, v35, 0x7f7fffff
	v_add_f32_e32 v31, v31, v27
	v_add_f32_e32 v30, v30, v26
	;; [unrolled: 3-line block ×9, first 2 shown]
	v_add_f32_e32 v38, v2, v38
	v_add_f32_e32 v2, v2, v26
	v_min3_f32 v14, v14, v15, 0x7f7fffff
	v_add_f32_e32 v11, v11, v27
	v_min3_f32 v43, v43, v42, 0x7f7fffff
	v_add_f32_e32 v42, v7, v39
	v_add_f32_e32 v39, v3, v39
	;; [unrolled: 1-line block ×5, first 2 shown]
	v_min3_f32 v42, v124, v42, 0x7f7fffff
	v_min3_f32 v38, v38, v39, 0x7f7fffff
	;; [unrolled: 1-line block ×4, first 2 shown]
	v_add_f32_e32 v3, v37, v65
	v_add_f32_e32 v7, v36, v64
	v_min3_f32 v10, v10, v11, 0x7f7fffff
	v_min3_f32 v146, v7, v3, v116
	v_add_f32_e32 v3, v33, v65
	v_add_f32_e32 v7, v32, v64
	v_min3_f32 v143, v7, v3, v117
	v_add_f32_e32 v3, v25, v65
	v_add_f32_e32 v7, v24, v64
	;; [unrolled: 3-line block ×55, first 2 shown]
	v_add_f32_e32 v4, v4, v28
	v_min3_f32 v86, v7, v3, v38
	v_add_f32_e32 v3, v37, v29
	v_add_f32_e32 v7, v36, v28
	v_min3_f32 v87, v7, v3, v34
	v_add_f32_e32 v3, v33, v29
	;; [unrolled: 3-line block ×8, first 2 shown]
	v_min3_f32 v123, v4, v3, v2
	s_cbranch_scc1 .LBB73_10
; %bb.8:
	v_add_nc_u32_e32 v2, 12, v79
	v_add_nc_u32_e32 v4, 8, v79
	v_add_co_u32 v6, vcc_lo, v68, v93
	v_add_co_ci_u32_e64 v7, null, 0, v69, vcc_lo
	v_mad_i64_i32 v[2:3], null, v2, s2, 0
	v_mad_i64_i32 v[4:5], null, v4, s2, 0
	v_add_co_u32 v6, vcc_lo, s16, v6
	v_add_co_ci_u32_e64 v7, null, s17, v7, vcc_lo
	v_lshlrev_b64 v[2:3], 2, v[2:3]
	v_add_co_u32 v68, vcc_lo, v6, 32
	v_lshlrev_b64 v[4:5], 2, v[4:5]
	v_add_co_ci_u32_e64 v69, null, 0, v7, vcc_lo
	v_add_co_u32 v79, vcc_lo, s18, v2
	v_add_co_ci_u32_e64 v93, null, s19, v3, vcc_lo
	v_add_co_u32 v94, vcc_lo, s18, v4
	v_add_nc_u32_e32 v73, 0x2000, v75
	v_or_b32_e32 v74, 0x2000, v70
	v_add_nc_u32_e32 v75, 0x2400, v75
	v_or_b32_e32 v76, 0x1000, v72
	v_lshl_add_u32 v77, v0, 4, 0x2400
	v_lshl_or_b32 v78, v1, 4, 0x1000
	v_add_co_ci_u32_e64 v95, null, s19, v5, vcc_lo
	s_ashr_i32 s3, s2, 31
	s_add_i32 s9, s14, -8
	s_lshl_b64 s[2:3], s[2:3], 5
	s_mov_b32 s14, 0
.LBB73_9:                               ; =>This Inner Loop Header: Depth=1
	v_add_co_u32 v2, vcc_lo, v94, v66
	v_add_co_ci_u32_e64 v3, null, v95, v67, vcc_lo
	global_load_dword v151, v[68:69], off
	s_add_i32 s14, s14, 8
	s_clause 0x3
	global_load_dword v148, v[2:3], off
	global_load_dword v150, v[2:3], off offset:256
	global_load_dword v147, v[2:3], off offset:512
	;; [unrolled: 1-line block ×3, first 2 shown]
	ds_read_b128 v[30:33], v77
	ds_read_b128 v[26:29], v77 offset:128
	ds_read_b128 v[22:25], v77 offset:256
	;; [unrolled: 1-line block ×7, first 2 shown]
	ds_read_b128 v[62:65], v78
	ds_read_b128 v[58:61], v78 offset:512
	ds_read_b128 v[54:57], v78 offset:1024
	;; [unrolled: 1-line block ×7, first 2 shown]
	s_cmp_ge_i32 s14, s9
	s_waitcnt vmcnt(4)
	ds_write_b32 v73, v151
	s_waitcnt vmcnt(2)
	ds_write2st64_b32 v72, v148, v150 offset1:4
	s_waitcnt vmcnt(0)
	ds_write2st64_b32 v72, v147, v149 offset0:8 offset1:12
	s_waitcnt lgkmcnt(10)
	v_add_f32_e32 v152, v31, v63
	v_add_f32_e32 v153, v30, v62
	s_waitcnt lgkmcnt(0)
	s_barrier
	buffer_gl0_inv
	global_load_dword v151, v[68:69], off offset:16
	v_min3_f32 v146, v153, v152, v146
	v_add_f32_e32 v152, v27, v63
	v_add_f32_e32 v153, v26, v62
	v_min3_f32 v152, v153, v152, v143
	v_add_f32_e32 v143, v23, v63
	v_add_f32_e32 v153, v22, v62
	v_min3_f32 v153, v153, v143, v144
	v_add_f32_e32 v143, v19, v63
	v_add_f32_e32 v144, v18, v62
	v_min3_f32 v154, v144, v143, v140
	v_add_f32_e32 v140, v15, v63
	v_add_f32_e32 v143, v14, v62
	v_min3_f32 v155, v143, v140, v141
	v_add_f32_e32 v140, v11, v63
	v_add_f32_e32 v141, v10, v62
	v_min3_f32 v156, v141, v140, v136
	v_add_f32_e32 v136, v7, v63
	v_add_f32_e32 v140, v6, v62
	v_add_f32_e32 v63, v3, v63
	v_add_f32_e32 v62, v2, v62
	v_min3_f32 v157, v140, v136, v135
	v_min3_f32 v158, v62, v63, v131
	v_add_f32_e32 v62, v31, v59
	v_add_f32_e32 v63, v30, v58
	v_min3_f32 v144, v63, v62, v145
	v_add_f32_e32 v62, v27, v59
	v_add_f32_e32 v63, v26, v58
	v_min3_f32 v143, v63, v62, v139
	v_add_f32_e32 v62, v23, v59
	v_add_f32_e32 v63, v22, v58
	v_min3_f32 v141, v63, v62, v142
	v_add_f32_e32 v62, v19, v59
	v_add_f32_e32 v63, v18, v58
	v_min3_f32 v140, v63, v62, v137
	v_add_f32_e32 v62, v15, v59
	v_add_f32_e32 v63, v14, v58
	v_min3_f32 v139, v63, v62, v138
	v_add_f32_e32 v62, v11, v59
	v_add_f32_e32 v63, v10, v58
	v_min3_f32 v138, v63, v62, v132
	v_add_f32_e32 v62, v7, v59
	v_add_f32_e32 v63, v6, v58
	v_add_f32_e32 v59, v3, v59
	v_add_f32_e32 v58, v2, v58
	v_min3_f32 v137, v63, v62, v133
	v_min3_f32 v136, v58, v59, v129
	v_add_f32_e32 v58, v31, v55
	v_add_f32_e32 v59, v30, v54
	;; [unrolled: 24-line block ×6, first 2 shown]
	v_add_f32_e32 v31, v31, v35
	v_add_f32_e32 v30, v30, v34
	v_min3_f32 v54, v43, v42, v100
	v_add_f32_e32 v42, v27, v39
	v_add_f32_e32 v43, v26, v38
	v_min3_f32 v30, v30, v31, v87
	;; [unrolled: 3-line block ×3, first 2 shown]
	v_add_f32_e32 v42, v23, v39
	v_add_f32_e32 v43, v22, v38
	;; [unrolled: 1-line block ×4, first 2 shown]
	v_min3_f32 v26, v26, v27, v84
	v_min3_f32 v50, v43, v42, v97
	v_add_f32_e32 v42, v19, v39
	v_add_f32_e32 v43, v18, v38
	v_min3_f32 v22, v22, v23, v85
	v_add_f32_e32 v19, v19, v35
	v_add_f32_e32 v18, v18, v34
	;; [unrolled: 3-line block ×3, first 2 shown]
	v_add_f32_e32 v15, v15, v35
	v_add_f32_e32 v14, v14, v34
	v_min3_f32 v18, v18, v19, v82
	v_min3_f32 v46, v43, v42, v91
	v_add_f32_e32 v42, v11, v39
	v_add_f32_e32 v43, v10, v38
	v_min3_f32 v14, v14, v15, v83
	v_add_f32_e32 v11, v11, v35
	v_add_f32_e32 v10, v10, v34
	v_min3_f32 v43, v43, v42, v88
	v_add_f32_e32 v42, v7, v39
	v_add_f32_e32 v88, v6, v38
	v_add_f32_e32 v39, v3, v39
	v_add_f32_e32 v38, v2, v38
	;; [unrolled: 1-line block ×6, first 2 shown]
	v_min3_f32 v38, v38, v39, v86
	v_min3_f32 v10, v10, v11, v80
	;; [unrolled: 1-line block ×3, first 2 shown]
	v_add_f32_e32 v7, v32, v64
	v_min3_f32 v2, v2, v3, v123
	v_add_f32_e32 v3, v33, v65
	v_min3_f32 v42, v88, v42, v89
	v_min3_f32 v87, v7, v3, v146
	v_add_f32_e32 v3, v29, v65
	v_add_f32_e32 v7, v28, v64
	v_min3_f32 v86, v7, v3, v152
	v_add_f32_e32 v3, v25, v65
	v_add_f32_e32 v7, v24, v64
	;; [unrolled: 3-line block ×55, first 2 shown]
	v_add_f32_e32 v4, v4, v36
	v_min3_f32 v165, v7, v3, v38
	v_add_f32_e32 v3, v33, v37
	v_add_f32_e32 v7, v32, v36
	v_min3_f32 v166, v7, v3, v30
	v_add_f32_e32 v3, v29, v37
	;; [unrolled: 3-line block ×8, first 2 shown]
	v_min3_f32 v173, v4, v3, v2
	v_add_co_u32 v2, vcc_lo, v79, v66
	v_add_co_ci_u32_e64 v3, null, v93, v67, vcc_lo
	s_clause 0x3
	global_load_dword v148, v[2:3], off
	global_load_dword v150, v[2:3], off offset:256
	global_load_dword v147, v[2:3], off offset:512
	;; [unrolled: 1-line block ×3, first 2 shown]
	ds_read_b128 v[34:37], v74
	ds_read_b128 v[30:33], v74 offset:128
	ds_read_b128 v[26:29], v74 offset:256
	;; [unrolled: 1-line block ×7, first 2 shown]
	ds_read_b128 v[62:65], v71
	ds_read_b128 v[58:61], v71 offset:512
	ds_read_b128 v[54:57], v71 offset:1024
	;; [unrolled: 1-line block ×7, first 2 shown]
	v_add_co_u32 v68, vcc_lo, v68, 32
	v_add_co_ci_u32_e64 v69, null, 0, v69, vcc_lo
	v_add_co_u32 v79, vcc_lo, v79, s2
	v_add_co_ci_u32_e64 v93, null, s3, v93, vcc_lo
	;; [unrolled: 2-line block ×3, first 2 shown]
	s_waitcnt lgkmcnt(7)
	v_add_f32_e32 v103, v35, v63
	v_add_f32_e32 v104, v34, v62
	s_waitcnt vmcnt(4)
	ds_write_b32 v75, v151
	s_waitcnt vmcnt(2)
	ds_write2st64_b32 v76, v148, v150 offset1:4
	s_waitcnt vmcnt(0)
	ds_write2st64_b32 v76, v147, v149 offset0:8 offset1:12
	v_min3_f32 v118, v104, v103, v87
	v_add_f32_e32 v87, v31, v63
	v_add_f32_e32 v103, v30, v62
	s_waitcnt lgkmcnt(0)
	s_barrier
	buffer_gl0_inv
	v_min3_f32 v119, v103, v87, v86
	v_add_f32_e32 v86, v27, v63
	v_add_f32_e32 v87, v26, v62
	v_min3_f32 v120, v87, v86, v85
	v_add_f32_e32 v85, v23, v63
	v_add_f32_e32 v86, v22, v62
	;; [unrolled: 3-line block ×5, first 2 shown]
	v_add_f32_e32 v63, v3, v63
	v_add_f32_e32 v62, v2, v62
	v_min3_f32 v126, v83, v82, v81
	v_min3_f32 v127, v62, v63, v80
	v_add_f32_e32 v62, v35, v59
	v_add_f32_e32 v63, v34, v58
	v_min3_f32 v117, v63, v62, v88
	v_add_f32_e32 v62, v31, v59
	v_add_f32_e32 v63, v30, v58
	v_min3_f32 v116, v63, v62, v89
	v_add_f32_e32 v62, v27, v59
	v_add_f32_e32 v63, v26, v58
	v_min3_f32 v115, v63, v62, v90
	v_add_f32_e32 v62, v23, v59
	v_add_f32_e32 v63, v22, v58
	v_min3_f32 v114, v63, v62, v91
	v_add_f32_e32 v62, v19, v59
	v_add_f32_e32 v63, v18, v58
	v_min3_f32 v113, v63, v62, v92
	v_add_f32_e32 v62, v11, v59
	v_add_f32_e32 v63, v10, v58
	v_min3_f32 v112, v63, v62, v96
	v_add_f32_e32 v62, v7, v59
	v_add_f32_e32 v63, v6, v58
	v_add_f32_e32 v59, v3, v59
	v_add_f32_e32 v58, v2, v58
	v_min3_f32 v111, v63, v62, v97
	v_min3_f32 v110, v58, v59, v98
	v_add_f32_e32 v58, v35, v55
	v_add_f32_e32 v59, v34, v54
	v_min3_f32 v109, v59, v58, v99
	v_add_f32_e32 v58, v31, v55
	v_add_f32_e32 v59, v30, v54
	;; [unrolled: 3-line block ×7, first 2 shown]
	v_add_f32_e32 v55, v3, v55
	v_add_f32_e32 v54, v2, v54
	v_add_f32_e32 v121, v6, v38
	v_min3_f32 v103, v59, v58, v123
	v_min3_f32 v102, v54, v55, v128
	v_add_f32_e32 v54, v35, v51
	v_add_f32_e32 v55, v34, v50
	v_min3_f32 v101, v55, v54, v129
	v_add_f32_e32 v54, v31, v51
	v_add_f32_e32 v55, v30, v50
	v_min3_f32 v100, v55, v54, v130
	v_add_f32_e32 v54, v27, v51
	v_add_f32_e32 v55, v26, v50
	v_min3_f32 v99, v55, v54, v131
	v_add_f32_e32 v54, v23, v51
	v_add_f32_e32 v55, v22, v50
	v_min3_f32 v98, v55, v54, v132
	v_add_f32_e32 v54, v19, v51
	v_add_f32_e32 v55, v18, v50
	v_min3_f32 v97, v55, v54, v133
	v_add_f32_e32 v54, v11, v51
	v_add_f32_e32 v55, v10, v50
	v_min3_f32 v96, v55, v54, v134
	v_add_f32_e32 v54, v7, v51
	v_add_f32_e32 v55, v6, v50
	v_add_f32_e32 v51, v3, v51
	v_add_f32_e32 v50, v2, v50
	v_min3_f32 v92, v55, v54, v135
	v_min3_f32 v91, v50, v51, v136
	v_add_f32_e32 v50, v35, v47
	v_add_f32_e32 v51, v34, v46
	v_min3_f32 v90, v51, v50, v137
	v_add_f32_e32 v50, v31, v47
	v_add_f32_e32 v51, v30, v46
	v_min3_f32 v89, v51, v50, v138
	v_add_f32_e32 v50, v27, v47
	v_add_f32_e32 v51, v26, v46
	v_min3_f32 v88, v51, v50, v139
	v_add_f32_e32 v50, v23, v47
	v_add_f32_e32 v51, v22, v46
	v_min3_f32 v87, v51, v50, v140
	v_add_f32_e32 v50, v19, v47
	v_add_f32_e32 v51, v18, v46
	v_min3_f32 v86, v51, v50, v141
	v_add_f32_e32 v50, v11, v47
	v_add_f32_e32 v51, v10, v46
	v_min3_f32 v85, v51, v50, v142
	v_add_f32_e32 v50, v7, v47
	;; [unrolled: 24-line block ×3, first 2 shown]
	v_add_f32_e32 v47, v6, v42
	v_add_f32_e32 v43, v3, v43
	;; [unrolled: 1-line block ×4, first 2 shown]
	v_min3_f32 v58, v47, v46, v156
	v_min3_f32 v55, v42, v43, v157
	v_add_f32_e32 v42, v35, v39
	v_add_f32_e32 v43, v34, v38
	;; [unrolled: 1-line block ×4, first 2 shown]
	v_min3_f32 v54, v43, v42, v158
	v_add_f32_e32 v42, v31, v39
	v_add_f32_e32 v43, v30, v38
	v_min3_f32 v34, v34, v35, v166
	v_add_f32_e32 v31, v31, v15
	v_add_f32_e32 v30, v30, v14
	;; [unrolled: 3-line block ×9, first 2 shown]
	v_add_f32_e32 v38, v2, v38
	v_add_f32_e32 v2, v2, v14
	v_min3_f32 v18, v18, v19, v170
	v_add_f32_e32 v11, v11, v15
	v_min3_f32 v43, v43, v42, v163
	v_add_f32_e32 v42, v7, v39
	v_add_f32_e32 v39, v3, v39
	;; [unrolled: 1-line block ×5, first 2 shown]
	v_min3_f32 v42, v121, v42, v164
	v_min3_f32 v38, v38, v39, v165
	v_min3_f32 v6, v6, v7, v172
	v_min3_f32 v2, v2, v3, v173
	v_add_f32_e32 v3, v37, v65
	v_add_f32_e32 v7, v36, v64
	v_min3_f32 v10, v10, v11, v171
	v_min3_f32 v146, v7, v3, v118
	v_add_f32_e32 v3, v33, v65
	v_add_f32_e32 v7, v32, v64
	v_min3_f32 v143, v7, v3, v119
	v_add_f32_e32 v3, v29, v65
	v_add_f32_e32 v7, v28, v64
	;; [unrolled: 3-line block ×55, first 2 shown]
	v_add_f32_e32 v4, v4, v16
	v_min3_f32 v86, v7, v3, v38
	v_add_f32_e32 v3, v37, v17
	v_add_f32_e32 v7, v36, v16
	v_min3_f32 v87, v7, v3, v34
	v_add_f32_e32 v3, v33, v17
	;; [unrolled: 3-line block ×8, first 2 shown]
	v_min3_f32 v123, v4, v3, v2
	s_cbranch_scc0 .LBB73_9
.LBB73_10:
	ds_read_b128 v[32:35], v70 offset:9216
	ds_read_b128 v[60:63], v71 offset:4096
	s_clause 0x2
	s_load_dword s3, s[4:5], 0x68
	s_load_dword s2, s[4:5], 0x50
	s_load_dwordx2 s[14:15], s[4:5], 0x70
	v_add_nc_u32_e32 v93, s6, v1
	v_add_nc_u32_e32 v76, s8, v0
	v_ashrrev_i32_e32 v77, 31, v76
	v_add_nc_u32_e32 v0, 8, v76
	v_lshlrev_b64 v[66:67], 2, v[76:77]
	v_ashrrev_i32_e32 v1, 31, v0
	s_waitcnt lgkmcnt(0)
	v_mad_i64_i32 v[2:3], null, v93, s3, 0
	v_mad_i64_i32 v[4:5], null, v93, s2, 0
	v_add_f32_e32 v6, v33, v61
	v_add_f32_e32 v7, v32, v60
	s_mul_i32 s5, s15, s7
	s_mul_hi_u32 s6, s14, s7
	s_mul_i32 s4, s14, s7
	v_add_f32_e32 v8, v35, v63
	s_add_i32 s5, s6, s5
	v_add_f32_e32 v9, v34, v62
	v_min3_f32 v6, v7, v6, v146
	v_lshlrev_b64 v[2:3], 2, v[2:3]
	s_lshl_b64 s[4:5], s[4:5], 2
	v_lshlrev_b64 v[4:5], 2, v[4:5]
	s_add_u32 s4, s10, s4
	v_min3_f32 v6, v9, v8, v6
	s_addc_u32 s5, s11, s5
	v_add_co_u32 v94, vcc_lo, s4, v2
	v_add_co_ci_u32_e64 v95, null, s5, v3, vcc_lo
	v_add_co_u32 v146, vcc_lo, s12, v4
	v_add_co_ci_u32_e64 v147, null, s13, v5, vcc_lo
	v_max_f32_e32 v2, v6, v6
	s_mov_b32 s6, -1
	s_mov_b32 vcc_lo, s0
	s_cbranch_vccz .LBB73_12
; %bb.11:
	v_add_co_u32 v3, vcc_lo, v94, v66
	v_min_f32_e32 v5, 0, v2
	v_add_co_ci_u32_e64 v4, null, v95, v67, vcc_lo
	s_mov_b32 s6, 0
	global_store_dword v[3:4], v5, off
.LBB73_12:
	ds_read_b128 v[28:31], v70 offset:9344
	ds_read_b128 v[24:27], v70 offset:9472
	v_lshlrev_b64 v[64:65], 2, v[0:1]
	v_mov_b32_e32 v69, 0
	s_andn2_b32 vcc_lo, exec_lo, s6
	s_cbranch_vccnz .LBB73_14
; %bb.13:
	v_add_co_u32 v0, vcc_lo, v146, v66
	v_add_co_ci_u32_e64 v1, null, v147, v67, vcc_lo
	global_load_dword v0, v[0:1], off
	s_waitcnt vmcnt(0)
	v_mul_f32_e32 v3, s1, v0
	v_add_co_u32 v0, vcc_lo, v94, v66
	v_add_co_ci_u32_e64 v1, null, v95, v67, vcc_lo
	v_min_f32_e32 v4, v3, v2
	v_add_co_u32 v2, vcc_lo, v146, v64
	v_add_co_ci_u32_e64 v3, null, v147, v65, vcc_lo
	global_store_dword v[0:1], v4, off
	global_load_dword v0, v[2:3], off
	s_waitcnt vmcnt(0)
	v_mul_f32_e32 v69, s1, v0
.LBB73_14:
	ds_read_b128 v[16:19], v70 offset:9728
	ds_read_b128 v[12:15], v70 offset:9856
	ds_read_b128 v[8:11], v70 offset:9984
	ds_read_b128 v[0:3], v70 offset:10112
	ds_read_b128 v[56:59], v71 offset:4608
	ds_read_b128 v[52:55], v71 offset:5120
	ds_read_b128 v[48:51], v71 offset:5632
	ds_read_b128 v[44:47], v71 offset:6144
	ds_read_b128 v[40:43], v71 offset:6656
	ds_read_b128 v[36:39], v71 offset:7168
	s_waitcnt lgkmcnt(11)
	v_add_f32_e32 v68, v29, v61
	v_add_f32_e32 v72, v28, v60
	;; [unrolled: 1-line block ×4, first 2 shown]
	s_waitcnt lgkmcnt(10)
	v_add_f32_e32 v73, v25, v61
	v_add_f32_e32 v74, v24, v60
	ds_read_b128 v[20:23], v70 offset:9600
	ds_read_b128 v[4:7], v71 offset:7680
	v_min3_f32 v71, v72, v68, v143
	v_min_f32_e32 v72, v77, v75
	v_add_nc_u32_e32 v70, 16, v76
	v_min3_f32 v74, v74, v73, v144
	v_add_f32_e32 v75, v27, v63
	v_add_f32_e32 v77, v26, v62
	v_min3_f32 v78, v69, v72, v71
	v_add_co_u32 v72, vcc_lo, v94, v64
	v_ashrrev_i32_e32 v71, 31, v70
	v_add_nc_u32_e32 v68, 24, v76
	v_add_co_ci_u32_e64 v73, null, v95, v65, vcc_lo
	v_min3_f32 v74, v77, v75, v74
	v_lshlrev_b64 v[70:71], 2, v[70:71]
	v_ashrrev_i32_e32 v69, 31, v68
	global_store_dword v[72:73], v78, off
	s_mov_b32 s6, -1
	v_max_f32_e32 v72, v74, v74
	s_mov_b32 vcc_lo, s0
	s_cbranch_vccz .LBB73_16
; %bb.15:
	v_add_co_u32 v73, vcc_lo, v94, v70
	v_min_f32_e32 v75, 0, v72
	v_add_co_ci_u32_e64 v74, null, v95, v71, vcc_lo
	s_mov_b32 s6, 0
	global_store_dword v[73:74], v75, off
.LBB73_16:
	v_lshlrev_b64 v[68:69], 2, v[68:69]
	v_mov_b32_e32 v73, 0
	s_andn2_b32 vcc_lo, exec_lo, s6
	s_cbranch_vccnz .LBB73_18
; %bb.17:
	v_add_co_u32 v73, vcc_lo, v146, v70
	v_add_co_ci_u32_e64 v74, null, v147, v71, vcc_lo
	global_load_dword v73, v[73:74], off
	s_waitcnt vmcnt(0)
	v_mul_f32_e32 v75, s1, v73
	v_add_co_u32 v73, vcc_lo, v94, v70
	v_add_co_ci_u32_e64 v74, null, v95, v71, vcc_lo
	v_add_co_u32 v77, vcc_lo, v146, v68
	v_min_f32_e32 v72, v75, v72
	v_add_co_ci_u32_e64 v78, null, v147, v69, vcc_lo
	global_store_dword v[73:74], v72, off
	global_load_dword v72, v[77:78], off
	s_waitcnt vmcnt(0)
	v_mul_f32_e32 v73, s1, v72
.LBB73_18:
	s_waitcnt lgkmcnt(1)
	v_add_f32_e32 v72, v21, v61
	v_add_f32_e32 v74, v20, v60
	;; [unrolled: 1-line block ×6, first 2 shown]
	v_min3_f32 v140, v74, v72, v140
	v_add_nc_u32_e32 v74, 32, v76
	v_min3_f32 v141, v77, v75, v141
	v_add_f32_e32 v143, v18, v62
	v_min_f32_e32 v75, v79, v78
	v_add_f32_e32 v79, v19, v63
	v_add_co_u32 v77, vcc_lo, v94, v68
	v_add_nc_u32_e32 v72, 40, v76
	v_min3_f32 v140, v73, v75, v140
	v_ashrrev_i32_e32 v75, 31, v74
	v_add_co_ci_u32_e64 v78, null, v95, v69, vcc_lo
	v_min3_f32 v79, v143, v79, v141
	v_ashrrev_i32_e32 v73, 31, v72
	v_lshlrev_b64 v[74:75], 2, v[74:75]
	global_store_dword v[77:78], v140, off
	s_mov_b32 s6, -1
	v_max_f32_e32 v77, v79, v79
	s_mov_b32 vcc_lo, s0
	s_cbranch_vccz .LBB73_20
; %bb.19:
	v_add_co_u32 v78, vcc_lo, v94, v74
	v_min_f32_e32 v140, 0, v77
	v_add_co_ci_u32_e64 v79, null, v95, v75, vcc_lo
	s_mov_b32 s6, 0
	global_store_dword v[78:79], v140, off
.LBB73_20:
	v_lshlrev_b64 v[72:73], 2, v[72:73]
	v_mov_b32_e32 v79, 0
	s_andn2_b32 vcc_lo, exec_lo, s6
	s_cbranch_vccnz .LBB73_22
; %bb.21:
	v_add_co_u32 v78, vcc_lo, v146, v74
	v_add_co_ci_u32_e64 v79, null, v147, v75, vcc_lo
	global_load_dword v78, v[78:79], off
	s_waitcnt vmcnt(0)
	v_mul_f32_e32 v140, s1, v78
	v_add_co_u32 v78, vcc_lo, v94, v74
	v_add_co_ci_u32_e64 v79, null, v95, v75, vcc_lo
	v_min_f32_e32 v77, v140, v77
	v_add_co_u32 v140, vcc_lo, v146, v72
	v_add_co_ci_u32_e64 v141, null, v147, v73, vcc_lo
	global_store_dword v[78:79], v77, off
	global_load_dword v77, v[140:141], off
	s_waitcnt vmcnt(0)
	v_mul_f32_e32 v79, s1, v77
.LBB73_22:
	v_add_f32_e32 v77, v13, v61
	v_add_f32_e32 v78, v12, v60
	;; [unrolled: 1-line block ×6, first 2 shown]
	v_min3_f32 v77, v78, v77, v136
	v_add_nc_u32_e32 v78, 56, v76
	v_min3_f32 v140, v141, v140, v135
	v_add_nc_u32_e32 v135, 48, v76
	v_min_f32_e32 v136, v144, v143
	v_add_f32_e32 v141, v11, v63
	v_add_f32_e32 v143, v10, v62
	v_add_co_u32 v76, vcc_lo, v94, v72
	v_min3_f32 v144, v79, v136, v77
	v_add_co_ci_u32_e64 v77, null, v95, v73, vcc_lo
	v_ashrrev_i32_e32 v136, 31, v135
	v_min3_f32 v140, v143, v141, v140
	v_ashrrev_i32_e32 v79, 31, v78
	global_store_dword v[76:77], v144, off
	s_mov_b32 s6, -1
	v_lshlrev_b64 v[76:77], 2, v[135:136]
	v_max_f32_e32 v135, v140, v140
	s_mov_b32 vcc_lo, s0
	s_cbranch_vccz .LBB73_24
; %bb.23:
	v_add_co_u32 v140, vcc_lo, v94, v76
	v_min_f32_e32 v136, 0, v135
	v_add_co_ci_u32_e64 v141, null, v95, v77, vcc_lo
	s_mov_b32 s6, 0
	global_store_dword v[140:141], v136, off
.LBB73_24:
	v_lshlrev_b64 v[78:79], 2, v[78:79]
	v_mov_b32_e32 v136, 0
	s_andn2_b32 vcc_lo, exec_lo, s6
	s_cbranch_vccnz .LBB73_26
; %bb.25:
	v_add_co_u32 v140, vcc_lo, v146, v76
	v_add_co_ci_u32_e64 v141, null, v147, v77, vcc_lo
	global_load_dword v136, v[140:141], off
	v_add_co_u32 v140, vcc_lo, v94, v76
	v_add_co_ci_u32_e64 v141, null, v95, v77, vcc_lo
	s_waitcnt vmcnt(0)
	v_mul_f32_e32 v136, s1, v136
	v_min_f32_e32 v143, v136, v135
	v_add_co_u32 v135, vcc_lo, v146, v78
	v_add_co_ci_u32_e64 v136, null, v147, v79, vcc_lo
	global_store_dword v[140:141], v143, off
	global_load_dword v135, v[135:136], off
	s_waitcnt vmcnt(0)
	v_mul_f32_e32 v136, s1, v135
.LBB73_26:
	v_add_f32_e32 v61, v1, v61
	v_add_f32_e32 v60, v0, v60
	;; [unrolled: 1-line block ×6, first 2 shown]
	v_min3_f32 v60, v60, v61, v131
	v_add_co_u32 v94, vcc_lo, v94, v78
	v_min_f32_e32 v61, v62, v63
	v_add_nc_u32_e32 v62, 32, v93
	v_min3_f32 v131, v140, v135, v145
	v_add_f32_e32 v135, v35, v59
	v_add_f32_e32 v140, v34, v58
	v_min3_f32 v136, v136, v61, v60
	v_mad_i64_i32 v[60:61], null, v62, s3, 0
	v_mad_i64_i32 v[62:63], null, v62, s2, 0
	v_add_co_ci_u32_e64 v95, null, v95, v79, vcc_lo
	v_min3_f32 v131, v140, v135, v131
	s_mov_b32 s6, -1
	v_lshlrev_b64 v[60:61], 2, v[60:61]
	global_store_dword v[94:95], v136, off
	v_lshlrev_b64 v[62:63], 2, v[62:63]
	v_max_f32_e32 v94, v131, v131
	v_add_co_u32 v60, vcc_lo, s4, v60
	v_add_co_ci_u32_e64 v61, null, s5, v61, vcc_lo
	v_add_co_u32 v62, vcc_lo, s12, v62
	v_add_co_ci_u32_e64 v63, null, s13, v63, vcc_lo
	s_mov_b32 vcc_lo, s0
	s_cbranch_vccz .LBB73_28
; %bb.27:
	v_add_co_u32 v135, vcc_lo, v60, v66
	v_min_f32_e32 v95, 0, v94
	v_add_co_ci_u32_e64 v136, null, v61, v67, vcc_lo
	s_mov_b32 s6, 0
	global_store_dword v[135:136], v95, off
.LBB73_28:
	v_mov_b32_e32 v95, 0
	s_andn2_b32 vcc_lo, exec_lo, s6
	s_cbranch_vccnz .LBB73_30
; %bb.29:
	v_add_co_u32 v135, vcc_lo, v62, v66
	v_add_co_ci_u32_e64 v136, null, v63, v67, vcc_lo
	global_load_dword v95, v[135:136], off
	v_add_co_u32 v135, vcc_lo, v60, v66
	v_add_co_ci_u32_e64 v136, null, v61, v67, vcc_lo
	s_waitcnt vmcnt(0)
	v_mul_f32_e32 v95, s1, v95
	v_min_f32_e32 v131, v95, v94
	v_add_co_u32 v94, vcc_lo, v62, v64
	v_add_co_ci_u32_e64 v95, null, v63, v65, vcc_lo
	global_store_dword v[135:136], v131, off
	global_load_dword v94, v[94:95], off
	s_waitcnt vmcnt(0)
	v_mul_f32_e32 v95, s1, v94
.LBB73_30:
	v_add_f32_e32 v94, v29, v57
	v_add_f32_e32 v131, v28, v56
	v_add_f32_e32 v135, v31, v59
	v_add_f32_e32 v136, v30, v58
	v_add_f32_e32 v140, v25, v57
	v_add_f32_e32 v141, v24, v56
	v_min3_f32 v94, v131, v94, v139
	v_add_f32_e32 v139, v26, v58
	v_min_f32_e32 v131, v136, v135
	v_add_f32_e32 v136, v27, v59
	v_min3_f32 v135, v141, v140, v142
	s_mov_b32 s6, -1
	v_min3_f32 v131, v95, v131, v94
	v_add_co_u32 v94, vcc_lo, v60, v64
	v_add_co_ci_u32_e64 v95, null, v61, v65, vcc_lo
	v_min3_f32 v135, v139, v136, v135
	s_mov_b32 vcc_lo, s0
	global_store_dword v[94:95], v131, off
	v_max_f32_e32 v94, v135, v135
	s_cbranch_vccz .LBB73_32
; %bb.31:
	v_add_co_u32 v135, vcc_lo, v60, v70
	v_min_f32_e32 v95, 0, v94
	v_add_co_ci_u32_e64 v136, null, v61, v71, vcc_lo
	s_mov_b32 s6, 0
	global_store_dword v[135:136], v95, off
.LBB73_32:
	v_mov_b32_e32 v95, 0
	s_andn2_b32 vcc_lo, exec_lo, s6
	s_cbranch_vccnz .LBB73_34
; %bb.33:
	v_add_co_u32 v135, vcc_lo, v62, v70
	v_add_co_ci_u32_e64 v136, null, v63, v71, vcc_lo
	global_load_dword v95, v[135:136], off
	v_add_co_u32 v135, vcc_lo, v60, v70
	v_add_co_ci_u32_e64 v136, null, v61, v71, vcc_lo
	s_waitcnt vmcnt(0)
	v_mul_f32_e32 v95, s1, v95
	v_min_f32_e32 v131, v95, v94
	v_add_co_u32 v94, vcc_lo, v62, v68
	v_add_co_ci_u32_e64 v95, null, v63, v69, vcc_lo
	global_store_dword v[135:136], v131, off
	global_load_dword v94, v[94:95], off
	s_waitcnt vmcnt(0)
	v_mul_f32_e32 v95, s1, v94
.LBB73_34:
	v_add_f32_e32 v94, v21, v57
	v_add_f32_e32 v131, v20, v56
	;; [unrolled: 1-line block ×6, first 2 shown]
	v_min3_f32 v94, v131, v94, v137
	v_add_f32_e32 v137, v18, v58
	v_min_f32_e32 v131, v136, v135
	v_add_f32_e32 v136, v19, v59
	v_min3_f32 v135, v140, v139, v138
	s_mov_b32 s6, -1
	v_min3_f32 v131, v95, v131, v94
	v_add_co_u32 v94, vcc_lo, v60, v68
	v_add_co_ci_u32_e64 v95, null, v61, v69, vcc_lo
	v_min3_f32 v135, v137, v136, v135
	s_mov_b32 vcc_lo, s0
	global_store_dword v[94:95], v131, off
	v_max_f32_e32 v94, v135, v135
	s_cbranch_vccz .LBB73_36
; %bb.35:
	v_add_co_u32 v135, vcc_lo, v60, v74
	v_min_f32_e32 v95, 0, v94
	v_add_co_ci_u32_e64 v136, null, v61, v75, vcc_lo
	s_mov_b32 s6, 0
	global_store_dword v[135:136], v95, off
.LBB73_36:
	v_mov_b32_e32 v95, 0
	s_andn2_b32 vcc_lo, exec_lo, s6
	s_cbranch_vccnz .LBB73_38
; %bb.37:
	v_add_co_u32 v135, vcc_lo, v62, v74
	v_add_co_ci_u32_e64 v136, null, v63, v75, vcc_lo
	global_load_dword v95, v[135:136], off
	v_add_co_u32 v135, vcc_lo, v60, v74
	v_add_co_ci_u32_e64 v136, null, v61, v75, vcc_lo
	s_waitcnt vmcnt(0)
	v_mul_f32_e32 v95, s1, v95
	v_min_f32_e32 v131, v95, v94
	v_add_co_u32 v94, vcc_lo, v62, v72
	v_add_co_ci_u32_e64 v95, null, v63, v73, vcc_lo
	global_store_dword v[135:136], v131, off
	global_load_dword v94, v[94:95], off
	s_waitcnt vmcnt(0)
	v_mul_f32_e32 v95, s1, v94
.LBB73_38:
	v_add_f32_e32 v94, v13, v57
	v_add_f32_e32 v131, v12, v56
	;; [unrolled: 1-line block ×6, first 2 shown]
	v_min3_f32 v94, v131, v94, v132
	s_mov_b32 s6, -1
	v_min_f32_e32 v131, v136, v135
	v_add_f32_e32 v135, v10, v58
	v_min3_f32 v132, v138, v137, v133
	v_add_f32_e32 v133, v11, v59
	v_min3_f32 v131, v95, v131, v94
	v_add_co_u32 v94, vcc_lo, v60, v72
	v_add_co_ci_u32_e64 v95, null, v61, v73, vcc_lo
	v_min3_f32 v132, v135, v133, v132
	s_mov_b32 vcc_lo, s0
	global_store_dword v[94:95], v131, off
	v_max_f32_e32 v94, v132, v132
	s_cbranch_vccz .LBB73_40
; %bb.39:
	v_add_co_u32 v131, vcc_lo, v60, v76
	v_min_f32_e32 v95, 0, v94
	v_add_co_ci_u32_e64 v132, null, v61, v77, vcc_lo
	s_mov_b32 s6, 0
	global_store_dword v[131:132], v95, off
.LBB73_40:
	v_mov_b32_e32 v95, 0
	s_andn2_b32 vcc_lo, exec_lo, s6
	s_cbranch_vccnz .LBB73_42
; %bb.41:
	v_add_co_u32 v131, vcc_lo, v62, v76
	v_add_co_ci_u32_e64 v132, null, v63, v77, vcc_lo
	global_load_dword v95, v[131:132], off
	v_add_co_u32 v131, vcc_lo, v60, v76
	v_add_co_ci_u32_e64 v132, null, v61, v77, vcc_lo
	v_add_co_u32 v62, vcc_lo, v62, v78
	v_add_co_ci_u32_e64 v63, null, v63, v79, vcc_lo
	s_waitcnt vmcnt(0)
	v_mul_f32_e32 v95, s1, v95
	v_min_f32_e32 v94, v95, v94
	global_store_dword v[131:132], v94, off
	global_load_dword v62, v[62:63], off
	s_waitcnt vmcnt(0)
	v_mul_f32_e32 v95, s1, v62
.LBB73_42:
	v_add_f32_e32 v57, v1, v57
	v_add_f32_e32 v56, v0, v56
	;; [unrolled: 1-line block ×6, first 2 shown]
	v_min3_f32 v56, v56, v57, v129
	v_add_f32_e32 v94, v34, v54
	v_min_f32_e32 v57, v58, v59
	v_add_nc_u32_e32 v58, 64, v93
	v_min3_f32 v62, v63, v62, v134
	v_add_f32_e32 v63, v35, v55
	v_add_co_u32 v60, vcc_lo, v60, v78
	v_min3_f32 v95, v95, v57, v56
	v_mad_i64_i32 v[56:57], null, v58, s3, 0
	v_mad_i64_i32 v[58:59], null, v58, s2, 0
	v_add_co_ci_u32_e64 v61, null, v61, v79, vcc_lo
	v_min3_f32 v62, v94, v63, v62
	s_mov_b32 s6, -1
	v_lshlrev_b64 v[56:57], 2, v[56:57]
	global_store_dword v[60:61], v95, off
	v_lshlrev_b64 v[58:59], 2, v[58:59]
	v_max_f32_e32 v60, v62, v62
	v_add_co_u32 v56, vcc_lo, s4, v56
	v_add_co_ci_u32_e64 v57, null, s5, v57, vcc_lo
	v_add_co_u32 v58, vcc_lo, s12, v58
	v_add_co_ci_u32_e64 v59, null, s13, v59, vcc_lo
	s_mov_b32 vcc_lo, s0
	s_cbranch_vccz .LBB73_44
; %bb.43:
	v_add_co_u32 v61, vcc_lo, v56, v66
	v_min_f32_e32 v63, 0, v60
	v_add_co_ci_u32_e64 v62, null, v57, v67, vcc_lo
	s_mov_b32 s6, 0
	global_store_dword v[61:62], v63, off
.LBB73_44:
	v_mov_b32_e32 v61, 0
	s_andn2_b32 vcc_lo, exec_lo, s6
	s_cbranch_vccnz .LBB73_46
; %bb.45:
	v_add_co_u32 v61, vcc_lo, v58, v66
	v_add_co_ci_u32_e64 v62, null, v59, v67, vcc_lo
	global_load_dword v61, v[61:62], off
	s_waitcnt vmcnt(0)
	v_mul_f32_e32 v63, s1, v61
	v_add_co_u32 v61, vcc_lo, v56, v66
	v_add_co_ci_u32_e64 v62, null, v57, v67, vcc_lo
	v_add_co_u32 v94, vcc_lo, v58, v64
	v_min_f32_e32 v60, v63, v60
	v_add_co_ci_u32_e64 v95, null, v59, v65, vcc_lo
	global_store_dword v[61:62], v60, off
	global_load_dword v60, v[94:95], off
	s_waitcnt vmcnt(0)
	v_mul_f32_e32 v61, s1, v60
.LBB73_46:
	v_add_f32_e32 v60, v29, v53
	v_add_f32_e32 v62, v28, v52
	v_add_f32_e32 v63, v31, v55
	v_add_f32_e32 v94, v30, v54
	v_add_f32_e32 v95, v25, v53
	v_add_f32_e32 v129, v24, v52
	v_min3_f32 v60, v62, v60, v128
	s_mov_b32 s6, -1
	v_min_f32_e32 v62, v94, v63
	v_add_f32_e32 v94, v27, v55
	v_min3_f32 v63, v129, v95, v130
	v_add_f32_e32 v95, v26, v54
	v_min3_f32 v62, v61, v62, v60
	v_add_co_u32 v60, vcc_lo, v56, v64
	v_add_co_ci_u32_e64 v61, null, v57, v65, vcc_lo
	v_min3_f32 v63, v95, v94, v63
	s_mov_b32 vcc_lo, s0
	global_store_dword v[60:61], v62, off
	v_max_f32_e32 v60, v63, v63
	s_cbranch_vccz .LBB73_48
; %bb.47:
	v_add_co_u32 v61, vcc_lo, v56, v70
	v_min_f32_e32 v63, 0, v60
	v_add_co_ci_u32_e64 v62, null, v57, v71, vcc_lo
	s_mov_b32 s6, 0
	global_store_dword v[61:62], v63, off
.LBB73_48:
	v_mov_b32_e32 v61, 0
	s_andn2_b32 vcc_lo, exec_lo, s6
	s_cbranch_vccnz .LBB73_50
; %bb.49:
	v_add_co_u32 v61, vcc_lo, v58, v70
	v_add_co_ci_u32_e64 v62, null, v59, v71, vcc_lo
	global_load_dword v61, v[61:62], off
	s_waitcnt vmcnt(0)
	v_mul_f32_e32 v63, s1, v61
	v_add_co_u32 v61, vcc_lo, v56, v70
	v_add_co_ci_u32_e64 v62, null, v57, v71, vcc_lo
	v_add_co_u32 v94, vcc_lo, v58, v68
	v_min_f32_e32 v60, v63, v60
	v_add_co_ci_u32_e64 v95, null, v59, v69, vcc_lo
	global_store_dword v[61:62], v60, off
	global_load_dword v60, v[94:95], off
	s_waitcnt vmcnt(0)
	v_mul_f32_e32 v61, s1, v60
.LBB73_50:
	v_add_f32_e32 v60, v21, v53
	v_add_f32_e32 v62, v20, v52
	v_add_f32_e32 v63, v23, v55
	v_add_f32_e32 v94, v22, v54
	v_add_f32_e32 v95, v17, v53
	v_add_f32_e32 v128, v16, v52
	v_min3_f32 v60, v62, v60, v126
	s_mov_b32 s6, -1
	v_min_f32_e32 v62, v94, v63
	v_add_f32_e32 v94, v19, v55
	v_min3_f32 v63, v128, v95, v127
	v_add_f32_e32 v95, v18, v54
	v_min3_f32 v62, v61, v62, v60
	v_add_co_u32 v60, vcc_lo, v56, v68
	v_add_co_ci_u32_e64 v61, null, v57, v69, vcc_lo
	v_min3_f32 v63, v95, v94, v63
	s_mov_b32 vcc_lo, s0
	global_store_dword v[60:61], v62, off
	v_max_f32_e32 v60, v63, v63
	;; [unrolled: 46-line block ×3, first 2 shown]
	s_cbranch_vccz .LBB73_56
; %bb.55:
	v_add_co_u32 v61, vcc_lo, v56, v76
	v_min_f32_e32 v63, 0, v60
	v_add_co_ci_u32_e64 v62, null, v57, v77, vcc_lo
	s_mov_b32 s6, 0
	global_store_dword v[61:62], v63, off
.LBB73_56:
	v_mov_b32_e32 v61, 0
	s_andn2_b32 vcc_lo, exec_lo, s6
	s_cbranch_vccnz .LBB73_58
; %bb.57:
	v_add_co_u32 v61, vcc_lo, v58, v76
	v_add_co_ci_u32_e64 v62, null, v59, v77, vcc_lo
	global_load_dword v61, v[61:62], off
	s_waitcnt vmcnt(0)
	v_mul_f32_e32 v63, s1, v61
	v_add_co_u32 v61, vcc_lo, v56, v76
	v_add_co_ci_u32_e64 v62, null, v57, v77, vcc_lo
	v_add_co_u32 v58, vcc_lo, v58, v78
	v_min_f32_e32 v60, v63, v60
	v_add_co_ci_u32_e64 v59, null, v59, v79, vcc_lo
	global_store_dword v[61:62], v60, off
	global_load_dword v58, v[58:59], off
	s_waitcnt vmcnt(0)
	v_mul_f32_e32 v61, s1, v58
.LBB73_58:
	v_add_f32_e32 v53, v1, v53
	v_add_f32_e32 v52, v0, v52
	;; [unrolled: 1-line block ×6, first 2 shown]
	v_min3_f32 v52, v52, v53, v119
	v_add_f32_e32 v60, v34, v50
	v_min_f32_e32 v53, v54, v55
	v_add_nc_u32_e32 v54, 0x60, v93
	v_min3_f32 v58, v59, v58, v125
	v_add_f32_e32 v59, v35, v51
	v_add_co_u32 v56, vcc_lo, v56, v78
	v_min3_f32 v61, v61, v53, v52
	v_mad_i64_i32 v[52:53], null, v54, s3, 0
	v_mad_i64_i32 v[54:55], null, v54, s2, 0
	v_add_co_ci_u32_e64 v57, null, v57, v79, vcc_lo
	v_min3_f32 v58, v60, v59, v58
	s_mov_b32 s6, -1
	v_lshlrev_b64 v[52:53], 2, v[52:53]
	global_store_dword v[56:57], v61, off
	v_lshlrev_b64 v[54:55], 2, v[54:55]
	v_max_f32_e32 v56, v58, v58
	v_add_co_u32 v52, vcc_lo, s4, v52
	v_add_co_ci_u32_e64 v53, null, s5, v53, vcc_lo
	v_add_co_u32 v54, vcc_lo, s12, v54
	v_add_co_ci_u32_e64 v55, null, s13, v55, vcc_lo
	s_mov_b32 vcc_lo, s0
	s_cbranch_vccz .LBB73_60
; %bb.59:
	v_add_co_u32 v57, vcc_lo, v52, v66
	v_min_f32_e32 v59, 0, v56
	v_add_co_ci_u32_e64 v58, null, v53, v67, vcc_lo
	s_mov_b32 s6, 0
	global_store_dword v[57:58], v59, off
.LBB73_60:
	v_mov_b32_e32 v57, 0
	s_andn2_b32 vcc_lo, exec_lo, s6
	s_cbranch_vccnz .LBB73_62
; %bb.61:
	v_add_co_u32 v57, vcc_lo, v54, v66
	v_add_co_ci_u32_e64 v58, null, v55, v67, vcc_lo
	global_load_dword v57, v[57:58], off
	s_waitcnt vmcnt(0)
	v_mul_f32_e32 v59, s1, v57
	v_add_co_u32 v57, vcc_lo, v52, v66
	v_add_co_ci_u32_e64 v58, null, v53, v67, vcc_lo
	v_min_f32_e32 v56, v59, v56
	v_add_co_u32 v59, vcc_lo, v54, v64
	v_add_co_ci_u32_e64 v60, null, v55, v65, vcc_lo
	global_store_dword v[57:58], v56, off
	global_load_dword v56, v[59:60], off
	s_waitcnt vmcnt(0)
	v_mul_f32_e32 v57, s1, v56
.LBB73_62:
	v_add_f32_e32 v56, v29, v49
	v_add_f32_e32 v58, v28, v48
	v_add_f32_e32 v59, v31, v51
	v_add_f32_e32 v60, v30, v50
	v_add_f32_e32 v61, v25, v49
	v_add_f32_e32 v62, v24, v48
	v_min3_f32 v56, v58, v56, v118
	s_mov_b32 s6, -1
	v_min_f32_e32 v58, v60, v59
	v_add_f32_e32 v60, v27, v51
	v_min3_f32 v59, v62, v61, v120
	v_add_f32_e32 v61, v26, v50
	v_min3_f32 v58, v57, v58, v56
	v_add_co_u32 v56, vcc_lo, v52, v64
	v_add_co_ci_u32_e64 v57, null, v53, v65, vcc_lo
	v_min3_f32 v59, v61, v60, v59
	s_mov_b32 vcc_lo, s0
	global_store_dword v[56:57], v58, off
	v_max_f32_e32 v56, v59, v59
	s_cbranch_vccz .LBB73_64
; %bb.63:
	v_add_co_u32 v57, vcc_lo, v52, v70
	v_min_f32_e32 v59, 0, v56
	v_add_co_ci_u32_e64 v58, null, v53, v71, vcc_lo
	s_mov_b32 s6, 0
	global_store_dword v[57:58], v59, off
.LBB73_64:
	v_mov_b32_e32 v57, 0
	s_andn2_b32 vcc_lo, exec_lo, s6
	s_cbranch_vccnz .LBB73_66
; %bb.65:
	v_add_co_u32 v57, vcc_lo, v54, v70
	v_add_co_ci_u32_e64 v58, null, v55, v71, vcc_lo
	global_load_dword v57, v[57:58], off
	s_waitcnt vmcnt(0)
	v_mul_f32_e32 v59, s1, v57
	v_add_co_u32 v57, vcc_lo, v52, v70
	v_add_co_ci_u32_e64 v58, null, v53, v71, vcc_lo
	v_min_f32_e32 v56, v59, v56
	v_add_co_u32 v59, vcc_lo, v54, v68
	v_add_co_ci_u32_e64 v60, null, v55, v69, vcc_lo
	global_store_dword v[57:58], v56, off
	global_load_dword v56, v[59:60], off
	s_waitcnt vmcnt(0)
	v_mul_f32_e32 v57, s1, v56
.LBB73_66:
	v_add_f32_e32 v56, v21, v49
	v_add_f32_e32 v58, v20, v48
	v_add_f32_e32 v59, v23, v51
	v_add_f32_e32 v60, v22, v50
	v_add_f32_e32 v61, v17, v49
	v_add_f32_e32 v62, v16, v48
	v_min3_f32 v56, v58, v56, v114
	s_mov_b32 s6, -1
	v_min_f32_e32 v58, v60, v59
	v_add_f32_e32 v60, v19, v51
	v_min3_f32 v59, v62, v61, v116
	v_add_f32_e32 v61, v18, v50
	v_min3_f32 v58, v57, v58, v56
	v_add_co_u32 v56, vcc_lo, v52, v68
	v_add_co_ci_u32_e64 v57, null, v53, v69, vcc_lo
	v_min3_f32 v59, v61, v60, v59
	s_mov_b32 vcc_lo, s0
	global_store_dword v[56:57], v58, off
	v_max_f32_e32 v56, v59, v59
	;; [unrolled: 46-line block ×3, first 2 shown]
	s_cbranch_vccz .LBB73_72
; %bb.71:
	v_add_co_u32 v57, vcc_lo, v52, v76
	v_min_f32_e32 v59, 0, v56
	v_add_co_ci_u32_e64 v58, null, v53, v77, vcc_lo
	s_mov_b32 s6, 0
	global_store_dword v[57:58], v59, off
.LBB73_72:
	v_mov_b32_e32 v57, 0
	s_andn2_b32 vcc_lo, exec_lo, s6
	s_cbranch_vccnz .LBB73_74
; %bb.73:
	v_add_co_u32 v57, vcc_lo, v54, v76
	v_add_co_ci_u32_e64 v58, null, v55, v77, vcc_lo
	global_load_dword v57, v[57:58], off
	s_waitcnt vmcnt(0)
	v_mul_f32_e32 v59, s1, v57
	v_add_co_u32 v57, vcc_lo, v52, v76
	v_add_co_ci_u32_e64 v58, null, v53, v77, vcc_lo
	v_add_co_u32 v54, vcc_lo, v54, v78
	v_min_f32_e32 v56, v59, v56
	v_add_co_ci_u32_e64 v55, null, v55, v79, vcc_lo
	global_store_dword v[57:58], v56, off
	global_load_dword v54, v[54:55], off
	s_waitcnt vmcnt(0)
	v_mul_f32_e32 v57, s1, v54
.LBB73_74:
	v_add_f32_e32 v49, v1, v49
	v_add_f32_e32 v48, v0, v48
	;; [unrolled: 1-line block ×6, first 2 shown]
	v_min3_f32 v48, v48, v49, v106
	v_add_f32_e32 v56, v34, v46
	v_min_f32_e32 v49, v50, v51
	v_add_nc_u32_e32 v50, 0x80, v93
	v_min3_f32 v54, v55, v54, v121
	v_add_f32_e32 v55, v35, v47
	v_add_co_u32 v52, vcc_lo, v52, v78
	v_min3_f32 v57, v57, v49, v48
	v_mad_i64_i32 v[48:49], null, v50, s3, 0
	v_mad_i64_i32 v[50:51], null, v50, s2, 0
	v_add_co_ci_u32_e64 v53, null, v53, v79, vcc_lo
	v_min3_f32 v54, v56, v55, v54
	s_mov_b32 s6, -1
	v_lshlrev_b64 v[48:49], 2, v[48:49]
	global_store_dword v[52:53], v57, off
	v_lshlrev_b64 v[50:51], 2, v[50:51]
	v_max_f32_e32 v52, v54, v54
	v_add_co_u32 v48, vcc_lo, s4, v48
	v_add_co_ci_u32_e64 v49, null, s5, v49, vcc_lo
	v_add_co_u32 v50, vcc_lo, s12, v50
	v_add_co_ci_u32_e64 v51, null, s13, v51, vcc_lo
	s_mov_b32 vcc_lo, s0
	s_cbranch_vccz .LBB73_76
; %bb.75:
	v_add_co_u32 v53, vcc_lo, v48, v66
	v_min_f32_e32 v55, 0, v52
	v_add_co_ci_u32_e64 v54, null, v49, v67, vcc_lo
	s_mov_b32 s6, 0
	global_store_dword v[53:54], v55, off
.LBB73_76:
	v_mov_b32_e32 v53, 0
	s_andn2_b32 vcc_lo, exec_lo, s6
	s_cbranch_vccnz .LBB73_78
; %bb.77:
	v_add_co_u32 v53, vcc_lo, v50, v66
	v_add_co_ci_u32_e64 v54, null, v51, v67, vcc_lo
	global_load_dword v53, v[53:54], off
	s_waitcnt vmcnt(0)
	v_mul_f32_e32 v55, s1, v53
	v_add_co_u32 v53, vcc_lo, v48, v66
	v_add_co_ci_u32_e64 v54, null, v49, v67, vcc_lo
	v_min_f32_e32 v52, v55, v52
	v_add_co_u32 v55, vcc_lo, v50, v64
	v_add_co_ci_u32_e64 v56, null, v51, v65, vcc_lo
	global_store_dword v[53:54], v52, off
	global_load_dword v52, v[55:56], off
	s_waitcnt vmcnt(0)
	v_mul_f32_e32 v53, s1, v52
.LBB73_78:
	v_add_f32_e32 v52, v29, v45
	v_add_f32_e32 v54, v28, v44
	v_add_f32_e32 v55, v31, v47
	v_add_f32_e32 v56, v30, v46
	v_add_f32_e32 v57, v25, v45
	v_add_f32_e32 v58, v24, v44
	v_min3_f32 v52, v54, v52, v115
	s_mov_b32 s6, -1
	v_min_f32_e32 v54, v56, v55
	v_add_f32_e32 v56, v27, v47
	v_min3_f32 v55, v58, v57, v117
	v_add_f32_e32 v57, v26, v46
	v_min3_f32 v54, v53, v54, v52
	v_add_co_u32 v52, vcc_lo, v48, v64
	v_add_co_ci_u32_e64 v53, null, v49, v65, vcc_lo
	v_min3_f32 v55, v57, v56, v55
	s_mov_b32 vcc_lo, s0
	global_store_dword v[52:53], v54, off
	v_max_f32_e32 v52, v55, v55
	s_cbranch_vccz .LBB73_80
; %bb.79:
	v_add_co_u32 v53, vcc_lo, v48, v70
	v_min_f32_e32 v55, 0, v52
	v_add_co_ci_u32_e64 v54, null, v49, v71, vcc_lo
	s_mov_b32 s6, 0
	global_store_dword v[53:54], v55, off
.LBB73_80:
	v_mov_b32_e32 v53, 0
	s_andn2_b32 vcc_lo, exec_lo, s6
	s_cbranch_vccnz .LBB73_82
; %bb.81:
	v_add_co_u32 v53, vcc_lo, v50, v70
	v_add_co_ci_u32_e64 v54, null, v51, v71, vcc_lo
	global_load_dword v53, v[53:54], off
	s_waitcnt vmcnt(0)
	v_mul_f32_e32 v55, s1, v53
	v_add_co_u32 v53, vcc_lo, v48, v70
	v_add_co_ci_u32_e64 v54, null, v49, v71, vcc_lo
	v_min_f32_e32 v52, v55, v52
	v_add_co_u32 v55, vcc_lo, v50, v68
	v_add_co_ci_u32_e64 v56, null, v51, v69, vcc_lo
	global_store_dword v[53:54], v52, off
	global_load_dword v52, v[55:56], off
	s_waitcnt vmcnt(0)
	v_mul_f32_e32 v53, s1, v52
.LBB73_82:
	v_add_f32_e32 v52, v21, v45
	v_add_f32_e32 v54, v20, v44
	v_add_f32_e32 v55, v23, v47
	v_add_f32_e32 v56, v22, v46
	v_add_f32_e32 v57, v17, v45
	v_add_f32_e32 v58, v16, v44
	v_min3_f32 v52, v54, v52, v111
	s_mov_b32 s6, -1
	v_min_f32_e32 v54, v56, v55
	v_add_f32_e32 v56, v19, v47
	v_min3_f32 v55, v58, v57, v113
	v_add_f32_e32 v57, v18, v46
	v_min3_f32 v54, v53, v54, v52
	v_add_co_u32 v52, vcc_lo, v48, v68
	v_add_co_ci_u32_e64 v53, null, v49, v69, vcc_lo
	v_min3_f32 v55, v57, v56, v55
	s_mov_b32 vcc_lo, s0
	global_store_dword v[52:53], v54, off
	v_max_f32_e32 v52, v55, v55
	;; [unrolled: 46-line block ×3, first 2 shown]
	s_cbranch_vccz .LBB73_88
; %bb.87:
	v_add_co_u32 v53, vcc_lo, v48, v76
	v_min_f32_e32 v55, 0, v52
	v_add_co_ci_u32_e64 v54, null, v49, v77, vcc_lo
	s_mov_b32 s6, 0
	global_store_dword v[53:54], v55, off
.LBB73_88:
	v_mov_b32_e32 v53, 0
	s_andn2_b32 vcc_lo, exec_lo, s6
	s_cbranch_vccnz .LBB73_90
; %bb.89:
	v_add_co_u32 v53, vcc_lo, v50, v76
	v_add_co_ci_u32_e64 v54, null, v51, v77, vcc_lo
	global_load_dword v53, v[53:54], off
	s_waitcnt vmcnt(0)
	v_mul_f32_e32 v55, s1, v53
	v_add_co_u32 v53, vcc_lo, v48, v76
	v_add_co_ci_u32_e64 v54, null, v49, v77, vcc_lo
	v_add_co_u32 v50, vcc_lo, v50, v78
	v_min_f32_e32 v52, v55, v52
	v_add_co_ci_u32_e64 v51, null, v51, v79, vcc_lo
	global_store_dword v[53:54], v52, off
	global_load_dword v50, v[50:51], off
	s_waitcnt vmcnt(0)
	v_mul_f32_e32 v53, s1, v50
.LBB73_90:
	v_add_f32_e32 v45, v1, v45
	v_add_f32_e32 v44, v0, v44
	v_add_f32_e32 v47, v3, v47
	v_add_f32_e32 v46, v2, v46
	v_add_f32_e32 v50, v33, v41
	v_add_f32_e32 v51, v32, v40
	v_min3_f32 v44, v44, v45, v103
	v_add_f32_e32 v52, v34, v42
	v_min_f32_e32 v45, v46, v47
	v_add_nc_u32_e32 v46, 0xa0, v93
	v_min3_f32 v50, v51, v50, v109
	v_add_f32_e32 v51, v35, v43
	v_add_co_u32 v48, vcc_lo, v48, v78
	v_min3_f32 v53, v53, v45, v44
	v_mad_i64_i32 v[44:45], null, v46, s3, 0
	v_mad_i64_i32 v[46:47], null, v46, s2, 0
	v_add_co_ci_u32_e64 v49, null, v49, v79, vcc_lo
	v_min3_f32 v50, v52, v51, v50
	s_mov_b32 s6, -1
	v_lshlrev_b64 v[44:45], 2, v[44:45]
	global_store_dword v[48:49], v53, off
	v_lshlrev_b64 v[46:47], 2, v[46:47]
	v_max_f32_e32 v48, v50, v50
	v_add_co_u32 v44, vcc_lo, s4, v44
	v_add_co_ci_u32_e64 v45, null, s5, v45, vcc_lo
	v_add_co_u32 v46, vcc_lo, s12, v46
	v_add_co_ci_u32_e64 v47, null, s13, v47, vcc_lo
	s_mov_b32 vcc_lo, s0
	s_cbranch_vccz .LBB73_92
; %bb.91:
	v_add_co_u32 v49, vcc_lo, v44, v66
	v_min_f32_e32 v51, 0, v48
	v_add_co_ci_u32_e64 v50, null, v45, v67, vcc_lo
	s_mov_b32 s6, 0
	global_store_dword v[49:50], v51, off
.LBB73_92:
	v_mov_b32_e32 v49, 0
	s_andn2_b32 vcc_lo, exec_lo, s6
	s_cbranch_vccnz .LBB73_94
; %bb.93:
	v_add_co_u32 v49, vcc_lo, v46, v66
	v_add_co_ci_u32_e64 v50, null, v47, v67, vcc_lo
	global_load_dword v49, v[49:50], off
	s_waitcnt vmcnt(0)
	v_mul_f32_e32 v51, s1, v49
	v_add_co_u32 v49, vcc_lo, v44, v66
	v_add_co_ci_u32_e64 v50, null, v45, v67, vcc_lo
	v_min_f32_e32 v48, v51, v48
	v_add_co_u32 v51, vcc_lo, v46, v64
	v_add_co_ci_u32_e64 v52, null, v47, v65, vcc_lo
	global_store_dword v[49:50], v48, off
	global_load_dword v48, v[51:52], off
	s_waitcnt vmcnt(0)
	v_mul_f32_e32 v49, s1, v48
.LBB73_94:
	v_add_f32_e32 v48, v29, v41
	v_add_f32_e32 v50, v28, v40
	v_add_f32_e32 v51, v31, v43
	v_add_f32_e32 v52, v30, v42
	v_add_f32_e32 v53, v25, v41
	v_add_f32_e32 v54, v24, v40
	v_min3_f32 v48, v50, v48, v104
	s_mov_b32 s6, -1
	v_min_f32_e32 v50, v52, v51
	v_add_f32_e32 v52, v27, v43
	v_min3_f32 v51, v54, v53, v105
	v_add_f32_e32 v53, v26, v42
	v_min3_f32 v50, v49, v50, v48
	v_add_co_u32 v48, vcc_lo, v44, v64
	v_add_co_ci_u32_e64 v49, null, v45, v65, vcc_lo
	v_min3_f32 v51, v53, v52, v51
	s_mov_b32 vcc_lo, s0
	global_store_dword v[48:49], v50, off
	v_max_f32_e32 v48, v51, v51
	s_cbranch_vccz .LBB73_96
; %bb.95:
	v_add_co_u32 v49, vcc_lo, v44, v70
	v_min_f32_e32 v51, 0, v48
	v_add_co_ci_u32_e64 v50, null, v45, v71, vcc_lo
	s_mov_b32 s6, 0
	global_store_dword v[49:50], v51, off
.LBB73_96:
	v_mov_b32_e32 v49, 0
	s_andn2_b32 vcc_lo, exec_lo, s6
	s_cbranch_vccnz .LBB73_98
; %bb.97:
	v_add_co_u32 v49, vcc_lo, v46, v70
	v_add_co_ci_u32_e64 v50, null, v47, v71, vcc_lo
	global_load_dword v49, v[49:50], off
	s_waitcnt vmcnt(0)
	v_mul_f32_e32 v51, s1, v49
	v_add_co_u32 v49, vcc_lo, v44, v70
	v_add_co_ci_u32_e64 v50, null, v45, v71, vcc_lo
	v_min_f32_e32 v48, v51, v48
	v_add_co_u32 v51, vcc_lo, v46, v68
	v_add_co_ci_u32_e64 v52, null, v47, v69, vcc_lo
	global_store_dword v[49:50], v48, off
	global_load_dword v48, v[51:52], off
	s_waitcnt vmcnt(0)
	v_mul_f32_e32 v49, s1, v48
.LBB73_98:
	v_add_f32_e32 v48, v21, v41
	v_add_f32_e32 v50, v20, v40
	v_add_f32_e32 v51, v23, v43
	v_add_f32_e32 v52, v22, v42
	v_add_f32_e32 v53, v17, v41
	v_add_f32_e32 v54, v16, v40
	v_min3_f32 v48, v50, v48, v101
	s_mov_b32 s6, -1
	v_min_f32_e32 v50, v52, v51
	v_add_f32_e32 v52, v19, v43
	v_min3_f32 v51, v54, v53, v102
	v_add_f32_e32 v53, v18, v42
	v_min3_f32 v50, v49, v50, v48
	v_add_co_u32 v48, vcc_lo, v44, v68
	v_add_co_ci_u32_e64 v49, null, v45, v69, vcc_lo
	v_min3_f32 v51, v53, v52, v51
	s_mov_b32 vcc_lo, s0
	global_store_dword v[48:49], v50, off
	v_max_f32_e32 v48, v51, v51
	;; [unrolled: 46-line block ×3, first 2 shown]
	s_cbranch_vccz .LBB73_104
; %bb.103:
	v_add_co_u32 v49, vcc_lo, v44, v76
	v_min_f32_e32 v51, 0, v48
	v_add_co_ci_u32_e64 v50, null, v45, v77, vcc_lo
	s_mov_b32 s6, 0
	global_store_dword v[49:50], v51, off
.LBB73_104:
	v_mov_b32_e32 v49, 0
	s_andn2_b32 vcc_lo, exec_lo, s6
	s_cbranch_vccnz .LBB73_106
; %bb.105:
	v_add_co_u32 v49, vcc_lo, v46, v76
	v_add_co_ci_u32_e64 v50, null, v47, v77, vcc_lo
	global_load_dword v49, v[49:50], off
	s_waitcnt vmcnt(0)
	v_mul_f32_e32 v51, s1, v49
	v_add_co_u32 v49, vcc_lo, v44, v76
	v_add_co_ci_u32_e64 v50, null, v45, v77, vcc_lo
	v_add_co_u32 v46, vcc_lo, v46, v78
	v_min_f32_e32 v48, v51, v48
	v_add_co_ci_u32_e64 v47, null, v47, v79, vcc_lo
	global_store_dword v[49:50], v48, off
	global_load_dword v46, v[46:47], off
	s_waitcnt vmcnt(0)
	v_mul_f32_e32 v49, s1, v46
.LBB73_106:
	v_add_f32_e32 v41, v1, v41
	v_add_f32_e32 v40, v0, v40
	;; [unrolled: 1-line block ×6, first 2 shown]
	v_min3_f32 v40, v40, v41, v92
	v_add_f32_e32 v48, v34, v38
	v_min_f32_e32 v41, v42, v43
	v_add_nc_u32_e32 v42, 0xc0, v93
	v_min3_f32 v46, v47, v46, v100
	v_add_f32_e32 v47, v35, v39
	v_add_co_u32 v44, vcc_lo, v44, v78
	v_min3_f32 v49, v49, v41, v40
	v_mad_i64_i32 v[40:41], null, v42, s3, 0
	v_mad_i64_i32 v[42:43], null, v42, s2, 0
	v_add_co_ci_u32_e64 v45, null, v45, v79, vcc_lo
	v_min3_f32 v46, v48, v47, v46
	s_mov_b32 s6, -1
	v_lshlrev_b64 v[40:41], 2, v[40:41]
	global_store_dword v[44:45], v49, off
	v_lshlrev_b64 v[42:43], 2, v[42:43]
	v_max_f32_e32 v44, v46, v46
	v_add_co_u32 v40, vcc_lo, s4, v40
	v_add_co_ci_u32_e64 v41, null, s5, v41, vcc_lo
	v_add_co_u32 v42, vcc_lo, s12, v42
	v_add_co_ci_u32_e64 v43, null, s13, v43, vcc_lo
	s_mov_b32 vcc_lo, s0
	s_cbranch_vccz .LBB73_108
; %bb.107:
	v_add_co_u32 v45, vcc_lo, v40, v66
	v_min_f32_e32 v47, 0, v44
	v_add_co_ci_u32_e64 v46, null, v41, v67, vcc_lo
	s_mov_b32 s6, 0
	global_store_dword v[45:46], v47, off
.LBB73_108:
	v_mov_b32_e32 v45, 0
	s_andn2_b32 vcc_lo, exec_lo, s6
	s_cbranch_vccnz .LBB73_110
; %bb.109:
	v_add_co_u32 v45, vcc_lo, v42, v66
	v_add_co_ci_u32_e64 v46, null, v43, v67, vcc_lo
	global_load_dword v45, v[45:46], off
	s_waitcnt vmcnt(0)
	v_mul_f32_e32 v47, s1, v45
	v_add_co_u32 v45, vcc_lo, v40, v66
	v_add_co_ci_u32_e64 v46, null, v41, v67, vcc_lo
	v_min_f32_e32 v44, v47, v44
	v_add_co_u32 v47, vcc_lo, v42, v64
	v_add_co_ci_u32_e64 v48, null, v43, v65, vcc_lo
	global_store_dword v[45:46], v44, off
	global_load_dword v44, v[47:48], off
	s_waitcnt vmcnt(0)
	v_mul_f32_e32 v45, s1, v44
.LBB73_110:
	v_add_f32_e32 v44, v29, v37
	v_add_f32_e32 v46, v28, v36
	v_add_f32_e32 v47, v31, v39
	v_add_f32_e32 v48, v30, v38
	v_add_f32_e32 v49, v25, v37
	v_add_f32_e32 v50, v24, v36
	v_min3_f32 v44, v46, v44, v96
	s_mov_b32 s6, -1
	v_min_f32_e32 v46, v48, v47
	v_add_f32_e32 v48, v27, v39
	v_min3_f32 v47, v50, v49, v97
	v_add_f32_e32 v49, v26, v38
	v_min3_f32 v46, v45, v46, v44
	v_add_co_u32 v44, vcc_lo, v40, v64
	v_add_co_ci_u32_e64 v45, null, v41, v65, vcc_lo
	v_min3_f32 v47, v49, v48, v47
	s_mov_b32 vcc_lo, s0
	global_store_dword v[44:45], v46, off
	v_max_f32_e32 v44, v47, v47
	s_cbranch_vccz .LBB73_112
; %bb.111:
	v_add_co_u32 v45, vcc_lo, v40, v70
	v_min_f32_e32 v47, 0, v44
	v_add_co_ci_u32_e64 v46, null, v41, v71, vcc_lo
	s_mov_b32 s6, 0
	global_store_dword v[45:46], v47, off
.LBB73_112:
	v_mov_b32_e32 v45, 0
	s_andn2_b32 vcc_lo, exec_lo, s6
	s_cbranch_vccnz .LBB73_114
; %bb.113:
	v_add_co_u32 v45, vcc_lo, v42, v70
	v_add_co_ci_u32_e64 v46, null, v43, v71, vcc_lo
	global_load_dword v45, v[45:46], off
	s_waitcnt vmcnt(0)
	v_mul_f32_e32 v47, s1, v45
	v_add_co_u32 v45, vcc_lo, v40, v70
	v_add_co_ci_u32_e64 v46, null, v41, v71, vcc_lo
	v_min_f32_e32 v44, v47, v44
	v_add_co_u32 v47, vcc_lo, v42, v68
	v_add_co_ci_u32_e64 v48, null, v43, v69, vcc_lo
	global_store_dword v[45:46], v44, off
	global_load_dword v44, v[47:48], off
	s_waitcnt vmcnt(0)
	v_mul_f32_e32 v45, s1, v44
.LBB73_114:
	v_add_f32_e32 v44, v21, v37
	v_add_f32_e32 v46, v20, v36
	v_add_f32_e32 v47, v23, v39
	v_add_f32_e32 v48, v22, v38
	v_add_f32_e32 v49, v17, v37
	v_add_f32_e32 v50, v16, v36
	v_min3_f32 v44, v46, v44, v90
	s_mov_b32 s6, -1
	v_min_f32_e32 v46, v48, v47
	v_add_f32_e32 v48, v19, v39
	v_min3_f32 v47, v50, v49, v91
	v_add_f32_e32 v49, v18, v38
	v_min3_f32 v46, v45, v46, v44
	v_add_co_u32 v44, vcc_lo, v40, v68
	v_add_co_ci_u32_e64 v45, null, v41, v69, vcc_lo
	v_min3_f32 v47, v49, v48, v47
	s_mov_b32 vcc_lo, s0
	global_store_dword v[44:45], v46, off
	v_max_f32_e32 v44, v47, v47
	;; [unrolled: 46-line block ×3, first 2 shown]
	s_cbranch_vccz .LBB73_120
; %bb.119:
	v_add_co_u32 v45, vcc_lo, v40, v76
	v_min_f32_e32 v47, 0, v44
	v_add_co_ci_u32_e64 v46, null, v41, v77, vcc_lo
	s_mov_b32 s6, 0
	global_store_dword v[45:46], v47, off
.LBB73_120:
	v_mov_b32_e32 v45, 0
	s_andn2_b32 vcc_lo, exec_lo, s6
	s_cbranch_vccnz .LBB73_122
; %bb.121:
	v_add_co_u32 v45, vcc_lo, v42, v76
	v_add_co_ci_u32_e64 v46, null, v43, v77, vcc_lo
	global_load_dword v45, v[45:46], off
	s_waitcnt vmcnt(0)
	v_mul_f32_e32 v47, s1, v45
	v_add_co_u32 v45, vcc_lo, v40, v76
	v_add_co_ci_u32_e64 v46, null, v41, v77, vcc_lo
	v_add_co_u32 v42, vcc_lo, v42, v78
	v_min_f32_e32 v44, v47, v44
	v_add_co_ci_u32_e64 v43, null, v43, v79, vcc_lo
	global_store_dword v[45:46], v44, off
	global_load_dword v42, v[42:43], off
	s_waitcnt vmcnt(0)
	v_mul_f32_e32 v45, s1, v42
.LBB73_122:
	v_add_f32_e32 v37, v1, v37
	v_add_f32_e32 v36, v0, v36
	;; [unrolled: 1-line block ×4, first 2 shown]
	s_waitcnt lgkmcnt(0)
	v_add_f32_e32 v33, v33, v5
	v_add_f32_e32 v32, v32, v4
	v_min3_f32 v36, v36, v37, v86
	v_add_f32_e32 v42, v35, v7
	v_min_f32_e32 v37, v38, v39
	v_add_nc_u32_e32 v39, 0xe0, v93
	v_min3_f32 v38, v32, v33, v87
	v_add_f32_e32 v43, v34, v6
	v_min3_f32 v44, v45, v37, v36
	v_mad_i64_i32 v[32:33], null, v39, s3, 0
	v_mad_i64_i32 v[34:35], null, v39, s2, 0
	v_add_co_u32 v36, vcc_lo, v40, v78
	v_add_co_ci_u32_e64 v37, null, v41, v79, vcc_lo
	v_lshlrev_b64 v[32:33], 2, v[32:33]
	v_min3_f32 v38, v43, v42, v38
	v_lshlrev_b64 v[34:35], 2, v[34:35]
	global_store_dword v[36:37], v44, off
	s_mov_b32 s2, -1
	v_add_co_u32 v32, vcc_lo, s4, v32
	v_add_co_ci_u32_e64 v33, null, s5, v33, vcc_lo
	v_add_co_u32 v34, vcc_lo, s12, v34
	v_add_co_ci_u32_e64 v35, null, s13, v35, vcc_lo
	v_max_f32_e32 v36, v38, v38
	s_mov_b32 vcc_lo, s0
	s_cbranch_vccz .LBB73_124
; %bb.123:
	v_add_co_u32 v37, vcc_lo, v32, v66
	v_min_f32_e32 v39, 0, v36
	v_add_co_ci_u32_e64 v38, null, v33, v67, vcc_lo
	s_mov_b32 s2, 0
	global_store_dword v[37:38], v39, off
.LBB73_124:
	v_mov_b32_e32 v37, 0
	s_andn2_b32 vcc_lo, exec_lo, s2
	s_cbranch_vccnz .LBB73_126
; %bb.125:
	v_add_co_u32 v37, vcc_lo, v34, v66
	v_add_co_ci_u32_e64 v38, null, v35, v67, vcc_lo
	global_load_dword v37, v[37:38], off
	s_waitcnt vmcnt(0)
	v_mul_f32_e32 v39, s1, v37
	v_add_co_u32 v37, vcc_lo, v32, v66
	v_add_co_ci_u32_e64 v38, null, v33, v67, vcc_lo
	v_min_f32_e32 v36, v39, v36
	v_add_co_u32 v39, vcc_lo, v34, v64
	v_add_co_ci_u32_e64 v40, null, v35, v65, vcc_lo
	global_store_dword v[37:38], v36, off
	global_load_dword v36, v[39:40], off
	s_waitcnt vmcnt(0)
	v_mul_f32_e32 v37, s1, v36
.LBB73_126:
	v_add_f32_e32 v29, v29, v5
	v_add_f32_e32 v28, v28, v4
	v_add_f32_e32 v31, v31, v7
	v_add_f32_e32 v30, v30, v6
	v_add_f32_e32 v25, v25, v5
	v_add_f32_e32 v24, v24, v4
	v_min3_f32 v28, v28, v29, v84
	v_add_f32_e32 v27, v27, v7
	v_min_f32_e32 v29, v30, v31
	v_add_f32_e32 v26, v26, v6
	v_min3_f32 v30, v24, v25, v85
	v_add_co_u32 v24, vcc_lo, v32, v64
	v_min3_f32 v28, v37, v29, v28
	v_add_co_ci_u32_e64 v25, null, v33, v65, vcc_lo
	v_min3_f32 v26, v26, v27, v30
	s_mov_b32 s2, -1
	s_mov_b32 vcc_lo, s0
	global_store_dword v[24:25], v28, off
	v_max_f32_e32 v24, v26, v26
	s_cbranch_vccz .LBB73_128
; %bb.127:
	v_add_co_u32 v25, vcc_lo, v32, v70
	v_min_f32_e32 v27, 0, v24
	v_add_co_ci_u32_e64 v26, null, v33, v71, vcc_lo
	s_mov_b32 s2, 0
	global_store_dword v[25:26], v27, off
.LBB73_128:
	v_mov_b32_e32 v25, 0
	s_andn2_b32 vcc_lo, exec_lo, s2
	s_cbranch_vccnz .LBB73_130
; %bb.129:
	v_add_co_u32 v25, vcc_lo, v34, v70
	v_add_co_ci_u32_e64 v26, null, v35, v71, vcc_lo
	global_load_dword v25, v[25:26], off
	s_waitcnt vmcnt(0)
	v_mul_f32_e32 v27, s1, v25
	v_add_co_u32 v25, vcc_lo, v32, v70
	v_add_co_ci_u32_e64 v26, null, v33, v71, vcc_lo
	v_min_f32_e32 v24, v27, v24
	v_add_co_u32 v27, vcc_lo, v34, v68
	v_add_co_ci_u32_e64 v28, null, v35, v69, vcc_lo
	global_store_dword v[25:26], v24, off
	global_load_dword v24, v[27:28], off
	s_waitcnt vmcnt(0)
	v_mul_f32_e32 v25, s1, v24
.LBB73_130:
	v_add_f32_e32 v21, v21, v5
	v_add_f32_e32 v20, v20, v4
	v_add_f32_e32 v23, v23, v7
	v_add_f32_e32 v22, v22, v6
	v_add_f32_e32 v17, v17, v5
	v_add_f32_e32 v16, v16, v4
	v_min3_f32 v20, v20, v21, v82
	v_add_f32_e32 v19, v19, v7
	v_min_f32_e32 v21, v22, v23
	v_add_f32_e32 v18, v18, v6
	v_min3_f32 v22, v16, v17, v83
	v_add_co_u32 v16, vcc_lo, v32, v68
	v_min3_f32 v20, v25, v21, v20
	v_add_co_ci_u32_e64 v17, null, v33, v69, vcc_lo
	v_min3_f32 v18, v18, v19, v22
	s_mov_b32 s2, -1
	s_mov_b32 vcc_lo, s0
	global_store_dword v[16:17], v20, off
	v_max_f32_e32 v16, v18, v18
	;; [unrolled: 46-line block ×3, first 2 shown]
	s_cbranch_vccz .LBB73_136
; %bb.135:
	v_add_co_u32 v9, vcc_lo, v32, v76
	v_min_f32_e32 v11, 0, v8
	v_add_co_ci_u32_e64 v10, null, v33, v77, vcc_lo
	s_mov_b32 s2, 0
	global_store_dword v[9:10], v11, off
.LBB73_136:
	v_mov_b32_e32 v9, 0
	s_andn2_b32 vcc_lo, exec_lo, s2
	s_cbranch_vccnz .LBB73_138
; %bb.137:
	v_add_co_u32 v9, vcc_lo, v34, v76
	v_add_co_ci_u32_e64 v10, null, v35, v77, vcc_lo
	global_load_dword v9, v[9:10], off
	s_waitcnt vmcnt(0)
	v_mul_f32_e32 v11, s1, v9
	v_add_co_u32 v9, vcc_lo, v32, v76
	v_add_co_ci_u32_e64 v10, null, v33, v77, vcc_lo
	v_min_f32_e32 v8, v11, v8
	v_add_co_u32 v11, vcc_lo, v34, v78
	v_add_co_ci_u32_e64 v12, null, v35, v79, vcc_lo
	global_store_dword v[9:10], v8, off
	global_load_dword v8, v[11:12], off
	s_waitcnt vmcnt(0)
	v_mul_f32_e32 v9, s1, v8
.LBB73_138:
	v_add_f32_e32 v3, v3, v7
	v_add_f32_e32 v2, v2, v6
	;; [unrolled: 1-line block ×4, first 2 shown]
	v_min_f32_e32 v2, v2, v3
	v_min3_f32 v0, v0, v1, v123
	v_min3_f32 v2, v9, v2, v0
	v_add_co_u32 v0, vcc_lo, v32, v78
	v_add_co_ci_u32_e64 v1, null, v33, v79, vcc_lo
	global_store_dword v[0:1], v2, off
	s_endpgm
.LBB73_139:
	s_mov_b64 s[16:17], 0
	s_andn2_b32 vcc_lo, exec_lo, s8
	s_mov_b32 s0, -1
	s_cbranch_vccz .LBB73_2
	s_branch .LBB73_3
	.section	.rodata,"a",@progbits
	.p2align	6, 0x0
	.amdhsa_kernel _ZN12_GLOBAL__N_120geam_min_plus_kernelIf15HIP_vector_typeIfLj2EEfLi8ELi32ELi64ELi256ELi4ELi4ELi64ELi64ELi4ELc84ELc84ELb1ELb0ELb1EfKffEEviiiT16_PT17_ilS6_ilS4_S6_ilPT18_ili26rocblas_geam_ex_operation_
		.amdhsa_group_segment_fixed_size 10240
		.amdhsa_private_segment_fixed_size 0
		.amdhsa_kernarg_size 128
		.amdhsa_user_sgpr_count 6
		.amdhsa_user_sgpr_private_segment_buffer 1
		.amdhsa_user_sgpr_dispatch_ptr 0
		.amdhsa_user_sgpr_queue_ptr 0
		.amdhsa_user_sgpr_kernarg_segment_ptr 1
		.amdhsa_user_sgpr_dispatch_id 0
		.amdhsa_user_sgpr_flat_scratch_init 0
		.amdhsa_user_sgpr_private_segment_size 0
		.amdhsa_wavefront_size32 1
		.amdhsa_uses_dynamic_stack 0
		.amdhsa_system_sgpr_private_segment_wavefront_offset 0
		.amdhsa_system_sgpr_workgroup_id_x 1
		.amdhsa_system_sgpr_workgroup_id_y 0
		.amdhsa_system_sgpr_workgroup_id_z 1
		.amdhsa_system_sgpr_workgroup_info 0
		.amdhsa_system_vgpr_workitem_id 1
		.amdhsa_next_free_vgpr 174
		.amdhsa_next_free_sgpr 22
		.amdhsa_reserve_vcc 1
		.amdhsa_reserve_flat_scratch 0
		.amdhsa_float_round_mode_32 0
		.amdhsa_float_round_mode_16_64 0
		.amdhsa_float_denorm_mode_32 3
		.amdhsa_float_denorm_mode_16_64 3
		.amdhsa_dx10_clamp 1
		.amdhsa_ieee_mode 1
		.amdhsa_fp16_overflow 0
		.amdhsa_workgroup_processor_mode 1
		.amdhsa_memory_ordered 1
		.amdhsa_forward_progress 1
		.amdhsa_shared_vgpr_count 0
		.amdhsa_exception_fp_ieee_invalid_op 0
		.amdhsa_exception_fp_denorm_src 0
		.amdhsa_exception_fp_ieee_div_zero 0
		.amdhsa_exception_fp_ieee_overflow 0
		.amdhsa_exception_fp_ieee_underflow 0
		.amdhsa_exception_fp_ieee_inexact 0
		.amdhsa_exception_int_div_zero 0
	.end_amdhsa_kernel
	.section	.text._ZN12_GLOBAL__N_120geam_min_plus_kernelIf15HIP_vector_typeIfLj2EEfLi8ELi32ELi64ELi256ELi4ELi4ELi64ELi64ELi4ELc84ELc84ELb1ELb0ELb1EfKffEEviiiT16_PT17_ilS6_ilS4_S6_ilPT18_ili26rocblas_geam_ex_operation_,"axG",@progbits,_ZN12_GLOBAL__N_120geam_min_plus_kernelIf15HIP_vector_typeIfLj2EEfLi8ELi32ELi64ELi256ELi4ELi4ELi64ELi64ELi4ELc84ELc84ELb1ELb0ELb1EfKffEEviiiT16_PT17_ilS6_ilS4_S6_ilPT18_ili26rocblas_geam_ex_operation_,comdat
.Lfunc_end73:
	.size	_ZN12_GLOBAL__N_120geam_min_plus_kernelIf15HIP_vector_typeIfLj2EEfLi8ELi32ELi64ELi256ELi4ELi4ELi64ELi64ELi4ELc84ELc84ELb1ELb0ELb1EfKffEEviiiT16_PT17_ilS6_ilS4_S6_ilPT18_ili26rocblas_geam_ex_operation_, .Lfunc_end73-_ZN12_GLOBAL__N_120geam_min_plus_kernelIf15HIP_vector_typeIfLj2EEfLi8ELi32ELi64ELi256ELi4ELi4ELi64ELi64ELi4ELc84ELc84ELb1ELb0ELb1EfKffEEviiiT16_PT17_ilS6_ilS4_S6_ilPT18_ili26rocblas_geam_ex_operation_
                                        ; -- End function
	.set _ZN12_GLOBAL__N_120geam_min_plus_kernelIf15HIP_vector_typeIfLj2EEfLi8ELi32ELi64ELi256ELi4ELi4ELi64ELi64ELi4ELc84ELc84ELb1ELb0ELb1EfKffEEviiiT16_PT17_ilS6_ilS4_S6_ilPT18_ili26rocblas_geam_ex_operation_.num_vgpr, 174
	.set _ZN12_GLOBAL__N_120geam_min_plus_kernelIf15HIP_vector_typeIfLj2EEfLi8ELi32ELi64ELi256ELi4ELi4ELi64ELi64ELi4ELc84ELc84ELb1ELb0ELb1EfKffEEviiiT16_PT17_ilS6_ilS4_S6_ilPT18_ili26rocblas_geam_ex_operation_.num_agpr, 0
	.set _ZN12_GLOBAL__N_120geam_min_plus_kernelIf15HIP_vector_typeIfLj2EEfLi8ELi32ELi64ELi256ELi4ELi4ELi64ELi64ELi4ELc84ELc84ELb1ELb0ELb1EfKffEEviiiT16_PT17_ilS6_ilS4_S6_ilPT18_ili26rocblas_geam_ex_operation_.numbered_sgpr, 22
	.set _ZN12_GLOBAL__N_120geam_min_plus_kernelIf15HIP_vector_typeIfLj2EEfLi8ELi32ELi64ELi256ELi4ELi4ELi64ELi64ELi4ELc84ELc84ELb1ELb0ELb1EfKffEEviiiT16_PT17_ilS6_ilS4_S6_ilPT18_ili26rocblas_geam_ex_operation_.num_named_barrier, 0
	.set _ZN12_GLOBAL__N_120geam_min_plus_kernelIf15HIP_vector_typeIfLj2EEfLi8ELi32ELi64ELi256ELi4ELi4ELi64ELi64ELi4ELc84ELc84ELb1ELb0ELb1EfKffEEviiiT16_PT17_ilS6_ilS4_S6_ilPT18_ili26rocblas_geam_ex_operation_.private_seg_size, 0
	.set _ZN12_GLOBAL__N_120geam_min_plus_kernelIf15HIP_vector_typeIfLj2EEfLi8ELi32ELi64ELi256ELi4ELi4ELi64ELi64ELi4ELc84ELc84ELb1ELb0ELb1EfKffEEviiiT16_PT17_ilS6_ilS4_S6_ilPT18_ili26rocblas_geam_ex_operation_.uses_vcc, 1
	.set _ZN12_GLOBAL__N_120geam_min_plus_kernelIf15HIP_vector_typeIfLj2EEfLi8ELi32ELi64ELi256ELi4ELi4ELi64ELi64ELi4ELc84ELc84ELb1ELb0ELb1EfKffEEviiiT16_PT17_ilS6_ilS4_S6_ilPT18_ili26rocblas_geam_ex_operation_.uses_flat_scratch, 0
	.set _ZN12_GLOBAL__N_120geam_min_plus_kernelIf15HIP_vector_typeIfLj2EEfLi8ELi32ELi64ELi256ELi4ELi4ELi64ELi64ELi4ELc84ELc84ELb1ELb0ELb1EfKffEEviiiT16_PT17_ilS6_ilS4_S6_ilPT18_ili26rocblas_geam_ex_operation_.has_dyn_sized_stack, 0
	.set _ZN12_GLOBAL__N_120geam_min_plus_kernelIf15HIP_vector_typeIfLj2EEfLi8ELi32ELi64ELi256ELi4ELi4ELi64ELi64ELi4ELc84ELc84ELb1ELb0ELb1EfKffEEviiiT16_PT17_ilS6_ilS4_S6_ilPT18_ili26rocblas_geam_ex_operation_.has_recursion, 0
	.set _ZN12_GLOBAL__N_120geam_min_plus_kernelIf15HIP_vector_typeIfLj2EEfLi8ELi32ELi64ELi256ELi4ELi4ELi64ELi64ELi4ELc84ELc84ELb1ELb0ELb1EfKffEEviiiT16_PT17_ilS6_ilS4_S6_ilPT18_ili26rocblas_geam_ex_operation_.has_indirect_call, 0
	.section	.AMDGPU.csdata,"",@progbits
; Kernel info:
; codeLenInByte = 16808
; TotalNumSgprs: 24
; NumVgprs: 174
; ScratchSize: 0
; MemoryBound: 0
; FloatMode: 240
; IeeeMode: 1
; LDSByteSize: 10240 bytes/workgroup (compile time only)
; SGPRBlocks: 0
; VGPRBlocks: 21
; NumSGPRsForWavesPerEU: 24
; NumVGPRsForWavesPerEU: 174
; Occupancy: 5
; WaveLimiterHint : 1
; COMPUTE_PGM_RSRC2:SCRATCH_EN: 0
; COMPUTE_PGM_RSRC2:USER_SGPR: 6
; COMPUTE_PGM_RSRC2:TRAP_HANDLER: 0
; COMPUTE_PGM_RSRC2:TGID_X_EN: 1
; COMPUTE_PGM_RSRC2:TGID_Y_EN: 0
; COMPUTE_PGM_RSRC2:TGID_Z_EN: 1
; COMPUTE_PGM_RSRC2:TIDIG_COMP_CNT: 1
	.section	.text._ZN12_GLOBAL__N_120geam_min_plus_kernelIf15HIP_vector_typeIfLj2EEfLi8ELi32ELi64ELi256ELi4ELi4ELi64ELi64ELi4ELc84ELc84ELb0ELb0ELb1EfKffEEviiiT16_PT17_ilS6_ilS4_S6_ilPT18_ili26rocblas_geam_ex_operation_,"axG",@progbits,_ZN12_GLOBAL__N_120geam_min_plus_kernelIf15HIP_vector_typeIfLj2EEfLi8ELi32ELi64ELi256ELi4ELi4ELi64ELi64ELi4ELc84ELc84ELb0ELb0ELb1EfKffEEviiiT16_PT17_ilS6_ilS4_S6_ilPT18_ili26rocblas_geam_ex_operation_,comdat
	.globl	_ZN12_GLOBAL__N_120geam_min_plus_kernelIf15HIP_vector_typeIfLj2EEfLi8ELi32ELi64ELi256ELi4ELi4ELi64ELi64ELi4ELc84ELc84ELb0ELb0ELb1EfKffEEviiiT16_PT17_ilS6_ilS4_S6_ilPT18_ili26rocblas_geam_ex_operation_ ; -- Begin function _ZN12_GLOBAL__N_120geam_min_plus_kernelIf15HIP_vector_typeIfLj2EEfLi8ELi32ELi64ELi256ELi4ELi4ELi64ELi64ELi4ELc84ELc84ELb0ELb0ELb1EfKffEEviiiT16_PT17_ilS6_ilS4_S6_ilPT18_ili26rocblas_geam_ex_operation_
	.p2align	8
	.type	_ZN12_GLOBAL__N_120geam_min_plus_kernelIf15HIP_vector_typeIfLj2EEfLi8ELi32ELi64ELi256ELi4ELi4ELi64ELi64ELi4ELc84ELc84ELb0ELb0ELb1EfKffEEviiiT16_PT17_ilS6_ilS4_S6_ilPT18_ili26rocblas_geam_ex_operation_,@function
_ZN12_GLOBAL__N_120geam_min_plus_kernelIf15HIP_vector_typeIfLj2EEfLi8ELi32ELi64ELi256ELi4ELi4ELi64ELi64ELi4ELc84ELc84ELb0ELb0ELb1EfKffEEviiiT16_PT17_ilS6_ilS4_S6_ilPT18_ili26rocblas_geam_ex_operation_: ; @_ZN12_GLOBAL__N_120geam_min_plus_kernelIf15HIP_vector_typeIfLj2EEfLi8ELi32ELi64ELi256ELi4ELi4ELi64ELi64ELi4ELc84ELc84ELb0ELb0ELb1EfKffEEviiiT16_PT17_ilS6_ilS4_S6_ilPT18_ili26rocblas_geam_ex_operation_
; %bb.0:
	s_clause 0x1
	s_load_dwordx2 s[14:15], s[4:5], 0x8
	s_load_dwordx4 s[8:11], s[4:5], 0x20
	s_waitcnt lgkmcnt(0)
	v_cmp_eq_f32_e64 s0, s15, 0
	s_and_b32 s1, exec_lo, s0
	s_mov_b32 vcc_lo, s1
	s_cbranch_vccnz .LBB74_175
; %bb.1:
	s_load_dwordx2 s[2:3], s[4:5], 0x10
	s_mul_i32 s9, s9, s7
	s_mul_hi_u32 s12, s8, s7
	s_mul_i32 s8, s8, s7
	s_add_i32 s9, s12, s9
	s_lshl_b64 s[8:9], s[8:9], 2
	s_waitcnt lgkmcnt(0)
	s_add_u32 s16, s2, s8
	s_addc_u32 s17, s3, s9
	s_andn2_b32 vcc_lo, exec_lo, s0
	s_mov_b32 s0, -1
	s_cbranch_vccnz .LBB74_3
.LBB74_2:
	s_mov_b32 s0, 0
.LBB74_3:
	s_mov_b64 s[12:13], 0
	s_andn2_b32 vcc_lo, exec_lo, s0
	s_mov_b64 s[18:19], 0
	s_cbranch_vccnz .LBB74_5
; %bb.4:
	s_load_dwordx2 s[2:3], s[4:5], 0x38
	s_waitcnt lgkmcnt(0)
	s_mul_i32 s0, s3, s7
	s_mul_hi_u32 s3, s2, s7
	s_mul_i32 s2, s2, s7
	s_add_i32 s3, s3, s0
	s_lshl_b64 s[2:3], s[2:3], 2
	s_add_u32 s18, s10, s2
	s_addc_u32 s19, s11, s3
.LBB74_5:
	s_clause 0x1
	s_load_dword s3, s[4:5], 0x40
	s_load_dwordx4 s[8:11], s[4:5], 0x58
	v_cmp_neq_f32_e64 s21, s15, 0
	s_waitcnt lgkmcnt(0)
	v_cmp_eq_f32_e64 s0, s3, 0
	s_and_b32 s0, exec_lo, s0
	s_mov_b32 vcc_lo, s0
	s_cbranch_vccnz .LBB74_7
; %bb.6:
	s_load_dwordx2 s[12:13], s[4:5], 0x48
	s_mul_i32 s2, s9, s7
	s_mul_hi_u32 s9, s8, s7
	s_mul_i32 s8, s8, s7
	s_add_i32 s9, s9, s2
	s_lshl_b64 s[8:9], s[8:9], 2
	s_waitcnt lgkmcnt(0)
	s_add_u32 s12, s12, s8
	s_addc_u32 s13, s13, s9
.LBB74_7:
	s_clause 0x1
	s_load_dword s2, s[4:5], 0x0
	s_load_dword s22, s[4:5], 0x18
	v_and_b32_e32 v3, 3, v0
	v_cndmask_b32_e64 v5, 0, 1, s21
	v_mov_b32_e32 v4, 0
	v_lshlrev_b32_e32 v66, 2, v3
	s_waitcnt lgkmcnt(0)
	s_add_i32 s2, s2, -1
	s_ashr_i32 s8, s2, 31
	s_lshr_b32 s8, s8, 26
	s_add_i32 s2, s2, s8
	s_ashr_i32 s2, s2, 6
	s_add_i32 s8, s2, 1
	s_not_b32 s2, s2
	v_cvt_f32_u32_e32 v2, s8
	v_rcp_iflag_f32_e32 v2, v2
	v_mul_f32_e32 v2, 0x4f7ffffe, v2
	v_cvt_u32_f32_e32 v2, v2
	v_readfirstlane_b32 s9, v2
	v_lshl_add_u32 v2, v1, 3, v0
	s_mul_i32 s2, s2, s9
	v_lshrrev_b32_e32 v68, 2, v2
	s_mul_hi_u32 s2, s9, s2
	s_add_i32 s9, s9, s2
	s_mul_hi_u32 s2, s6, s9
	s_mul_i32 s9, s2, s8
	s_add_i32 s20, s2, 1
	s_sub_i32 s9, s6, s9
	s_sub_i32 s23, s9, s8
	s_cmp_ge_u32 s9, s8
	s_cselect_b32 s2, s20, s2
	s_cselect_b32 s9, s23, s9
	s_add_i32 s20, s2, 1
	s_cmp_ge_u32 s9, s8
	s_cselect_b32 s9, s20, s2
	v_cmp_ne_u32_e64 s2, 1, v5
	s_mul_i32 s23, s9, s8
	v_mov_b32_e32 v5, 0
	s_sub_i32 s8, s6, s23
	s_andn2_b32 vcc_lo, exec_lo, s21
	s_lshl_b32 s20, s8, 6
	v_add_nc_u32_e32 v9, s20, v68
	s_cbranch_vccnz .LBB74_9
; %bb.8:
	v_mad_i64_i32 v[5:6], null, v9, s22, 0
	v_lshlrev_b64 v[5:6], 2, v[5:6]
	v_add_co_u32 v3, vcc_lo, s16, v5
	v_add_co_ci_u32_e64 v6, null, s17, v6, vcc_lo
	v_add_co_u32 v5, vcc_lo, v3, v66
	v_add_co_ci_u32_e64 v6, null, 0, v6, vcc_lo
	global_load_dword v3, v[5:6], off
	s_waitcnt vmcnt(0)
	v_mul_f32_e32 v5, s15, v3
.LBB74_9:
	s_load_dword s8, s[4:5], 0x30
	v_lshrrev_b32_e32 v67, 6, v2
	v_and_b32_e32 v69, 63, v2
	s_lshl_b32 s21, s9, 8
	v_or_b32_e32 v2, s21, v69
	v_ashrrev_i32_e32 v3, 31, v2
	s_waitcnt lgkmcnt(0)
	v_mad_i64_i32 v[6:7], null, s8, v67, 0
	v_lshlrev_b64 v[6:7], 2, v[6:7]
	v_add_co_u32 v10, vcc_lo, s18, v6
	v_add_co_ci_u32_e64 v11, null, s19, v7, vcc_lo
	v_mov_b32_e32 v6, 0
	s_and_b32 vcc_lo, exec_lo, s2
	s_cbranch_vccnz .LBB74_11
; %bb.10:
	v_lshlrev_b64 v[6:7], 2, v[2:3]
	v_add_co_u32 v6, vcc_lo, v10, v6
	v_add_co_ci_u32_e64 v7, null, v11, v7, vcc_lo
	s_clause 0x1
	global_load_dword v4, v[6:7], off
	global_load_dword v7, v[6:7], off offset:256
	s_waitcnt vmcnt(1)
	v_mul_f32_e32 v6, s15, v4
	s_waitcnt vmcnt(0)
	v_mul_f32_e32 v4, s15, v7
.LBB74_11:
	v_mov_b32_e32 v7, 0
	s_ashr_i32 s9, s8, 31
	s_mov_b32 vcc_lo, s1
	s_cbranch_vccz .LBB74_13
; %bb.12:
	s_mov_b32 s24, 0
	v_mov_b32_e32 v8, s24
	s_cbranch_execz .LBB74_14
	s_branch .LBB74_15
.LBB74_13:
                                        ; implicit-def: $vgpr8
.LBB74_14:
	v_lshlrev_b64 v[7:8], 2, v[2:3]
	v_add_co_u32 v7, vcc_lo, v10, v7
	v_add_co_ci_u32_e64 v8, null, v11, v8, vcc_lo
	s_clause 0x1
	global_load_dword v10, v[7:8], off offset:512
	global_load_dword v7, v[7:8], off offset:768
	s_waitcnt vmcnt(1)
	v_mul_f32_e32 v8, s15, v10
	s_waitcnt vmcnt(0)
	v_mul_f32_e32 v7, s15, v7
.LBB74_15:
	v_mov_b32_e32 v70, 0
	v_mov_b32_e32 v71, 0
	s_and_b32 vcc_lo, exec_lo, s2
	s_cbranch_vccnz .LBB74_17
; %bb.16:
	v_mad_i64_i32 v[9:10], null, v9, s22, 0
	v_lshlrev_b64 v[9:10], 2, v[9:10]
	v_add_co_u32 v9, vcc_lo, s16, v9
	v_add_co_ci_u32_e64 v10, null, s17, v10, vcc_lo
	v_add_co_u32 v9, vcc_lo, v9, v66
	v_add_co_ci_u32_e64 v10, null, 0, v10, vcc_lo
	global_load_dword v9, v[9:10], off offset:16
	s_waitcnt vmcnt(0)
	v_mul_f32_e32 v71, s15, v9
.LBB74_17:
	v_add_nc_u32_e32 v9, 4, v67
	v_mov_b32_e32 v72, 0
	v_mad_i64_i32 v[9:10], null, s8, v9, 0
	v_lshlrev_b64 v[9:10], 2, v[9:10]
	v_add_co_u32 v9, vcc_lo, s18, v9
	v_add_co_ci_u32_e64 v10, null, s19, v10, vcc_lo
	s_and_b32 vcc_lo, exec_lo, s2
	s_cbranch_vccnz .LBB74_19
; %bb.18:
	v_lshlrev_b64 v[11:12], 2, v[2:3]
	v_add_co_u32 v11, vcc_lo, v9, v11
	v_add_co_ci_u32_e64 v12, null, v10, v12, vcc_lo
	s_clause 0x1
	global_load_dword v13, v[11:12], off
	global_load_dword v11, v[11:12], off offset:256
	s_waitcnt vmcnt(1)
	v_mul_f32_e32 v72, s15, v13
	s_waitcnt vmcnt(0)
	v_mul_f32_e32 v70, s15, v11
.LBB74_19:
	v_mov_b32_e32 v77, 0
	s_mov_b32 vcc_lo, s1
	s_cbranch_vccz .LBB74_21
; %bb.20:
	s_mov_b32 s24, 0
	v_mov_b32_e32 v138, s24
	s_cbranch_execz .LBB74_22
	s_branch .LBB74_23
.LBB74_21:
                                        ; implicit-def: $vgpr138
.LBB74_22:
	v_lshlrev_b64 v[2:3], 2, v[2:3]
	v_add_co_u32 v2, vcc_lo, v9, v2
	v_add_co_ci_u32_e64 v3, null, v10, v3, vcc_lo
	s_clause 0x1
	global_load_dword v9, v[2:3], off offset:512
	global_load_dword v2, v[2:3], off offset:768
	s_waitcnt vmcnt(1)
	v_mul_f32_e32 v138, s15, v9
	s_waitcnt vmcnt(0)
	v_mul_f32_e32 v77, s15, v2
.LBB74_23:
	v_lshlrev_b32_e32 v2, 4, v69
	v_lshl_or_b32 v73, v68, 4, v66
	v_lshlrev_b32_e32 v75, 4, v0
	v_lshlrev_b32_e32 v74, 4, v1
	s_cmp_lt_i32 s14, 9
	v_lshl_add_u32 v76, v67, 2, v2
	ds_write_b32 v73, v5 offset:8192
	ds_write2st64_b32 v76, v6, v4 offset1:4
	ds_write2st64_b32 v76, v8, v7 offset0:8 offset1:12
	s_waitcnt lgkmcnt(0)
	s_barrier
	buffer_gl0_inv
	ds_read_b128 v[34:37], v75 offset:8192
	ds_read_b128 v[30:33], v75 offset:8320
	;; [unrolled: 1-line block ×8, first 2 shown]
	ds_read_b128 v[62:65], v74
	ds_read_b128 v[58:61], v74 offset:512
	ds_read_b128 v[54:57], v74 offset:1024
	;; [unrolled: 1-line block ×7, first 2 shown]
	ds_write_b32 v73, v71 offset:9216
	ds_write2st64_b32 v76, v72, v70 offset0:16 offset1:20
	ds_write2st64_b32 v76, v138, v77 offset0:24 offset1:28
	s_waitcnt lgkmcnt(0)
	s_barrier
	buffer_gl0_inv
	v_add_f32_e32 v78, v35, v63
	v_add_f32_e32 v79, v34, v62
	;; [unrolled: 1-line block ×4, first 2 shown]
	v_min3_f32 v78, v79, v78, 0x7f7fffff
	v_add_f32_e32 v79, v31, v63
	v_add_f32_e32 v121, v6, v38
	v_min3_f32 v79, v80, v79, 0x7f7fffff
	v_add_f32_e32 v80, v27, v63
	v_min3_f32 v115, v81, v80, 0x7f7fffff
	v_add_f32_e32 v80, v19, v63
	v_add_f32_e32 v81, v18, v62
	v_min3_f32 v116, v81, v80, 0x7f7fffff
	v_add_f32_e32 v80, v15, v63
	v_add_f32_e32 v81, v14, v62
	v_min3_f32 v117, v81, v80, 0x7f7fffff
	v_add_f32_e32 v80, v11, v63
	v_add_f32_e32 v81, v10, v62
	v_min3_f32 v118, v81, v80, 0x7f7fffff
	v_add_f32_e32 v80, v7, v63
	v_add_f32_e32 v81, v6, v62
	v_add_f32_e32 v63, v3, v63
	v_add_f32_e32 v62, v2, v62
	v_min3_f32 v119, v81, v80, 0x7f7fffff
	v_min3_f32 v120, v62, v63, 0x7f7fffff
	v_add_f32_e32 v62, v35, v59
	v_add_f32_e32 v63, v34, v58
	v_min3_f32 v114, v63, v62, 0x7f7fffff
	v_add_f32_e32 v62, v31, v59
	v_add_f32_e32 v63, v30, v58
	v_min3_f32 v113, v63, v62, 0x7f7fffff
	v_add_f32_e32 v62, v27, v59
	v_add_f32_e32 v63, v26, v58
	v_min3_f32 v112, v63, v62, 0x7f7fffff
	v_add_f32_e32 v62, v19, v59
	v_add_f32_e32 v63, v18, v58
	v_min3_f32 v111, v63, v62, 0x7f7fffff
	v_add_f32_e32 v62, v15, v59
	v_add_f32_e32 v63, v14, v58
	v_min3_f32 v110, v63, v62, 0x7f7fffff
	v_add_f32_e32 v62, v11, v59
	v_add_f32_e32 v63, v10, v58
	v_min3_f32 v109, v63, v62, 0x7f7fffff
	v_add_f32_e32 v62, v7, v59
	v_add_f32_e32 v63, v6, v58
	v_add_f32_e32 v59, v3, v59
	v_add_f32_e32 v58, v2, v58
	v_min3_f32 v108, v63, v62, 0x7f7fffff
	v_min3_f32 v107, v58, v59, 0x7f7fffff
	v_add_f32_e32 v58, v35, v55
	v_add_f32_e32 v59, v34, v54
	v_min3_f32 v106, v59, v58, 0x7f7fffff
	v_add_f32_e32 v58, v31, v55
	v_add_f32_e32 v59, v30, v54
	v_min3_f32 v105, v59, v58, 0x7f7fffff
	v_add_f32_e32 v58, v27, v55
	;; [unrolled: 24-line block ×5, first 2 shown]
	v_add_f32_e32 v47, v26, v42
	v_min3_f32 v80, v47, v46, 0x7f7fffff
	v_add_f32_e32 v46, v19, v43
	v_add_f32_e32 v47, v18, v42
	v_min3_f32 v63, v47, v46, 0x7f7fffff
	v_add_f32_e32 v46, v15, v43
	;; [unrolled: 3-line block ×4, first 2 shown]
	v_add_f32_e32 v47, v6, v42
	v_add_f32_e32 v43, v3, v43
	v_add_f32_e32 v42, v2, v42
	v_add_f32_e32 v6, v6, v22
	v_min3_f32 v58, v47, v46, 0x7f7fffff
	v_min3_f32 v55, v42, v43, 0x7f7fffff
	v_add_f32_e32 v42, v35, v39
	v_add_f32_e32 v43, v34, v38
	;; [unrolled: 1-line block ×4, first 2 shown]
	v_min3_f32 v54, v43, v42, 0x7f7fffff
	v_add_f32_e32 v42, v31, v39
	v_add_f32_e32 v43, v30, v38
	v_min3_f32 v34, v34, v35, 0x7f7fffff
	v_add_f32_e32 v31, v31, v23
	v_add_f32_e32 v30, v30, v22
	;; [unrolled: 3-line block ×9, first 2 shown]
	v_add_f32_e32 v38, v2, v38
	v_add_f32_e32 v2, v2, v22
	v_min3_f32 v14, v14, v15, 0x7f7fffff
	v_add_f32_e32 v11, v11, v23
	v_min3_f32 v43, v43, v42, 0x7f7fffff
	v_add_f32_e32 v42, v7, v39
	v_add_f32_e32 v39, v3, v39
	;; [unrolled: 1-line block ×5, first 2 shown]
	v_min3_f32 v42, v121, v42, 0x7f7fffff
	v_min3_f32 v38, v38, v39, 0x7f7fffff
	v_min3_f32 v6, v6, v7, 0x7f7fffff
	v_min3_f32 v2, v2, v3, 0x7f7fffff
	v_add_f32_e32 v3, v37, v65
	v_add_f32_e32 v7, v36, v64
	v_min3_f32 v10, v10, v11, 0x7f7fffff
	v_min3_f32 v142, v7, v3, v78
	v_add_f32_e32 v3, v33, v65
	v_add_f32_e32 v7, v32, v64
	v_min3_f32 v139, v7, v3, v79
	v_add_f32_e32 v3, v29, v65
	v_add_f32_e32 v7, v28, v64
	;; [unrolled: 3-line block ×55, first 2 shown]
	v_add_f32_e32 v4, v4, v24
	v_min3_f32 v87, v7, v3, v38
	v_add_f32_e32 v3, v37, v25
	v_add_f32_e32 v7, v36, v24
	v_min3_f32 v88, v7, v3, v34
	v_add_f32_e32 v3, v33, v25
	;; [unrolled: 3-line block ×8, first 2 shown]
	v_min3_f32 v84, v4, v3, v2
	s_cbranch_scc1 .LBB74_46
; %bb.24:
	v_lshl_add_u32 v2, s6, 6, v68
	s_lshl_b32 s6, s23, 6
	v_add_nc_u32_e32 v4, s21, v69
	v_add_nc_u32_e32 v6, 8, v67
	v_add_nc_u32_e32 v8, 12, v67
	v_subrev_nc_u32_e32 v2, s6, v2
	v_add_nc_u32_e32 v77, 0x2000, v73
	v_ashrrev_i32_e32 v5, 31, v4
	v_mad_i64_i32 v[6:7], null, v6, s8, 0
	v_mad_i64_i32 v[2:3], null, s22, v2, 0
	;; [unrolled: 1-line block ×3, first 2 shown]
	v_lshlrev_b64 v[70:71], 2, v[4:5]
	v_add_nc_u32_e32 v143, 0x2400, v73
	v_or_b32_e32 v138, 0x2000, v75
	v_or_b32_e32 v144, 0x1000, v76
	v_lshlrev_b64 v[2:3], 2, v[2:3]
	v_lshl_add_u32 v145, v0, 4, 0x2400
	v_lshl_or_b32 v146, v1, 4, 0x1000
	s_add_i32 s6, s14, -8
	s_lshl_b64 s[8:9], s[8:9], 5
	s_mov_b32 s14, 0
	v_add_co_u32 v2, vcc_lo, v2, v66
	v_add_co_ci_u32_e64 v3, null, 0, v3, vcc_lo
	v_add_co_u32 v4, vcc_lo, s16, v2
	v_add_co_ci_u32_e64 v5, null, s17, v3, vcc_lo
	v_lshlrev_b64 v[2:3], 2, v[6:7]
	v_add_co_u32 v72, vcc_lo, v4, 32
	v_add_co_ci_u32_e64 v73, null, 0, v5, vcc_lo
	v_lshlrev_b64 v[4:5], 2, v[8:9]
	v_add_co_u32 v147, vcc_lo, s18, v2
	v_add_co_ci_u32_e64 v148, null, s19, v3, vcc_lo
	s_mov_b32 s16, 0
	v_add_co_u32 v149, vcc_lo, s18, v4
	v_add_co_ci_u32_e64 v150, null, s19, v5, vcc_lo
	s_branch .LBB74_26
.LBB74_25:                              ;   in Loop: Header=BB74_26 Depth=1
	v_add_f32_e32 v3, v39, v67
	v_add_f32_e32 v4, v38, v66
	;; [unrolled: 1-line block ×6, first 2 shown]
	v_min3_f32 v142, v4, v3, v142
	v_add_f32_e32 v3, v27, v67
	v_min3_f32 v155, v155, v5, v139
	v_add_f32_e32 v4, v26, v66
	;; [unrolled: 2-line block ×3, first 2 shown]
	v_add_f32_e32 v139, v22, v66
	v_add_f32_e32 v140, v19, v67
	;; [unrolled: 1-line block ×7, first 2 shown]
	v_min3_f32 v160, v4, v3, v78
	v_min3_f32 v141, v139, v5, v141
	v_add_f32_e32 v3, v39, v63
	v_add_f32_e32 v4, v38, v62
	v_min3_f32 v139, v66, v67, v135
	v_add_f32_e32 v5, v35, v63
	v_add_f32_e32 v66, v34, v62
	v_min3_f32 v140, v157, v140, v79
	v_min3_f32 v137, v159, v158, v137
	v_add_f32_e32 v67, v31, v63
	v_add_f32_e32 v78, v30, v62
	v_add_f32_e32 v79, v27, v63
	v_add_f32_e32 v157, v26, v62
	v_add_f32_e32 v158, v23, v63
	v_add_f32_e32 v159, v22, v62
	v_min3_f32 v136, v4, v3, v136
	v_min3_f32 v135, v66, v5, v133
	v_add_f32_e32 v3, v19, v63
	v_add_f32_e32 v4, v18, v62
	v_add_f32_e32 v5, v15, v63
	v_add_f32_e32 v66, v14, v62
	;; [unrolled: 8-line block ×3, first 2 shown]
	v_min3_f32 v134, v4, v3, v128
	v_min3_f32 v128, v66, v5, v130
	;; [unrolled: 1-line block ×3, first 2 shown]
	v_add_f32_e32 v3, v31, v59
	v_add_f32_e32 v4, v30, v58
	v_add_f32_e32 v5, v27, v59
	v_add_f32_e32 v62, v26, v58
	v_min3_f32 v129, v78, v67, v129
	v_min3_f32 v126, v157, v79, v126
	v_add_f32_e32 v63, v23, v59
	v_add_f32_e32 v66, v22, v58
	v_add_f32_e32 v67, v19, v59
	v_add_f32_e32 v78, v18, v58
	v_add_f32_e32 v79, v15, v59
	v_add_f32_e32 v157, v14, v58
	v_min3_f32 v130, v4, v3, v125
	v_min3_f32 v123, v62, v5, v123
	v_add_f32_e32 v3, v7, v59
	v_add_f32_e32 v4, v6, v58
	;; [unrolled: 8-line block ×3, first 2 shown]
	v_add_f32_e32 v67, v27, v55
	v_add_f32_e32 v78, v26, v54
	v_min3_f32 v125, v4, v3, v119
	v_min3_f32 v119, v58, v5, v120
	;; [unrolled: 1-line block ×3, first 2 shown]
	v_add_f32_e32 v3, v23, v55
	v_add_f32_e32 v4, v22, v54
	;; [unrolled: 1-line block ×8, first 2 shown]
	v_min3_f32 v118, v66, v63, v118
	v_add_f32_e32 v63, v39, v51
	v_add_f32_e32 v66, v38, v50
	v_min3_f32 v115, v4, v3, v115
	v_min3_f32 v113, v58, v5, v113
	;; [unrolled: 1-line block ×4, first 2 shown]
	v_add_f32_e32 v3, v35, v51
	v_add_f32_e32 v4, v34, v50
	;; [unrolled: 1-line block ×8, first 2 shown]
	v_min3_f32 v122, v157, v79, v122
	v_min3_f32 v116, v78, v67, v116
	v_min3_f32 v112, v66, v63, v112
	v_add_f32_e32 v63, v19, v51
	v_add_f32_e32 v66, v18, v50
	v_min3_f32 v109, v4, v3, v109
	v_min3_f32 v78, v54, v5, v110
	;; [unrolled: 1-line block ×4, first 2 shown]
	v_add_f32_e32 v3, v15, v51
	v_add_f32_e32 v4, v14, v50
	;; [unrolled: 1-line block ×10, first 2 shown]
	v_min3_f32 v106, v66, v63, v106
	v_min3_f32 v105, v4, v3, v105
	;; [unrolled: 1-line block ×6, first 2 shown]
	v_add_f32_e32 v3, v27, v47
	v_add_f32_e32 v4, v26, v46
	;; [unrolled: 1-line block ×10, first 2 shown]
	v_min3_f32 v99, v4, v3, v99
	v_min3_f32 v54, v50, v5, v100
	;; [unrolled: 1-line block ×5, first 2 shown]
	v_add_f32_e32 v3, v39, v43
	v_add_f32_e32 v4, v38, v42
	;; [unrolled: 1-line block ×10, first 2 shown]
	v_min3_f32 v95, v4, v3, v96
	v_min3_f32 v46, v46, v5, v93
	;; [unrolled: 1-line block ×4, first 2 shown]
	v_add_f32_e32 v3, v19, v43
	v_add_f32_e32 v4, v18, v42
	;; [unrolled: 1-line block ×6, first 2 shown]
	v_min3_f32 v51, v100, v98, v92
	v_add_f32_e32 v92, v35, v11
	v_min3_f32 v35, v4, v3, v89
	v_min3_f32 v3, v91, v5, v90
	;; [unrolled: 1-line block ×3, first 2 shown]
	v_add_f32_e32 v31, v31, v11
	v_add_f32_e32 v30, v30, v10
	;; [unrolled: 1-line block ×13, first 2 shown]
	v_min3_f32 v14, v30, v31, v85
	v_min3_f32 v22, v26, v27, v82
	v_min3_f32 v23, v38, v23, v83
	v_min3_f32 v26, v18, v19, v80
	v_min3_f32 v27, v39, v15, v81
	v_add_f32_e32 v7, v7, v11
	v_add_f32_e32 v6, v6, v10
	;; [unrolled: 1-line block ×10, first 2 shown]
	v_min3_f32 v4, v42, v43, v87
	v_min3_f32 v7, v6, v7, v84
	;; [unrolled: 1-line block ×6, first 2 shown]
	v_add_f32_e32 v6, v25, v69
	v_add_f32_e32 v10, v24, v68
	;; [unrolled: 1-line block ×10, first 2 shown]
	v_min3_f32 v132, v159, v158, v132
	v_min3_f32 v34, v34, v92, v86
	;; [unrolled: 1-line block ×7, first 2 shown]
	v_add_f32_e32 v6, v37, v65
	v_add_f32_e32 v10, v36, v64
	v_add_f32_e32 v15, v33, v65
	v_add_f32_e32 v18, v32, v64
	v_add_f32_e32 v19, v29, v65
	v_add_f32_e32 v30, v28, v64
	v_add_f32_e32 v31, v25, v65
	v_add_f32_e32 v38, v24, v64
	v_add_f32_e32 v39, v21, v65
	v_add_f32_e32 v42, v20, v64
	v_min3_f32 v87, v10, v6, v135
	v_min3_f32 v88, v18, v15, v133
	v_min3_f32 v89, v30, v19, v131
	v_min3_f32 v90, v38, v31, v132
	v_min3_f32 v91, v42, v39, v134
	v_add_f32_e32 v6, v17, v65
	v_add_f32_e32 v10, v16, v64
	v_add_f32_e32 v15, v9, v65
	v_add_f32_e32 v18, v8, v64
	v_add_f32_e32 v19, v41, v61
	v_add_f32_e32 v30, v40, v60
	v_add_f32_e32 v31, v37, v61
	v_add_f32_e32 v38, v36, v60
	v_add_f32_e32 v39, v33, v61
	v_add_f32_e32 v42, v32, v60
	v_min3_f32 v92, v10, v6, v128
	v_min3_f32 v93, v18, v15, v127
	v_min3_f32 v94, v30, v19, v129
	v_min3_f32 v96, v38, v31, v126
	v_min3_f32 v97, v42, v39, v130
	;; [unrolled: 15-line block ×10, first 2 shown]
	v_add_f32_e32 v10, v29, v13
	v_add_f32_e32 v25, v25, v13
	;; [unrolled: 1-line block ×6, first 2 shown]
	ds_read_b128 v[3:6], v138
	ds_read_b128 v[61:64], v74
	v_add_f32_e32 v9, v9, v13
	ds_read_b128 v[13:16], v138 offset:128
	ds_read_b128 v[17:20], v138 offset:256
	v_add_f32_e32 v28, v28, v12
	v_add_f32_e32 v24, v24, v12
	;; [unrolled: 1-line block ×3, first 2 shown]
	v_min3_f32 v136, v29, v21, v26
	v_min3_f32 v137, v31, v30, v27
	;; [unrolled: 1-line block ×5, first 2 shown]
	ds_read_b128 v[33:36], v138 offset:384
	ds_read_b128 v[29:32], v138 offset:512
	;; [unrolled: 1-line block ×12, first 2 shown]
	v_add_co_u32 v72, vcc_lo, v72, 32
	v_add_co_ci_u32_e64 v73, null, 0, v73, vcc_lo
	v_add_co_u32 v147, vcc_lo, v147, s8
	s_waitcnt lgkmcnt(14)
	v_add_f32_e32 v140, v4, v62
	v_add_f32_e32 v141, v3, v61
	s_waitcnt lgkmcnt(13)
	v_add_f32_e32 v142, v14, v62
	v_add_f32_e32 v155, v13, v61
	;; [unrolled: 3-line block ×3, first 2 shown]
	v_min3_f32 v11, v141, v140, v11
	s_waitcnt lgkmcnt(11)
	v_add_f32_e32 v140, v34, v62
	v_min3_f32 v80, v155, v142, v80
	v_add_f32_e32 v141, v33, v61
	v_min3_f32 v81, v157, v156, v81
	s_waitcnt lgkmcnt(10)
	v_add_f32_e32 v142, v30, v62
	v_add_f32_e32 v155, v29, v61
	s_waitcnt lgkmcnt(9)
	v_add_f32_e32 v156, v26, v62
	v_add_f32_e32 v157, v25, v61
	;; [unrolled: 3-line block ×4, first 2 shown]
	v_min3_f32 v82, v141, v140, v82
	v_min3_f32 v69, v155, v142, v69
	v_min3_f32 v83, v157, v156, v83
	v_min3_f32 v84, v159, v158, v84
	v_min3_f32 v61, v61, v62, v85
	s_waitcnt lgkmcnt(6)
	v_add_f32_e32 v62, v4, v66
	v_add_f32_e32 v85, v3, v65
	;; [unrolled: 1-line block ×10, first 2 shown]
	v_min3_f32 v62, v85, v62, v86
	v_min3_f32 v85, v141, v140, v87
	;; [unrolled: 1-line block ×5, first 2 shown]
	v_add_f32_e32 v89, v26, v66
	v_add_f32_e32 v90, v25, v65
	;; [unrolled: 1-line block ×6, first 2 shown]
	s_waitcnt lgkmcnt(5)
	v_add_f32_e32 v142, v4, v58
	v_add_f32_e32 v155, v3, v57
	;; [unrolled: 1-line block ×4, first 2 shown]
	v_min3_f32 v89, v90, v89, v91
	v_min3_f32 v90, v141, v140, v92
	;; [unrolled: 1-line block ×5, first 2 shown]
	v_add_f32_e32 v92, v18, v58
	v_add_f32_e32 v93, v17, v57
	;; [unrolled: 1-line block ×10, first 2 shown]
	v_min3_f32 v92, v93, v92, v97
	v_min3_f32 v93, v96, v94, v98
	;; [unrolled: 1-line block ×5, first 2 shown]
	v_add_f32_e32 v58, v8, v58
	v_add_f32_e32 v57, v7, v57
	s_waitcnt lgkmcnt(4)
	v_add_f32_e32 v98, v4, v54
	v_add_f32_e32 v100, v3, v53
	;; [unrolled: 1-line block ×8, first 2 shown]
	v_min3_f32 v57, v57, v58, v103
	v_min3_f32 v58, v100, v98, v104
	;; [unrolled: 1-line block ×5, first 2 shown]
	v_add_f32_e32 v102, v30, v54
	v_add_f32_e32 v103, v29, v53
	;; [unrolled: 1-line block ×8, first 2 shown]
	s_waitcnt lgkmcnt(3)
	v_add_f32_e32 v140, v4, v50
	v_add_f32_e32 v141, v3, v49
	v_min3_f32 v102, v103, v102, v115
	v_min3_f32 v103, v108, v104, v113
	;; [unrolled: 1-line block ×5, first 2 shown]
	v_add_f32_e32 v108, v14, v50
	v_add_f32_e32 v110, v13, v49
	v_add_f32_e32 v111, v18, v50
	v_add_f32_e32 v112, v17, v49
	v_add_f32_e32 v113, v34, v50
	v_add_f32_e32 v114, v33, v49
	v_add_f32_e32 v115, v30, v50
	v_add_f32_e32 v116, v29, v49
	v_add_f32_e32 v140, v26, v50
	v_add_f32_e32 v141, v25, v49
	v_min3_f32 v108, v110, v108, v109
	v_min3_f32 v110, v112, v111, v78
	;; [unrolled: 1-line block ×4, first 2 shown]
	v_add_f32_e32 v78, v22, v50
	v_add_f32_e32 v79, v21, v49
	;; [unrolled: 1-line block ×4, first 2 shown]
	s_waitcnt lgkmcnt(2)
	v_add_f32_e32 v107, v4, v46
	v_add_f32_e32 v109, v3, v45
	;; [unrolled: 1-line block ×6, first 2 shown]
	v_min3_f32 v105, v79, v78, v105
	v_min3_f32 v49, v49, v50, v117
	;; [unrolled: 1-line block ×5, first 2 shown]
	v_add_f32_e32 v78, v34, v46
	v_add_f32_e32 v79, v33, v45
	;; [unrolled: 1-line block ×10, first 2 shown]
	v_min3_f32 v99, v79, v78, v99
	v_min3_f32 v159, v109, v107, v121
	s_waitcnt lgkmcnt(1)
	v_add_f32_e32 v78, v3, v41
	v_add_f32_e32 v79, v14, v42
	v_min3_f32 v45, v45, v46, v124
	v_add_f32_e32 v46, v4, v42
	v_add_f32_e32 v107, v13, v41
	s_waitcnt lgkmcnt(0)
	v_add_f32_e32 v4, v4, v38
	v_add_f32_e32 v3, v3, v37
	;; [unrolled: 1-line block ×4, first 2 shown]
	v_min3_f32 v160, v112, v111, v122
	v_add_f32_e32 v109, v18, v42
	v_add_f32_e32 v111, v17, v41
	v_min3_f32 v46, v78, v46, v95
	v_min3_f32 v162, v107, v79, v125
	v_add_f32_e32 v95, v22, v42
	v_add_f32_e32 v107, v21, v41
	v_min3_f32 v3, v3, v4, v132
	v_min3_f32 v4, v13, v14, v133
	v_add_f32_e32 v13, v18, v38
	v_add_f32_e32 v14, v17, v37
	;; [unrolled: 1-line block ×6, first 2 shown]
	v_min3_f32 v161, v114, v113, v123
	v_add_f32_e32 v112, v34, v42
	v_add_f32_e32 v113, v33, v41
	;; [unrolled: 1-line block ×8, first 2 shown]
	v_min3_f32 v12, v18, v17, v12
	v_min3_f32 v18, v21, v22, v137
	v_add_f32_e32 v8, v8, v38
	v_add_f32_e32 v7, v7, v37
	;; [unrolled: 1-line block ×8, first 2 shown]
	v_min3_f32 v7, v7, v8, v139
	v_min3_f32 v142, v22, v21, v11
	v_add_f32_e32 v8, v32, v64
	v_add_f32_e32 v11, v31, v63
	v_min3_f32 v106, v141, v140, v106
	v_min3_f32 v13, v14, v13, v134
	;; [unrolled: 1-line block ×4, first 2 shown]
	v_add_f32_e32 v25, v16, v64
	v_add_f32_e32 v26, v15, v63
	;; [unrolled: 1-line block ×8, first 2 shown]
	v_min3_f32 v141, v11, v8, v69
	v_add_f32_e32 v8, v16, v68
	v_add_f32_e32 v11, v15, v67
	v_min3_f32 v166, v79, v78, v129
	v_min3_f32 v139, v26, v25, v80
	;; [unrolled: 1-line block ×4, first 2 shown]
	v_add_f32_e32 v25, v24, v64
	v_add_f32_e32 v26, v23, v63
	;; [unrolled: 1-line block ×6, first 2 shown]
	v_min3_f32 v79, v22, v21, v83
	v_add_f32_e32 v21, v20, v68
	v_add_f32_e32 v22, v19, v67
	v_min3_f32 v133, v11, v8, v85
	v_add_f32_e32 v8, v24, v68
	v_add_f32_e32 v11, v23, v67
	v_min3_f32 v167, v107, v95, v130
	v_min3_f32 v137, v26, v25, v84
	;; [unrolled: 1-line block ×4, first 2 shown]
	v_add_f32_e32 v25, v36, v68
	v_add_f32_e32 v26, v35, v67
	v_add_f32_e32 v29, v32, v68
	v_add_f32_e32 v30, v31, v67
	v_add_f32_e32 v33, v28, v68
	v_add_f32_e32 v34, v27, v67
	v_min3_f32 v134, v22, v21, v86
	v_add_f32_e32 v21, v10, v68
	v_add_f32_e32 v22, v9, v67
	v_min3_f32 v130, v11, v8, v90
	v_add_f32_e32 v8, v36, v60
	v_add_f32_e32 v11, v35, v59
	v_min3_f32 v164, v113, v112, v127
	v_min3_f32 v165, v115, v114, v128
	;; [unrolled: 1-line block ×6, first 2 shown]
	v_add_f32_e32 v25, v6, v60
	v_add_f32_e32 v26, v5, v59
	;; [unrolled: 1-line block ×6, first 2 shown]
	v_min3_f32 v127, v22, v21, v65
	v_add_f32_e32 v21, v32, v60
	v_add_f32_e32 v22, v31, v59
	v_min3_f32 v123, v11, v8, v93
	v_add_f32_e32 v8, v6, v56
	v_add_f32_e32 v11, v5, v55
	v_min3_f32 v163, v111, v109, v126
	v_min3_f32 v129, v26, v25, v66
	;; [unrolled: 1-line block ×4, first 2 shown]
	v_add_f32_e32 v25, v28, v60
	v_add_f32_e32 v26, v27, v59
	v_add_f32_e32 v29, v24, v60
	v_add_f32_e32 v30, v23, v59
	v_add_f32_e32 v33, v10, v60
	v_add_f32_e32 v34, v9, v59
	v_min3_f32 v124, v22, v21, v94
	v_add_f32_e32 v21, v16, v56
	v_add_f32_e32 v22, v15, v55
	v_min3_f32 v120, v11, v8, v58
	v_add_f32_e32 v8, v28, v56
	v_add_f32_e32 v11, v27, v55
	v_min3_f32 v121, v26, v25, v96
	v_min3_f32 v122, v30, v29, v97
	v_min3_f32 v119, v34, v33, v57
	v_add_f32_e32 v25, v20, v56
	v_add_f32_e32 v26, v19, v55
	v_add_f32_e32 v29, v36, v56
	v_add_f32_e32 v30, v35, v55
	v_add_f32_e32 v33, v32, v56
	v_add_f32_e32 v34, v31, v55
	v_min3_f32 v117, v22, v21, v98
	v_add_f32_e32 v21, v24, v56
	v_add_f32_e32 v22, v23, v55
	v_min3_f32 v113, v11, v8, v103
	v_add_f32_e32 v8, v20, v52
	v_add_f32_e32 v11, v19, v51
	v_min3_f32 v118, v26, v25, v100
	v_min3_f32 v116, v30, v29, v101
	v_min3_f32 v115, v34, v33, v102
	;; [unrolled: 15-line block ×5, first 2 shown]
	v_add_f32_e32 v25, v24, v48
	v_add_f32_e32 v26, v23, v47
	;; [unrolled: 1-line block ×6, first 2 shown]
	v_min3_f32 v97, v22, v21, v160
	v_add_f32_e32 v21, v20, v44
	v_add_f32_e32 v22, v19, v43
	v_min3_f32 v93, v11, v8, v162
	v_add_f32_e32 v8, v24, v44
	v_add_f32_e32 v11, v23, v43
	v_add_f32_e32 v6, v6, v40
	v_add_f32_e32 v5, v5, v39
	v_add_f32_e32 v16, v16, v40
	v_add_f32_e32 v15, v15, v39
	v_add_f32_e32 v20, v20, v40
	v_add_f32_e32 v19, v19, v39
	v_min3_f32 v98, v26, v25, v161
	v_min3_f32 v95, v30, v29, v45
	;; [unrolled: 1-line block ×3, first 2 shown]
	v_add_f32_e32 v25, v36, v44
	v_add_f32_e32 v26, v35, v43
	;; [unrolled: 1-line block ×6, first 2 shown]
	v_min3_f32 v94, v22, v21, v163
	v_add_f32_e32 v21, v10, v44
	v_add_f32_e32 v22, v9, v43
	v_min3_f32 v90, v11, v8, v167
	v_min3_f32 v88, v5, v6, v3
	;; [unrolled: 1-line block ×4, first 2 shown]
	v_add_f32_e32 v3, v36, v40
	v_add_f32_e32 v4, v35, v39
	;; [unrolled: 1-line block ×10, first 2 shown]
	v_add_co_ci_u32_e64 v148, null, s9, v148, vcc_lo
	v_add_co_u32 v149, vcc_lo, v149, s8
	v_min3_f32 v91, v26, v25, v164
	v_min3_f32 v92, v30, v29, v165
	;; [unrolled: 1-line block ×9, first 2 shown]
	v_add_co_ci_u32_e64 v150, null, s9, v150, vcc_lo
	s_add_i32 s16, s16, 8
	ds_write_b32 v143, v151
	ds_write2st64_b32 v144, v2, v152 offset1:4
	ds_write2st64_b32 v144, v153, v154 offset0:8 offset1:12
	s_cmp_ge_i32 s16, s6
	s_waitcnt lgkmcnt(0)
	s_barrier
	buffer_gl0_inv
	s_cbranch_scc1 .LBB74_46
.LBB74_26:                              ; =>This Inner Loop Header: Depth=1
	v_mov_b32_e32 v152, 0
	s_and_b32 vcc_lo, exec_lo, s2
	s_cbranch_vccnz .LBB74_28
; %bb.27:                               ;   in Loop: Header=BB74_26 Depth=1
	global_load_dword v2, v[72:73], off
	s_waitcnt vmcnt(0)
	v_mul_f32_e32 v152, s15, v2
.LBB74_28:                              ;   in Loop: Header=BB74_26 Depth=1
	s_mov_b32 s17, -1
	s_mov_b32 vcc_lo, s1
                                        ; implicit-def: $vgpr2_vgpr3_vgpr4_vgpr5
	s_cbranch_vccnz .LBB74_39
; %bb.29:                               ;   in Loop: Header=BB74_26 Depth=1
	v_mov_b32_e32 v3, 0
	s_andn2_b32 vcc_lo, exec_lo, s17
	s_cbranch_vccz .LBB74_40
.LBB74_30:                              ;   in Loop: Header=BB74_26 Depth=1
	s_mov_b32 s17, -1
	s_mov_b32 vcc_lo, s1
                                        ; implicit-def: $vgpr4
	s_cbranch_vccnz .LBB74_41
.LBB74_31:                              ;   in Loop: Header=BB74_26 Depth=1
	v_mov_b32_e32 v151, 0
	v_mov_b32_e32 v5, 0
	s_andn2_b32 vcc_lo, exec_lo, s17
	s_cbranch_vccnz .LBB74_33
.LBB74_32:                              ;   in Loop: Header=BB74_26 Depth=1
	v_add_co_u32 v4, vcc_lo, v147, v70
	v_add_co_ci_u32_e64 v5, null, v148, v71, vcc_lo
	s_clause 0x1
	global_load_dword v6, v[4:5], off offset:512
	global_load_dword v5, v[4:5], off offset:768
	s_waitcnt vmcnt(1)
	v_mul_f32_e32 v4, s15, v6
	s_waitcnt vmcnt(0)
	v_mul_f32_e32 v5, s15, v5
.LBB74_33:                              ;   in Loop: Header=BB74_26 Depth=1
	ds_read_b128 v[38:41], v145
	ds_read_b128 v[34:37], v145 offset:128
	ds_read_b128 v[30:33], v145 offset:256
	;; [unrolled: 1-line block ×7, first 2 shown]
	ds_read_b128 v[66:69], v146
	ds_read_b128 v[62:65], v146 offset:512
	ds_read_b128 v[58:61], v146 offset:1024
	ds_read_b128 v[54:57], v146 offset:1536
	ds_read_b128 v[50:53], v146 offset:2048
	ds_read_b128 v[46:49], v146 offset:2560
	ds_read_b128 v[42:45], v146 offset:3072
	ds_read_b128 v[10:13], v146 offset:3584
	s_and_b32 vcc_lo, exec_lo, s2
	ds_write_b32 v77, v152
	ds_write2st64_b32 v76, v2, v3 offset1:4
	ds_write2st64_b32 v76, v4, v5 offset0:8 offset1:12
	s_waitcnt lgkmcnt(0)
	s_barrier
	buffer_gl0_inv
	s_cbranch_vccnz .LBB74_35
; %bb.34:                               ;   in Loop: Header=BB74_26 Depth=1
	global_load_dword v2, v[72:73], off offset:16
	s_waitcnt vmcnt(0)
	v_mul_f32_e32 v151, s15, v2
.LBB74_35:                              ;   in Loop: Header=BB74_26 Depth=1
	s_mov_b32 s17, -1
	s_mov_b32 vcc_lo, s1
                                        ; implicit-def: $vgpr2_vgpr3_vgpr4_vgpr5
	s_cbranch_vccnz .LBB74_42
; %bb.36:                               ;   in Loop: Header=BB74_26 Depth=1
	v_mov_b32_e32 v152, 0
	s_andn2_b32 vcc_lo, exec_lo, s17
	s_cbranch_vccz .LBB74_43
.LBB74_37:                              ;   in Loop: Header=BB74_26 Depth=1
	s_mov_b32 s17, -1
	s_mov_b32 vcc_lo, s1
                                        ; implicit-def: $vgpr153
	s_cbranch_vccnz .LBB74_44
.LBB74_38:                              ;   in Loop: Header=BB74_26 Depth=1
	v_mov_b32_e32 v154, 0
	s_andn2_b32 vcc_lo, exec_lo, s17
	s_cbranch_vccnz .LBB74_25
	s_branch .LBB74_45
.LBB74_39:                              ;   in Loop: Header=BB74_26 Depth=1
	v_mov_b32_e32 v2, s14
	v_mov_b32_e32 v3, 0
	s_cbranch_execnz .LBB74_30
.LBB74_40:                              ;   in Loop: Header=BB74_26 Depth=1
	v_add_co_u32 v2, vcc_lo, v147, v70
	v_add_co_ci_u32_e64 v3, null, v148, v71, vcc_lo
	s_clause 0x1
	global_load_dword v4, v[2:3], off
	global_load_dword v3, v[2:3], off offset:256
	s_waitcnt vmcnt(1)
	v_mul_f32_e32 v2, s15, v4
	s_waitcnt vmcnt(0)
	v_mul_f32_e32 v3, s15, v3
	s_mov_b32 s17, -1
	s_mov_b32 vcc_lo, s1
                                        ; implicit-def: $vgpr4
	s_cbranch_vccz .LBB74_31
.LBB74_41:                              ;   in Loop: Header=BB74_26 Depth=1
	v_mov_b32_e32 v4, s14
	v_mov_b32_e32 v151, 0
	;; [unrolled: 1-line block ×3, first 2 shown]
	s_cbranch_execz .LBB74_32
	s_branch .LBB74_33
.LBB74_42:                              ;   in Loop: Header=BB74_26 Depth=1
	v_mov_b32_e32 v2, s14
	v_mov_b32_e32 v152, 0
	s_cbranch_execnz .LBB74_37
.LBB74_43:                              ;   in Loop: Header=BB74_26 Depth=1
	v_add_co_u32 v2, vcc_lo, v149, v70
	v_add_co_ci_u32_e64 v3, null, v150, v71, vcc_lo
	s_clause 0x1
	global_load_dword v4, v[2:3], off
	global_load_dword v3, v[2:3], off offset:256
	s_waitcnt vmcnt(1)
	v_mul_f32_e32 v2, s15, v4
	s_waitcnt vmcnt(0)
	v_mul_f32_e32 v152, s15, v3
	s_mov_b32 s17, -1
	s_mov_b32 vcc_lo, s1
                                        ; implicit-def: $vgpr153
	s_cbranch_vccz .LBB74_38
.LBB74_44:                              ;   in Loop: Header=BB74_26 Depth=1
	v_mov_b32_e32 v153, s14
	v_mov_b32_e32 v154, 0
	s_cbranch_execnz .LBB74_25
.LBB74_45:                              ;   in Loop: Header=BB74_26 Depth=1
	v_add_co_u32 v3, vcc_lo, v149, v70
	v_add_co_ci_u32_e64 v4, null, v150, v71, vcc_lo
	s_clause 0x1
	global_load_dword v5, v[3:4], off offset:512
	global_load_dword v3, v[3:4], off offset:768
	s_waitcnt vmcnt(1)
	v_mul_f32_e32 v153, s15, v5
	s_waitcnt vmcnt(0)
	v_mul_f32_e32 v154, s15, v3
	s_branch .LBB74_25
.LBB74_46:
	ds_read_b128 v[32:35], v75 offset:9216
	ds_read_b128 v[60:63], v74 offset:4096
	s_clause 0x2
	s_load_dword s2, s[4:5], 0x68
	s_load_dword s1, s[4:5], 0x50
	s_load_dwordx2 s[8:9], s[4:5], 0x70
	v_add_nc_u32_e32 v138, s21, v1
	v_add_nc_u32_e32 v76, s20, v0
	v_ashrrev_i32_e32 v77, 31, v76
	v_add_nc_u32_e32 v0, 8, v76
	v_lshlrev_b64 v[66:67], 2, v[76:77]
	v_ashrrev_i32_e32 v1, 31, v0
	s_waitcnt lgkmcnt(0)
	v_mad_i64_i32 v[2:3], null, v138, s2, 0
	v_mad_i64_i32 v[4:5], null, v138, s1, 0
	v_add_f32_e32 v6, v33, v61
	v_add_f32_e32 v7, v32, v60
	s_mul_i32 s5, s9, s7
	s_mul_hi_u32 s6, s8, s7
	s_mul_i32 s4, s8, s7
	v_add_f32_e32 v8, v35, v63
	s_add_i32 s5, s6, s5
	v_add_f32_e32 v9, v34, v62
	v_min3_f32 v6, v7, v6, v142
	v_lshlrev_b64 v[2:3], 2, v[2:3]
	s_lshl_b64 s[4:5], s[4:5], 2
	v_lshlrev_b64 v[4:5], 2, v[4:5]
	s_add_u32 s4, s10, s4
	v_min3_f32 v6, v9, v8, v6
	s_addc_u32 s5, s11, s5
	v_add_co_u32 v142, vcc_lo, s4, v2
	v_add_co_ci_u32_e64 v143, null, s5, v3, vcc_lo
	v_add_co_u32 v144, vcc_lo, s12, v4
	v_add_co_ci_u32_e64 v145, null, s13, v5, vcc_lo
	v_max_f32_e32 v2, v6, v6
	s_mov_b32 s6, -1
	s_mov_b32 vcc_lo, s0
	s_cbranch_vccz .LBB74_48
; %bb.47:
	v_add_co_u32 v3, vcc_lo, v142, v66
	v_min_f32_e32 v5, 0, v2
	v_add_co_ci_u32_e64 v4, null, v143, v67, vcc_lo
	s_mov_b32 s6, 0
	global_store_dword v[3:4], v5, off
.LBB74_48:
	ds_read_b128 v[28:31], v75 offset:9344
	ds_read_b128 v[24:27], v75 offset:9472
	v_lshlrev_b64 v[64:65], 2, v[0:1]
	v_mov_b32_e32 v69, 0
	s_andn2_b32 vcc_lo, exec_lo, s6
	s_cbranch_vccnz .LBB74_50
; %bb.49:
	v_add_co_u32 v0, vcc_lo, v144, v66
	v_add_co_ci_u32_e64 v1, null, v145, v67, vcc_lo
	global_load_dword v0, v[0:1], off
	s_waitcnt vmcnt(0)
	v_mul_f32_e32 v3, s3, v0
	v_add_co_u32 v0, vcc_lo, v142, v66
	v_add_co_ci_u32_e64 v1, null, v143, v67, vcc_lo
	v_min_f32_e32 v4, v3, v2
	v_add_co_u32 v2, vcc_lo, v144, v64
	v_add_co_ci_u32_e64 v3, null, v145, v65, vcc_lo
	global_store_dword v[0:1], v4, off
	global_load_dword v0, v[2:3], off
	s_waitcnt vmcnt(0)
	v_mul_f32_e32 v69, s3, v0
.LBB74_50:
	ds_read_b128 v[16:19], v75 offset:9728
	ds_read_b128 v[12:15], v75 offset:9856
	;; [unrolled: 1-line block ×10, first 2 shown]
	s_waitcnt lgkmcnt(11)
	v_add_f32_e32 v68, v29, v61
	v_add_f32_e32 v70, v28, v60
	s_waitcnt lgkmcnt(10)
	v_add_f32_e32 v71, v25, v61
	v_add_f32_e32 v72, v24, v60
	;; [unrolled: 1-line block ×4, first 2 shown]
	ds_read_b128 v[20:23], v75 offset:9600
	ds_read_b128 v[4:7], v74 offset:7680
	v_min3_f32 v74, v70, v68, v139
	v_min3_f32 v75, v72, v71, v140
	v_add_nc_u32_e32 v70, 16, v76
	v_min_f32_e32 v71, v77, v73
	v_add_f32_e32 v77, v27, v63
	v_add_f32_e32 v139, v26, v62
	v_add_co_u32 v72, vcc_lo, v142, v64
	v_min3_f32 v74, v69, v71, v74
	v_ashrrev_i32_e32 v71, 31, v70
	v_add_nc_u32_e32 v68, 24, v76
	v_add_co_ci_u32_e64 v73, null, v143, v65, vcc_lo
	v_min3_f32 v75, v139, v77, v75
	v_lshlrev_b64 v[70:71], 2, v[70:71]
	v_ashrrev_i32_e32 v69, 31, v68
	global_store_dword v[72:73], v74, off
	s_mov_b32 s6, -1
	v_max_f32_e32 v72, v75, v75
	s_mov_b32 vcc_lo, s0
	s_cbranch_vccz .LBB74_52
; %bb.51:
	v_add_co_u32 v73, vcc_lo, v142, v70
	v_min_f32_e32 v75, 0, v72
	v_add_co_ci_u32_e64 v74, null, v143, v71, vcc_lo
	s_mov_b32 s6, 0
	global_store_dword v[73:74], v75, off
.LBB74_52:
	v_lshlrev_b64 v[68:69], 2, v[68:69]
	v_mov_b32_e32 v73, 0
	s_andn2_b32 vcc_lo, exec_lo, s6
	s_cbranch_vccnz .LBB74_54
; %bb.53:
	v_add_co_u32 v73, vcc_lo, v144, v70
	v_add_co_ci_u32_e64 v74, null, v145, v71, vcc_lo
	global_load_dword v73, v[73:74], off
	s_waitcnt vmcnt(0)
	v_mul_f32_e32 v75, s3, v73
	v_add_co_u32 v73, vcc_lo, v142, v70
	v_add_co_ci_u32_e64 v74, null, v143, v71, vcc_lo
	v_add_co_u32 v139, vcc_lo, v144, v68
	v_min_f32_e32 v72, v75, v72
	v_add_co_ci_u32_e64 v140, null, v145, v69, vcc_lo
	global_store_dword v[73:74], v72, off
	global_load_dword v72, v[139:140], off
	s_waitcnt vmcnt(0)
	v_mul_f32_e32 v73, s3, v72
.LBB74_54:
	s_waitcnt lgkmcnt(1)
	v_add_f32_e32 v72, v21, v61
	v_add_f32_e32 v74, v20, v60
	v_add_f32_e32 v75, v17, v61
	v_add_f32_e32 v77, v16, v60
	v_add_f32_e32 v139, v23, v63
	v_add_f32_e32 v140, v22, v62
	v_min3_f32 v78, v74, v72, v78
	v_add_nc_u32_e32 v74, 32, v76
	v_min3_f32 v141, v77, v75, v141
	v_add_co_u32 v77, vcc_lo, v142, v68
	v_min_f32_e32 v75, v140, v139
	v_add_f32_e32 v139, v19, v63
	v_add_f32_e32 v140, v18, v62
	v_add_nc_u32_e32 v72, 40, v76
	s_mov_b32 s6, -1
	v_min3_f32 v146, v73, v75, v78
	v_ashrrev_i32_e32 v75, 31, v74
	v_add_co_ci_u32_e64 v78, null, v143, v69, vcc_lo
	v_min3_f32 v139, v140, v139, v141
	v_ashrrev_i32_e32 v73, 31, v72
	v_lshlrev_b64 v[74:75], 2, v[74:75]
	global_store_dword v[77:78], v146, off
	s_mov_b32 vcc_lo, s0
	v_max_f32_e32 v77, v139, v139
	s_cbranch_vccz .LBB74_56
; %bb.55:
	v_add_co_u32 v139, vcc_lo, v142, v74
	v_min_f32_e32 v78, 0, v77
	v_add_co_ci_u32_e64 v140, null, v143, v75, vcc_lo
	s_mov_b32 s6, 0
	global_store_dword v[139:140], v78, off
.LBB74_56:
	v_lshlrev_b64 v[72:73], 2, v[72:73]
	v_mov_b32_e32 v139, 0
	s_andn2_b32 vcc_lo, exec_lo, s6
	s_cbranch_vccnz .LBB74_58
; %bb.57:
	v_add_co_u32 v139, vcc_lo, v144, v74
	v_add_co_ci_u32_e64 v140, null, v145, v75, vcc_lo
	global_load_dword v78, v[139:140], off
	v_add_co_u32 v139, vcc_lo, v142, v74
	v_add_co_ci_u32_e64 v140, null, v143, v75, vcc_lo
	s_waitcnt vmcnt(0)
	v_mul_f32_e32 v78, s3, v78
	v_min_f32_e32 v141, v78, v77
	v_add_co_u32 v77, vcc_lo, v144, v72
	v_add_co_ci_u32_e64 v78, null, v145, v73, vcc_lo
	global_store_dword v[139:140], v141, off
	global_load_dword v77, v[77:78], off
	s_waitcnt vmcnt(0)
	v_mul_f32_e32 v139, s3, v77
.LBB74_58:
	v_add_f32_e32 v77, v13, v61
	v_add_f32_e32 v78, v12, v60
	;; [unrolled: 1-line block ×6, first 2 shown]
	v_min3_f32 v77, v78, v77, v79
	v_add_nc_u32_e32 v78, 56, v76
	v_min3_f32 v79, v141, v140, v137
	v_add_nc_u32_e32 v140, 48, v76
	v_min_f32_e32 v137, v147, v146
	v_add_f32_e32 v146, v11, v63
	v_add_f32_e32 v147, v10, v62
	v_add_co_u32 v76, vcc_lo, v142, v72
	v_min3_f32 v137, v139, v137, v77
	v_add_co_ci_u32_e64 v77, null, v143, v73, vcc_lo
	v_ashrrev_i32_e32 v141, 31, v140
	v_min3_f32 v139, v147, v146, v79
	v_ashrrev_i32_e32 v79, 31, v78
	global_store_dword v[76:77], v137, off
	s_mov_b32 s6, -1
	v_lshlrev_b64 v[76:77], 2, v[140:141]
	v_max_f32_e32 v137, v139, v139
	s_mov_b32 vcc_lo, s0
	s_cbranch_vccz .LBB74_60
; %bb.59:
	v_add_co_u32 v139, vcc_lo, v142, v76
	v_min_f32_e32 v141, 0, v137
	v_add_co_ci_u32_e64 v140, null, v143, v77, vcc_lo
	s_mov_b32 s6, 0
	global_store_dword v[139:140], v141, off
.LBB74_60:
	v_lshlrev_b64 v[78:79], 2, v[78:79]
	v_mov_b32_e32 v139, 0
	s_andn2_b32 vcc_lo, exec_lo, s6
	s_cbranch_vccnz .LBB74_62
; %bb.61:
	v_add_co_u32 v139, vcc_lo, v144, v76
	v_add_co_ci_u32_e64 v140, null, v145, v77, vcc_lo
	global_load_dword v139, v[139:140], off
	s_waitcnt vmcnt(0)
	v_mul_f32_e32 v141, s3, v139
	v_add_co_u32 v139, vcc_lo, v142, v76
	v_add_co_ci_u32_e64 v140, null, v143, v77, vcc_lo
	v_add_co_u32 v144, vcc_lo, v144, v78
	v_min_f32_e32 v137, v141, v137
	v_add_co_ci_u32_e64 v145, null, v145, v79, vcc_lo
	global_store_dword v[139:140], v137, off
	global_load_dword v137, v[144:145], off
	s_waitcnt vmcnt(0)
	v_mul_f32_e32 v139, s3, v137
.LBB74_62:
	v_add_f32_e32 v61, v1, v61
	v_add_f32_e32 v60, v0, v60
	;; [unrolled: 1-line block ×6, first 2 shown]
	v_min3_f32 v60, v60, v61, v135
	v_add_f32_e32 v141, v34, v58
	v_min_f32_e32 v61, v62, v63
	v_add_nc_u32_e32 v62, 32, v138
	v_min3_f32 v137, v140, v137, v136
	v_add_f32_e32 v140, v35, v59
	v_add_co_u32 v135, vcc_lo, v142, v78
	v_min3_f32 v139, v139, v61, v60
	v_mad_i64_i32 v[60:61], null, v62, s2, 0
	v_mad_i64_i32 v[62:63], null, v62, s1, 0
	v_add_co_ci_u32_e64 v136, null, v143, v79, vcc_lo
	v_min3_f32 v137, v141, v140, v137
	s_mov_b32 s6, -1
	v_lshlrev_b64 v[60:61], 2, v[60:61]
	global_store_dword v[135:136], v139, off
	v_lshlrev_b64 v[62:63], 2, v[62:63]
	v_max_f32_e32 v135, v137, v137
	v_add_co_u32 v60, vcc_lo, s4, v60
	v_add_co_ci_u32_e64 v61, null, s5, v61, vcc_lo
	v_add_co_u32 v62, vcc_lo, s12, v62
	v_add_co_ci_u32_e64 v63, null, s13, v63, vcc_lo
	s_mov_b32 vcc_lo, s0
	s_cbranch_vccz .LBB74_64
; %bb.63:
	v_add_co_u32 v136, vcc_lo, v60, v66
	v_min_f32_e32 v139, 0, v135
	v_add_co_ci_u32_e64 v137, null, v61, v67, vcc_lo
	s_mov_b32 s6, 0
	global_store_dword v[136:137], v139, off
.LBB74_64:
	v_mov_b32_e32 v136, 0
	s_andn2_b32 vcc_lo, exec_lo, s6
	s_cbranch_vccnz .LBB74_66
; %bb.65:
	v_add_co_u32 v136, vcc_lo, v62, v66
	v_add_co_ci_u32_e64 v137, null, v63, v67, vcc_lo
	global_load_dword v136, v[136:137], off
	s_waitcnt vmcnt(0)
	v_mul_f32_e32 v139, s3, v136
	v_add_co_u32 v136, vcc_lo, v60, v66
	v_add_co_ci_u32_e64 v137, null, v61, v67, vcc_lo
	v_min_f32_e32 v135, v139, v135
	v_add_co_u32 v139, vcc_lo, v62, v64
	v_add_co_ci_u32_e64 v140, null, v63, v65, vcc_lo
	global_store_dword v[136:137], v135, off
	global_load_dword v135, v[139:140], off
	s_waitcnt vmcnt(0)
	v_mul_f32_e32 v136, s3, v135
.LBB74_66:
	v_add_f32_e32 v135, v29, v57
	v_add_f32_e32 v137, v28, v56
	;; [unrolled: 1-line block ×6, first 2 shown]
	v_min3_f32 v133, v137, v135, v133
	s_mov_b32 s6, -1
	v_min_f32_e32 v135, v140, v139
	v_add_f32_e32 v139, v27, v59
	v_min3_f32 v137, v142, v141, v134
	v_add_f32_e32 v140, v26, v58
	v_min3_f32 v135, v136, v135, v133
	v_add_co_u32 v133, vcc_lo, v60, v64
	v_add_co_ci_u32_e64 v134, null, v61, v65, vcc_lo
	v_min3_f32 v136, v140, v139, v137
	s_mov_b32 vcc_lo, s0
	global_store_dword v[133:134], v135, off
	v_max_f32_e32 v133, v136, v136
	s_cbranch_vccz .LBB74_68
; %bb.67:
	v_add_co_u32 v134, vcc_lo, v60, v70
	v_min_f32_e32 v136, 0, v133
	v_add_co_ci_u32_e64 v135, null, v61, v71, vcc_lo
	s_mov_b32 s6, 0
	global_store_dword v[134:135], v136, off
.LBB74_68:
	v_mov_b32_e32 v134, 0
	s_andn2_b32 vcc_lo, exec_lo, s6
	s_cbranch_vccnz .LBB74_70
; %bb.69:
	v_add_co_u32 v134, vcc_lo, v62, v70
	v_add_co_ci_u32_e64 v135, null, v63, v71, vcc_lo
	global_load_dword v134, v[134:135], off
	s_waitcnt vmcnt(0)
	v_mul_f32_e32 v136, s3, v134
	v_add_co_u32 v134, vcc_lo, v60, v70
	v_add_co_ci_u32_e64 v135, null, v61, v71, vcc_lo
	v_min_f32_e32 v133, v136, v133
	v_add_co_u32 v136, vcc_lo, v62, v68
	v_add_co_ci_u32_e64 v137, null, v63, v69, vcc_lo
	global_store_dword v[134:135], v133, off
	global_load_dword v133, v[136:137], off
	s_waitcnt vmcnt(0)
	v_mul_f32_e32 v134, s3, v133
.LBB74_70:
	v_add_f32_e32 v133, v21, v57
	v_add_f32_e32 v135, v20, v56
	;; [unrolled: 1-line block ×6, first 2 shown]
	v_min3_f32 v131, v135, v133, v131
	s_mov_b32 s6, -1
	v_min_f32_e32 v133, v137, v136
	v_add_f32_e32 v136, v19, v59
	v_min3_f32 v135, v140, v139, v132
	v_add_f32_e32 v137, v18, v58
	v_min3_f32 v133, v134, v133, v131
	v_add_co_u32 v131, vcc_lo, v60, v68
	v_add_co_ci_u32_e64 v132, null, v61, v69, vcc_lo
	v_min3_f32 v134, v137, v136, v135
	s_mov_b32 vcc_lo, s0
	global_store_dword v[131:132], v133, off
	v_max_f32_e32 v131, v134, v134
	s_cbranch_vccz .LBB74_72
; %bb.71:
	v_add_co_u32 v132, vcc_lo, v60, v74
	v_min_f32_e32 v134, 0, v131
	v_add_co_ci_u32_e64 v133, null, v61, v75, vcc_lo
	s_mov_b32 s6, 0
	global_store_dword v[132:133], v134, off
.LBB74_72:
	v_mov_b32_e32 v132, 0
	s_andn2_b32 vcc_lo, exec_lo, s6
	s_cbranch_vccnz .LBB74_74
; %bb.73:
	v_add_co_u32 v132, vcc_lo, v62, v74
	v_add_co_ci_u32_e64 v133, null, v63, v75, vcc_lo
	global_load_dword v132, v[132:133], off
	s_waitcnt vmcnt(0)
	v_mul_f32_e32 v134, s3, v132
	v_add_co_u32 v132, vcc_lo, v60, v74
	v_add_co_ci_u32_e64 v133, null, v61, v75, vcc_lo
	v_min_f32_e32 v131, v134, v131
	v_add_co_u32 v134, vcc_lo, v62, v72
	v_add_co_ci_u32_e64 v135, null, v63, v73, vcc_lo
	global_store_dword v[132:133], v131, off
	global_load_dword v131, v[134:135], off
	s_waitcnt vmcnt(0)
	v_mul_f32_e32 v132, s3, v131
.LBB74_74:
	v_add_f32_e32 v131, v13, v57
	v_add_f32_e32 v133, v12, v56
	;; [unrolled: 1-line block ×6, first 2 shown]
	v_min3_f32 v128, v133, v131, v128
	s_mov_b32 s6, -1
	v_min_f32_e32 v131, v135, v134
	v_add_f32_e32 v134, v11, v59
	v_min3_f32 v133, v137, v136, v130
	v_add_f32_e32 v135, v10, v58
	v_add_co_u32 v130, vcc_lo, v60, v72
	v_min3_f32 v128, v132, v131, v128
	v_add_co_ci_u32_e64 v131, null, v61, v73, vcc_lo
	v_min3_f32 v132, v135, v134, v133
	s_mov_b32 vcc_lo, s0
	global_store_dword v[130:131], v128, off
	v_max_f32_e32 v128, v132, v132
	s_cbranch_vccz .LBB74_76
; %bb.75:
	v_add_co_u32 v130, vcc_lo, v60, v76
	v_min_f32_e32 v132, 0, v128
	v_add_co_ci_u32_e64 v131, null, v61, v77, vcc_lo
	s_mov_b32 s6, 0
	global_store_dword v[130:131], v132, off
.LBB74_76:
	v_mov_b32_e32 v130, 0
	s_andn2_b32 vcc_lo, exec_lo, s6
	s_cbranch_vccnz .LBB74_78
; %bb.77:
	v_add_co_u32 v130, vcc_lo, v62, v76
	v_add_co_ci_u32_e64 v131, null, v63, v77, vcc_lo
	global_load_dword v130, v[130:131], off
	s_waitcnt vmcnt(0)
	v_mul_f32_e32 v132, s3, v130
	v_add_co_u32 v130, vcc_lo, v60, v76
	v_add_co_ci_u32_e64 v131, null, v61, v77, vcc_lo
	v_add_co_u32 v62, vcc_lo, v62, v78
	v_min_f32_e32 v128, v132, v128
	v_add_co_ci_u32_e64 v63, null, v63, v79, vcc_lo
	global_store_dword v[130:131], v128, off
	global_load_dword v62, v[62:63], off
	s_waitcnt vmcnt(0)
	v_mul_f32_e32 v130, s3, v62
.LBB74_78:
	v_add_f32_e32 v57, v1, v57
	v_add_f32_e32 v56, v0, v56
	;; [unrolled: 1-line block ×6, first 2 shown]
	v_min3_f32 v56, v56, v57, v127
	v_add_f32_e32 v127, v34, v54
	v_min_f32_e32 v57, v58, v59
	v_add_nc_u32_e32 v58, 64, v138
	v_min3_f32 v62, v63, v62, v129
	v_add_f32_e32 v63, v35, v55
	v_add_co_u32 v60, vcc_lo, v60, v78
	v_min3_f32 v128, v130, v57, v56
	v_mad_i64_i32 v[56:57], null, v58, s2, 0
	v_mad_i64_i32 v[58:59], null, v58, s1, 0
	v_add_co_ci_u32_e64 v61, null, v61, v79, vcc_lo
	v_min3_f32 v62, v127, v63, v62
	s_mov_b32 s6, -1
	v_lshlrev_b64 v[56:57], 2, v[56:57]
	global_store_dword v[60:61], v128, off
	v_lshlrev_b64 v[58:59], 2, v[58:59]
	v_max_f32_e32 v60, v62, v62
	v_add_co_u32 v56, vcc_lo, s4, v56
	v_add_co_ci_u32_e64 v57, null, s5, v57, vcc_lo
	v_add_co_u32 v58, vcc_lo, s12, v58
	v_add_co_ci_u32_e64 v59, null, s13, v59, vcc_lo
	s_mov_b32 vcc_lo, s0
	s_cbranch_vccz .LBB74_80
; %bb.79:
	v_add_co_u32 v61, vcc_lo, v56, v66
	v_min_f32_e32 v63, 0, v60
	v_add_co_ci_u32_e64 v62, null, v57, v67, vcc_lo
	s_mov_b32 s6, 0
	global_store_dword v[61:62], v63, off
.LBB74_80:
	v_mov_b32_e32 v61, 0
	s_andn2_b32 vcc_lo, exec_lo, s6
	s_cbranch_vccnz .LBB74_82
; %bb.81:
	v_add_co_u32 v61, vcc_lo, v58, v66
	v_add_co_ci_u32_e64 v62, null, v59, v67, vcc_lo
	global_load_dword v61, v[61:62], off
	s_waitcnt vmcnt(0)
	v_mul_f32_e32 v63, s3, v61
	v_add_co_u32 v61, vcc_lo, v56, v66
	v_add_co_ci_u32_e64 v62, null, v57, v67, vcc_lo
	v_add_co_u32 v127, vcc_lo, v58, v64
	v_min_f32_e32 v60, v63, v60
	v_add_co_ci_u32_e64 v128, null, v59, v65, vcc_lo
	global_store_dword v[61:62], v60, off
	global_load_dword v60, v[127:128], off
	s_waitcnt vmcnt(0)
	v_mul_f32_e32 v61, s3, v60
.LBB74_82:
	v_add_f32_e32 v60, v29, v53
	v_add_f32_e32 v62, v28, v52
	v_add_f32_e32 v63, v31, v55
	v_add_f32_e32 v127, v30, v54
	v_add_f32_e32 v128, v25, v53
	v_add_f32_e32 v129, v24, v52
	v_min3_f32 v60, v62, v60, v126
	v_add_f32_e32 v126, v26, v54
	v_min_f32_e32 v62, v127, v63
	s_mov_b32 s6, -1
	v_min3_f32 v63, v129, v128, v125
	v_add_f32_e32 v125, v27, v55
	v_min3_f32 v62, v61, v62, v60
	v_add_co_u32 v60, vcc_lo, v56, v64
	v_add_co_ci_u32_e64 v61, null, v57, v65, vcc_lo
	v_min3_f32 v63, v126, v125, v63
	s_mov_b32 vcc_lo, s0
	global_store_dword v[60:61], v62, off
	v_max_f32_e32 v60, v63, v63
	s_cbranch_vccz .LBB74_84
; %bb.83:
	v_add_co_u32 v61, vcc_lo, v56, v70
	v_min_f32_e32 v63, 0, v60
	v_add_co_ci_u32_e64 v62, null, v57, v71, vcc_lo
	s_mov_b32 s6, 0
	global_store_dword v[61:62], v63, off
.LBB74_84:
	v_mov_b32_e32 v61, 0
	s_andn2_b32 vcc_lo, exec_lo, s6
	s_cbranch_vccnz .LBB74_86
; %bb.85:
	v_add_co_u32 v61, vcc_lo, v58, v70
	v_add_co_ci_u32_e64 v62, null, v59, v71, vcc_lo
	global_load_dword v61, v[61:62], off
	s_waitcnt vmcnt(0)
	v_mul_f32_e32 v63, s3, v61
	v_add_co_u32 v61, vcc_lo, v56, v70
	v_add_co_ci_u32_e64 v62, null, v57, v71, vcc_lo
	v_add_co_u32 v125, vcc_lo, v58, v68
	v_min_f32_e32 v60, v63, v60
	v_add_co_ci_u32_e64 v126, null, v59, v69, vcc_lo
	global_store_dword v[61:62], v60, off
	global_load_dword v60, v[125:126], off
	s_waitcnt vmcnt(0)
	v_mul_f32_e32 v61, s3, v60
.LBB74_86:
	v_add_f32_e32 v60, v21, v53
	v_add_f32_e32 v62, v20, v52
	v_add_f32_e32 v63, v23, v55
	v_add_f32_e32 v125, v22, v54
	v_add_f32_e32 v126, v17, v53
	v_add_f32_e32 v127, v16, v52
	v_min3_f32 v60, v62, v60, v123
	v_add_f32_e32 v123, v19, v55
	v_min_f32_e32 v62, v125, v63
	s_mov_b32 s6, -1
	v_min3_f32 v63, v127, v126, v124
	v_add_f32_e32 v124, v18, v54
	v_min3_f32 v62, v61, v62, v60
	v_add_co_u32 v60, vcc_lo, v56, v68
	v_add_co_ci_u32_e64 v61, null, v57, v69, vcc_lo
	v_min3_f32 v63, v124, v123, v63
	s_mov_b32 vcc_lo, s0
	global_store_dword v[60:61], v62, off
	v_max_f32_e32 v60, v63, v63
	;; [unrolled: 46-line block ×3, first 2 shown]
	s_cbranch_vccz .LBB74_92
; %bb.91:
	v_add_co_u32 v61, vcc_lo, v56, v76
	v_min_f32_e32 v63, 0, v60
	v_add_co_ci_u32_e64 v62, null, v57, v77, vcc_lo
	s_mov_b32 s6, 0
	global_store_dword v[61:62], v63, off
.LBB74_92:
	v_mov_b32_e32 v61, 0
	s_andn2_b32 vcc_lo, exec_lo, s6
	s_cbranch_vccnz .LBB74_94
; %bb.93:
	v_add_co_u32 v61, vcc_lo, v58, v76
	v_add_co_ci_u32_e64 v62, null, v59, v77, vcc_lo
	global_load_dword v61, v[61:62], off
	s_waitcnt vmcnt(0)
	v_mul_f32_e32 v63, s3, v61
	v_add_co_u32 v61, vcc_lo, v56, v76
	v_add_co_ci_u32_e64 v62, null, v57, v77, vcc_lo
	v_add_co_u32 v58, vcc_lo, v58, v78
	v_min_f32_e32 v60, v63, v60
	v_add_co_ci_u32_e64 v59, null, v59, v79, vcc_lo
	global_store_dword v[61:62], v60, off
	global_load_dword v58, v[58:59], off
	s_waitcnt vmcnt(0)
	v_mul_f32_e32 v61, s3, v58
.LBB74_94:
	v_add_f32_e32 v53, v1, v53
	v_add_f32_e32 v52, v0, v52
	;; [unrolled: 1-line block ×6, first 2 shown]
	v_min3_f32 v52, v52, v53, v119
	v_add_f32_e32 v60, v34, v50
	v_min_f32_e32 v53, v54, v55
	v_add_nc_u32_e32 v54, 0x60, v138
	v_min3_f32 v58, v59, v58, v120
	v_add_f32_e32 v59, v35, v51
	v_add_co_u32 v56, vcc_lo, v56, v78
	v_min3_f32 v61, v61, v53, v52
	v_mad_i64_i32 v[52:53], null, v54, s2, 0
	v_mad_i64_i32 v[54:55], null, v54, s1, 0
	v_add_co_ci_u32_e64 v57, null, v57, v79, vcc_lo
	v_min3_f32 v58, v60, v59, v58
	s_mov_b32 s6, -1
	v_lshlrev_b64 v[52:53], 2, v[52:53]
	global_store_dword v[56:57], v61, off
	v_lshlrev_b64 v[54:55], 2, v[54:55]
	v_max_f32_e32 v56, v58, v58
	v_add_co_u32 v52, vcc_lo, s4, v52
	v_add_co_ci_u32_e64 v53, null, s5, v53, vcc_lo
	v_add_co_u32 v54, vcc_lo, s12, v54
	v_add_co_ci_u32_e64 v55, null, s13, v55, vcc_lo
	s_mov_b32 vcc_lo, s0
	s_cbranch_vccz .LBB74_96
; %bb.95:
	v_add_co_u32 v57, vcc_lo, v52, v66
	v_min_f32_e32 v59, 0, v56
	v_add_co_ci_u32_e64 v58, null, v53, v67, vcc_lo
	s_mov_b32 s6, 0
	global_store_dword v[57:58], v59, off
.LBB74_96:
	v_mov_b32_e32 v57, 0
	s_andn2_b32 vcc_lo, exec_lo, s6
	s_cbranch_vccnz .LBB74_98
; %bb.97:
	v_add_co_u32 v57, vcc_lo, v54, v66
	v_add_co_ci_u32_e64 v58, null, v55, v67, vcc_lo
	global_load_dword v57, v[57:58], off
	s_waitcnt vmcnt(0)
	v_mul_f32_e32 v59, s3, v57
	v_add_co_u32 v57, vcc_lo, v52, v66
	v_add_co_ci_u32_e64 v58, null, v53, v67, vcc_lo
	v_min_f32_e32 v56, v59, v56
	v_add_co_u32 v59, vcc_lo, v54, v64
	v_add_co_ci_u32_e64 v60, null, v55, v65, vcc_lo
	global_store_dword v[57:58], v56, off
	global_load_dword v56, v[59:60], off
	s_waitcnt vmcnt(0)
	v_mul_f32_e32 v57, s3, v56
.LBB74_98:
	v_add_f32_e32 v56, v29, v49
	v_add_f32_e32 v58, v28, v48
	v_add_f32_e32 v59, v31, v51
	v_add_f32_e32 v60, v30, v50
	v_add_f32_e32 v61, v25, v49
	v_add_f32_e32 v62, v24, v48
	v_min3_f32 v56, v58, v56, v117
	s_mov_b32 s6, -1
	v_min_f32_e32 v58, v60, v59
	v_add_f32_e32 v60, v27, v51
	v_min3_f32 v59, v62, v61, v118
	v_add_f32_e32 v61, v26, v50
	v_min3_f32 v58, v57, v58, v56
	v_add_co_u32 v56, vcc_lo, v52, v64
	v_add_co_ci_u32_e64 v57, null, v53, v65, vcc_lo
	v_min3_f32 v59, v61, v60, v59
	s_mov_b32 vcc_lo, s0
	global_store_dword v[56:57], v58, off
	v_max_f32_e32 v56, v59, v59
	s_cbranch_vccz .LBB74_100
; %bb.99:
	v_add_co_u32 v57, vcc_lo, v52, v70
	v_min_f32_e32 v59, 0, v56
	v_add_co_ci_u32_e64 v58, null, v53, v71, vcc_lo
	s_mov_b32 s6, 0
	global_store_dword v[57:58], v59, off
.LBB74_100:
	v_mov_b32_e32 v57, 0
	s_andn2_b32 vcc_lo, exec_lo, s6
	s_cbranch_vccnz .LBB74_102
; %bb.101:
	v_add_co_u32 v57, vcc_lo, v54, v70
	v_add_co_ci_u32_e64 v58, null, v55, v71, vcc_lo
	global_load_dword v57, v[57:58], off
	s_waitcnt vmcnt(0)
	v_mul_f32_e32 v59, s3, v57
	v_add_co_u32 v57, vcc_lo, v52, v70
	v_add_co_ci_u32_e64 v58, null, v53, v71, vcc_lo
	v_min_f32_e32 v56, v59, v56
	v_add_co_u32 v59, vcc_lo, v54, v68
	v_add_co_ci_u32_e64 v60, null, v55, v69, vcc_lo
	global_store_dword v[57:58], v56, off
	global_load_dword v56, v[59:60], off
	s_waitcnt vmcnt(0)
	v_mul_f32_e32 v57, s3, v56
.LBB74_102:
	v_add_f32_e32 v56, v21, v49
	v_add_f32_e32 v58, v20, v48
	v_add_f32_e32 v59, v23, v51
	v_add_f32_e32 v60, v22, v50
	v_add_f32_e32 v61, v17, v49
	v_add_f32_e32 v62, v16, v48
	v_min3_f32 v56, v58, v56, v116
	s_mov_b32 s6, -1
	v_min_f32_e32 v58, v60, v59
	v_add_f32_e32 v60, v19, v51
	v_min3_f32 v59, v62, v61, v115
	v_add_f32_e32 v61, v18, v50
	v_min3_f32 v58, v57, v58, v56
	v_add_co_u32 v56, vcc_lo, v52, v68
	v_add_co_ci_u32_e64 v57, null, v53, v69, vcc_lo
	v_min3_f32 v59, v61, v60, v59
	s_mov_b32 vcc_lo, s0
	global_store_dword v[56:57], v58, off
	v_max_f32_e32 v56, v59, v59
	s_cbranch_vccz .LBB74_104
; %bb.103:
	v_add_co_u32 v57, vcc_lo, v52, v74
	v_min_f32_e32 v59, 0, v56
	v_add_co_ci_u32_e64 v58, null, v53, v75, vcc_lo
	s_mov_b32 s6, 0
	global_store_dword v[57:58], v59, off
.LBB74_104:
	v_mov_b32_e32 v57, 0
	s_andn2_b32 vcc_lo, exec_lo, s6
	s_cbranch_vccnz .LBB74_106
; %bb.105:
	v_add_co_u32 v57, vcc_lo, v54, v74
	v_add_co_ci_u32_e64 v58, null, v55, v75, vcc_lo
	global_load_dword v57, v[57:58], off
	s_waitcnt vmcnt(0)
	v_mul_f32_e32 v59, s3, v57
	v_add_co_u32 v57, vcc_lo, v52, v74
	v_add_co_ci_u32_e64 v58, null, v53, v75, vcc_lo
	v_min_f32_e32 v56, v59, v56
	v_add_co_u32 v59, vcc_lo, v54, v72
	v_add_co_ci_u32_e64 v60, null, v55, v73, vcc_lo
	global_store_dword v[57:58], v56, off
	global_load_dword v56, v[59:60], off
	s_waitcnt vmcnt(0)
	v_mul_f32_e32 v57, s3, v56
.LBB74_106:
	v_add_f32_e32 v56, v13, v49
	v_add_f32_e32 v58, v12, v48
	v_add_f32_e32 v59, v15, v51
	v_add_f32_e32 v60, v14, v50
	v_add_f32_e32 v61, v9, v49
	v_add_f32_e32 v62, v8, v48
	v_min3_f32 v56, v58, v56, v113
	s_mov_b32 s6, -1
	v_min_f32_e32 v58, v60, v59
	v_add_f32_e32 v60, v11, v51
	v_min3_f32 v59, v62, v61, v114
	v_add_f32_e32 v61, v10, v50
	v_min3_f32 v58, v57, v58, v56
	v_add_co_u32 v56, vcc_lo, v52, v72
	v_add_co_ci_u32_e64 v57, null, v53, v73, vcc_lo
	v_min3_f32 v59, v61, v60, v59
	s_mov_b32 vcc_lo, s0
	global_store_dword v[56:57], v58, off
	v_max_f32_e32 v56, v59, v59
	s_cbranch_vccz .LBB74_108
; %bb.107:
	v_add_co_u32 v57, vcc_lo, v52, v76
	v_min_f32_e32 v59, 0, v56
	v_add_co_ci_u32_e64 v58, null, v53, v77, vcc_lo
	s_mov_b32 s6, 0
	global_store_dword v[57:58], v59, off
.LBB74_108:
	v_mov_b32_e32 v57, 0
	s_andn2_b32 vcc_lo, exec_lo, s6
	s_cbranch_vccnz .LBB74_110
; %bb.109:
	v_add_co_u32 v57, vcc_lo, v54, v76
	v_add_co_ci_u32_e64 v58, null, v55, v77, vcc_lo
	global_load_dword v57, v[57:58], off
	s_waitcnt vmcnt(0)
	v_mul_f32_e32 v59, s3, v57
	v_add_co_u32 v57, vcc_lo, v52, v76
	v_add_co_ci_u32_e64 v58, null, v53, v77, vcc_lo
	v_add_co_u32 v54, vcc_lo, v54, v78
	v_min_f32_e32 v56, v59, v56
	v_add_co_ci_u32_e64 v55, null, v55, v79, vcc_lo
	global_store_dword v[57:58], v56, off
	global_load_dword v54, v[54:55], off
	s_waitcnt vmcnt(0)
	v_mul_f32_e32 v57, s3, v54
.LBB74_110:
	v_add_f32_e32 v49, v1, v49
	v_add_f32_e32 v48, v0, v48
	;; [unrolled: 1-line block ×6, first 2 shown]
	v_min3_f32 v48, v48, v49, v111
	v_add_f32_e32 v56, v34, v46
	v_min_f32_e32 v49, v50, v51
	v_add_nc_u32_e32 v50, 0x80, v138
	v_min3_f32 v54, v55, v54, v112
	v_add_f32_e32 v55, v35, v47
	v_add_co_u32 v52, vcc_lo, v52, v78
	v_min3_f32 v57, v57, v49, v48
	v_mad_i64_i32 v[48:49], null, v50, s2, 0
	v_mad_i64_i32 v[50:51], null, v50, s1, 0
	v_add_co_ci_u32_e64 v53, null, v53, v79, vcc_lo
	v_min3_f32 v54, v56, v55, v54
	s_mov_b32 s6, -1
	v_lshlrev_b64 v[48:49], 2, v[48:49]
	global_store_dword v[52:53], v57, off
	v_lshlrev_b64 v[50:51], 2, v[50:51]
	v_max_f32_e32 v52, v54, v54
	v_add_co_u32 v48, vcc_lo, s4, v48
	v_add_co_ci_u32_e64 v49, null, s5, v49, vcc_lo
	v_add_co_u32 v50, vcc_lo, s12, v50
	v_add_co_ci_u32_e64 v51, null, s13, v51, vcc_lo
	s_mov_b32 vcc_lo, s0
	s_cbranch_vccz .LBB74_112
; %bb.111:
	v_add_co_u32 v53, vcc_lo, v48, v66
	v_min_f32_e32 v55, 0, v52
	v_add_co_ci_u32_e64 v54, null, v49, v67, vcc_lo
	s_mov_b32 s6, 0
	global_store_dword v[53:54], v55, off
.LBB74_112:
	v_mov_b32_e32 v53, 0
	s_andn2_b32 vcc_lo, exec_lo, s6
	s_cbranch_vccnz .LBB74_114
; %bb.113:
	v_add_co_u32 v53, vcc_lo, v50, v66
	v_add_co_ci_u32_e64 v54, null, v51, v67, vcc_lo
	global_load_dword v53, v[53:54], off
	s_waitcnt vmcnt(0)
	v_mul_f32_e32 v55, s3, v53
	v_add_co_u32 v53, vcc_lo, v48, v66
	v_add_co_ci_u32_e64 v54, null, v49, v67, vcc_lo
	v_min_f32_e32 v52, v55, v52
	v_add_co_u32 v55, vcc_lo, v50, v64
	v_add_co_ci_u32_e64 v56, null, v51, v65, vcc_lo
	global_store_dword v[53:54], v52, off
	global_load_dword v52, v[55:56], off
	s_waitcnt vmcnt(0)
	v_mul_f32_e32 v53, s3, v52
.LBB74_114:
	v_add_f32_e32 v52, v29, v45
	v_add_f32_e32 v54, v28, v44
	v_add_f32_e32 v55, v31, v47
	v_add_f32_e32 v56, v30, v46
	v_add_f32_e32 v57, v25, v45
	v_add_f32_e32 v58, v24, v44
	v_min3_f32 v52, v54, v52, v109
	s_mov_b32 s6, -1
	v_min_f32_e32 v54, v56, v55
	v_add_f32_e32 v56, v27, v47
	v_min3_f32 v55, v58, v57, v110
	v_add_f32_e32 v57, v26, v46
	v_min3_f32 v54, v53, v54, v52
	v_add_co_u32 v52, vcc_lo, v48, v64
	v_add_co_ci_u32_e64 v53, null, v49, v65, vcc_lo
	v_min3_f32 v55, v57, v56, v55
	s_mov_b32 vcc_lo, s0
	global_store_dword v[52:53], v54, off
	v_max_f32_e32 v52, v55, v55
	s_cbranch_vccz .LBB74_116
; %bb.115:
	v_add_co_u32 v53, vcc_lo, v48, v70
	v_min_f32_e32 v55, 0, v52
	v_add_co_ci_u32_e64 v54, null, v49, v71, vcc_lo
	s_mov_b32 s6, 0
	global_store_dword v[53:54], v55, off
.LBB74_116:
	v_mov_b32_e32 v53, 0
	s_andn2_b32 vcc_lo, exec_lo, s6
	s_cbranch_vccnz .LBB74_118
; %bb.117:
	v_add_co_u32 v53, vcc_lo, v50, v70
	v_add_co_ci_u32_e64 v54, null, v51, v71, vcc_lo
	global_load_dword v53, v[53:54], off
	s_waitcnt vmcnt(0)
	v_mul_f32_e32 v55, s3, v53
	v_add_co_u32 v53, vcc_lo, v48, v70
	v_add_co_ci_u32_e64 v54, null, v49, v71, vcc_lo
	v_min_f32_e32 v52, v55, v52
	v_add_co_u32 v55, vcc_lo, v50, v68
	v_add_co_ci_u32_e64 v56, null, v51, v69, vcc_lo
	global_store_dword v[53:54], v52, off
	global_load_dword v52, v[55:56], off
	s_waitcnt vmcnt(0)
	v_mul_f32_e32 v53, s3, v52
.LBB74_118:
	v_add_f32_e32 v52, v21, v45
	v_add_f32_e32 v54, v20, v44
	v_add_f32_e32 v55, v23, v47
	v_add_f32_e32 v56, v22, v46
	v_add_f32_e32 v57, v17, v45
	v_add_f32_e32 v58, v16, v44
	v_min3_f32 v52, v54, v52, v107
	s_mov_b32 s6, -1
	v_min_f32_e32 v54, v56, v55
	v_add_f32_e32 v56, v19, v47
	v_min3_f32 v55, v58, v57, v108
	v_add_f32_e32 v57, v18, v46
	v_min3_f32 v54, v53, v54, v52
	v_add_co_u32 v52, vcc_lo, v48, v68
	v_add_co_ci_u32_e64 v53, null, v49, v69, vcc_lo
	v_min3_f32 v55, v57, v56, v55
	s_mov_b32 vcc_lo, s0
	global_store_dword v[52:53], v54, off
	v_max_f32_e32 v52, v55, v55
	;; [unrolled: 46-line block ×3, first 2 shown]
	s_cbranch_vccz .LBB74_124
; %bb.123:
	v_add_co_u32 v53, vcc_lo, v48, v76
	v_min_f32_e32 v55, 0, v52
	v_add_co_ci_u32_e64 v54, null, v49, v77, vcc_lo
	s_mov_b32 s6, 0
	global_store_dword v[53:54], v55, off
.LBB74_124:
	v_mov_b32_e32 v53, 0
	s_andn2_b32 vcc_lo, exec_lo, s6
	s_cbranch_vccnz .LBB74_126
; %bb.125:
	v_add_co_u32 v53, vcc_lo, v50, v76
	v_add_co_ci_u32_e64 v54, null, v51, v77, vcc_lo
	global_load_dword v53, v[53:54], off
	s_waitcnt vmcnt(0)
	v_mul_f32_e32 v55, s3, v53
	v_add_co_u32 v53, vcc_lo, v48, v76
	v_add_co_ci_u32_e64 v54, null, v49, v77, vcc_lo
	v_add_co_u32 v50, vcc_lo, v50, v78
	v_min_f32_e32 v52, v55, v52
	v_add_co_ci_u32_e64 v51, null, v51, v79, vcc_lo
	global_store_dword v[53:54], v52, off
	global_load_dword v50, v[50:51], off
	s_waitcnt vmcnt(0)
	v_mul_f32_e32 v53, s3, v50
.LBB74_126:
	v_add_f32_e32 v45, v1, v45
	v_add_f32_e32 v44, v0, v44
	;; [unrolled: 1-line block ×6, first 2 shown]
	v_min3_f32 v44, v44, v45, v103
	v_add_f32_e32 v52, v34, v42
	v_min_f32_e32 v45, v46, v47
	v_add_nc_u32_e32 v46, 0xa0, v138
	v_min3_f32 v50, v51, v50, v104
	v_add_f32_e32 v51, v35, v43
	v_add_co_u32 v48, vcc_lo, v48, v78
	v_min3_f32 v53, v53, v45, v44
	v_mad_i64_i32 v[44:45], null, v46, s2, 0
	v_mad_i64_i32 v[46:47], null, v46, s1, 0
	v_add_co_ci_u32_e64 v49, null, v49, v79, vcc_lo
	v_min3_f32 v50, v52, v51, v50
	s_mov_b32 s6, -1
	v_lshlrev_b64 v[44:45], 2, v[44:45]
	global_store_dword v[48:49], v53, off
	v_lshlrev_b64 v[46:47], 2, v[46:47]
	v_max_f32_e32 v48, v50, v50
	v_add_co_u32 v44, vcc_lo, s4, v44
	v_add_co_ci_u32_e64 v45, null, s5, v45, vcc_lo
	v_add_co_u32 v46, vcc_lo, s12, v46
	v_add_co_ci_u32_e64 v47, null, s13, v47, vcc_lo
	s_mov_b32 vcc_lo, s0
	s_cbranch_vccz .LBB74_128
; %bb.127:
	v_add_co_u32 v49, vcc_lo, v44, v66
	v_min_f32_e32 v51, 0, v48
	v_add_co_ci_u32_e64 v50, null, v45, v67, vcc_lo
	s_mov_b32 s6, 0
	global_store_dword v[49:50], v51, off
.LBB74_128:
	v_mov_b32_e32 v49, 0
	s_andn2_b32 vcc_lo, exec_lo, s6
	s_cbranch_vccnz .LBB74_130
; %bb.129:
	v_add_co_u32 v49, vcc_lo, v46, v66
	v_add_co_ci_u32_e64 v50, null, v47, v67, vcc_lo
	global_load_dword v49, v[49:50], off
	s_waitcnt vmcnt(0)
	v_mul_f32_e32 v51, s3, v49
	v_add_co_u32 v49, vcc_lo, v44, v66
	v_add_co_ci_u32_e64 v50, null, v45, v67, vcc_lo
	v_min_f32_e32 v48, v51, v48
	v_add_co_u32 v51, vcc_lo, v46, v64
	v_add_co_ci_u32_e64 v52, null, v47, v65, vcc_lo
	global_store_dword v[49:50], v48, off
	global_load_dword v48, v[51:52], off
	s_waitcnt vmcnt(0)
	v_mul_f32_e32 v49, s3, v48
.LBB74_130:
	v_add_f32_e32 v48, v29, v41
	v_add_f32_e32 v50, v28, v40
	v_add_f32_e32 v51, v31, v43
	v_add_f32_e32 v52, v30, v42
	v_add_f32_e32 v53, v25, v41
	v_add_f32_e32 v54, v24, v40
	v_min3_f32 v48, v50, v48, v101
	s_mov_b32 s6, -1
	v_min_f32_e32 v50, v52, v51
	v_add_f32_e32 v52, v27, v43
	v_min3_f32 v51, v54, v53, v102
	v_add_f32_e32 v53, v26, v42
	v_min3_f32 v50, v49, v50, v48
	v_add_co_u32 v48, vcc_lo, v44, v64
	v_add_co_ci_u32_e64 v49, null, v45, v65, vcc_lo
	v_min3_f32 v51, v53, v52, v51
	s_mov_b32 vcc_lo, s0
	global_store_dword v[48:49], v50, off
	v_max_f32_e32 v48, v51, v51
	s_cbranch_vccz .LBB74_132
; %bb.131:
	v_add_co_u32 v49, vcc_lo, v44, v70
	v_min_f32_e32 v51, 0, v48
	v_add_co_ci_u32_e64 v50, null, v45, v71, vcc_lo
	s_mov_b32 s6, 0
	global_store_dword v[49:50], v51, off
.LBB74_132:
	v_mov_b32_e32 v49, 0
	s_andn2_b32 vcc_lo, exec_lo, s6
	s_cbranch_vccnz .LBB74_134
; %bb.133:
	v_add_co_u32 v49, vcc_lo, v46, v70
	v_add_co_ci_u32_e64 v50, null, v47, v71, vcc_lo
	global_load_dword v49, v[49:50], off
	s_waitcnt vmcnt(0)
	v_mul_f32_e32 v51, s3, v49
	v_add_co_u32 v49, vcc_lo, v44, v70
	v_add_co_ci_u32_e64 v50, null, v45, v71, vcc_lo
	v_min_f32_e32 v48, v51, v48
	v_add_co_u32 v51, vcc_lo, v46, v68
	v_add_co_ci_u32_e64 v52, null, v47, v69, vcc_lo
	global_store_dword v[49:50], v48, off
	global_load_dword v48, v[51:52], off
	s_waitcnt vmcnt(0)
	v_mul_f32_e32 v49, s3, v48
.LBB74_134:
	v_add_f32_e32 v48, v21, v41
	v_add_f32_e32 v50, v20, v40
	v_add_f32_e32 v51, v23, v43
	v_add_f32_e32 v52, v22, v42
	v_add_f32_e32 v53, v17, v41
	v_add_f32_e32 v54, v16, v40
	v_min3_f32 v48, v50, v48, v99
	s_mov_b32 s6, -1
	v_min_f32_e32 v50, v52, v51
	v_add_f32_e32 v52, v19, v43
	v_min3_f32 v51, v54, v53, v100
	v_add_f32_e32 v53, v18, v42
	v_min3_f32 v50, v49, v50, v48
	v_add_co_u32 v48, vcc_lo, v44, v68
	v_add_co_ci_u32_e64 v49, null, v45, v69, vcc_lo
	v_min3_f32 v51, v53, v52, v51
	s_mov_b32 vcc_lo, s0
	global_store_dword v[48:49], v50, off
	v_max_f32_e32 v48, v51, v51
	;; [unrolled: 46-line block ×3, first 2 shown]
	s_cbranch_vccz .LBB74_140
; %bb.139:
	v_add_co_u32 v49, vcc_lo, v44, v76
	v_min_f32_e32 v51, 0, v48
	v_add_co_ci_u32_e64 v50, null, v45, v77, vcc_lo
	s_mov_b32 s6, 0
	global_store_dword v[49:50], v51, off
.LBB74_140:
	v_mov_b32_e32 v49, 0
	s_andn2_b32 vcc_lo, exec_lo, s6
	s_cbranch_vccnz .LBB74_142
; %bb.141:
	v_add_co_u32 v49, vcc_lo, v46, v76
	v_add_co_ci_u32_e64 v50, null, v47, v77, vcc_lo
	global_load_dword v49, v[49:50], off
	s_waitcnt vmcnt(0)
	v_mul_f32_e32 v51, s3, v49
	v_add_co_u32 v49, vcc_lo, v44, v76
	v_add_co_ci_u32_e64 v50, null, v45, v77, vcc_lo
	v_add_co_u32 v46, vcc_lo, v46, v78
	v_min_f32_e32 v48, v51, v48
	v_add_co_ci_u32_e64 v47, null, v47, v79, vcc_lo
	global_store_dword v[49:50], v48, off
	global_load_dword v46, v[46:47], off
	s_waitcnt vmcnt(0)
	v_mul_f32_e32 v49, s3, v46
.LBB74_142:
	v_add_f32_e32 v41, v1, v41
	v_add_f32_e32 v40, v0, v40
	v_add_f32_e32 v43, v3, v43
	v_add_f32_e32 v42, v2, v42
	v_add_f32_e32 v46, v33, v37
	v_add_f32_e32 v47, v32, v36
	v_min3_f32 v40, v40, v41, v95
	v_add_f32_e32 v48, v34, v38
	v_min_f32_e32 v41, v42, v43
	v_add_nc_u32_e32 v42, 0xc0, v138
	v_min3_f32 v46, v47, v46, v96
	v_add_f32_e32 v47, v35, v39
	v_add_co_u32 v44, vcc_lo, v44, v78
	v_min3_f32 v49, v49, v41, v40
	v_mad_i64_i32 v[40:41], null, v42, s2, 0
	v_mad_i64_i32 v[42:43], null, v42, s1, 0
	v_add_co_ci_u32_e64 v45, null, v45, v79, vcc_lo
	v_min3_f32 v46, v48, v47, v46
	s_mov_b32 s6, -1
	v_lshlrev_b64 v[40:41], 2, v[40:41]
	global_store_dword v[44:45], v49, off
	v_lshlrev_b64 v[42:43], 2, v[42:43]
	v_max_f32_e32 v44, v46, v46
	v_add_co_u32 v40, vcc_lo, s4, v40
	v_add_co_ci_u32_e64 v41, null, s5, v41, vcc_lo
	v_add_co_u32 v42, vcc_lo, s12, v42
	v_add_co_ci_u32_e64 v43, null, s13, v43, vcc_lo
	s_mov_b32 vcc_lo, s0
	s_cbranch_vccz .LBB74_144
; %bb.143:
	v_add_co_u32 v45, vcc_lo, v40, v66
	v_min_f32_e32 v47, 0, v44
	v_add_co_ci_u32_e64 v46, null, v41, v67, vcc_lo
	s_mov_b32 s6, 0
	global_store_dword v[45:46], v47, off
.LBB74_144:
	v_mov_b32_e32 v45, 0
	s_andn2_b32 vcc_lo, exec_lo, s6
	s_cbranch_vccnz .LBB74_146
; %bb.145:
	v_add_co_u32 v45, vcc_lo, v42, v66
	v_add_co_ci_u32_e64 v46, null, v43, v67, vcc_lo
	global_load_dword v45, v[45:46], off
	s_waitcnt vmcnt(0)
	v_mul_f32_e32 v47, s3, v45
	v_add_co_u32 v45, vcc_lo, v40, v66
	v_add_co_ci_u32_e64 v46, null, v41, v67, vcc_lo
	v_min_f32_e32 v44, v47, v44
	v_add_co_u32 v47, vcc_lo, v42, v64
	v_add_co_ci_u32_e64 v48, null, v43, v65, vcc_lo
	global_store_dword v[45:46], v44, off
	global_load_dword v44, v[47:48], off
	s_waitcnt vmcnt(0)
	v_mul_f32_e32 v45, s3, v44
.LBB74_146:
	v_add_f32_e32 v44, v29, v37
	v_add_f32_e32 v46, v28, v36
	v_add_f32_e32 v47, v31, v39
	v_add_f32_e32 v48, v30, v38
	v_add_f32_e32 v49, v25, v37
	v_add_f32_e32 v50, v24, v36
	v_min3_f32 v44, v46, v44, v93
	s_mov_b32 s6, -1
	v_min_f32_e32 v46, v48, v47
	v_add_f32_e32 v48, v27, v39
	v_min3_f32 v47, v50, v49, v94
	v_add_f32_e32 v49, v26, v38
	v_min3_f32 v46, v45, v46, v44
	v_add_co_u32 v44, vcc_lo, v40, v64
	v_add_co_ci_u32_e64 v45, null, v41, v65, vcc_lo
	v_min3_f32 v47, v49, v48, v47
	s_mov_b32 vcc_lo, s0
	global_store_dword v[44:45], v46, off
	v_max_f32_e32 v44, v47, v47
	s_cbranch_vccz .LBB74_148
; %bb.147:
	v_add_co_u32 v45, vcc_lo, v40, v70
	v_min_f32_e32 v47, 0, v44
	v_add_co_ci_u32_e64 v46, null, v41, v71, vcc_lo
	s_mov_b32 s6, 0
	global_store_dword v[45:46], v47, off
.LBB74_148:
	v_mov_b32_e32 v45, 0
	s_andn2_b32 vcc_lo, exec_lo, s6
	s_cbranch_vccnz .LBB74_150
; %bb.149:
	v_add_co_u32 v45, vcc_lo, v42, v70
	v_add_co_ci_u32_e64 v46, null, v43, v71, vcc_lo
	global_load_dword v45, v[45:46], off
	s_waitcnt vmcnt(0)
	v_mul_f32_e32 v47, s3, v45
	v_add_co_u32 v45, vcc_lo, v40, v70
	v_add_co_ci_u32_e64 v46, null, v41, v71, vcc_lo
	v_min_f32_e32 v44, v47, v44
	v_add_co_u32 v47, vcc_lo, v42, v68
	v_add_co_ci_u32_e64 v48, null, v43, v69, vcc_lo
	global_store_dword v[45:46], v44, off
	global_load_dword v44, v[47:48], off
	s_waitcnt vmcnt(0)
	v_mul_f32_e32 v45, s3, v44
.LBB74_150:
	v_add_f32_e32 v44, v21, v37
	v_add_f32_e32 v46, v20, v36
	v_add_f32_e32 v47, v23, v39
	v_add_f32_e32 v48, v22, v38
	v_add_f32_e32 v49, v17, v37
	v_add_f32_e32 v50, v16, v36
	v_min3_f32 v44, v46, v44, v91
	s_mov_b32 s6, -1
	v_min_f32_e32 v46, v48, v47
	v_add_f32_e32 v48, v19, v39
	v_min3_f32 v47, v50, v49, v92
	v_add_f32_e32 v49, v18, v38
	v_min3_f32 v46, v45, v46, v44
	v_add_co_u32 v44, vcc_lo, v40, v68
	v_add_co_ci_u32_e64 v45, null, v41, v69, vcc_lo
	v_min3_f32 v47, v49, v48, v47
	s_mov_b32 vcc_lo, s0
	global_store_dword v[44:45], v46, off
	v_max_f32_e32 v44, v47, v47
	;; [unrolled: 46-line block ×3, first 2 shown]
	s_cbranch_vccz .LBB74_156
; %bb.155:
	v_add_co_u32 v45, vcc_lo, v40, v76
	v_min_f32_e32 v47, 0, v44
	v_add_co_ci_u32_e64 v46, null, v41, v77, vcc_lo
	s_mov_b32 s6, 0
	global_store_dword v[45:46], v47, off
.LBB74_156:
	v_mov_b32_e32 v45, 0
	s_andn2_b32 vcc_lo, exec_lo, s6
	s_cbranch_vccnz .LBB74_158
; %bb.157:
	v_add_co_u32 v45, vcc_lo, v42, v76
	v_add_co_ci_u32_e64 v46, null, v43, v77, vcc_lo
	global_load_dword v45, v[45:46], off
	s_waitcnt vmcnt(0)
	v_mul_f32_e32 v47, s3, v45
	v_add_co_u32 v45, vcc_lo, v40, v76
	v_add_co_ci_u32_e64 v46, null, v41, v77, vcc_lo
	v_add_co_u32 v42, vcc_lo, v42, v78
	v_min_f32_e32 v44, v47, v44
	v_add_co_ci_u32_e64 v43, null, v43, v79, vcc_lo
	global_store_dword v[45:46], v44, off
	global_load_dword v42, v[42:43], off
	s_waitcnt vmcnt(0)
	v_mul_f32_e32 v45, s3, v42
.LBB74_158:
	v_add_f32_e32 v37, v1, v37
	v_add_f32_e32 v36, v0, v36
	;; [unrolled: 1-line block ×4, first 2 shown]
	s_waitcnt lgkmcnt(0)
	v_add_f32_e32 v33, v33, v5
	v_add_f32_e32 v32, v32, v4
	v_min3_f32 v36, v36, v37, v87
	v_add_f32_e32 v42, v35, v7
	v_min_f32_e32 v37, v38, v39
	v_add_nc_u32_e32 v39, 0xe0, v138
	v_min3_f32 v38, v32, v33, v88
	v_add_f32_e32 v43, v34, v6
	v_min3_f32 v44, v45, v37, v36
	v_mad_i64_i32 v[32:33], null, v39, s2, 0
	v_mad_i64_i32 v[34:35], null, v39, s1, 0
	v_add_co_u32 v36, vcc_lo, v40, v78
	v_add_co_ci_u32_e64 v37, null, v41, v79, vcc_lo
	v_lshlrev_b64 v[32:33], 2, v[32:33]
	v_min3_f32 v38, v43, v42, v38
	v_lshlrev_b64 v[34:35], 2, v[34:35]
	global_store_dword v[36:37], v44, off
	s_mov_b32 s1, -1
	v_add_co_u32 v32, vcc_lo, s4, v32
	v_add_co_ci_u32_e64 v33, null, s5, v33, vcc_lo
	v_add_co_u32 v34, vcc_lo, s12, v34
	v_add_co_ci_u32_e64 v35, null, s13, v35, vcc_lo
	v_max_f32_e32 v36, v38, v38
	s_mov_b32 vcc_lo, s0
	s_cbranch_vccz .LBB74_160
; %bb.159:
	v_add_co_u32 v37, vcc_lo, v32, v66
	v_min_f32_e32 v39, 0, v36
	v_add_co_ci_u32_e64 v38, null, v33, v67, vcc_lo
	s_mov_b32 s1, 0
	global_store_dword v[37:38], v39, off
.LBB74_160:
	v_mov_b32_e32 v37, 0
	s_andn2_b32 vcc_lo, exec_lo, s1
	s_cbranch_vccnz .LBB74_162
; %bb.161:
	v_add_co_u32 v37, vcc_lo, v34, v66
	v_add_co_ci_u32_e64 v38, null, v35, v67, vcc_lo
	global_load_dword v37, v[37:38], off
	s_waitcnt vmcnt(0)
	v_mul_f32_e32 v39, s3, v37
	v_add_co_u32 v37, vcc_lo, v32, v66
	v_add_co_ci_u32_e64 v38, null, v33, v67, vcc_lo
	v_min_f32_e32 v36, v39, v36
	v_add_co_u32 v39, vcc_lo, v34, v64
	v_add_co_ci_u32_e64 v40, null, v35, v65, vcc_lo
	global_store_dword v[37:38], v36, off
	global_load_dword v36, v[39:40], off
	s_waitcnt vmcnt(0)
	v_mul_f32_e32 v37, s3, v36
.LBB74_162:
	v_add_f32_e32 v29, v29, v5
	v_add_f32_e32 v28, v28, v4
	v_add_f32_e32 v31, v31, v7
	v_add_f32_e32 v30, v30, v6
	v_add_f32_e32 v25, v25, v5
	v_add_f32_e32 v24, v24, v4
	v_min3_f32 v28, v28, v29, v86
	v_add_f32_e32 v27, v27, v7
	v_min_f32_e32 v29, v30, v31
	v_add_f32_e32 v26, v26, v6
	v_min3_f32 v30, v24, v25, v85
	v_add_co_u32 v24, vcc_lo, v32, v64
	v_min3_f32 v28, v37, v29, v28
	v_add_co_ci_u32_e64 v25, null, v33, v65, vcc_lo
	v_min3_f32 v26, v26, v27, v30
	s_mov_b32 s1, -1
	s_mov_b32 vcc_lo, s0
	global_store_dword v[24:25], v28, off
	v_max_f32_e32 v24, v26, v26
	s_cbranch_vccz .LBB74_164
; %bb.163:
	v_add_co_u32 v25, vcc_lo, v32, v70
	v_min_f32_e32 v27, 0, v24
	v_add_co_ci_u32_e64 v26, null, v33, v71, vcc_lo
	s_mov_b32 s1, 0
	global_store_dword v[25:26], v27, off
.LBB74_164:
	v_mov_b32_e32 v25, 0
	s_andn2_b32 vcc_lo, exec_lo, s1
	s_cbranch_vccnz .LBB74_166
; %bb.165:
	v_add_co_u32 v25, vcc_lo, v34, v70
	v_add_co_ci_u32_e64 v26, null, v35, v71, vcc_lo
	global_load_dword v25, v[25:26], off
	s_waitcnt vmcnt(0)
	v_mul_f32_e32 v27, s3, v25
	v_add_co_u32 v25, vcc_lo, v32, v70
	v_add_co_ci_u32_e64 v26, null, v33, v71, vcc_lo
	v_min_f32_e32 v24, v27, v24
	v_add_co_u32 v27, vcc_lo, v34, v68
	v_add_co_ci_u32_e64 v28, null, v35, v69, vcc_lo
	global_store_dword v[25:26], v24, off
	global_load_dword v24, v[27:28], off
	s_waitcnt vmcnt(0)
	v_mul_f32_e32 v25, s3, v24
.LBB74_166:
	v_add_f32_e32 v21, v21, v5
	v_add_f32_e32 v20, v20, v4
	v_add_f32_e32 v23, v23, v7
	v_add_f32_e32 v22, v22, v6
	v_add_f32_e32 v17, v17, v5
	v_add_f32_e32 v16, v16, v4
	v_min3_f32 v20, v20, v21, v82
	v_add_f32_e32 v19, v19, v7
	v_min_f32_e32 v21, v22, v23
	v_add_f32_e32 v18, v18, v6
	v_min3_f32 v22, v16, v17, v83
	v_add_co_u32 v16, vcc_lo, v32, v68
	v_min3_f32 v20, v25, v21, v20
	v_add_co_ci_u32_e64 v17, null, v33, v69, vcc_lo
	v_min3_f32 v18, v18, v19, v22
	s_mov_b32 s1, -1
	s_mov_b32 vcc_lo, s0
	global_store_dword v[16:17], v20, off
	v_max_f32_e32 v16, v18, v18
	;; [unrolled: 46-line block ×3, first 2 shown]
	s_cbranch_vccz .LBB74_172
; %bb.171:
	v_add_co_u32 v9, vcc_lo, v32, v76
	v_min_f32_e32 v11, 0, v8
	v_add_co_ci_u32_e64 v10, null, v33, v77, vcc_lo
	s_mov_b32 s1, 0
	global_store_dword v[9:10], v11, off
.LBB74_172:
	v_mov_b32_e32 v9, 0
	s_andn2_b32 vcc_lo, exec_lo, s1
	s_cbranch_vccnz .LBB74_174
; %bb.173:
	v_add_co_u32 v9, vcc_lo, v34, v76
	v_add_co_ci_u32_e64 v10, null, v35, v77, vcc_lo
	global_load_dword v9, v[9:10], off
	s_waitcnt vmcnt(0)
	v_mul_f32_e32 v11, s3, v9
	v_add_co_u32 v9, vcc_lo, v32, v76
	v_add_co_ci_u32_e64 v10, null, v33, v77, vcc_lo
	v_min_f32_e32 v8, v11, v8
	v_add_co_u32 v11, vcc_lo, v34, v78
	v_add_co_ci_u32_e64 v12, null, v35, v79, vcc_lo
	global_store_dword v[9:10], v8, off
	global_load_dword v8, v[11:12], off
	s_waitcnt vmcnt(0)
	v_mul_f32_e32 v9, s3, v8
.LBB74_174:
	v_add_f32_e32 v3, v3, v7
	v_add_f32_e32 v2, v2, v6
	;; [unrolled: 1-line block ×4, first 2 shown]
	v_min_f32_e32 v2, v2, v3
	v_min3_f32 v0, v0, v1, v84
	v_min3_f32 v2, v9, v2, v0
	v_add_co_u32 v0, vcc_lo, v32, v78
	v_add_co_ci_u32_e64 v1, null, v33, v79, vcc_lo
	global_store_dword v[0:1], v2, off
	s_endpgm
.LBB74_175:
	s_mov_b64 s[16:17], 0
	s_andn2_b32 vcc_lo, exec_lo, s0
	s_mov_b32 s0, -1
	s_cbranch_vccz .LBB74_2
	s_branch .LBB74_3
	.section	.rodata,"a",@progbits
	.p2align	6, 0x0
	.amdhsa_kernel _ZN12_GLOBAL__N_120geam_min_plus_kernelIf15HIP_vector_typeIfLj2EEfLi8ELi32ELi64ELi256ELi4ELi4ELi64ELi64ELi4ELc84ELc84ELb0ELb0ELb1EfKffEEviiiT16_PT17_ilS6_ilS4_S6_ilPT18_ili26rocblas_geam_ex_operation_
		.amdhsa_group_segment_fixed_size 10240
		.amdhsa_private_segment_fixed_size 0
		.amdhsa_kernarg_size 128
		.amdhsa_user_sgpr_count 6
		.amdhsa_user_sgpr_private_segment_buffer 1
		.amdhsa_user_sgpr_dispatch_ptr 0
		.amdhsa_user_sgpr_queue_ptr 0
		.amdhsa_user_sgpr_kernarg_segment_ptr 1
		.amdhsa_user_sgpr_dispatch_id 0
		.amdhsa_user_sgpr_flat_scratch_init 0
		.amdhsa_user_sgpr_private_segment_size 0
		.amdhsa_wavefront_size32 1
		.amdhsa_uses_dynamic_stack 0
		.amdhsa_system_sgpr_private_segment_wavefront_offset 0
		.amdhsa_system_sgpr_workgroup_id_x 1
		.amdhsa_system_sgpr_workgroup_id_y 0
		.amdhsa_system_sgpr_workgroup_id_z 1
		.amdhsa_system_sgpr_workgroup_info 0
		.amdhsa_system_vgpr_workitem_id 1
		.amdhsa_next_free_vgpr 168
		.amdhsa_next_free_sgpr 25
		.amdhsa_reserve_vcc 1
		.amdhsa_reserve_flat_scratch 0
		.amdhsa_float_round_mode_32 0
		.amdhsa_float_round_mode_16_64 0
		.amdhsa_float_denorm_mode_32 3
		.amdhsa_float_denorm_mode_16_64 3
		.amdhsa_dx10_clamp 1
		.amdhsa_ieee_mode 1
		.amdhsa_fp16_overflow 0
		.amdhsa_workgroup_processor_mode 1
		.amdhsa_memory_ordered 1
		.amdhsa_forward_progress 1
		.amdhsa_shared_vgpr_count 0
		.amdhsa_exception_fp_ieee_invalid_op 0
		.amdhsa_exception_fp_denorm_src 0
		.amdhsa_exception_fp_ieee_div_zero 0
		.amdhsa_exception_fp_ieee_overflow 0
		.amdhsa_exception_fp_ieee_underflow 0
		.amdhsa_exception_fp_ieee_inexact 0
		.amdhsa_exception_int_div_zero 0
	.end_amdhsa_kernel
	.section	.text._ZN12_GLOBAL__N_120geam_min_plus_kernelIf15HIP_vector_typeIfLj2EEfLi8ELi32ELi64ELi256ELi4ELi4ELi64ELi64ELi4ELc84ELc84ELb0ELb0ELb1EfKffEEviiiT16_PT17_ilS6_ilS4_S6_ilPT18_ili26rocblas_geam_ex_operation_,"axG",@progbits,_ZN12_GLOBAL__N_120geam_min_plus_kernelIf15HIP_vector_typeIfLj2EEfLi8ELi32ELi64ELi256ELi4ELi4ELi64ELi64ELi4ELc84ELc84ELb0ELb0ELb1EfKffEEviiiT16_PT17_ilS6_ilS4_S6_ilPT18_ili26rocblas_geam_ex_operation_,comdat
.Lfunc_end74:
	.size	_ZN12_GLOBAL__N_120geam_min_plus_kernelIf15HIP_vector_typeIfLj2EEfLi8ELi32ELi64ELi256ELi4ELi4ELi64ELi64ELi4ELc84ELc84ELb0ELb0ELb1EfKffEEviiiT16_PT17_ilS6_ilS4_S6_ilPT18_ili26rocblas_geam_ex_operation_, .Lfunc_end74-_ZN12_GLOBAL__N_120geam_min_plus_kernelIf15HIP_vector_typeIfLj2EEfLi8ELi32ELi64ELi256ELi4ELi4ELi64ELi64ELi4ELc84ELc84ELb0ELb0ELb1EfKffEEviiiT16_PT17_ilS6_ilS4_S6_ilPT18_ili26rocblas_geam_ex_operation_
                                        ; -- End function
	.set _ZN12_GLOBAL__N_120geam_min_plus_kernelIf15HIP_vector_typeIfLj2EEfLi8ELi32ELi64ELi256ELi4ELi4ELi64ELi64ELi4ELc84ELc84ELb0ELb0ELb1EfKffEEviiiT16_PT17_ilS6_ilS4_S6_ilPT18_ili26rocblas_geam_ex_operation_.num_vgpr, 168
	.set _ZN12_GLOBAL__N_120geam_min_plus_kernelIf15HIP_vector_typeIfLj2EEfLi8ELi32ELi64ELi256ELi4ELi4ELi64ELi64ELi4ELc84ELc84ELb0ELb0ELb1EfKffEEviiiT16_PT17_ilS6_ilS4_S6_ilPT18_ili26rocblas_geam_ex_operation_.num_agpr, 0
	.set _ZN12_GLOBAL__N_120geam_min_plus_kernelIf15HIP_vector_typeIfLj2EEfLi8ELi32ELi64ELi256ELi4ELi4ELi64ELi64ELi4ELc84ELc84ELb0ELb0ELb1EfKffEEviiiT16_PT17_ilS6_ilS4_S6_ilPT18_ili26rocblas_geam_ex_operation_.numbered_sgpr, 25
	.set _ZN12_GLOBAL__N_120geam_min_plus_kernelIf15HIP_vector_typeIfLj2EEfLi8ELi32ELi64ELi256ELi4ELi4ELi64ELi64ELi4ELc84ELc84ELb0ELb0ELb1EfKffEEviiiT16_PT17_ilS6_ilS4_S6_ilPT18_ili26rocblas_geam_ex_operation_.num_named_barrier, 0
	.set _ZN12_GLOBAL__N_120geam_min_plus_kernelIf15HIP_vector_typeIfLj2EEfLi8ELi32ELi64ELi256ELi4ELi4ELi64ELi64ELi4ELc84ELc84ELb0ELb0ELb1EfKffEEviiiT16_PT17_ilS6_ilS4_S6_ilPT18_ili26rocblas_geam_ex_operation_.private_seg_size, 0
	.set _ZN12_GLOBAL__N_120geam_min_plus_kernelIf15HIP_vector_typeIfLj2EEfLi8ELi32ELi64ELi256ELi4ELi4ELi64ELi64ELi4ELc84ELc84ELb0ELb0ELb1EfKffEEviiiT16_PT17_ilS6_ilS4_S6_ilPT18_ili26rocblas_geam_ex_operation_.uses_vcc, 1
	.set _ZN12_GLOBAL__N_120geam_min_plus_kernelIf15HIP_vector_typeIfLj2EEfLi8ELi32ELi64ELi256ELi4ELi4ELi64ELi64ELi4ELc84ELc84ELb0ELb0ELb1EfKffEEviiiT16_PT17_ilS6_ilS4_S6_ilPT18_ili26rocblas_geam_ex_operation_.uses_flat_scratch, 0
	.set _ZN12_GLOBAL__N_120geam_min_plus_kernelIf15HIP_vector_typeIfLj2EEfLi8ELi32ELi64ELi256ELi4ELi4ELi64ELi64ELi4ELc84ELc84ELb0ELb0ELb1EfKffEEviiiT16_PT17_ilS6_ilS4_S6_ilPT18_ili26rocblas_geam_ex_operation_.has_dyn_sized_stack, 0
	.set _ZN12_GLOBAL__N_120geam_min_plus_kernelIf15HIP_vector_typeIfLj2EEfLi8ELi32ELi64ELi256ELi4ELi4ELi64ELi64ELi4ELc84ELc84ELb0ELb0ELb1EfKffEEviiiT16_PT17_ilS6_ilS4_S6_ilPT18_ili26rocblas_geam_ex_operation_.has_recursion, 0
	.set _ZN12_GLOBAL__N_120geam_min_plus_kernelIf15HIP_vector_typeIfLj2EEfLi8ELi32ELi64ELi256ELi4ELi4ELi64ELi64ELi4ELc84ELc84ELb0ELb0ELb1EfKffEEviiiT16_PT17_ilS6_ilS4_S6_ilPT18_ili26rocblas_geam_ex_operation_.has_indirect_call, 0
	.section	.AMDGPU.csdata,"",@progbits
; Kernel info:
; codeLenInByte = 17536
; TotalNumSgprs: 27
; NumVgprs: 168
; ScratchSize: 0
; MemoryBound: 0
; FloatMode: 240
; IeeeMode: 1
; LDSByteSize: 10240 bytes/workgroup (compile time only)
; SGPRBlocks: 0
; VGPRBlocks: 20
; NumSGPRsForWavesPerEU: 27
; NumVGPRsForWavesPerEU: 168
; Occupancy: 5
; WaveLimiterHint : 1
; COMPUTE_PGM_RSRC2:SCRATCH_EN: 0
; COMPUTE_PGM_RSRC2:USER_SGPR: 6
; COMPUTE_PGM_RSRC2:TRAP_HANDLER: 0
; COMPUTE_PGM_RSRC2:TGID_X_EN: 1
; COMPUTE_PGM_RSRC2:TGID_Y_EN: 0
; COMPUTE_PGM_RSRC2:TGID_Z_EN: 1
; COMPUTE_PGM_RSRC2:TIDIG_COMP_CNT: 1
	.section	.text._ZN12_GLOBAL__N_120geam_min_plus_kernelIf15HIP_vector_typeIfLj2EEfLi8ELi32ELi64ELi256ELi4ELi4ELi64ELi64ELi4ELc84ELc84ELb0ELb1ELb1EPKfS3_fEEviiiT16_PT17_ilS7_ilS5_S7_ilPT18_ili26rocblas_geam_ex_operation_,"axG",@progbits,_ZN12_GLOBAL__N_120geam_min_plus_kernelIf15HIP_vector_typeIfLj2EEfLi8ELi32ELi64ELi256ELi4ELi4ELi64ELi64ELi4ELc84ELc84ELb0ELb1ELb1EPKfS3_fEEviiiT16_PT17_ilS7_ilS5_S7_ilPT18_ili26rocblas_geam_ex_operation_,comdat
	.globl	_ZN12_GLOBAL__N_120geam_min_plus_kernelIf15HIP_vector_typeIfLj2EEfLi8ELi32ELi64ELi256ELi4ELi4ELi64ELi64ELi4ELc84ELc84ELb0ELb1ELb1EPKfS3_fEEviiiT16_PT17_ilS7_ilS5_S7_ilPT18_ili26rocblas_geam_ex_operation_ ; -- Begin function _ZN12_GLOBAL__N_120geam_min_plus_kernelIf15HIP_vector_typeIfLj2EEfLi8ELi32ELi64ELi256ELi4ELi4ELi64ELi64ELi4ELc84ELc84ELb0ELb1ELb1EPKfS3_fEEviiiT16_PT17_ilS7_ilS5_S7_ilPT18_ili26rocblas_geam_ex_operation_
	.p2align	8
	.type	_ZN12_GLOBAL__N_120geam_min_plus_kernelIf15HIP_vector_typeIfLj2EEfLi8ELi32ELi64ELi256ELi4ELi4ELi64ELi64ELi4ELc84ELc84ELb0ELb1ELb1EPKfS3_fEEviiiT16_PT17_ilS7_ilS5_S7_ilPT18_ili26rocblas_geam_ex_operation_,@function
_ZN12_GLOBAL__N_120geam_min_plus_kernelIf15HIP_vector_typeIfLj2EEfLi8ELi32ELi64ELi256ELi4ELi4ELi64ELi64ELi4ELc84ELc84ELb0ELb1ELb1EPKfS3_fEEviiiT16_PT17_ilS7_ilS5_S7_ilPT18_ili26rocblas_geam_ex_operation_: ; @_ZN12_GLOBAL__N_120geam_min_plus_kernelIf15HIP_vector_typeIfLj2EEfLi8ELi32ELi64ELi256ELi4ELi4ELi64ELi64ELi4ELc84ELc84ELb0ELb1ELb1EPKfS3_fEEviiiT16_PT17_ilS7_ilS5_S7_ilPT18_ili26rocblas_geam_ex_operation_
; %bb.0:
	s_clause 0x1
	s_load_dwordx4 s[12:15], s[4:5], 0x10
	s_load_dwordx4 s[0:3], s[4:5], 0x28
	s_mov_b32 s18, s7
	s_mov_b32 s19, 0
	s_mov_b64 s[20:21], 0
	s_lshl_b64 s[16:17], s[18:19], 2
	s_mov_b64 s[22:23], 0
	s_waitcnt lgkmcnt(0)
	s_add_u32 s8, s12, s16
	s_addc_u32 s9, s13, s17
	s_load_dword s25, s[8:9], 0x0
	s_clause 0x1
	s_load_dwordx4 s[8:11], s[4:5], 0x40
	s_load_dwordx2 s[12:13], s[4:5], 0x50
	s_waitcnt lgkmcnt(0)
	v_cmp_eq_f32_e64 s19, s25, 0
	v_cmp_neq_f32_e64 s7, s25, 0
	s_add_u32 s10, s10, s16
	s_addc_u32 s11, s11, s17
	s_and_b32 vcc_lo, exec_lo, s19
	s_cbranch_vccnz .LBB75_2
; %bb.1:
	s_mul_i32 s1, s1, s18
	s_mul_hi_u32 s16, s0, s18
	s_mul_i32 s0, s0, s18
	s_add_i32 s1, s16, s1
	s_lshl_b64 s[0:1], s[0:1], 2
	s_add_u32 s22, s14, s0
	s_addc_u32 s23, s15, s1
.LBB75_2:
	s_load_dword s19, s[10:11], 0x0
	s_andn2_b32 vcc_lo, exec_lo, s7
	s_cbranch_vccnz .LBB75_4
; %bb.3:
	s_mul_i32 s0, s9, s18
	s_mul_hi_u32 s1, s8, s18
	s_add_i32 s1, s1, s0
	s_mul_i32 s0, s8, s18
	s_lshl_b64 s[0:1], s[0:1], 2
	s_add_u32 s20, s2, s0
	s_addc_u32 s21, s3, s1
.LBB75_4:
	s_load_dwordx4 s[8:11], s[4:5], 0x60
	s_waitcnt lgkmcnt(0)
	v_cmp_eq_f32_e64 s0, s19, 0
	v_cmp_neq_f32_e64 s24, s19, 0
	s_and_b32 vcc_lo, exec_lo, s0
	s_cbranch_vccnz .LBB75_6
; %bb.5:
	s_mul_i32 s0, s9, s18
	s_mul_hi_u32 s1, s8, s18
	s_add_i32 s1, s1, s0
	s_mul_i32 s0, s8, s18
	s_lshl_b64 s[0:1], s[0:1], 2
	s_add_u32 s16, s12, s0
	s_addc_u32 s17, s13, s1
	s_branch .LBB75_7
.LBB75_6:
	s_mov_b64 s[16:17], 0
.LBB75_7:
	s_clause 0x1
	s_load_dwordx4 s[12:15], s[4:5], 0x0
	s_load_dword s27, s[4:5], 0x20
	v_lshl_add_u32 v4, v1, 3, v0
	v_and_b32_e32 v70, 3, v0
	s_waitcnt lgkmcnt(0)
	v_cmp_eq_f32_e64 s15, s25, 0
                                        ; implicit-def: $vgpr3
	s_add_i32 s0, s12, -1
	s_ashr_i32 s1, s0, 31
	s_lshr_b32 s1, s1, 26
	s_add_i32 s0, s0, s1
	s_ashr_i32 s0, s0, 6
	s_add_i32 s2, s0, 1
	s_not_b32 s0, s0
	v_cvt_f32_u32_e32 v2, s2
	v_rcp_iflag_f32_e32 v2, v2
	v_mul_f32_e32 v2, 0x4f7ffffe, v2
	v_cvt_u32_f32_e32 v2, v2
	v_readfirstlane_b32 s1, v2
	v_lshrrev_b32_e32 v2, 2, v4
	s_mul_i32 s0, s0, s1
	s_mul_hi_u32 s0, s1, s0
	s_add_i32 s1, s1, s0
	s_mul_hi_u32 s0, s6, s1
	s_mul_i32 s1, s0, s2
	s_add_i32 s3, s0, 1
	s_sub_i32 s1, s6, s1
	s_sub_i32 s7, s1, s2
	s_cmp_ge_u32 s1, s2
	s_cselect_b32 s0, s3, s0
	s_cselect_b32 s1, s7, s1
	s_add_i32 s3, s0, 1
	s_cmp_ge_u32 s1, s2
	s_cselect_b32 s1, s3, s0
	s_mul_i32 s0, s1, s2
	s_sub_i32 s0, s6, s0
                                        ; implicit-def: $sgpr6
	s_lshl_b32 s8, s0, 6
	v_cmp_le_i32_e64 s0, s14, v70
	v_add_nc_u32_e32 v68, s8, v2
	v_cmp_le_i32_e32 vcc_lo, s12, v68
	s_or_b32 s2, s0, vcc_lo
	s_nor_b32 s0, s15, s2
	s_and_saveexec_b32 s3, s0
	s_xor_b32 s3, exec_lo, s3
	s_cbranch_execz .LBB75_9
; %bb.8:
	v_mad_i64_i32 v[5:6], null, v68, s27, 0
	s_add_i32 s6, s14, -1
	v_min_u32_e32 v3, s6, v70
	v_lshlrev_b64 v[5:6], 2, v[5:6]
	v_lshlrev_b32_e32 v3, 2, v3
	v_add_co_u32 v5, s0, s22, v5
	v_add_co_ci_u32_e64 v6, null, s23, v6, s0
	v_add_co_u32 v5, s0, v5, v3
	v_add_co_ci_u32_e64 v6, null, 0, v6, s0
	global_load_dword v3, v[5:6], off
	s_waitcnt vmcnt(0)
	v_mul_f32_e32 v3, s25, v3
.LBB75_9:
	s_or_saveexec_b32 s0, s3
	v_mov_b32_e32 v5, s6
	s_xor_b32 exec_lo, exec_lo, s0
; %bb.10:
	s_add_i32 s3, s14, -1
	v_cndmask_b32_e64 v3, 0, 0x7f7fffff, s2
	v_mov_b32_e32 v5, s3
; %bb.11:
	s_or_b32 exec_lo, exec_lo, s0
	s_load_dword s26, s[4:5], 0x38
	v_lshrrev_b32_e32 v71, 6, v4
	v_and_b32_e32 v4, 63, v4
	s_lshl_b32 s9, s1, 8
	v_min_i32_e32 v5, v71, v5
	v_or_b32_e32 v66, s9, v4
	v_cmp_le_i32_e64 s6, s14, v71
	v_cmp_le_i32_e64 s0, s13, v66
	v_ashrrev_i32_e32 v67, 31, v66
	s_or_b32 s2, s0, s6
	s_waitcnt lgkmcnt(0)
	v_mad_i64_i32 v[5:6], null, v5, s26, 0
	v_lshlrev_b64 v[6:7], 2, v[5:6]
	v_cndmask_b32_e64 v5, 0, 0x7f7fffff, s2
	v_add_co_u32 v9, s1, s20, v6
	v_add_co_ci_u32_e64 v10, null, s21, v7, s1
	s_nor_b32 s1, s15, s2
	s_and_saveexec_b32 s2, s1
	s_cbranch_execz .LBB75_13
; %bb.12:
	v_lshlrev_b64 v[5:6], 2, v[66:67]
	v_add_co_u32 v5, s1, v9, v5
	v_add_co_ci_u32_e64 v6, null, v10, v6, s1
	global_load_dword v5, v[5:6], off
	s_waitcnt vmcnt(0)
	v_mul_f32_e32 v5, s25, v5
.LBB75_13:
	s_or_b32 exec_lo, exec_lo, s2
	v_or_b32_e32 v6, 64, v66
	v_cmp_le_i32_e64 s1, s13, v6
	s_or_b32 s2, s1, s6
	v_cndmask_b32_e64 v6, 0, 0x7f7fffff, s2
	s_nor_b32 s2, s15, s2
	s_and_saveexec_b32 s3, s2
	s_cbranch_execz .LBB75_15
; %bb.14:
	v_lshlrev_b64 v[6:7], 2, v[66:67]
	v_add_co_u32 v6, s2, v9, v6
	v_add_co_ci_u32_e64 v7, null, v10, v7, s2
	global_load_dword v6, v[6:7], off offset:256
	s_waitcnt vmcnt(0)
	v_mul_f32_e32 v6, s25, v6
.LBB75_15:
	s_or_b32 exec_lo, exec_lo, s3
	v_or_b32_e32 v7, 0x80, v66
	v_cmp_le_i32_e64 s2, s13, v7
	s_or_b32 s3, s2, s6
	v_cndmask_b32_e64 v7, 0, 0x7f7fffff, s3
	s_nor_b32 s3, s15, s3
	s_and_saveexec_b32 s7, s3
	s_cbranch_execz .LBB75_17
; %bb.16:
	v_lshlrev_b64 v[7:8], 2, v[66:67]
	v_add_co_u32 v7, s3, v9, v7
	v_add_co_ci_u32_e64 v8, null, v10, v8, s3
	global_load_dword v7, v[7:8], off offset:512
	s_waitcnt vmcnt(0)
	v_mul_f32_e32 v7, s25, v7
.LBB75_17:
	;; [unrolled: 16-line block ×3, first 2 shown]
	s_or_b32 exec_lo, exec_lo, s7
	v_or_b32_e32 v9, 4, v70
                                        ; implicit-def: $vgpr69
                                        ; implicit-def: $sgpr29
	v_cmp_le_i32_e64 s6, s14, v9
	s_or_b32 s7, s6, vcc_lo
	s_nor_b32 s6, s15, s7
	s_and_saveexec_b32 s28, s6
	s_xor_b32 s28, exec_lo, s28
	s_cbranch_execz .LBB75_21
; %bb.20:
	v_mad_i64_i32 v[10:11], null, v68, s27, 0
	s_add_i32 s29, s14, -1
	v_min_u32_e32 v12, s29, v9
	v_lshlrev_b64 v[9:10], 2, v[10:11]
	v_lshlrev_b32_e32 v11, 2, v12
	v_add_co_u32 v9, s6, s22, v9
	v_add_co_ci_u32_e64 v10, null, s23, v10, s6
	v_add_co_u32 v9, s6, v9, v11
	v_add_co_ci_u32_e64 v10, null, 0, v10, s6
	global_load_dword v9, v[9:10], off
	s_waitcnt vmcnt(0)
	v_mul_f32_e32 v69, s25, v9
.LBB75_21:
	s_or_saveexec_b32 s6, s28
	v_mov_b32_e32 v9, s29
	s_xor_b32 exec_lo, exec_lo, s6
; %bb.22:
	s_add_i32 s28, s14, -1
	v_cndmask_b32_e64 v69, 0, 0x7f7fffff, s7
	v_mov_b32_e32 v9, s28
; %bb.23:
	s_or_b32 exec_lo, exec_lo, s6
	v_add_nc_u32_e32 v11, 4, v71
	v_min_i32_e32 v9, v11, v9
	v_cmp_le_i32_e64 s6, s14, v11
	v_mad_i64_i32 v[9:10], null, v9, s26, 0
	v_lshlrev_b64 v[9:10], 2, v[9:10]
	v_add_co_u32 v9, s7, s20, v9
	v_add_co_ci_u32_e64 v10, null, s21, v10, s7
	s_or_b32 s7, s0, s6
	v_cndmask_b32_e64 v123, 0, 0x7f7fffff, s7
	s_nor_b32 s7, s15, s7
	s_and_saveexec_b32 s28, s7
	s_cbranch_execz .LBB75_25
; %bb.24:
	v_lshlrev_b64 v[11:12], 2, v[66:67]
	v_add_co_u32 v11, s7, v9, v11
	v_add_co_ci_u32_e64 v12, null, v10, v12, s7
	global_load_dword v11, v[11:12], off
	s_waitcnt vmcnt(0)
	v_mul_f32_e32 v123, s25, v11
.LBB75_25:
	s_or_b32 exec_lo, exec_lo, s28
	s_or_b32 s7, s1, s6
	v_cndmask_b32_e64 v132, 0, 0x7f7fffff, s7
	s_nor_b32 s7, s15, s7
	s_and_saveexec_b32 s28, s7
	s_cbranch_execz .LBB75_27
; %bb.26:
	v_lshlrev_b64 v[11:12], 2, v[66:67]
	v_add_co_u32 v11, s7, v9, v11
	v_add_co_ci_u32_e64 v12, null, v10, v12, s7
	global_load_dword v11, v[11:12], off offset:256
	s_waitcnt vmcnt(0)
	v_mul_f32_e32 v132, s25, v11
.LBB75_27:
	s_or_b32 exec_lo, exec_lo, s28
	s_or_b32 s7, s2, s6
	v_cndmask_b32_e64 v143, 0, 0x7f7fffff, s7
	s_nor_b32 s7, s15, s7
	s_and_saveexec_b32 s28, s7
	s_cbranch_execz .LBB75_29
; %bb.28:
	v_lshlrev_b64 v[11:12], 2, v[66:67]
	v_add_co_u32 v11, s7, v9, v11
	v_add_co_ci_u32_e64 v12, null, v10, v12, s7
	global_load_dword v11, v[11:12], off offset:512
	s_waitcnt vmcnt(0)
	v_mul_f32_e32 v143, s25, v11
.LBB75_29:
	;; [unrolled: 14-line block ×3, first 2 shown]
	s_or_b32 exec_lo, exec_lo, s7
	v_lshlrev_b32_e32 v141, 2, v70
	v_lshlrev_b32_e32 v73, 4, v0
	;; [unrolled: 1-line block ×3, first 2 shown]
	s_cmp_lt_i32 s14, 9
	v_lshl_or_b32 v142, v2, 4, v141
	v_lshlrev_b32_e32 v2, 4, v4
	ds_write_b32 v142, v3 offset:8192
	v_lshl_add_u32 v74, v71, 2, v2
	ds_write2st64_b32 v74, v5, v6 offset1:4
	ds_write2st64_b32 v74, v7, v8 offset0:8 offset1:12
	s_waitcnt lgkmcnt(0)
	s_barrier
	buffer_gl0_inv
	ds_read_b128 v[34:37], v73 offset:8192
	ds_read_b128 v[30:33], v73 offset:8320
	;; [unrolled: 1-line block ×8, first 2 shown]
	ds_read_b128 v[62:65], v72
	ds_read_b128 v[58:61], v72 offset:512
	ds_read_b128 v[54:57], v72 offset:1024
	;; [unrolled: 1-line block ×7, first 2 shown]
	ds_write_b32 v142, v69 offset:9216
	ds_write2st64_b32 v74, v123, v132 offset0:16 offset1:20
	ds_write2st64_b32 v74, v143, v144 offset0:24 offset1:28
	s_waitcnt lgkmcnt(0)
	s_barrier
	buffer_gl0_inv
	v_add_f32_e32 v75, v35, v63
	v_add_f32_e32 v76, v34, v62
	;; [unrolled: 1-line block ×6, first 2 shown]
	v_min3_f32 v75, v76, v75, 0x7f7fffff
	v_add_f32_e32 v76, v31, v63
	v_add_f32_e32 v81, v10, v62
	v_min3_f32 v76, v77, v76, 0x7f7fffff
	v_add_f32_e32 v77, v27, v63
	v_min3_f32 v77, v78, v77, 0x7f7fffff
	v_add_f32_e32 v78, v19, v63
	v_min3_f32 v78, v79, v78, 0x7f7fffff
	v_add_f32_e32 v79, v15, v63
	v_min3_f32 v80, v80, v79, 0x7f7fffff
	v_add_f32_e32 v79, v11, v63
	v_min3_f32 v117, v81, v79, 0x7f7fffff
	v_add_f32_e32 v79, v7, v63
	v_add_f32_e32 v81, v6, v62
	;; [unrolled: 1-line block ×4, first 2 shown]
	v_min3_f32 v118, v81, v79, 0x7f7fffff
	v_add_f32_e32 v79, v6, v38
	v_min3_f32 v119, v62, v63, 0x7f7fffff
	v_add_f32_e32 v62, v35, v59
	v_add_f32_e32 v63, v34, v58
	v_min3_f32 v116, v63, v62, 0x7f7fffff
	v_add_f32_e32 v62, v31, v59
	;; [unrolled: 3-line block ×7, first 2 shown]
	v_add_f32_e32 v63, v6, v58
	v_add_f32_e32 v59, v3, v59
	v_add_f32_e32 v58, v2, v58
	v_min3_f32 v110, v63, v62, 0x7f7fffff
	v_min3_f32 v109, v58, v59, 0x7f7fffff
	v_add_f32_e32 v58, v35, v55
	v_add_f32_e32 v59, v34, v54
	v_min3_f32 v108, v59, v58, 0x7f7fffff
	v_add_f32_e32 v58, v31, v55
	v_add_f32_e32 v59, v30, v54
	v_min3_f32 v107, v59, v58, 0x7f7fffff
	v_add_f32_e32 v58, v27, v55
	v_add_f32_e32 v59, v26, v54
	v_min3_f32 v106, v59, v58, 0x7f7fffff
	v_add_f32_e32 v58, v19, v55
	v_add_f32_e32 v59, v18, v54
	v_min3_f32 v105, v59, v58, 0x7f7fffff
	v_add_f32_e32 v58, v15, v55
	v_add_f32_e32 v59, v14, v54
	v_min3_f32 v104, v59, v58, 0x7f7fffff
	v_add_f32_e32 v58, v11, v55
	v_add_f32_e32 v59, v10, v54
	v_min3_f32 v103, v59, v58, 0x7f7fffff
	v_add_f32_e32 v58, v7, v55
	v_add_f32_e32 v59, v6, v54
	v_add_f32_e32 v55, v3, v55
	v_add_f32_e32 v54, v2, v54
	v_min3_f32 v102, v59, v58, 0x7f7fffff
	v_min3_f32 v101, v54, v55, 0x7f7fffff
	v_add_f32_e32 v54, v35, v51
	v_add_f32_e32 v55, v34, v50
	v_min3_f32 v100, v55, v54, 0x7f7fffff
	v_add_f32_e32 v54, v31, v51
	v_add_f32_e32 v55, v30, v50
	v_min3_f32 v99, v55, v54, 0x7f7fffff
	v_add_f32_e32 v54, v27, v51
	v_add_f32_e32 v55, v26, v50
	v_min3_f32 v98, v55, v54, 0x7f7fffff
	v_add_f32_e32 v54, v19, v51
	v_add_f32_e32 v55, v18, v50
	v_min3_f32 v97, v55, v54, 0x7f7fffff
	v_add_f32_e32 v54, v15, v51
	v_add_f32_e32 v55, v14, v50
	v_min3_f32 v96, v55, v54, 0x7f7fffff
	v_add_f32_e32 v54, v11, v51
	v_add_f32_e32 v55, v10, v50
	v_min3_f32 v95, v55, v54, 0x7f7fffff
	v_add_f32_e32 v54, v7, v51
	;; [unrolled: 24-line block ×4, first 2 shown]
	v_add_f32_e32 v47, v6, v42
	v_add_f32_e32 v43, v3, v43
	;; [unrolled: 1-line block ×4, first 2 shown]
	v_min3_f32 v58, v47, v46, 0x7f7fffff
	v_min3_f32 v55, v42, v43, 0x7f7fffff
	v_add_f32_e32 v42, v35, v39
	v_add_f32_e32 v43, v34, v38
	;; [unrolled: 1-line block ×4, first 2 shown]
	v_min3_f32 v54, v43, v42, 0x7f7fffff
	v_add_f32_e32 v42, v31, v39
	v_add_f32_e32 v43, v30, v38
	v_min3_f32 v34, v34, v35, 0x7f7fffff
	v_add_f32_e32 v31, v31, v23
	v_add_f32_e32 v30, v30, v22
	v_min3_f32 v51, v43, v42, 0x7f7fffff
	v_add_f32_e32 v42, v27, v39
	v_add_f32_e32 v43, v26, v38
	v_min3_f32 v30, v30, v31, 0x7f7fffff
	v_add_f32_e32 v27, v27, v23
	v_add_f32_e32 v26, v26, v22
	v_min3_f32 v50, v43, v42, 0x7f7fffff
	v_add_f32_e32 v42, v19, v39
	v_add_f32_e32 v43, v18, v38
	v_min3_f32 v26, v26, v27, 0x7f7fffff
	v_add_f32_e32 v19, v19, v23
	v_add_f32_e32 v18, v18, v22
	v_min3_f32 v47, v43, v42, 0x7f7fffff
	v_add_f32_e32 v42, v15, v39
	v_add_f32_e32 v43, v14, v38
	v_min3_f32 v18, v18, v19, 0x7f7fffff
	v_add_f32_e32 v15, v15, v23
	v_add_f32_e32 v14, v14, v22
	v_min3_f32 v46, v43, v42, 0x7f7fffff
	v_add_f32_e32 v42, v11, v39
	v_add_f32_e32 v43, v10, v38
	v_add_f32_e32 v38, v2, v38
	v_add_f32_e32 v2, v2, v22
	v_min3_f32 v14, v14, v15, 0x7f7fffff
	v_add_f32_e32 v11, v11, v23
	v_min3_f32 v43, v43, v42, 0x7f7fffff
	v_add_f32_e32 v42, v7, v39
	v_add_f32_e32 v39, v3, v39
	v_add_f32_e32 v7, v7, v23
	v_add_f32_e32 v3, v3, v23
	v_add_f32_e32 v10, v10, v22
	v_min3_f32 v42, v79, v42, 0x7f7fffff
	v_min3_f32 v38, v38, v39, 0x7f7fffff
	;; [unrolled: 1-line block ×4, first 2 shown]
	v_add_f32_e32 v3, v37, v65
	v_add_f32_e32 v7, v36, v64
	v_min3_f32 v10, v10, v11, 0x7f7fffff
	v_min3_f32 v81, v7, v3, v75
	v_add_f32_e32 v3, v33, v65
	v_add_f32_e32 v7, v32, v64
	v_min3_f32 v79, v7, v3, v76
	v_add_f32_e32 v3, v29, v65
	v_add_f32_e32 v7, v28, v64
	;; [unrolled: 3-line block ×55, first 2 shown]
	v_add_f32_e32 v4, v4, v24
	v_min3_f32 v89, v7, v3, v38
	v_add_f32_e32 v3, v37, v25
	v_add_f32_e32 v7, v36, v24
	v_min3_f32 v88, v7, v3, v34
	v_add_f32_e32 v3, v33, v25
	;; [unrolled: 3-line block ×8, first 2 shown]
	v_min3_f32 v92, v4, v3, v2
	s_cbranch_scc1 .LBB75_58
; %bb.32:
	v_mad_i64_i32 v[2:3], null, s27, v68, 0
	v_lshlrev_b64 v[66:67], 2, v[66:67]
	v_add_nc_u32_e32 v123, 0x2000, v142
	v_or_b32_e32 v132, 0x2000, v73
	v_add_nc_u32_e32 v142, 0x2400, v142
	v_add_nc_u32_e32 v143, 0x1000, v74
	v_lshl_add_u32 v144, v0, 4, 0x2400
	v_lshlrev_b64 v[2:3], 2, v[2:3]
	s_mov_b32 s27, 0
	v_add_co_u32 v2, s6, v2, v141
	v_add_co_ci_u32_e64 v3, null, 0, v3, s6
	v_lshl_or_b32 v141, v1, 4, 0x1000
	v_add_co_u32 v2, s6, s22, v2
	v_add_co_ci_u32_e64 v3, null, s23, v3, s6
	s_add_i32 s22, s14, -8
	v_add_co_u32 v68, s6, v2, 32
	v_add_co_ci_u32_e64 v69, null, 0, v3, s6
	s_add_i32 s23, s14, -1
	s_branch .LBB75_34
.LBB75_33:                              ;   in Loop: Header=BB75_34 Depth=1
	s_or_b32 exec_lo, exec_lo, s7
	v_add_f32_e32 v150, v35, v63
	v_add_f32_e32 v151, v34, v62
	;; [unrolled: 1-line block ×6, first 2 shown]
	v_min3_f32 v81, v151, v150, v81
	v_add_f32_e32 v150, v23, v63
	v_min3_f32 v79, v153, v152, v79
	v_add_f32_e32 v151, v22, v62
	;; [unrolled: 2-line block ×3, first 2 shown]
	v_add_f32_e32 v153, v18, v62
	v_add_f32_e32 v154, v15, v63
	;; [unrolled: 1-line block ×7, first 2 shown]
	v_min3_f32 v75, v151, v150, v75
	v_min3_f32 v76, v153, v152, v76
	v_add_f32_e32 v150, v31, v59
	v_add_f32_e32 v151, v30, v58
	v_min3_f32 v62, v62, v63, v140
	v_add_f32_e32 v63, v35, v59
	v_add_f32_e32 v140, v34, v58
	;; [unrolled: 1-line block ×4, first 2 shown]
	v_min3_f32 v78, v155, v154, v78
	v_min3_f32 v80, v157, v156, v80
	v_add_f32_e32 v154, v23, v59
	v_add_f32_e32 v155, v22, v58
	;; [unrolled: 1-line block ×4, first 2 shown]
	v_min3_f32 v63, v140, v63, v139
	v_min3_f32 v138, v151, v150, v138
	;; [unrolled: 1-line block ×3, first 2 shown]
	v_add_f32_e32 v139, v15, v59
	v_add_f32_e32 v140, v14, v58
	;; [unrolled: 1-line block ×8, first 2 shown]
	v_min3_f32 v136, v155, v154, v136
	v_add_f32_e32 v154, v31, v55
	v_add_f32_e32 v155, v30, v54
	v_min3_f32 v134, v140, v139, v134
	v_min3_f32 v133, v151, v150, v133
	;; [unrolled: 1-line block ×4, first 2 shown]
	v_add_f32_e32 v130, v27, v55
	v_add_f32_e32 v131, v26, v54
	;; [unrolled: 1-line block ×6, first 2 shown]
	v_min3_f32 v129, v155, v154, v129
	v_add_f32_e32 v152, v15, v55
	v_add_f32_e32 v153, v14, v54
	;; [unrolled: 1-line block ×4, first 2 shown]
	v_min3_f32 v128, v131, v130, v128
	v_min3_f32 v127, v140, v139, v127
	;; [unrolled: 1-line block ×3, first 2 shown]
	v_add_f32_e32 v55, v3, v55
	v_add_f32_e32 v54, v2, v54
	;; [unrolled: 1-line block ×8, first 2 shown]
	v_min3_f32 v125, v153, v152, v125
	v_add_f32_e32 v152, v23, v51
	v_add_f32_e32 v153, v22, v50
	v_min3_f32 v54, v54, v55, v121
	v_min3_f32 v55, v131, v130, v122
	;; [unrolled: 1-line block ×4, first 2 shown]
	v_add_f32_e32 v121, v19, v51
	v_add_f32_e32 v122, v18, v50
	;; [unrolled: 1-line block ×10, first 2 shown]
	v_min3_f32 v117, v122, v121, v117
	v_min3_f32 v116, v131, v130, v116
	;; [unrolled: 1-line block ×3, first 2 shown]
	v_add_f32_e32 v114, v30, v46
	v_min3_f32 v51, v151, v150, v113
	v_add_f32_e32 v113, v31, v47
	v_add_f32_e32 v121, v27, v47
	;; [unrolled: 1-line block ×5, first 2 shown]
	v_min3_f32 v115, v140, v139, v115
	v_add_f32_e32 v139, v19, v47
	v_add_f32_e32 v140, v18, v46
	;; [unrolled: 1-line block ×4, first 2 shown]
	v_min3_f32 v112, v114, v113, v112
	v_min3_f32 v111, v122, v121, v111
	;; [unrolled: 1-line block ×3, first 2 shown]
	v_add_f32_e32 v113, v11, v47
	v_add_f32_e32 v114, v10, v46
	;; [unrolled: 1-line block ×8, first 2 shown]
	v_min3_f32 v109, v140, v139, v109
	v_add_f32_e32 v139, v27, v43
	v_add_f32_e32 v140, v26, v42
	v_min3_f32 v107, v114, v113, v107
	v_min3_f32 v46, v46, v47, v106
	;; [unrolled: 1-line block ×4, first 2 shown]
	v_add_f32_e32 v105, v23, v43
	v_add_f32_e32 v106, v22, v42
	;; [unrolled: 1-line block ×10, first 2 shown]
	v_min3_f32 v102, v106, v105, v102
	v_add_f32_e32 v105, v31, v39
	v_add_f32_e32 v106, v30, v38
	v_min3_f32 v101, v114, v113, v101
	v_min3_f32 v42, v42, v43, v98
	v_add_f32_e32 v43, v35, v39
	v_add_f32_e32 v98, v34, v38
	v_min3_f32 v100, v122, v121, v100
	v_min3_f32 v99, v131, v130, v99
	v_add_f32_e32 v113, v27, v39
	v_add_f32_e32 v114, v26, v38
	;; [unrolled: 1-line block ×6, first 2 shown]
	v_min3_f32 v43, v98, v43, v97
	v_min3_f32 v96, v106, v105, v96
	v_add_f32_e32 v97, v15, v39
	v_add_f32_e32 v98, v14, v38
	;; [unrolled: 1-line block ×20, first 2 shown]
	v_min3_f32 v30, v30, v31, v87
	v_min3_f32 v26, v26, v27, v86
	v_min3_f32 v22, v22, v23, v85
	v_min3_f32 v23, v18, v19, v84
	v_min3_f32 v27, v14, v15, v83
	v_min3_f32 v31, v10, v11, v82
	v_add_f32_e32 v3, v3, v7
	v_add_f32_e32 v2, v2, v6
	v_add_f32_e32 v6, v37, v65
	v_add_f32_e32 v7, v36, v64
	v_add_f32_e32 v10, v33, v65
	v_add_f32_e32 v11, v32, v64
	v_add_f32_e32 v14, v29, v65
	v_add_f32_e32 v15, v28, v64
	v_add_f32_e32 v18, v25, v65
	v_add_f32_e32 v19, v24, v64
	v_min3_f32 v34, v34, v35, v88
	v_min3_f32 v35, v2, v3, v92
	v_min3_f32 v81, v7, v6, v81
	v_min3_f32 v79, v11, v10, v79
	v_min3_f32 v77, v15, v14, v77
	v_min3_f32 v75, v19, v18, v75
	v_add_f32_e32 v2, v21, v65
	v_add_f32_e32 v3, v20, v64
	v_add_f32_e32 v6, v17, v65
	v_add_f32_e32 v7, v16, v64
	v_add_f32_e32 v10, v13, v65
	v_add_f32_e32 v11, v12, v64
	v_add_f32_e32 v14, v5, v65
	v_add_f32_e32 v15, v4, v64
	v_add_f32_e32 v18, v37, v61
	v_add_f32_e32 v19, v36, v60
	;; [unrolled: 16-line block ×3, first 2 shown]
	v_min3_f32 v84, v3, v2, v138
	v_min3_f32 v85, v7, v6, v137
	v_min3_f32 v86, v11, v10, v136
	v_min3_f32 v87, v15, v14, v135
	v_min3_f32 v88, v19, v18, v134
	v_add_f32_e32 v2, v13, v61
	v_add_f32_e32 v3, v12, v60
	;; [unrolled: 1-line block ×10, first 2 shown]
	v_min3_f32 v124, v155, v154, v124
	v_min3_f32 v91, v98, v97, v91
	;; [unrolled: 1-line block ×9, first 2 shown]
	v_add_f32_e32 v2, v25, v57
	v_add_f32_e32 v3, v24, v56
	;; [unrolled: 1-line block ×10, first 2 shown]
	v_min3_f32 v118, v153, v152, v118
	v_min3_f32 v95, v114, v113, v95
	;; [unrolled: 1-line block ×8, first 2 shown]
	v_add_f32_e32 v2, v37, v53
	v_add_f32_e32 v3, v36, v52
	;; [unrolled: 1-line block ×10, first 2 shown]
	v_min3_f32 v124, v3, v2, v55
	v_min3_f32 v120, v7, v6, v120
	v_min3_f32 v119, v11, v10, v119
	v_min3_f32 v118, v15, v14, v118
	v_min3_f32 v117, v19, v18, v117
	v_add_f32_e32 v2, v17, v53
	v_add_f32_e32 v3, v16, v52
	v_add_f32_e32 v6, v13, v53
	v_add_f32_e32 v7, v12, v52
	v_add_f32_e32 v10, v5, v53
	v_add_f32_e32 v11, v4, v52
	v_add_f32_e32 v14, v37, v49
	v_add_f32_e32 v15, v36, v48
	v_add_f32_e32 v18, v33, v49
	v_add_f32_e32 v19, v32, v48
	v_min3_f32 v108, v151, v150, v108
	v_min3_f32 v116, v3, v2, v116
	v_min3_f32 v115, v7, v6, v115
	v_min3_f32 v125, v11, v10, v50
	v_min3_f32 v126, v15, v14, v51
	v_min3_f32 v112, v19, v18, v112
	v_add_f32_e32 v2, v29, v49
	v_add_f32_e32 v3, v28, v48
	v_add_f32_e32 v6, v25, v49
	v_add_f32_e32 v7, v24, v48
	v_add_f32_e32 v10, v21, v49
	v_add_f32_e32 v11, v20, v48
	v_add_f32_e32 v14, v17, v49
	v_add_f32_e32 v15, v16, v48
	v_add_f32_e32 v18, v13, v49
	v_add_f32_e32 v19, v12, v48
	v_min3_f32 v103, v140, v139, v103
	;; [unrolled: 16-line block ×3, first 2 shown]
	v_min3_f32 v128, v7, v6, v47
	v_min3_f32 v104, v11, v10, v104
	;; [unrolled: 1-line block ×4, first 2 shown]
	v_add_f32_e32 v2, v21, v45
	v_add_f32_e32 v3, v20, v44
	;; [unrolled: 1-line block ×10, first 2 shown]
	v_min3_f32 v93, v131, v130, v93
	v_min3_f32 v101, v3, v2, v101
	;; [unrolled: 1-line block ×6, first 2 shown]
	v_add_f32_e32 v2, v33, v41
	v_add_f32_e32 v3, v32, v40
	;; [unrolled: 1-line block ×10, first 2 shown]
	v_min3_f32 v96, v3, v2, v96
	v_min3_f32 v95, v7, v6, v95
	;; [unrolled: 1-line block ×5, first 2 shown]
	v_add_f32_e32 v2, v13, v41
	v_add_f32_e32 v3, v12, v40
	;; [unrolled: 1-line block ×10, first 2 shown]
	v_min3_f32 v90, v3, v2, v90
	v_min3_f32 v131, v7, v6, v38
	;; [unrolled: 1-line block ×5, first 2 shown]
	v_add_f32_e32 v6, v25, v9
	v_add_f32_e32 v7, v24, v8
	;; [unrolled: 1-line block ×8, first 2 shown]
	ds_read_b128 v[10:13], v132
	ds_read_b128 v[14:17], v72
	v_add_f32_e32 v9, v5, v9
	ds_read_b128 v[18:21], v132 offset:128
	v_add_f32_e32 v8, v4, v8
	ds_read_b128 v[2:5], v132 offset:256
	v_min3_f32 v136, v7, v6, v22
	v_min3_f32 v137, v25, v24, v23
	;; [unrolled: 1-line block ×5, first 2 shown]
	ds_read_b128 v[6:9], v132 offset:384
	ds_read_b128 v[22:25], v132 offset:512
	;; [unrolled: 1-line block ×12, first 2 shown]
	v_add_co_u32 v68, s6, v68, 32
	v_add_co_ci_u32_e64 v69, null, 0, v69, s6
	s_add_i32 s27, s27, 8
	ds_write_b32 v142, v145
	ds_write2st64_b32 v143, v146, v147 offset1:4
	ds_write2st64_b32 v143, v148, v149 offset0:8 offset1:12
	s_cmp_ge_i32 s27, s22
	s_waitcnt lgkmcnt(0)
	v_add_f32_e32 v150, v11, v15
	v_add_f32_e32 v151, v10, v14
	;; [unrolled: 1-line block ×6, first 2 shown]
	v_min3_f32 v81, v151, v150, v81
	v_add_f32_e32 v150, v7, v15
	v_min3_f32 v79, v153, v152, v79
	v_add_f32_e32 v151, v6, v14
	;; [unrolled: 2-line block ×3, first 2 shown]
	v_add_f32_e32 v153, v22, v14
	v_add_f32_e32 v154, v27, v15
	v_add_f32_e32 v155, v26, v14
	v_add_f32_e32 v156, v31, v15
	v_add_f32_e32 v157, v30, v14
	v_add_f32_e32 v15, v35, v15
	v_add_f32_e32 v14, v34, v14
	v_min3_f32 v75, v151, v150, v75
	v_min3_f32 v76, v153, v152, v76
	v_min3_f32 v78, v155, v154, v78
	v_min3_f32 v80, v157, v156, v80
	v_min3_f32 v14, v14, v15, v82
	v_add_f32_e32 v15, v11, v39
	v_add_f32_e32 v82, v10, v38
	v_add_f32_e32 v150, v19, v39
	v_add_f32_e32 v151, v18, v38
	v_add_f32_e32 v152, v3, v39
	v_add_f32_e32 v153, v2, v38
	v_add_f32_e32 v154, v7, v39
	v_add_f32_e32 v155, v6, v38
	v_add_f32_e32 v156, v23, v39
	v_add_f32_e32 v157, v22, v38
	v_min3_f32 v15, v82, v15, v83
	v_min3_f32 v82, v151, v150, v84
	v_min3_f32 v83, v153, v152, v85
	v_min3_f32 v84, v155, v154, v86
	v_min3_f32 v85, v157, v156, v87
	v_add_f32_e32 v86, v27, v39
	v_add_f32_e32 v87, v26, v38
	v_add_f32_e32 v150, v31, v39
	;; [unrolled: 15-line block ×6, first 2 shown]
	v_add_f32_e32 v121, v2, v50
	v_add_f32_e32 v122, v7, v51
	;; [unrolled: 1-line block ×7, first 2 shown]
	v_min3_f32 v112, v119, v118, v112
	v_min3_f32 v111, v121, v120, v111
	;; [unrolled: 1-line block ×4, first 2 shown]
	v_add_f32_e32 v118, v31, v51
	v_add_f32_e32 v119, v30, v50
	;; [unrolled: 1-line block ×10, first 2 shown]
	v_min3_f32 v107, v119, v118, v107
	v_min3_f32 v50, v50, v51, v127
	;; [unrolled: 1-line block ×5, first 2 shown]
	v_add_f32_e32 v118, v7, v55
	v_add_f32_e32 v119, v6, v54
	;; [unrolled: 1-line block ×10, first 2 shown]
	v_min3_f32 v102, v119, v118, v102
	v_min3_f32 v101, v121, v120, v101
	;; [unrolled: 1-line block ×3, first 2 shown]
	v_add_f32_e32 v118, v10, v58
	v_min3_f32 v54, v54, v55, v129
	v_add_f32_e32 v55, v11, v59
	v_add_f32_e32 v119, v19, v59
	;; [unrolled: 1-line block ×9, first 2 shown]
	v_min3_f32 v99, v126, v125, v99
	v_add_f32_e32 v124, v7, v59
	v_add_f32_e32 v125, v6, v58
	;; [unrolled: 1-line block ×4, first 2 shown]
	v_min3_f32 v55, v118, v55, v130
	v_min3_f32 v96, v120, v119, v96
	;; [unrolled: 1-line block ×3, first 2 shown]
	v_add_f32_e32 v118, v27, v59
	v_add_f32_e32 v119, v26, v58
	;; [unrolled: 1-line block ×6, first 2 shown]
	v_min3_f32 v10, v10, v11, v133
	v_min3_f32 v11, v18, v19, v134
	v_add_f32_e32 v3, v3, v63
	v_add_f32_e32 v2, v2, v62
	;; [unrolled: 1-line block ×10, first 2 shown]
	v_min3_f32 v58, v58, v59, v131
	v_min3_f32 v2, v2, v3, v135
	;; [unrolled: 1-line block ×6, first 2 shown]
	v_add_f32_e32 v19, v35, v63
	v_add_f32_e32 v22, v34, v62
	;; [unrolled: 1-line block ×10, first 2 shown]
	v_min3_f32 v19, v22, v19, v140
	v_min3_f32 v81, v26, v23, v81
	;; [unrolled: 1-line block ×5, first 2 shown]
	v_add_f32_e32 v22, v25, v17
	v_add_f32_e32 v23, v24, v16
	v_add_f32_e32 v26, v29, v17
	v_add_f32_e32 v27, v28, v16
	v_add_f32_e32 v30, v33, v17
	v_add_f32_e32 v31, v32, v16
	v_add_f32_e32 v17, v37, v17
	v_add_f32_e32 v16, v36, v16
	v_add_f32_e32 v34, v13, v41
	v_add_f32_e32 v35, v12, v40
	v_min3_f32 v76, v23, v22, v76
	v_min3_f32 v78, v27, v26, v78
	;; [unrolled: 1-line block ×3, first 2 shown]
	v_add_f32_e32 v14, v21, v41
	v_min3_f32 v139, v35, v34, v15
	v_add_f32_e32 v15, v20, v40
	v_add_f32_e32 v16, v5, v41
	;; [unrolled: 1-line block ×3, first 2 shown]
	v_min3_f32 v80, v31, v30, v80
	v_add_f32_e32 v22, v9, v41
	v_min3_f32 v138, v15, v14, v82
	v_add_f32_e32 v14, v33, v41
	v_add_f32_e32 v15, v32, v40
	;; [unrolled: 1-line block ×7, first 2 shown]
	v_min3_f32 v137, v17, v16, v83
	v_add_f32_e32 v16, v37, v41
	v_add_f32_e32 v17, v36, v40
	v_min3_f32 v133, v15, v14, v87
	v_add_f32_e32 v14, v9, v45
	v_add_f32_e32 v15, v8, v44
	v_min3_f32 v93, v127, v126, v93
	v_min3_f32 v136, v23, v22, v84
	v_min3_f32 v135, v27, v26, v85
	v_min3_f32 v134, v31, v30, v86
	v_add_f32_e32 v22, v13, v45
	v_add_f32_e32 v23, v12, v44
	;; [unrolled: 1-line block ×6, first 2 shown]
	v_min3_f32 v131, v17, v16, v38
	v_add_f32_e32 v16, v25, v45
	v_add_f32_e32 v17, v24, v44
	v_min3_f32 v127, v15, v14, v92
	v_add_f32_e32 v14, v13, v49
	v_add_f32_e32 v15, v12, v48
	v_min3_f32 v130, v23, v22, v39
	v_min3_f32 v129, v27, v26, v88
	;; [unrolled: 1-line block ×3, first 2 shown]
	v_add_f32_e32 v22, v29, v45
	v_add_f32_e32 v23, v28, v44
	;; [unrolled: 1-line block ×6, first 2 shown]
	v_min3_f32 v126, v17, v16, v97
	v_add_f32_e32 v16, v21, v49
	v_add_f32_e32 v17, v20, v48
	v_min3_f32 v122, v15, v14, v43
	v_add_f32_e32 v14, v29, v49
	v_add_f32_e32 v15, v28, v48
	v_min3_f32 v94, v125, v124, v94
	v_min3_f32 v90, v121, v120, v90
	;; [unrolled: 1-line block ×5, first 2 shown]
	v_add_f32_e32 v22, v5, v49
	v_add_f32_e32 v23, v4, v48
	;; [unrolled: 1-line block ×6, first 2 shown]
	v_min3_f32 v120, v17, v16, v106
	v_add_f32_e32 v16, v33, v49
	v_add_f32_e32 v17, v32, v48
	v_min3_f32 v116, v15, v14, v116
	v_add_f32_e32 v14, v5, v53
	v_add_f32_e32 v15, v4, v52
	v_min3_f32 v91, v119, v118, v91
	v_min3_f32 v119, v23, v22, v113
	;; [unrolled: 1-line block ×4, first 2 shown]
	v_add_f32_e32 v22, v37, v49
	v_add_f32_e32 v23, v36, v48
	;; [unrolled: 1-line block ×6, first 2 shown]
	v_min3_f32 v115, v17, v16, v115
	v_add_f32_e32 v16, v9, v53
	v_add_f32_e32 v17, v8, v52
	v_min3_f32 v111, v15, v14, v111
	v_add_f32_e32 v14, v37, v53
	v_add_f32_e32 v15, v36, v52
	v_min3_f32 v108, v151, v150, v108
	v_min3_f32 v114, v23, v22, v46
	;; [unrolled: 1-line block ×4, first 2 shown]
	v_add_f32_e32 v22, v25, v53
	v_add_f32_e32 v23, v24, v52
	;; [unrolled: 1-line block ×6, first 2 shown]
	v_min3_f32 v110, v17, v16, v110
	v_add_f32_e32 v16, v13, v57
	v_add_f32_e32 v17, v12, v56
	v_min3_f32 v106, v15, v14, v50
	v_add_f32_e32 v14, v25, v57
	v_add_f32_e32 v15, v24, v56
	v_min3_f32 v109, v23, v22, v109
	v_min3_f32 v108, v27, v26, v108
	;; [unrolled: 1-line block ×3, first 2 shown]
	v_add_f32_e32 v22, v21, v57
	v_add_f32_e32 v23, v20, v56
	;; [unrolled: 1-line block ×6, first 2 shown]
	v_min3_f32 v105, v17, v16, v51
	v_add_f32_e32 v16, v29, v57
	v_add_f32_e32 v17, v28, v56
	v_min3_f32 v101, v15, v14, v101
	v_add_f32_e32 v14, v21, v61
	v_add_f32_e32 v15, v20, v60
	v_min3_f32 v104, v23, v22, v104
	v_min3_f32 v103, v27, v26, v103
	;; [unrolled: 1-line block ×3, first 2 shown]
	v_add_f32_e32 v22, v33, v57
	v_add_f32_e32 v23, v32, v56
	;; [unrolled: 1-line block ×6, first 2 shown]
	v_min3_f32 v100, v17, v16, v100
	v_add_f32_e32 v16, v5, v61
	v_add_f32_e32 v17, v4, v60
	v_min3_f32 v96, v15, v14, v96
	v_add_f32_e32 v14, v33, v61
	v_add_f32_e32 v15, v32, v60
	;; [unrolled: 1-line block ×8, first 2 shown]
	v_min3_f32 v99, v23, v22, v99
	v_min3_f32 v98, v27, v26, v54
	;; [unrolled: 1-line block ×3, first 2 shown]
	v_add_f32_e32 v22, v9, v61
	v_add_f32_e32 v23, v8, v60
	v_add_f32_e32 v26, v25, v61
	v_add_f32_e32 v27, v24, v60
	v_add_f32_e32 v30, v29, v61
	v_add_f32_e32 v31, v28, v60
	v_min3_f32 v95, v17, v16, v95
	v_add_f32_e32 v16, v37, v61
	v_add_f32_e32 v17, v36, v60
	v_min3_f32 v90, v15, v14, v90
	v_min3_f32 v88, v12, v13, v10
	v_min3_f32 v87, v20, v21, v11
	v_min3_f32 v86, v4, v5, v2
	v_add_f32_e32 v2, v9, v65
	v_add_f32_e32 v4, v8, v64
	;; [unrolled: 1-line block ×10, first 2 shown]
	v_min3_f32 v94, v23, v22, v94
	v_min3_f32 v93, v27, v26, v93
	;; [unrolled: 1-line block ×9, first 2 shown]
	s_barrier
	buffer_gl0_inv
	s_cbranch_scc1 .LBB75_58
.LBB75_34:                              ; =>This Inner Loop Header: Depth=1
	v_add_nc_u32_e32 v145, s27, v70
                                        ; implicit-def: $vgpr147
	v_add_nc_u32_e32 v2, 8, v145
	v_cmp_le_i32_e64 s6, s14, v2
	s_or_b32 s6, s6, vcc_lo
	s_nor_b32 s7, s15, s6
	s_and_saveexec_b32 s28, s7
	s_xor_b32 s7, exec_lo, s28
	s_cbranch_execz .LBB75_36
; %bb.35:                               ;   in Loop: Header=BB75_34 Depth=1
	global_load_dword v2, v[68:69], off
	s_waitcnt vmcnt(0)
	v_mul_f32_e32 v147, s25, v2
.LBB75_36:                              ;   in Loop: Header=BB75_34 Depth=1
	s_andn2_saveexec_b32 s7, s7
; %bb.37:                               ;   in Loop: Header=BB75_34 Depth=1
	v_cndmask_b32_e64 v147, 0, 0x7f7fffff, s6
; %bb.38:                               ;   in Loop: Header=BB75_34 Depth=1
	s_or_b32 exec_lo, exec_lo, s7
	v_add_nc_u32_e32 v146, s27, v71
	v_add_nc_u32_e32 v4, 8, v146
	v_min_i32_e32 v2, s23, v4
	v_cmp_le_i32_e64 s6, s14, v4
	v_mad_i64_i32 v[2:3], null, v2, s26, 0
	v_lshlrev_b64 v[2:3], 2, v[2:3]
	v_add_co_u32 v2, s7, s20, v2
	v_add_co_ci_u32_e64 v3, null, s21, v3, s7
	s_or_b32 s7, s0, s6
	v_cndmask_b32_e64 v148, 0, 0x7f7fffff, s7
	s_nor_b32 s7, s15, s7
	s_and_saveexec_b32 s28, s7
	s_cbranch_execz .LBB75_40
; %bb.39:                               ;   in Loop: Header=BB75_34 Depth=1
	v_add_co_u32 v4, s7, v2, v66
	v_add_co_ci_u32_e64 v5, null, v3, v67, s7
	global_load_dword v4, v[4:5], off
	s_waitcnt vmcnt(0)
	v_mul_f32_e32 v148, s25, v4
.LBB75_40:                              ;   in Loop: Header=BB75_34 Depth=1
	s_or_b32 exec_lo, exec_lo, s28
	s_or_b32 s7, s1, s6
	v_cndmask_b32_e64 v149, 0, 0x7f7fffff, s7
	s_nor_b32 s7, s15, s7
	s_and_saveexec_b32 s28, s7
	s_cbranch_execz .LBB75_42
; %bb.41:                               ;   in Loop: Header=BB75_34 Depth=1
	v_add_co_u32 v4, s7, v2, v66
	v_add_co_ci_u32_e64 v5, null, v3, v67, s7
	global_load_dword v4, v[4:5], off offset:256
	s_waitcnt vmcnt(0)
	v_mul_f32_e32 v149, s25, v4
.LBB75_42:                              ;   in Loop: Header=BB75_34 Depth=1
	s_or_b32 exec_lo, exec_lo, s28
	s_or_b32 s7, s2, s6
	v_cndmask_b32_e64 v150, 0, 0x7f7fffff, s7
	s_nor_b32 s7, s15, s7
	s_and_saveexec_b32 s28, s7
	s_cbranch_execz .LBB75_44
; %bb.43:                               ;   in Loop: Header=BB75_34 Depth=1
	v_add_co_u32 v4, s7, v2, v66
	v_add_co_ci_u32_e64 v5, null, v3, v67, s7
	global_load_dword v4, v[4:5], off offset:512
	s_waitcnt vmcnt(0)
	v_mul_f32_e32 v150, s25, v4
.LBB75_44:                              ;   in Loop: Header=BB75_34 Depth=1
	;; [unrolled: 13-line block ×3, first 2 shown]
	s_or_b32 exec_lo, exec_lo, s7
	ds_read_b128 v[34:37], v144
	ds_read_b128 v[30:33], v144 offset:128
	ds_read_b128 v[26:29], v144 offset:256
	;; [unrolled: 1-line block ×7, first 2 shown]
	ds_read_b128 v[62:65], v141
	ds_read_b128 v[58:61], v141 offset:512
	ds_read_b128 v[54:57], v141 offset:1024
	;; [unrolled: 1-line block ×7, first 2 shown]
	v_add_nc_u32_e32 v145, 12, v145
	ds_write_b32 v123, v147
	ds_write2st64_b32 v74, v148, v149 offset1:4
	ds_write2st64_b32 v74, v150, v151 offset0:8 offset1:12
	s_waitcnt lgkmcnt(0)
	s_barrier
	buffer_gl0_inv
	v_cmp_le_i32_e64 s6, s14, v145
                                        ; implicit-def: $vgpr145
	s_or_b32 s6, s6, vcc_lo
	s_nor_b32 s7, s15, s6
	s_and_saveexec_b32 s28, s7
	s_xor_b32 s7, exec_lo, s28
	s_cbranch_execz .LBB75_48
; %bb.47:                               ;   in Loop: Header=BB75_34 Depth=1
	global_load_dword v145, v[68:69], off offset:16
	s_waitcnt vmcnt(0)
	v_mul_f32_e32 v145, s25, v145
.LBB75_48:                              ;   in Loop: Header=BB75_34 Depth=1
	s_andn2_saveexec_b32 s7, s7
; %bb.49:                               ;   in Loop: Header=BB75_34 Depth=1
	v_cndmask_b32_e64 v145, 0, 0x7f7fffff, s6
; %bb.50:                               ;   in Loop: Header=BB75_34 Depth=1
	s_or_b32 exec_lo, exec_lo, s7
	v_add_nc_u32_e32 v148, 12, v146
	v_min_i32_e32 v146, s23, v148
	v_cmp_le_i32_e64 s6, s14, v148
	v_mad_i64_i32 v[146:147], null, v146, s26, 0
	v_lshlrev_b64 v[146:147], 2, v[146:147]
	v_add_co_u32 v150, s7, s20, v146
	v_add_co_ci_u32_e64 v151, null, s21, v147, s7
	s_or_b32 s7, s0, s6
	v_cndmask_b32_e64 v146, 0, 0x7f7fffff, s7
	s_nor_b32 s7, s15, s7
	s_and_saveexec_b32 s28, s7
	s_cbranch_execz .LBB75_52
; %bb.51:                               ;   in Loop: Header=BB75_34 Depth=1
	v_add_co_u32 v146, s7, v150, v66
	v_add_co_ci_u32_e64 v147, null, v151, v67, s7
	global_load_dword v146, v[146:147], off
	s_waitcnt vmcnt(0)
	v_mul_f32_e32 v146, s25, v146
.LBB75_52:                              ;   in Loop: Header=BB75_34 Depth=1
	s_or_b32 exec_lo, exec_lo, s28
	s_or_b32 s7, s1, s6
	v_cndmask_b32_e64 v147, 0, 0x7f7fffff, s7
	s_nor_b32 s7, s15, s7
	s_and_saveexec_b32 s28, s7
	s_cbranch_execz .LBB75_54
; %bb.53:                               ;   in Loop: Header=BB75_34 Depth=1
	v_add_co_u32 v147, s7, v150, v66
	v_add_co_ci_u32_e64 v148, null, v151, v67, s7
	global_load_dword v147, v[147:148], off offset:256
	s_waitcnt vmcnt(0)
	v_mul_f32_e32 v147, s25, v147
.LBB75_54:                              ;   in Loop: Header=BB75_34 Depth=1
	s_or_b32 exec_lo, exec_lo, s28
	s_or_b32 s7, s2, s6
	v_cndmask_b32_e64 v148, 0, 0x7f7fffff, s7
	s_nor_b32 s7, s15, s7
	s_and_saveexec_b32 s28, s7
	s_cbranch_execz .LBB75_56
; %bb.55:                               ;   in Loop: Header=BB75_34 Depth=1
	v_add_co_u32 v148, s7, v150, v66
	v_add_co_ci_u32_e64 v149, null, v151, v67, s7
	global_load_dword v148, v[148:149], off offset:512
	s_waitcnt vmcnt(0)
	v_mul_f32_e32 v148, s25, v148
.LBB75_56:                              ;   in Loop: Header=BB75_34 Depth=1
	s_or_b32 exec_lo, exec_lo, s28
	s_or_b32 s6, s3, s6
	v_cndmask_b32_e64 v149, 0, 0x7f7fffff, s6
	s_nor_b32 s6, s15, s6
	s_and_saveexec_b32 s7, s6
	s_cbranch_execz .LBB75_33
; %bb.57:                               ;   in Loop: Header=BB75_34 Depth=1
	v_add_co_u32 v149, s6, v150, v66
	v_add_co_ci_u32_e64 v150, null, v151, v67, s6
	global_load_dword v149, v[149:150], off offset:768
	s_waitcnt vmcnt(0)
	v_mul_f32_e32 v149, s25, v149
	s_branch .LBB75_33
.LBB75_58:
	s_clause 0x2
	s_load_dwordx2 s[0:1], s[4:5], 0x78
	s_load_dword s15, s[4:5], 0x58
	s_load_dword s14, s[4:5], 0x70
	ds_read_b128 v[34:37], v73 offset:9216
	ds_read_b128 v[30:33], v73 offset:9344
	;; [unrolled: 1-line block ×12, first 2 shown]
	v_add_nc_u32_e32 v132, s9, v1
	ds_read_b128 v[46:49], v72 offset:6144
	ds_read_b128 v[42:45], v72 offset:6656
	;; [unrolled: 1-line block ×4, first 2 shown]
	v_add_nc_u32_e32 v0, s8, v0
	v_cndmask_b32_e64 v123, 0, 1, s24
	v_cmp_gt_i32_e64 s8, s13, v132
	v_ashrrev_i32_e32 v1, 31, v0
	s_waitcnt lgkmcnt(0)
	s_mul_i32 s1, s1, s18
	v_mad_i64_i32 v[66:67], null, v132, s15, 0
	v_mad_i64_i32 v[68:69], null, v132, s14, 0
	s_mul_hi_u32 s2, s0, s18
	s_mul_i32 s0, s0, s18
	s_add_i32 s1, s2, s1
	s_lshl_b64 s[0:1], s[0:1], 2
	v_lshlrev_b64 v[66:67], 2, v[66:67]
	v_lshlrev_b64 v[68:69], 2, v[68:69]
	s_add_u32 s9, s10, s0
	s_addc_u32 s10, s11, s1
	v_cmp_gt_i32_e64 s0, s12, v0
	v_add_co_u32 v143, vcc_lo, s16, v66
	v_add_co_ci_u32_e64 v144, null, s17, v67, vcc_lo
	v_add_co_u32 v141, vcc_lo, s9, v68
	v_add_co_ci_u32_e64 v142, null, s10, v69, vcc_lo
	s_and_b32 s2, s0, s8
	s_and_saveexec_b32 s1, s2
	s_cbranch_execz .LBB75_63
; %bb.59:
	v_lshlrev_b64 v[66:67], 2, v[0:1]
	s_andn2_b32 vcc_lo, exec_lo, s24
	s_cbranch_vccnz .LBB75_61
; %bb.60:
	v_add_co_u32 v68, vcc_lo, v143, v66
	v_add_co_ci_u32_e64 v69, null, v144, v67, vcc_lo
	global_load_dword v68, v[68:69], off
	s_waitcnt vmcnt(0)
	v_mul_f32_e32 v68, s19, v68
	s_branch .LBB75_62
.LBB75_61:
	v_mov_b32_e32 v68, 0
.LBB75_62:
	v_add_f32_e32 v69, v35, v63
	v_add_f32_e32 v70, v34, v62
	;; [unrolled: 1-line block ×4, first 2 shown]
	v_add_co_u32 v66, vcc_lo, v141, v66
	v_min3_f32 v69, v70, v69, v81
	v_add_co_ci_u32_e64 v67, null, v142, v67, vcc_lo
	v_min_f32_e32 v70, v72, v71
	v_min3_f32 v68, v68, v70, v69
	global_store_dword v[66:67], v68, off
.LBB75_63:
	s_or_b32 exec_lo, exec_lo, s1
	v_add_nc_u32_e32 v66, 8, v0
	v_cmp_gt_i32_e64 s1, s12, v66
	v_ashrrev_i32_e32 v67, 31, v66
	s_and_b32 s3, s1, s8
	s_and_saveexec_b32 s2, s3
	s_cbranch_execz .LBB75_68
; %bb.64:
	v_cmp_ne_u32_e32 vcc_lo, 1, v123
	v_lshlrev_b64 v[68:69], 2, v[66:67]
	s_cbranch_vccnz .LBB75_66
; %bb.65:
	v_add_co_u32 v70, vcc_lo, v143, v68
	v_add_co_ci_u32_e64 v71, null, v144, v69, vcc_lo
	global_load_dword v70, v[70:71], off
	s_waitcnt vmcnt(0)
	v_mul_f32_e32 v70, s19, v70
	s_branch .LBB75_67
.LBB75_66:
	v_mov_b32_e32 v70, 0
.LBB75_67:
	v_add_f32_e32 v71, v31, v63
	v_add_f32_e32 v72, v30, v62
	v_add_f32_e32 v73, v33, v65
	v_add_f32_e32 v74, v32, v64
	v_add_co_u32 v68, vcc_lo, v141, v68
	v_min3_f32 v71, v72, v71, v79
	v_add_co_ci_u32_e64 v69, null, v142, v69, vcc_lo
	v_min_f32_e32 v72, v74, v73
	v_min3_f32 v70, v70, v72, v71
	global_store_dword v[68:69], v70, off
.LBB75_68:
	s_or_b32 exec_lo, exec_lo, s2
	v_add_nc_u32_e32 v68, 16, v0
	v_cmp_gt_i32_e64 s2, s12, v68
	v_ashrrev_i32_e32 v69, 31, v68
	s_and_b32 s4, s2, s8
	s_and_saveexec_b32 s3, s4
	s_cbranch_execz .LBB75_73
; %bb.69:
	v_cmp_ne_u32_e32 vcc_lo, 1, v123
	v_lshlrev_b64 v[70:71], 2, v[68:69]
	s_cbranch_vccnz .LBB75_71
; %bb.70:
	v_add_co_u32 v72, vcc_lo, v143, v70
	v_add_co_ci_u32_e64 v73, null, v144, v71, vcc_lo
	global_load_dword v72, v[72:73], off
	s_waitcnt vmcnt(0)
	v_mul_f32_e32 v72, s19, v72
	s_branch .LBB75_72
.LBB75_71:
	v_mov_b32_e32 v72, 0
.LBB75_72:
	v_add_f32_e32 v73, v27, v63
	v_add_f32_e32 v74, v26, v62
	v_add_f32_e32 v79, v29, v65
	v_add_f32_e32 v81, v28, v64
	v_add_co_u32 v70, vcc_lo, v141, v70
	v_min3_f32 v73, v74, v73, v77
	v_add_co_ci_u32_e64 v71, null, v142, v71, vcc_lo
	v_min_f32_e32 v74, v81, v79
	v_min3_f32 v72, v72, v74, v73
	global_store_dword v[70:71], v72, off
.LBB75_73:
	;; [unrolled: 32-line block ×6, first 2 shown]
	s_or_b32 exec_lo, exec_lo, s7
	v_add_nc_u32_e32 v78, 56, v0
	v_cmp_gt_i32_e64 s7, s12, v78
	v_ashrrev_i32_e32 v79, 31, v78
	s_and_b32 s11, s7, s8
	s_and_saveexec_b32 s8, s11
	s_cbranch_execz .LBB75_98
; %bb.94:
	v_cmp_ne_u32_e32 vcc_lo, 1, v123
	v_lshlrev_b64 v[80:81], 2, v[78:79]
	s_cbranch_vccnz .LBB75_96
; %bb.95:
	v_add_co_u32 v143, vcc_lo, v143, v80
	v_add_co_ci_u32_e64 v144, null, v144, v81, vcc_lo
	global_load_dword v143, v[143:144], off
	s_waitcnt vmcnt(0)
	v_mul_f32_e32 v143, s19, v143
	s_branch .LBB75_97
.LBB75_96:
	v_mov_b32_e32 v143, 0
.LBB75_97:
	v_add_f32_e32 v63, v3, v63
	v_add_f32_e32 v62, v2, v62
	;; [unrolled: 1-line block ×4, first 2 shown]
	v_min3_f32 v62, v62, v63, v140
	v_min_f32_e32 v63, v64, v65
	v_min3_f32 v64, v143, v63, v62
	v_add_co_u32 v62, vcc_lo, v141, v80
	v_add_co_ci_u32_e64 v63, null, v142, v81, vcc_lo
	global_store_dword v[62:63], v64, off
.LBB75_98:
	s_or_b32 exec_lo, exec_lo, s8
	v_add_nc_u32_e32 v80, 32, v132
	v_mad_i64_i32 v[62:63], null, v80, s15, 0
	v_mad_i64_i32 v[64:65], null, v80, s14, 0
	v_cmp_gt_i32_e64 s8, s13, v80
	v_lshlrev_b64 v[62:63], 2, v[62:63]
	s_and_b32 s12, s0, s8
	v_lshlrev_b64 v[64:65], 2, v[64:65]
	v_add_co_u32 v80, vcc_lo, s16, v62
	v_add_co_ci_u32_e64 v81, null, s17, v63, vcc_lo
	v_add_co_u32 v64, vcc_lo, s9, v64
	v_add_co_ci_u32_e64 v65, null, s10, v65, vcc_lo
	s_and_saveexec_b32 s11, s12
	s_cbranch_execnz .LBB75_106
; %bb.99:
	s_or_b32 exec_lo, exec_lo, s11
	s_and_b32 s12, s1, s8
	s_and_saveexec_b32 s11, s12
	s_cbranch_execnz .LBB75_110
.LBB75_100:
	s_or_b32 exec_lo, exec_lo, s11
	s_and_b32 s12, s2, s8
	s_and_saveexec_b32 s11, s12
	s_cbranch_execnz .LBB75_114
.LBB75_101:
	s_or_b32 exec_lo, exec_lo, s11
	s_and_b32 s12, s3, s8
	s_and_saveexec_b32 s11, s12
	s_cbranch_execnz .LBB75_118
.LBB75_102:
	s_or_b32 exec_lo, exec_lo, s11
	s_and_b32 s12, s4, s8
	s_and_saveexec_b32 s11, s12
	s_cbranch_execnz .LBB75_122
.LBB75_103:
	s_or_b32 exec_lo, exec_lo, s11
	s_and_b32 s12, s5, s8
	s_and_saveexec_b32 s11, s12
	s_cbranch_execnz .LBB75_126
.LBB75_104:
	s_or_b32 exec_lo, exec_lo, s11
	s_and_b32 s12, s6, s8
	s_and_saveexec_b32 s11, s12
	s_cbranch_execnz .LBB75_130
.LBB75_105:
	s_or_b32 exec_lo, exec_lo, s11
	s_and_b32 s11, s7, s8
	s_and_saveexec_b32 s8, s11
	s_cbranch_execnz .LBB75_134
	s_branch .LBB75_138
.LBB75_106:
	v_cmp_ne_u32_e32 vcc_lo, 1, v123
	v_lshlrev_b64 v[62:63], 2, v[0:1]
	s_cbranch_vccnz .LBB75_108
; %bb.107:
	v_add_co_u32 v140, vcc_lo, v80, v62
	v_add_co_ci_u32_e64 v141, null, v81, v63, vcc_lo
	global_load_dword v140, v[140:141], off
	s_waitcnt vmcnt(0)
	v_mul_f32_e32 v140, s19, v140
	s_branch .LBB75_109
.LBB75_108:
	v_mov_b32_e32 v140, 0
.LBB75_109:
	v_add_f32_e32 v141, v35, v59
	v_add_f32_e32 v142, v34, v58
	;; [unrolled: 1-line block ×4, first 2 shown]
	v_add_co_u32 v62, vcc_lo, v64, v62
	v_min3_f32 v139, v142, v141, v139
	v_add_co_ci_u32_e64 v63, null, v65, v63, vcc_lo
	v_min_f32_e32 v141, v144, v143
	v_min3_f32 v139, v140, v141, v139
	global_store_dword v[62:63], v139, off
	s_or_b32 exec_lo, exec_lo, s11
	s_and_b32 s12, s1, s8
	s_and_saveexec_b32 s11, s12
	s_cbranch_execz .LBB75_100
.LBB75_110:
	v_cmp_ne_u32_e32 vcc_lo, 1, v123
	v_lshlrev_b64 v[62:63], 2, v[66:67]
	s_cbranch_vccnz .LBB75_112
; %bb.111:
	v_add_co_u32 v139, vcc_lo, v80, v62
	v_add_co_ci_u32_e64 v140, null, v81, v63, vcc_lo
	global_load_dword v139, v[139:140], off
	s_waitcnt vmcnt(0)
	v_mul_f32_e32 v139, s19, v139
	s_branch .LBB75_113
.LBB75_112:
	v_mov_b32_e32 v139, 0
.LBB75_113:
	v_add_f32_e32 v140, v31, v59
	v_add_f32_e32 v141, v30, v58
	;; [unrolled: 1-line block ×4, first 2 shown]
	v_add_co_u32 v62, vcc_lo, v64, v62
	v_min3_f32 v138, v141, v140, v138
	v_add_co_ci_u32_e64 v63, null, v65, v63, vcc_lo
	v_min_f32_e32 v140, v143, v142
	v_min3_f32 v138, v139, v140, v138
	global_store_dword v[62:63], v138, off
	s_or_b32 exec_lo, exec_lo, s11
	s_and_b32 s12, s2, s8
	s_and_saveexec_b32 s11, s12
	s_cbranch_execz .LBB75_101
.LBB75_114:
	v_cmp_ne_u32_e32 vcc_lo, 1, v123
	v_lshlrev_b64 v[62:63], 2, v[68:69]
	s_cbranch_vccnz .LBB75_116
; %bb.115:
	v_add_co_u32 v138, vcc_lo, v80, v62
	v_add_co_ci_u32_e64 v139, null, v81, v63, vcc_lo
	global_load_dword v138, v[138:139], off
	s_waitcnt vmcnt(0)
	v_mul_f32_e32 v138, s19, v138
	s_branch .LBB75_117
.LBB75_116:
	v_mov_b32_e32 v138, 0
.LBB75_117:
	v_add_f32_e32 v139, v27, v59
	v_add_f32_e32 v140, v26, v58
	v_add_f32_e32 v141, v29, v61
	v_add_f32_e32 v142, v28, v60
	v_add_co_u32 v62, vcc_lo, v64, v62
	v_min3_f32 v137, v140, v139, v137
	v_add_co_ci_u32_e64 v63, null, v65, v63, vcc_lo
	v_min_f32_e32 v139, v142, v141
	v_min3_f32 v137, v138, v139, v137
	global_store_dword v[62:63], v137, off
	s_or_b32 exec_lo, exec_lo, s11
	s_and_b32 s12, s3, s8
	s_and_saveexec_b32 s11, s12
	s_cbranch_execz .LBB75_102
.LBB75_118:
	v_cmp_ne_u32_e32 vcc_lo, 1, v123
	v_lshlrev_b64 v[62:63], 2, v[70:71]
	s_cbranch_vccnz .LBB75_120
; %bb.119:
	v_add_co_u32 v137, vcc_lo, v80, v62
	v_add_co_ci_u32_e64 v138, null, v81, v63, vcc_lo
	global_load_dword v137, v[137:138], off
	s_waitcnt vmcnt(0)
	v_mul_f32_e32 v137, s19, v137
	s_branch .LBB75_121
.LBB75_120:
	v_mov_b32_e32 v137, 0
.LBB75_121:
	v_add_f32_e32 v138, v23, v59
	v_add_f32_e32 v139, v22, v58
	;; [unrolled: 1-line block ×4, first 2 shown]
	v_add_co_u32 v62, vcc_lo, v64, v62
	v_min3_f32 v136, v139, v138, v136
	v_add_co_ci_u32_e64 v63, null, v65, v63, vcc_lo
	v_min_f32_e32 v138, v141, v140
	v_min3_f32 v136, v137, v138, v136
	global_store_dword v[62:63], v136, off
	s_or_b32 exec_lo, exec_lo, s11
	s_and_b32 s12, s4, s8
	s_and_saveexec_b32 s11, s12
	s_cbranch_execz .LBB75_103
.LBB75_122:
	v_cmp_ne_u32_e32 vcc_lo, 1, v123
	v_lshlrev_b64 v[62:63], 2, v[72:73]
	s_cbranch_vccnz .LBB75_124
; %bb.123:
	v_add_co_u32 v136, vcc_lo, v80, v62
	v_add_co_ci_u32_e64 v137, null, v81, v63, vcc_lo
	global_load_dword v136, v[136:137], off
	s_waitcnt vmcnt(0)
	v_mul_f32_e32 v136, s19, v136
	s_branch .LBB75_125
.LBB75_124:
	v_mov_b32_e32 v136, 0
.LBB75_125:
	v_add_f32_e32 v137, v19, v59
	v_add_f32_e32 v138, v18, v58
	;; [unrolled: 1-line block ×4, first 2 shown]
	v_add_co_u32 v62, vcc_lo, v64, v62
	v_min3_f32 v135, v138, v137, v135
	v_add_co_ci_u32_e64 v63, null, v65, v63, vcc_lo
	v_min_f32_e32 v137, v140, v139
	v_min3_f32 v135, v136, v137, v135
	global_store_dword v[62:63], v135, off
	s_or_b32 exec_lo, exec_lo, s11
	s_and_b32 s12, s5, s8
	s_and_saveexec_b32 s11, s12
	s_cbranch_execz .LBB75_104
.LBB75_126:
	v_cmp_ne_u32_e32 vcc_lo, 1, v123
	v_lshlrev_b64 v[62:63], 2, v[74:75]
	s_cbranch_vccnz .LBB75_128
; %bb.127:
	v_add_co_u32 v135, vcc_lo, v80, v62
	v_add_co_ci_u32_e64 v136, null, v81, v63, vcc_lo
	global_load_dword v135, v[135:136], off
	s_waitcnt vmcnt(0)
	v_mul_f32_e32 v135, s19, v135
	s_branch .LBB75_129
.LBB75_128:
	v_mov_b32_e32 v135, 0
.LBB75_129:
	v_add_f32_e32 v136, v15, v59
	v_add_f32_e32 v137, v14, v58
	;; [unrolled: 1-line block ×4, first 2 shown]
	v_add_co_u32 v62, vcc_lo, v64, v62
	v_min3_f32 v134, v137, v136, v134
	v_add_co_ci_u32_e64 v63, null, v65, v63, vcc_lo
	v_min_f32_e32 v136, v139, v138
	v_min3_f32 v134, v135, v136, v134
	global_store_dword v[62:63], v134, off
	s_or_b32 exec_lo, exec_lo, s11
	s_and_b32 s12, s6, s8
	s_and_saveexec_b32 s11, s12
	s_cbranch_execz .LBB75_105
.LBB75_130:
	v_cmp_ne_u32_e32 vcc_lo, 1, v123
	v_lshlrev_b64 v[62:63], 2, v[76:77]
	s_cbranch_vccnz .LBB75_132
; %bb.131:
	v_add_co_u32 v134, vcc_lo, v80, v62
	v_add_co_ci_u32_e64 v135, null, v81, v63, vcc_lo
	global_load_dword v134, v[134:135], off
	s_waitcnt vmcnt(0)
	v_mul_f32_e32 v134, s19, v134
	s_branch .LBB75_133
.LBB75_132:
	v_mov_b32_e32 v134, 0
.LBB75_133:
	v_add_f32_e32 v135, v11, v59
	v_add_f32_e32 v136, v10, v58
	;; [unrolled: 1-line block ×4, first 2 shown]
	v_add_co_u32 v62, vcc_lo, v64, v62
	v_min3_f32 v133, v136, v135, v133
	v_add_co_ci_u32_e64 v63, null, v65, v63, vcc_lo
	v_min_f32_e32 v135, v138, v137
	v_min3_f32 v133, v134, v135, v133
	global_store_dword v[62:63], v133, off
	s_or_b32 exec_lo, exec_lo, s11
	s_and_b32 s11, s7, s8
	s_and_saveexec_b32 s8, s11
	s_cbranch_execz .LBB75_138
.LBB75_134:
	v_cmp_ne_u32_e32 vcc_lo, 1, v123
	v_lshlrev_b64 v[62:63], 2, v[78:79]
	s_cbranch_vccnz .LBB75_136
; %bb.135:
	v_add_co_u32 v80, vcc_lo, v80, v62
	v_add_co_ci_u32_e64 v81, null, v81, v63, vcc_lo
	global_load_dword v80, v[80:81], off
	s_waitcnt vmcnt(0)
	v_mul_f32_e32 v80, s19, v80
	s_branch .LBB75_137
.LBB75_136:
	v_mov_b32_e32 v80, 0
.LBB75_137:
	v_add_f32_e32 v59, v3, v59
	v_add_f32_e32 v58, v2, v58
	;; [unrolled: 1-line block ×4, first 2 shown]
	v_min3_f32 v58, v58, v59, v131
	v_min_f32_e32 v59, v60, v61
	v_min3_f32 v60, v80, v59, v58
	v_add_co_u32 v58, vcc_lo, v64, v62
	v_add_co_ci_u32_e64 v59, null, v65, v63, vcc_lo
	global_store_dword v[58:59], v60, off
.LBB75_138:
	s_or_b32 exec_lo, exec_lo, s8
	v_add_nc_u32_e32 v62, 64, v132
	v_mad_i64_i32 v[58:59], null, v62, s15, 0
	v_mad_i64_i32 v[60:61], null, v62, s14, 0
	v_cmp_gt_i32_e64 s8, s13, v62
	v_lshlrev_b64 v[58:59], 2, v[58:59]
	s_and_b32 s12, s0, s8
	v_lshlrev_b64 v[60:61], 2, v[60:61]
	v_add_co_u32 v62, vcc_lo, s16, v58
	v_add_co_ci_u32_e64 v63, null, s17, v59, vcc_lo
	v_add_co_u32 v60, vcc_lo, s9, v60
	v_add_co_ci_u32_e64 v61, null, s10, v61, vcc_lo
	s_and_saveexec_b32 s11, s12
	s_cbranch_execnz .LBB75_146
; %bb.139:
	s_or_b32 exec_lo, exec_lo, s11
	s_and_b32 s12, s1, s8
	s_and_saveexec_b32 s11, s12
	s_cbranch_execnz .LBB75_150
.LBB75_140:
	s_or_b32 exec_lo, exec_lo, s11
	s_and_b32 s12, s2, s8
	s_and_saveexec_b32 s11, s12
	s_cbranch_execnz .LBB75_154
.LBB75_141:
	s_or_b32 exec_lo, exec_lo, s11
	s_and_b32 s12, s3, s8
	s_and_saveexec_b32 s11, s12
	s_cbranch_execnz .LBB75_158
.LBB75_142:
	s_or_b32 exec_lo, exec_lo, s11
	s_and_b32 s12, s4, s8
	s_and_saveexec_b32 s11, s12
	s_cbranch_execnz .LBB75_162
.LBB75_143:
	s_or_b32 exec_lo, exec_lo, s11
	s_and_b32 s12, s5, s8
	s_and_saveexec_b32 s11, s12
	s_cbranch_execnz .LBB75_166
.LBB75_144:
	s_or_b32 exec_lo, exec_lo, s11
	s_and_b32 s12, s6, s8
	s_and_saveexec_b32 s11, s12
	s_cbranch_execnz .LBB75_170
.LBB75_145:
	s_or_b32 exec_lo, exec_lo, s11
	s_and_b32 s11, s7, s8
	s_and_saveexec_b32 s8, s11
	s_cbranch_execnz .LBB75_174
	s_branch .LBB75_178
.LBB75_146:
	v_cmp_ne_u32_e32 vcc_lo, 1, v123
	v_lshlrev_b64 v[58:59], 2, v[0:1]
	s_cbranch_vccnz .LBB75_148
; %bb.147:
	v_add_co_u32 v64, vcc_lo, v62, v58
	v_add_co_ci_u32_e64 v65, null, v63, v59, vcc_lo
	global_load_dword v64, v[64:65], off
	s_waitcnt vmcnt(0)
	v_mul_f32_e32 v64, s19, v64
	s_branch .LBB75_149
.LBB75_148:
	v_mov_b32_e32 v64, 0
.LBB75_149:
	v_add_f32_e32 v65, v35, v55
	v_add_f32_e32 v80, v34, v54
	;; [unrolled: 1-line block ×4, first 2 shown]
	v_add_co_u32 v58, vcc_lo, v60, v58
	v_min3_f32 v65, v80, v65, v130
	v_add_co_ci_u32_e64 v59, null, v61, v59, vcc_lo
	v_min_f32_e32 v80, v131, v81
	v_min3_f32 v64, v64, v80, v65
	global_store_dword v[58:59], v64, off
	s_or_b32 exec_lo, exec_lo, s11
	s_and_b32 s12, s1, s8
	s_and_saveexec_b32 s11, s12
	s_cbranch_execz .LBB75_140
.LBB75_150:
	v_cmp_ne_u32_e32 vcc_lo, 1, v123
	v_lshlrev_b64 v[58:59], 2, v[66:67]
	s_cbranch_vccnz .LBB75_152
; %bb.151:
	v_add_co_u32 v64, vcc_lo, v62, v58
	v_add_co_ci_u32_e64 v65, null, v63, v59, vcc_lo
	global_load_dword v64, v[64:65], off
	s_waitcnt vmcnt(0)
	v_mul_f32_e32 v64, s19, v64
	s_branch .LBB75_153
.LBB75_152:
	v_mov_b32_e32 v64, 0
.LBB75_153:
	v_add_f32_e32 v65, v31, v55
	v_add_f32_e32 v80, v30, v54
	;; [unrolled: 1-line block ×4, first 2 shown]
	v_add_co_u32 v58, vcc_lo, v60, v58
	v_min3_f32 v65, v80, v65, v129
	v_add_co_ci_u32_e64 v59, null, v61, v59, vcc_lo
	v_min_f32_e32 v80, v130, v81
	v_min3_f32 v64, v64, v80, v65
	global_store_dword v[58:59], v64, off
	s_or_b32 exec_lo, exec_lo, s11
	s_and_b32 s12, s2, s8
	s_and_saveexec_b32 s11, s12
	s_cbranch_execz .LBB75_141
.LBB75_154:
	v_cmp_ne_u32_e32 vcc_lo, 1, v123
	v_lshlrev_b64 v[58:59], 2, v[68:69]
	s_cbranch_vccnz .LBB75_156
; %bb.155:
	v_add_co_u32 v64, vcc_lo, v62, v58
	v_add_co_ci_u32_e64 v65, null, v63, v59, vcc_lo
	global_load_dword v64, v[64:65], off
	s_waitcnt vmcnt(0)
	v_mul_f32_e32 v64, s19, v64
	s_branch .LBB75_157
.LBB75_156:
	v_mov_b32_e32 v64, 0
.LBB75_157:
	v_add_f32_e32 v65, v27, v55
	v_add_f32_e32 v80, v26, v54
	;; [unrolled: 1-line block ×4, first 2 shown]
	v_add_co_u32 v58, vcc_lo, v60, v58
	v_min3_f32 v65, v80, v65, v128
	v_add_co_ci_u32_e64 v59, null, v61, v59, vcc_lo
	v_min_f32_e32 v80, v129, v81
	v_min3_f32 v64, v64, v80, v65
	global_store_dword v[58:59], v64, off
	s_or_b32 exec_lo, exec_lo, s11
	s_and_b32 s12, s3, s8
	s_and_saveexec_b32 s11, s12
	s_cbranch_execz .LBB75_142
.LBB75_158:
	v_cmp_ne_u32_e32 vcc_lo, 1, v123
	v_lshlrev_b64 v[58:59], 2, v[70:71]
	s_cbranch_vccnz .LBB75_160
; %bb.159:
	v_add_co_u32 v64, vcc_lo, v62, v58
	v_add_co_ci_u32_e64 v65, null, v63, v59, vcc_lo
	global_load_dword v64, v[64:65], off
	s_waitcnt vmcnt(0)
	v_mul_f32_e32 v64, s19, v64
	s_branch .LBB75_161
.LBB75_160:
	v_mov_b32_e32 v64, 0
.LBB75_161:
	v_add_f32_e32 v65, v23, v55
	v_add_f32_e32 v80, v22, v54
	;; [unrolled: 1-line block ×4, first 2 shown]
	v_add_co_u32 v58, vcc_lo, v60, v58
	v_min3_f32 v65, v80, v65, v127
	v_add_co_ci_u32_e64 v59, null, v61, v59, vcc_lo
	v_min_f32_e32 v80, v128, v81
	v_min3_f32 v64, v64, v80, v65
	global_store_dword v[58:59], v64, off
	s_or_b32 exec_lo, exec_lo, s11
	s_and_b32 s12, s4, s8
	s_and_saveexec_b32 s11, s12
	s_cbranch_execz .LBB75_143
.LBB75_162:
	v_cmp_ne_u32_e32 vcc_lo, 1, v123
	v_lshlrev_b64 v[58:59], 2, v[72:73]
	s_cbranch_vccnz .LBB75_164
; %bb.163:
	v_add_co_u32 v64, vcc_lo, v62, v58
	v_add_co_ci_u32_e64 v65, null, v63, v59, vcc_lo
	global_load_dword v64, v[64:65], off
	s_waitcnt vmcnt(0)
	v_mul_f32_e32 v64, s19, v64
	s_branch .LBB75_165
.LBB75_164:
	v_mov_b32_e32 v64, 0
.LBB75_165:
	v_add_f32_e32 v65, v19, v55
	v_add_f32_e32 v80, v18, v54
	;; [unrolled: 1-line block ×4, first 2 shown]
	v_add_co_u32 v58, vcc_lo, v60, v58
	v_min3_f32 v65, v80, v65, v126
	v_add_co_ci_u32_e64 v59, null, v61, v59, vcc_lo
	v_min_f32_e32 v80, v127, v81
	v_min3_f32 v64, v64, v80, v65
	global_store_dword v[58:59], v64, off
	s_or_b32 exec_lo, exec_lo, s11
	s_and_b32 s12, s5, s8
	s_and_saveexec_b32 s11, s12
	s_cbranch_execz .LBB75_144
.LBB75_166:
	v_cmp_ne_u32_e32 vcc_lo, 1, v123
	v_lshlrev_b64 v[58:59], 2, v[74:75]
	s_cbranch_vccnz .LBB75_168
; %bb.167:
	v_add_co_u32 v64, vcc_lo, v62, v58
	v_add_co_ci_u32_e64 v65, null, v63, v59, vcc_lo
	global_load_dword v64, v[64:65], off
	s_waitcnt vmcnt(0)
	v_mul_f32_e32 v64, s19, v64
	s_branch .LBB75_169
.LBB75_168:
	v_mov_b32_e32 v64, 0
.LBB75_169:
	v_add_f32_e32 v65, v15, v55
	v_add_f32_e32 v80, v14, v54
	;; [unrolled: 1-line block ×4, first 2 shown]
	v_add_co_u32 v58, vcc_lo, v60, v58
	v_min3_f32 v65, v80, v65, v125
	v_add_co_ci_u32_e64 v59, null, v61, v59, vcc_lo
	v_min_f32_e32 v80, v126, v81
	v_min3_f32 v64, v64, v80, v65
	global_store_dword v[58:59], v64, off
	s_or_b32 exec_lo, exec_lo, s11
	s_and_b32 s12, s6, s8
	s_and_saveexec_b32 s11, s12
	s_cbranch_execz .LBB75_145
.LBB75_170:
	v_cmp_ne_u32_e32 vcc_lo, 1, v123
	v_lshlrev_b64 v[58:59], 2, v[76:77]
	s_cbranch_vccnz .LBB75_172
; %bb.171:
	v_add_co_u32 v64, vcc_lo, v62, v58
	v_add_co_ci_u32_e64 v65, null, v63, v59, vcc_lo
	global_load_dword v64, v[64:65], off
	s_waitcnt vmcnt(0)
	v_mul_f32_e32 v64, s19, v64
	s_branch .LBB75_173
.LBB75_172:
	v_mov_b32_e32 v64, 0
.LBB75_173:
	v_add_f32_e32 v65, v11, v55
	v_add_f32_e32 v80, v10, v54
	;; [unrolled: 1-line block ×4, first 2 shown]
	v_add_co_u32 v58, vcc_lo, v60, v58
	v_min3_f32 v65, v80, v65, v124
	v_add_co_ci_u32_e64 v59, null, v61, v59, vcc_lo
	v_min_f32_e32 v80, v125, v81
	v_min3_f32 v64, v64, v80, v65
	global_store_dword v[58:59], v64, off
	s_or_b32 exec_lo, exec_lo, s11
	s_and_b32 s11, s7, s8
	s_and_saveexec_b32 s8, s11
	s_cbranch_execz .LBB75_178
.LBB75_174:
	v_cmp_ne_u32_e32 vcc_lo, 1, v123
	v_lshlrev_b64 v[58:59], 2, v[78:79]
	s_cbranch_vccnz .LBB75_176
; %bb.175:
	v_add_co_u32 v62, vcc_lo, v62, v58
	v_add_co_ci_u32_e64 v63, null, v63, v59, vcc_lo
	global_load_dword v62, v[62:63], off
	s_waitcnt vmcnt(0)
	v_mul_f32_e32 v62, s19, v62
	s_branch .LBB75_177
.LBB75_176:
	v_mov_b32_e32 v62, 0
.LBB75_177:
	v_add_f32_e32 v55, v3, v55
	v_add_f32_e32 v54, v2, v54
	;; [unrolled: 1-line block ×4, first 2 shown]
	v_min3_f32 v54, v54, v55, v121
	v_min_f32_e32 v55, v56, v57
	v_min3_f32 v56, v62, v55, v54
	v_add_co_u32 v54, vcc_lo, v60, v58
	v_add_co_ci_u32_e64 v55, null, v61, v59, vcc_lo
	global_store_dword v[54:55], v56, off
.LBB75_178:
	s_or_b32 exec_lo, exec_lo, s8
	v_add_nc_u32_e32 v58, 0x60, v132
	v_mad_i64_i32 v[54:55], null, v58, s15, 0
	v_mad_i64_i32 v[56:57], null, v58, s14, 0
	v_cmp_gt_i32_e64 s8, s13, v58
	v_lshlrev_b64 v[54:55], 2, v[54:55]
	s_and_b32 s12, s0, s8
	v_lshlrev_b64 v[56:57], 2, v[56:57]
	v_add_co_u32 v58, vcc_lo, s16, v54
	v_add_co_ci_u32_e64 v59, null, s17, v55, vcc_lo
	v_add_co_u32 v56, vcc_lo, s9, v56
	v_add_co_ci_u32_e64 v57, null, s10, v57, vcc_lo
	s_and_saveexec_b32 s11, s12
	s_cbranch_execnz .LBB75_186
; %bb.179:
	s_or_b32 exec_lo, exec_lo, s11
	s_and_b32 s12, s1, s8
	s_and_saveexec_b32 s11, s12
	s_cbranch_execnz .LBB75_190
.LBB75_180:
	s_or_b32 exec_lo, exec_lo, s11
	s_and_b32 s12, s2, s8
	s_and_saveexec_b32 s11, s12
	s_cbranch_execnz .LBB75_194
.LBB75_181:
	s_or_b32 exec_lo, exec_lo, s11
	s_and_b32 s12, s3, s8
	s_and_saveexec_b32 s11, s12
	s_cbranch_execnz .LBB75_198
.LBB75_182:
	s_or_b32 exec_lo, exec_lo, s11
	s_and_b32 s12, s4, s8
	s_and_saveexec_b32 s11, s12
	s_cbranch_execnz .LBB75_202
.LBB75_183:
	s_or_b32 exec_lo, exec_lo, s11
	s_and_b32 s12, s5, s8
	s_and_saveexec_b32 s11, s12
	s_cbranch_execnz .LBB75_206
.LBB75_184:
	s_or_b32 exec_lo, exec_lo, s11
	s_and_b32 s12, s6, s8
	s_and_saveexec_b32 s11, s12
	s_cbranch_execnz .LBB75_210
.LBB75_185:
	s_or_b32 exec_lo, exec_lo, s11
	s_and_b32 s11, s7, s8
	s_and_saveexec_b32 s8, s11
	s_cbranch_execnz .LBB75_214
	s_branch .LBB75_218
.LBB75_186:
	v_cmp_ne_u32_e32 vcc_lo, 1, v123
	v_lshlrev_b64 v[54:55], 2, v[0:1]
	s_cbranch_vccnz .LBB75_188
; %bb.187:
	v_add_co_u32 v60, vcc_lo, v58, v54
	v_add_co_ci_u32_e64 v61, null, v59, v55, vcc_lo
	global_load_dword v60, v[60:61], off
	s_waitcnt vmcnt(0)
	v_mul_f32_e32 v60, s19, v60
	s_branch .LBB75_189
.LBB75_188:
	v_mov_b32_e32 v60, 0
.LBB75_189:
	v_add_f32_e32 v61, v35, v51
	v_add_f32_e32 v62, v34, v50
	;; [unrolled: 1-line block ×4, first 2 shown]
	v_add_co_u32 v54, vcc_lo, v56, v54
	v_min3_f32 v61, v62, v61, v122
	v_add_co_ci_u32_e64 v55, null, v57, v55, vcc_lo
	v_min_f32_e32 v62, v64, v63
	v_min3_f32 v60, v60, v62, v61
	global_store_dword v[54:55], v60, off
	s_or_b32 exec_lo, exec_lo, s11
	s_and_b32 s12, s1, s8
	s_and_saveexec_b32 s11, s12
	s_cbranch_execz .LBB75_180
.LBB75_190:
	v_cmp_ne_u32_e32 vcc_lo, 1, v123
	v_lshlrev_b64 v[54:55], 2, v[66:67]
	s_cbranch_vccnz .LBB75_192
; %bb.191:
	v_add_co_u32 v60, vcc_lo, v58, v54
	v_add_co_ci_u32_e64 v61, null, v59, v55, vcc_lo
	global_load_dword v60, v[60:61], off
	s_waitcnt vmcnt(0)
	v_mul_f32_e32 v60, s19, v60
	s_branch .LBB75_193
.LBB75_192:
	v_mov_b32_e32 v60, 0
.LBB75_193:
	v_add_f32_e32 v61, v31, v51
	v_add_f32_e32 v62, v30, v50
	;; [unrolled: 1-line block ×4, first 2 shown]
	v_add_co_u32 v54, vcc_lo, v56, v54
	v_min3_f32 v61, v62, v61, v120
	v_add_co_ci_u32_e64 v55, null, v57, v55, vcc_lo
	v_min_f32_e32 v62, v64, v63
	v_min3_f32 v60, v60, v62, v61
	global_store_dword v[54:55], v60, off
	s_or_b32 exec_lo, exec_lo, s11
	s_and_b32 s12, s2, s8
	s_and_saveexec_b32 s11, s12
	s_cbranch_execz .LBB75_181
.LBB75_194:
	v_cmp_ne_u32_e32 vcc_lo, 1, v123
	v_lshlrev_b64 v[54:55], 2, v[68:69]
	s_cbranch_vccnz .LBB75_196
; %bb.195:
	v_add_co_u32 v60, vcc_lo, v58, v54
	v_add_co_ci_u32_e64 v61, null, v59, v55, vcc_lo
	global_load_dword v60, v[60:61], off
	s_waitcnt vmcnt(0)
	v_mul_f32_e32 v60, s19, v60
	s_branch .LBB75_197
.LBB75_196:
	v_mov_b32_e32 v60, 0
.LBB75_197:
	v_add_f32_e32 v61, v27, v51
	v_add_f32_e32 v62, v26, v50
	;; [unrolled: 1-line block ×4, first 2 shown]
	v_add_co_u32 v54, vcc_lo, v56, v54
	v_min3_f32 v61, v62, v61, v119
	v_add_co_ci_u32_e64 v55, null, v57, v55, vcc_lo
	v_min_f32_e32 v62, v64, v63
	v_min3_f32 v60, v60, v62, v61
	global_store_dword v[54:55], v60, off
	s_or_b32 exec_lo, exec_lo, s11
	s_and_b32 s12, s3, s8
	s_and_saveexec_b32 s11, s12
	s_cbranch_execz .LBB75_182
.LBB75_198:
	v_cmp_ne_u32_e32 vcc_lo, 1, v123
	v_lshlrev_b64 v[54:55], 2, v[70:71]
	s_cbranch_vccnz .LBB75_200
; %bb.199:
	v_add_co_u32 v60, vcc_lo, v58, v54
	v_add_co_ci_u32_e64 v61, null, v59, v55, vcc_lo
	global_load_dword v60, v[60:61], off
	s_waitcnt vmcnt(0)
	v_mul_f32_e32 v60, s19, v60
	s_branch .LBB75_201
.LBB75_200:
	v_mov_b32_e32 v60, 0
.LBB75_201:
	v_add_f32_e32 v61, v23, v51
	v_add_f32_e32 v62, v22, v50
	;; [unrolled: 1-line block ×4, first 2 shown]
	v_add_co_u32 v54, vcc_lo, v56, v54
	v_min3_f32 v61, v62, v61, v118
	v_add_co_ci_u32_e64 v55, null, v57, v55, vcc_lo
	v_min_f32_e32 v62, v64, v63
	v_min3_f32 v60, v60, v62, v61
	global_store_dword v[54:55], v60, off
	s_or_b32 exec_lo, exec_lo, s11
	s_and_b32 s12, s4, s8
	s_and_saveexec_b32 s11, s12
	s_cbranch_execz .LBB75_183
.LBB75_202:
	v_cmp_ne_u32_e32 vcc_lo, 1, v123
	v_lshlrev_b64 v[54:55], 2, v[72:73]
	s_cbranch_vccnz .LBB75_204
; %bb.203:
	v_add_co_u32 v60, vcc_lo, v58, v54
	v_add_co_ci_u32_e64 v61, null, v59, v55, vcc_lo
	global_load_dword v60, v[60:61], off
	s_waitcnt vmcnt(0)
	v_mul_f32_e32 v60, s19, v60
	s_branch .LBB75_205
.LBB75_204:
	v_mov_b32_e32 v60, 0
.LBB75_205:
	v_add_f32_e32 v61, v19, v51
	v_add_f32_e32 v62, v18, v50
	;; [unrolled: 1-line block ×4, first 2 shown]
	v_add_co_u32 v54, vcc_lo, v56, v54
	v_min3_f32 v61, v62, v61, v117
	v_add_co_ci_u32_e64 v55, null, v57, v55, vcc_lo
	v_min_f32_e32 v62, v64, v63
	v_min3_f32 v60, v60, v62, v61
	global_store_dword v[54:55], v60, off
	s_or_b32 exec_lo, exec_lo, s11
	s_and_b32 s12, s5, s8
	s_and_saveexec_b32 s11, s12
	s_cbranch_execz .LBB75_184
.LBB75_206:
	v_cmp_ne_u32_e32 vcc_lo, 1, v123
	v_lshlrev_b64 v[54:55], 2, v[74:75]
	s_cbranch_vccnz .LBB75_208
; %bb.207:
	v_add_co_u32 v60, vcc_lo, v58, v54
	v_add_co_ci_u32_e64 v61, null, v59, v55, vcc_lo
	global_load_dword v60, v[60:61], off
	s_waitcnt vmcnt(0)
	v_mul_f32_e32 v60, s19, v60
	s_branch .LBB75_209
.LBB75_208:
	v_mov_b32_e32 v60, 0
.LBB75_209:
	v_add_f32_e32 v61, v15, v51
	v_add_f32_e32 v62, v14, v50
	;; [unrolled: 1-line block ×4, first 2 shown]
	v_add_co_u32 v54, vcc_lo, v56, v54
	v_min3_f32 v61, v62, v61, v116
	v_add_co_ci_u32_e64 v55, null, v57, v55, vcc_lo
	v_min_f32_e32 v62, v64, v63
	v_min3_f32 v60, v60, v62, v61
	global_store_dword v[54:55], v60, off
	s_or_b32 exec_lo, exec_lo, s11
	s_and_b32 s12, s6, s8
	s_and_saveexec_b32 s11, s12
	s_cbranch_execz .LBB75_185
.LBB75_210:
	v_cmp_ne_u32_e32 vcc_lo, 1, v123
	v_lshlrev_b64 v[54:55], 2, v[76:77]
	s_cbranch_vccnz .LBB75_212
; %bb.211:
	v_add_co_u32 v60, vcc_lo, v58, v54
	v_add_co_ci_u32_e64 v61, null, v59, v55, vcc_lo
	global_load_dword v60, v[60:61], off
	s_waitcnt vmcnt(0)
	v_mul_f32_e32 v60, s19, v60
	s_branch .LBB75_213
.LBB75_212:
	v_mov_b32_e32 v60, 0
.LBB75_213:
	v_add_f32_e32 v61, v11, v51
	v_add_f32_e32 v62, v10, v50
	;; [unrolled: 1-line block ×4, first 2 shown]
	v_add_co_u32 v54, vcc_lo, v56, v54
	v_min3_f32 v61, v62, v61, v115
	v_add_co_ci_u32_e64 v55, null, v57, v55, vcc_lo
	v_min_f32_e32 v62, v64, v63
	v_min3_f32 v60, v60, v62, v61
	global_store_dword v[54:55], v60, off
	s_or_b32 exec_lo, exec_lo, s11
	s_and_b32 s11, s7, s8
	s_and_saveexec_b32 s8, s11
	s_cbranch_execz .LBB75_218
.LBB75_214:
	v_cmp_ne_u32_e32 vcc_lo, 1, v123
	v_lshlrev_b64 v[54:55], 2, v[78:79]
	s_cbranch_vccnz .LBB75_216
; %bb.215:
	v_add_co_u32 v58, vcc_lo, v58, v54
	v_add_co_ci_u32_e64 v59, null, v59, v55, vcc_lo
	global_load_dword v58, v[58:59], off
	s_waitcnt vmcnt(0)
	v_mul_f32_e32 v58, s19, v58
	s_branch .LBB75_217
.LBB75_216:
	v_mov_b32_e32 v58, 0
.LBB75_217:
	v_add_f32_e32 v51, v3, v51
	v_add_f32_e32 v50, v2, v50
	;; [unrolled: 1-line block ×4, first 2 shown]
	v_min3_f32 v50, v50, v51, v114
	v_min_f32_e32 v51, v52, v53
	v_min3_f32 v52, v58, v51, v50
	v_add_co_u32 v50, vcc_lo, v56, v54
	v_add_co_ci_u32_e64 v51, null, v57, v55, vcc_lo
	global_store_dword v[50:51], v52, off
.LBB75_218:
	s_or_b32 exec_lo, exec_lo, s8
	v_add_nc_u32_e32 v54, 0x80, v132
	v_mad_i64_i32 v[50:51], null, v54, s15, 0
	v_mad_i64_i32 v[52:53], null, v54, s14, 0
	v_cmp_gt_i32_e64 s8, s13, v54
	v_lshlrev_b64 v[50:51], 2, v[50:51]
	s_and_b32 s12, s0, s8
	v_lshlrev_b64 v[52:53], 2, v[52:53]
	v_add_co_u32 v54, vcc_lo, s16, v50
	v_add_co_ci_u32_e64 v55, null, s17, v51, vcc_lo
	v_add_co_u32 v52, vcc_lo, s9, v52
	v_add_co_ci_u32_e64 v53, null, s10, v53, vcc_lo
	s_and_saveexec_b32 s11, s12
	s_cbranch_execnz .LBB75_226
; %bb.219:
	s_or_b32 exec_lo, exec_lo, s11
	s_and_b32 s12, s1, s8
	s_and_saveexec_b32 s11, s12
	s_cbranch_execnz .LBB75_230
.LBB75_220:
	s_or_b32 exec_lo, exec_lo, s11
	s_and_b32 s12, s2, s8
	s_and_saveexec_b32 s11, s12
	s_cbranch_execnz .LBB75_234
.LBB75_221:
	s_or_b32 exec_lo, exec_lo, s11
	s_and_b32 s12, s3, s8
	s_and_saveexec_b32 s11, s12
	s_cbranch_execnz .LBB75_238
.LBB75_222:
	s_or_b32 exec_lo, exec_lo, s11
	s_and_b32 s12, s4, s8
	s_and_saveexec_b32 s11, s12
	s_cbranch_execnz .LBB75_242
.LBB75_223:
	s_or_b32 exec_lo, exec_lo, s11
	s_and_b32 s12, s5, s8
	s_and_saveexec_b32 s11, s12
	s_cbranch_execnz .LBB75_246
.LBB75_224:
	s_or_b32 exec_lo, exec_lo, s11
	s_and_b32 s12, s6, s8
	s_and_saveexec_b32 s11, s12
	s_cbranch_execnz .LBB75_250
.LBB75_225:
	s_or_b32 exec_lo, exec_lo, s11
	s_and_b32 s11, s7, s8
	s_and_saveexec_b32 s8, s11
	s_cbranch_execnz .LBB75_254
	s_branch .LBB75_258
.LBB75_226:
	v_cmp_ne_u32_e32 vcc_lo, 1, v123
	v_lshlrev_b64 v[50:51], 2, v[0:1]
	s_cbranch_vccnz .LBB75_228
; %bb.227:
	v_add_co_u32 v56, vcc_lo, v54, v50
	v_add_co_ci_u32_e64 v57, null, v55, v51, vcc_lo
	global_load_dword v56, v[56:57], off
	s_waitcnt vmcnt(0)
	v_mul_f32_e32 v56, s19, v56
	s_branch .LBB75_229
.LBB75_228:
	v_mov_b32_e32 v56, 0
.LBB75_229:
	v_add_f32_e32 v57, v35, v47
	v_add_f32_e32 v58, v34, v46
	;; [unrolled: 1-line block ×4, first 2 shown]
	v_add_co_u32 v50, vcc_lo, v52, v50
	v_min3_f32 v57, v58, v57, v113
	v_add_co_ci_u32_e64 v51, null, v53, v51, vcc_lo
	v_min_f32_e32 v58, v60, v59
	v_min3_f32 v56, v56, v58, v57
	global_store_dword v[50:51], v56, off
	s_or_b32 exec_lo, exec_lo, s11
	s_and_b32 s12, s1, s8
	s_and_saveexec_b32 s11, s12
	s_cbranch_execz .LBB75_220
.LBB75_230:
	v_cmp_ne_u32_e32 vcc_lo, 1, v123
	v_lshlrev_b64 v[50:51], 2, v[66:67]
	s_cbranch_vccnz .LBB75_232
; %bb.231:
	v_add_co_u32 v56, vcc_lo, v54, v50
	v_add_co_ci_u32_e64 v57, null, v55, v51, vcc_lo
	global_load_dword v56, v[56:57], off
	s_waitcnt vmcnt(0)
	v_mul_f32_e32 v56, s19, v56
	s_branch .LBB75_233
.LBB75_232:
	v_mov_b32_e32 v56, 0
.LBB75_233:
	v_add_f32_e32 v57, v31, v47
	v_add_f32_e32 v58, v30, v46
	;; [unrolled: 1-line block ×4, first 2 shown]
	v_add_co_u32 v50, vcc_lo, v52, v50
	v_min3_f32 v57, v58, v57, v112
	v_add_co_ci_u32_e64 v51, null, v53, v51, vcc_lo
	v_min_f32_e32 v58, v60, v59
	v_min3_f32 v56, v56, v58, v57
	global_store_dword v[50:51], v56, off
	s_or_b32 exec_lo, exec_lo, s11
	s_and_b32 s12, s2, s8
	s_and_saveexec_b32 s11, s12
	s_cbranch_execz .LBB75_221
.LBB75_234:
	v_cmp_ne_u32_e32 vcc_lo, 1, v123
	v_lshlrev_b64 v[50:51], 2, v[68:69]
	s_cbranch_vccnz .LBB75_236
; %bb.235:
	v_add_co_u32 v56, vcc_lo, v54, v50
	v_add_co_ci_u32_e64 v57, null, v55, v51, vcc_lo
	global_load_dword v56, v[56:57], off
	s_waitcnt vmcnt(0)
	v_mul_f32_e32 v56, s19, v56
	s_branch .LBB75_237
.LBB75_236:
	v_mov_b32_e32 v56, 0
.LBB75_237:
	v_add_f32_e32 v57, v27, v47
	v_add_f32_e32 v58, v26, v46
	;; [unrolled: 1-line block ×4, first 2 shown]
	v_add_co_u32 v50, vcc_lo, v52, v50
	v_min3_f32 v57, v58, v57, v111
	v_add_co_ci_u32_e64 v51, null, v53, v51, vcc_lo
	v_min_f32_e32 v58, v60, v59
	v_min3_f32 v56, v56, v58, v57
	global_store_dword v[50:51], v56, off
	s_or_b32 exec_lo, exec_lo, s11
	s_and_b32 s12, s3, s8
	s_and_saveexec_b32 s11, s12
	s_cbranch_execz .LBB75_222
.LBB75_238:
	v_cmp_ne_u32_e32 vcc_lo, 1, v123
	v_lshlrev_b64 v[50:51], 2, v[70:71]
	s_cbranch_vccnz .LBB75_240
; %bb.239:
	v_add_co_u32 v56, vcc_lo, v54, v50
	v_add_co_ci_u32_e64 v57, null, v55, v51, vcc_lo
	global_load_dword v56, v[56:57], off
	s_waitcnt vmcnt(0)
	v_mul_f32_e32 v56, s19, v56
	s_branch .LBB75_241
.LBB75_240:
	v_mov_b32_e32 v56, 0
.LBB75_241:
	v_add_f32_e32 v57, v23, v47
	v_add_f32_e32 v58, v22, v46
	;; [unrolled: 1-line block ×4, first 2 shown]
	v_add_co_u32 v50, vcc_lo, v52, v50
	v_min3_f32 v57, v58, v57, v110
	v_add_co_ci_u32_e64 v51, null, v53, v51, vcc_lo
	v_min_f32_e32 v58, v60, v59
	v_min3_f32 v56, v56, v58, v57
	global_store_dword v[50:51], v56, off
	s_or_b32 exec_lo, exec_lo, s11
	s_and_b32 s12, s4, s8
	s_and_saveexec_b32 s11, s12
	s_cbranch_execz .LBB75_223
.LBB75_242:
	v_cmp_ne_u32_e32 vcc_lo, 1, v123
	v_lshlrev_b64 v[50:51], 2, v[72:73]
	s_cbranch_vccnz .LBB75_244
; %bb.243:
	v_add_co_u32 v56, vcc_lo, v54, v50
	v_add_co_ci_u32_e64 v57, null, v55, v51, vcc_lo
	global_load_dword v56, v[56:57], off
	s_waitcnt vmcnt(0)
	v_mul_f32_e32 v56, s19, v56
	s_branch .LBB75_245
.LBB75_244:
	v_mov_b32_e32 v56, 0
.LBB75_245:
	v_add_f32_e32 v57, v19, v47
	v_add_f32_e32 v58, v18, v46
	;; [unrolled: 1-line block ×4, first 2 shown]
	v_add_co_u32 v50, vcc_lo, v52, v50
	v_min3_f32 v57, v58, v57, v109
	v_add_co_ci_u32_e64 v51, null, v53, v51, vcc_lo
	v_min_f32_e32 v58, v60, v59
	v_min3_f32 v56, v56, v58, v57
	global_store_dword v[50:51], v56, off
	s_or_b32 exec_lo, exec_lo, s11
	s_and_b32 s12, s5, s8
	s_and_saveexec_b32 s11, s12
	s_cbranch_execz .LBB75_224
.LBB75_246:
	v_cmp_ne_u32_e32 vcc_lo, 1, v123
	v_lshlrev_b64 v[50:51], 2, v[74:75]
	s_cbranch_vccnz .LBB75_248
; %bb.247:
	v_add_co_u32 v56, vcc_lo, v54, v50
	v_add_co_ci_u32_e64 v57, null, v55, v51, vcc_lo
	global_load_dword v56, v[56:57], off
	s_waitcnt vmcnt(0)
	v_mul_f32_e32 v56, s19, v56
	s_branch .LBB75_249
.LBB75_248:
	v_mov_b32_e32 v56, 0
.LBB75_249:
	v_add_f32_e32 v57, v15, v47
	v_add_f32_e32 v58, v14, v46
	;; [unrolled: 1-line block ×4, first 2 shown]
	v_add_co_u32 v50, vcc_lo, v52, v50
	v_min3_f32 v57, v58, v57, v108
	v_add_co_ci_u32_e64 v51, null, v53, v51, vcc_lo
	v_min_f32_e32 v58, v60, v59
	v_min3_f32 v56, v56, v58, v57
	global_store_dword v[50:51], v56, off
	s_or_b32 exec_lo, exec_lo, s11
	s_and_b32 s12, s6, s8
	s_and_saveexec_b32 s11, s12
	s_cbranch_execz .LBB75_225
.LBB75_250:
	v_cmp_ne_u32_e32 vcc_lo, 1, v123
	v_lshlrev_b64 v[50:51], 2, v[76:77]
	s_cbranch_vccnz .LBB75_252
; %bb.251:
	v_add_co_u32 v56, vcc_lo, v54, v50
	v_add_co_ci_u32_e64 v57, null, v55, v51, vcc_lo
	global_load_dword v56, v[56:57], off
	s_waitcnt vmcnt(0)
	v_mul_f32_e32 v56, s19, v56
	s_branch .LBB75_253
.LBB75_252:
	v_mov_b32_e32 v56, 0
.LBB75_253:
	v_add_f32_e32 v57, v11, v47
	v_add_f32_e32 v58, v10, v46
	;; [unrolled: 1-line block ×4, first 2 shown]
	v_add_co_u32 v50, vcc_lo, v52, v50
	v_min3_f32 v57, v58, v57, v107
	v_add_co_ci_u32_e64 v51, null, v53, v51, vcc_lo
	v_min_f32_e32 v58, v60, v59
	v_min3_f32 v56, v56, v58, v57
	global_store_dword v[50:51], v56, off
	s_or_b32 exec_lo, exec_lo, s11
	s_and_b32 s11, s7, s8
	s_and_saveexec_b32 s8, s11
	s_cbranch_execz .LBB75_258
.LBB75_254:
	v_cmp_ne_u32_e32 vcc_lo, 1, v123
	v_lshlrev_b64 v[50:51], 2, v[78:79]
	s_cbranch_vccnz .LBB75_256
; %bb.255:
	v_add_co_u32 v54, vcc_lo, v54, v50
	v_add_co_ci_u32_e64 v55, null, v55, v51, vcc_lo
	global_load_dword v54, v[54:55], off
	s_waitcnt vmcnt(0)
	v_mul_f32_e32 v54, s19, v54
	s_branch .LBB75_257
.LBB75_256:
	v_mov_b32_e32 v54, 0
.LBB75_257:
	v_add_f32_e32 v47, v3, v47
	v_add_f32_e32 v46, v2, v46
	;; [unrolled: 1-line block ×4, first 2 shown]
	v_min3_f32 v46, v46, v47, v106
	v_min_f32_e32 v47, v48, v49
	v_min3_f32 v48, v54, v47, v46
	v_add_co_u32 v46, vcc_lo, v52, v50
	v_add_co_ci_u32_e64 v47, null, v53, v51, vcc_lo
	global_store_dword v[46:47], v48, off
.LBB75_258:
	s_or_b32 exec_lo, exec_lo, s8
	v_add_nc_u32_e32 v50, 0xa0, v132
	v_mad_i64_i32 v[46:47], null, v50, s15, 0
	v_mad_i64_i32 v[48:49], null, v50, s14, 0
	v_cmp_gt_i32_e64 s8, s13, v50
	v_lshlrev_b64 v[46:47], 2, v[46:47]
	s_and_b32 s12, s0, s8
	v_lshlrev_b64 v[48:49], 2, v[48:49]
	v_add_co_u32 v50, vcc_lo, s16, v46
	v_add_co_ci_u32_e64 v51, null, s17, v47, vcc_lo
	v_add_co_u32 v48, vcc_lo, s9, v48
	v_add_co_ci_u32_e64 v49, null, s10, v49, vcc_lo
	s_and_saveexec_b32 s11, s12
	s_cbranch_execnz .LBB75_266
; %bb.259:
	s_or_b32 exec_lo, exec_lo, s11
	s_and_b32 s12, s1, s8
	s_and_saveexec_b32 s11, s12
	s_cbranch_execnz .LBB75_270
.LBB75_260:
	s_or_b32 exec_lo, exec_lo, s11
	s_and_b32 s12, s2, s8
	s_and_saveexec_b32 s11, s12
	s_cbranch_execnz .LBB75_274
.LBB75_261:
	s_or_b32 exec_lo, exec_lo, s11
	s_and_b32 s12, s3, s8
	s_and_saveexec_b32 s11, s12
	s_cbranch_execnz .LBB75_278
.LBB75_262:
	s_or_b32 exec_lo, exec_lo, s11
	s_and_b32 s12, s4, s8
	s_and_saveexec_b32 s11, s12
	s_cbranch_execnz .LBB75_282
.LBB75_263:
	s_or_b32 exec_lo, exec_lo, s11
	s_and_b32 s12, s5, s8
	s_and_saveexec_b32 s11, s12
	s_cbranch_execnz .LBB75_286
.LBB75_264:
	s_or_b32 exec_lo, exec_lo, s11
	s_and_b32 s12, s6, s8
	s_and_saveexec_b32 s11, s12
	s_cbranch_execnz .LBB75_290
.LBB75_265:
	s_or_b32 exec_lo, exec_lo, s11
	s_and_b32 s11, s7, s8
	s_and_saveexec_b32 s8, s11
	s_cbranch_execnz .LBB75_294
	s_branch .LBB75_298
.LBB75_266:
	v_cmp_ne_u32_e32 vcc_lo, 1, v123
	v_lshlrev_b64 v[46:47], 2, v[0:1]
	s_cbranch_vccnz .LBB75_268
; %bb.267:
	v_add_co_u32 v52, vcc_lo, v50, v46
	v_add_co_ci_u32_e64 v53, null, v51, v47, vcc_lo
	global_load_dword v52, v[52:53], off
	s_waitcnt vmcnt(0)
	v_mul_f32_e32 v52, s19, v52
	s_branch .LBB75_269
.LBB75_268:
	v_mov_b32_e32 v52, 0
.LBB75_269:
	v_add_f32_e32 v53, v35, v43
	v_add_f32_e32 v54, v34, v42
	;; [unrolled: 1-line block ×4, first 2 shown]
	v_add_co_u32 v46, vcc_lo, v48, v46
	v_min3_f32 v53, v54, v53, v105
	v_add_co_ci_u32_e64 v47, null, v49, v47, vcc_lo
	v_min_f32_e32 v54, v56, v55
	v_min3_f32 v52, v52, v54, v53
	global_store_dword v[46:47], v52, off
	s_or_b32 exec_lo, exec_lo, s11
	s_and_b32 s12, s1, s8
	s_and_saveexec_b32 s11, s12
	s_cbranch_execz .LBB75_260
.LBB75_270:
	v_cmp_ne_u32_e32 vcc_lo, 1, v123
	v_lshlrev_b64 v[46:47], 2, v[66:67]
	s_cbranch_vccnz .LBB75_272
; %bb.271:
	v_add_co_u32 v52, vcc_lo, v50, v46
	v_add_co_ci_u32_e64 v53, null, v51, v47, vcc_lo
	global_load_dword v52, v[52:53], off
	s_waitcnt vmcnt(0)
	v_mul_f32_e32 v52, s19, v52
	s_branch .LBB75_273
.LBB75_272:
	v_mov_b32_e32 v52, 0
.LBB75_273:
	v_add_f32_e32 v53, v31, v43
	v_add_f32_e32 v54, v30, v42
	;; [unrolled: 1-line block ×4, first 2 shown]
	v_add_co_u32 v46, vcc_lo, v48, v46
	v_min3_f32 v53, v54, v53, v104
	v_add_co_ci_u32_e64 v47, null, v49, v47, vcc_lo
	v_min_f32_e32 v54, v56, v55
	v_min3_f32 v52, v52, v54, v53
	global_store_dword v[46:47], v52, off
	s_or_b32 exec_lo, exec_lo, s11
	s_and_b32 s12, s2, s8
	s_and_saveexec_b32 s11, s12
	s_cbranch_execz .LBB75_261
.LBB75_274:
	v_cmp_ne_u32_e32 vcc_lo, 1, v123
	v_lshlrev_b64 v[46:47], 2, v[68:69]
	s_cbranch_vccnz .LBB75_276
; %bb.275:
	v_add_co_u32 v52, vcc_lo, v50, v46
	v_add_co_ci_u32_e64 v53, null, v51, v47, vcc_lo
	global_load_dword v52, v[52:53], off
	s_waitcnt vmcnt(0)
	v_mul_f32_e32 v52, s19, v52
	s_branch .LBB75_277
.LBB75_276:
	v_mov_b32_e32 v52, 0
.LBB75_277:
	v_add_f32_e32 v53, v27, v43
	v_add_f32_e32 v54, v26, v42
	;; [unrolled: 1-line block ×4, first 2 shown]
	v_add_co_u32 v46, vcc_lo, v48, v46
	v_min3_f32 v53, v54, v53, v103
	v_add_co_ci_u32_e64 v47, null, v49, v47, vcc_lo
	v_min_f32_e32 v54, v56, v55
	v_min3_f32 v52, v52, v54, v53
	global_store_dword v[46:47], v52, off
	s_or_b32 exec_lo, exec_lo, s11
	s_and_b32 s12, s3, s8
	s_and_saveexec_b32 s11, s12
	s_cbranch_execz .LBB75_262
.LBB75_278:
	v_cmp_ne_u32_e32 vcc_lo, 1, v123
	v_lshlrev_b64 v[46:47], 2, v[70:71]
	s_cbranch_vccnz .LBB75_280
; %bb.279:
	v_add_co_u32 v52, vcc_lo, v50, v46
	v_add_co_ci_u32_e64 v53, null, v51, v47, vcc_lo
	global_load_dword v52, v[52:53], off
	s_waitcnt vmcnt(0)
	v_mul_f32_e32 v52, s19, v52
	s_branch .LBB75_281
.LBB75_280:
	v_mov_b32_e32 v52, 0
.LBB75_281:
	v_add_f32_e32 v53, v23, v43
	v_add_f32_e32 v54, v22, v42
	;; [unrolled: 1-line block ×4, first 2 shown]
	v_add_co_u32 v46, vcc_lo, v48, v46
	v_min3_f32 v53, v54, v53, v102
	v_add_co_ci_u32_e64 v47, null, v49, v47, vcc_lo
	v_min_f32_e32 v54, v56, v55
	v_min3_f32 v52, v52, v54, v53
	global_store_dword v[46:47], v52, off
	s_or_b32 exec_lo, exec_lo, s11
	s_and_b32 s12, s4, s8
	s_and_saveexec_b32 s11, s12
	s_cbranch_execz .LBB75_263
.LBB75_282:
	v_cmp_ne_u32_e32 vcc_lo, 1, v123
	v_lshlrev_b64 v[46:47], 2, v[72:73]
	s_cbranch_vccnz .LBB75_284
; %bb.283:
	v_add_co_u32 v52, vcc_lo, v50, v46
	v_add_co_ci_u32_e64 v53, null, v51, v47, vcc_lo
	global_load_dword v52, v[52:53], off
	s_waitcnt vmcnt(0)
	v_mul_f32_e32 v52, s19, v52
	s_branch .LBB75_285
.LBB75_284:
	v_mov_b32_e32 v52, 0
.LBB75_285:
	v_add_f32_e32 v53, v19, v43
	v_add_f32_e32 v54, v18, v42
	;; [unrolled: 1-line block ×4, first 2 shown]
	v_add_co_u32 v46, vcc_lo, v48, v46
	v_min3_f32 v53, v54, v53, v101
	v_add_co_ci_u32_e64 v47, null, v49, v47, vcc_lo
	v_min_f32_e32 v54, v56, v55
	v_min3_f32 v52, v52, v54, v53
	global_store_dword v[46:47], v52, off
	s_or_b32 exec_lo, exec_lo, s11
	s_and_b32 s12, s5, s8
	s_and_saveexec_b32 s11, s12
	s_cbranch_execz .LBB75_264
.LBB75_286:
	v_cmp_ne_u32_e32 vcc_lo, 1, v123
	v_lshlrev_b64 v[46:47], 2, v[74:75]
	s_cbranch_vccnz .LBB75_288
; %bb.287:
	v_add_co_u32 v52, vcc_lo, v50, v46
	v_add_co_ci_u32_e64 v53, null, v51, v47, vcc_lo
	global_load_dword v52, v[52:53], off
	s_waitcnt vmcnt(0)
	v_mul_f32_e32 v52, s19, v52
	s_branch .LBB75_289
.LBB75_288:
	v_mov_b32_e32 v52, 0
.LBB75_289:
	v_add_f32_e32 v53, v15, v43
	v_add_f32_e32 v54, v14, v42
	;; [unrolled: 1-line block ×4, first 2 shown]
	v_add_co_u32 v46, vcc_lo, v48, v46
	v_min3_f32 v53, v54, v53, v100
	v_add_co_ci_u32_e64 v47, null, v49, v47, vcc_lo
	v_min_f32_e32 v54, v56, v55
	v_min3_f32 v52, v52, v54, v53
	global_store_dword v[46:47], v52, off
	s_or_b32 exec_lo, exec_lo, s11
	s_and_b32 s12, s6, s8
	s_and_saveexec_b32 s11, s12
	s_cbranch_execz .LBB75_265
.LBB75_290:
	v_cmp_ne_u32_e32 vcc_lo, 1, v123
	v_lshlrev_b64 v[46:47], 2, v[76:77]
	s_cbranch_vccnz .LBB75_292
; %bb.291:
	v_add_co_u32 v52, vcc_lo, v50, v46
	v_add_co_ci_u32_e64 v53, null, v51, v47, vcc_lo
	global_load_dword v52, v[52:53], off
	s_waitcnt vmcnt(0)
	v_mul_f32_e32 v52, s19, v52
	s_branch .LBB75_293
.LBB75_292:
	v_mov_b32_e32 v52, 0
.LBB75_293:
	v_add_f32_e32 v53, v11, v43
	v_add_f32_e32 v54, v10, v42
	;; [unrolled: 1-line block ×4, first 2 shown]
	v_add_co_u32 v46, vcc_lo, v48, v46
	v_min3_f32 v53, v54, v53, v99
	v_add_co_ci_u32_e64 v47, null, v49, v47, vcc_lo
	v_min_f32_e32 v54, v56, v55
	v_min3_f32 v52, v52, v54, v53
	global_store_dword v[46:47], v52, off
	s_or_b32 exec_lo, exec_lo, s11
	s_and_b32 s11, s7, s8
	s_and_saveexec_b32 s8, s11
	s_cbranch_execz .LBB75_298
.LBB75_294:
	v_cmp_ne_u32_e32 vcc_lo, 1, v123
	v_lshlrev_b64 v[46:47], 2, v[78:79]
	s_cbranch_vccnz .LBB75_296
; %bb.295:
	v_add_co_u32 v50, vcc_lo, v50, v46
	v_add_co_ci_u32_e64 v51, null, v51, v47, vcc_lo
	global_load_dword v50, v[50:51], off
	s_waitcnt vmcnt(0)
	v_mul_f32_e32 v50, s19, v50
	s_branch .LBB75_297
.LBB75_296:
	v_mov_b32_e32 v50, 0
.LBB75_297:
	v_add_f32_e32 v43, v3, v43
	v_add_f32_e32 v42, v2, v42
	;; [unrolled: 1-line block ×4, first 2 shown]
	v_min3_f32 v42, v42, v43, v98
	v_min_f32_e32 v43, v44, v45
	v_min3_f32 v44, v50, v43, v42
	v_add_co_u32 v42, vcc_lo, v48, v46
	v_add_co_ci_u32_e64 v43, null, v49, v47, vcc_lo
	global_store_dword v[42:43], v44, off
.LBB75_298:
	s_or_b32 exec_lo, exec_lo, s8
	v_add_nc_u32_e32 v46, 0xc0, v132
	v_mad_i64_i32 v[42:43], null, v46, s15, 0
	v_mad_i64_i32 v[44:45], null, v46, s14, 0
	v_cmp_gt_i32_e64 s8, s13, v46
	v_lshlrev_b64 v[42:43], 2, v[42:43]
	s_and_b32 s12, s0, s8
	v_lshlrev_b64 v[44:45], 2, v[44:45]
	v_add_co_u32 v46, vcc_lo, s16, v42
	v_add_co_ci_u32_e64 v47, null, s17, v43, vcc_lo
	v_add_co_u32 v44, vcc_lo, s9, v44
	v_add_co_ci_u32_e64 v45, null, s10, v45, vcc_lo
	s_and_saveexec_b32 s11, s12
	s_cbranch_execnz .LBB75_306
; %bb.299:
	s_or_b32 exec_lo, exec_lo, s11
	s_and_b32 s12, s1, s8
	s_and_saveexec_b32 s11, s12
	s_cbranch_execnz .LBB75_310
.LBB75_300:
	s_or_b32 exec_lo, exec_lo, s11
	s_and_b32 s12, s2, s8
	s_and_saveexec_b32 s11, s12
	s_cbranch_execnz .LBB75_314
.LBB75_301:
	s_or_b32 exec_lo, exec_lo, s11
	s_and_b32 s12, s3, s8
	s_and_saveexec_b32 s11, s12
	s_cbranch_execnz .LBB75_318
.LBB75_302:
	s_or_b32 exec_lo, exec_lo, s11
	s_and_b32 s12, s4, s8
	s_and_saveexec_b32 s11, s12
	s_cbranch_execnz .LBB75_322
.LBB75_303:
	s_or_b32 exec_lo, exec_lo, s11
	s_and_b32 s12, s5, s8
	s_and_saveexec_b32 s11, s12
	s_cbranch_execnz .LBB75_326
.LBB75_304:
	s_or_b32 exec_lo, exec_lo, s11
	s_and_b32 s12, s6, s8
	s_and_saveexec_b32 s11, s12
	s_cbranch_execnz .LBB75_330
.LBB75_305:
	s_or_b32 exec_lo, exec_lo, s11
	s_and_b32 s11, s7, s8
	s_and_saveexec_b32 s8, s11
	s_cbranch_execnz .LBB75_334
	s_branch .LBB75_338
.LBB75_306:
	v_cmp_ne_u32_e32 vcc_lo, 1, v123
	v_lshlrev_b64 v[42:43], 2, v[0:1]
	s_cbranch_vccnz .LBB75_308
; %bb.307:
	v_add_co_u32 v48, vcc_lo, v46, v42
	v_add_co_ci_u32_e64 v49, null, v47, v43, vcc_lo
	global_load_dword v48, v[48:49], off
	s_waitcnt vmcnt(0)
	v_mul_f32_e32 v48, s19, v48
	s_branch .LBB75_309
.LBB75_308:
	v_mov_b32_e32 v48, 0
.LBB75_309:
	v_add_f32_e32 v49, v35, v39
	v_add_f32_e32 v50, v34, v38
	;; [unrolled: 1-line block ×4, first 2 shown]
	v_add_co_u32 v42, vcc_lo, v44, v42
	v_min3_f32 v49, v50, v49, v97
	v_add_co_ci_u32_e64 v43, null, v45, v43, vcc_lo
	v_min_f32_e32 v50, v52, v51
	v_min3_f32 v48, v48, v50, v49
	global_store_dword v[42:43], v48, off
	s_or_b32 exec_lo, exec_lo, s11
	s_and_b32 s12, s1, s8
	s_and_saveexec_b32 s11, s12
	s_cbranch_execz .LBB75_300
.LBB75_310:
	v_cmp_ne_u32_e32 vcc_lo, 1, v123
	v_lshlrev_b64 v[42:43], 2, v[66:67]
	s_cbranch_vccnz .LBB75_312
; %bb.311:
	v_add_co_u32 v48, vcc_lo, v46, v42
	v_add_co_ci_u32_e64 v49, null, v47, v43, vcc_lo
	global_load_dword v48, v[48:49], off
	s_waitcnt vmcnt(0)
	v_mul_f32_e32 v48, s19, v48
	s_branch .LBB75_313
.LBB75_312:
	v_mov_b32_e32 v48, 0
.LBB75_313:
	v_add_f32_e32 v49, v31, v39
	v_add_f32_e32 v50, v30, v38
	;; [unrolled: 1-line block ×4, first 2 shown]
	v_add_co_u32 v42, vcc_lo, v44, v42
	v_min3_f32 v49, v50, v49, v96
	v_add_co_ci_u32_e64 v43, null, v45, v43, vcc_lo
	v_min_f32_e32 v50, v52, v51
	v_min3_f32 v48, v48, v50, v49
	global_store_dword v[42:43], v48, off
	s_or_b32 exec_lo, exec_lo, s11
	s_and_b32 s12, s2, s8
	s_and_saveexec_b32 s11, s12
	s_cbranch_execz .LBB75_301
.LBB75_314:
	v_cmp_ne_u32_e32 vcc_lo, 1, v123
	v_lshlrev_b64 v[42:43], 2, v[68:69]
	s_cbranch_vccnz .LBB75_316
; %bb.315:
	v_add_co_u32 v48, vcc_lo, v46, v42
	v_add_co_ci_u32_e64 v49, null, v47, v43, vcc_lo
	global_load_dword v48, v[48:49], off
	s_waitcnt vmcnt(0)
	v_mul_f32_e32 v48, s19, v48
	s_branch .LBB75_317
.LBB75_316:
	v_mov_b32_e32 v48, 0
.LBB75_317:
	v_add_f32_e32 v49, v27, v39
	v_add_f32_e32 v50, v26, v38
	;; [unrolled: 1-line block ×4, first 2 shown]
	v_add_co_u32 v42, vcc_lo, v44, v42
	v_min3_f32 v49, v50, v49, v95
	v_add_co_ci_u32_e64 v43, null, v45, v43, vcc_lo
	v_min_f32_e32 v50, v52, v51
	v_min3_f32 v48, v48, v50, v49
	global_store_dword v[42:43], v48, off
	s_or_b32 exec_lo, exec_lo, s11
	s_and_b32 s12, s3, s8
	s_and_saveexec_b32 s11, s12
	s_cbranch_execz .LBB75_302
.LBB75_318:
	v_cmp_ne_u32_e32 vcc_lo, 1, v123
	v_lshlrev_b64 v[42:43], 2, v[70:71]
	s_cbranch_vccnz .LBB75_320
; %bb.319:
	v_add_co_u32 v48, vcc_lo, v46, v42
	v_add_co_ci_u32_e64 v49, null, v47, v43, vcc_lo
	global_load_dword v48, v[48:49], off
	s_waitcnt vmcnt(0)
	v_mul_f32_e32 v48, s19, v48
	s_branch .LBB75_321
.LBB75_320:
	v_mov_b32_e32 v48, 0
.LBB75_321:
	v_add_f32_e32 v49, v23, v39
	v_add_f32_e32 v50, v22, v38
	;; [unrolled: 1-line block ×4, first 2 shown]
	v_add_co_u32 v42, vcc_lo, v44, v42
	v_min3_f32 v49, v50, v49, v94
	v_add_co_ci_u32_e64 v43, null, v45, v43, vcc_lo
	v_min_f32_e32 v50, v52, v51
	v_min3_f32 v48, v48, v50, v49
	global_store_dword v[42:43], v48, off
	s_or_b32 exec_lo, exec_lo, s11
	s_and_b32 s12, s4, s8
	s_and_saveexec_b32 s11, s12
	s_cbranch_execz .LBB75_303
.LBB75_322:
	v_cmp_ne_u32_e32 vcc_lo, 1, v123
	v_lshlrev_b64 v[42:43], 2, v[72:73]
	s_cbranch_vccnz .LBB75_324
; %bb.323:
	v_add_co_u32 v48, vcc_lo, v46, v42
	v_add_co_ci_u32_e64 v49, null, v47, v43, vcc_lo
	global_load_dword v48, v[48:49], off
	s_waitcnt vmcnt(0)
	v_mul_f32_e32 v48, s19, v48
	s_branch .LBB75_325
.LBB75_324:
	v_mov_b32_e32 v48, 0
.LBB75_325:
	v_add_f32_e32 v49, v19, v39
	v_add_f32_e32 v50, v18, v38
	;; [unrolled: 1-line block ×4, first 2 shown]
	v_add_co_u32 v42, vcc_lo, v44, v42
	v_min3_f32 v49, v50, v49, v93
	v_add_co_ci_u32_e64 v43, null, v45, v43, vcc_lo
	v_min_f32_e32 v50, v52, v51
	v_min3_f32 v48, v48, v50, v49
	global_store_dword v[42:43], v48, off
	s_or_b32 exec_lo, exec_lo, s11
	s_and_b32 s12, s5, s8
	s_and_saveexec_b32 s11, s12
	s_cbranch_execz .LBB75_304
.LBB75_326:
	v_cmp_ne_u32_e32 vcc_lo, 1, v123
	v_lshlrev_b64 v[42:43], 2, v[74:75]
	s_cbranch_vccnz .LBB75_328
; %bb.327:
	v_add_co_u32 v48, vcc_lo, v46, v42
	v_add_co_ci_u32_e64 v49, null, v47, v43, vcc_lo
	global_load_dword v48, v[48:49], off
	s_waitcnt vmcnt(0)
	v_mul_f32_e32 v48, s19, v48
	s_branch .LBB75_329
.LBB75_328:
	v_mov_b32_e32 v48, 0
.LBB75_329:
	v_add_f32_e32 v49, v15, v39
	v_add_f32_e32 v50, v14, v38
	;; [unrolled: 1-line block ×4, first 2 shown]
	v_add_co_u32 v42, vcc_lo, v44, v42
	v_min3_f32 v49, v50, v49, v91
	v_add_co_ci_u32_e64 v43, null, v45, v43, vcc_lo
	v_min_f32_e32 v50, v52, v51
	v_min3_f32 v48, v48, v50, v49
	global_store_dword v[42:43], v48, off
	s_or_b32 exec_lo, exec_lo, s11
	s_and_b32 s12, s6, s8
	s_and_saveexec_b32 s11, s12
	s_cbranch_execz .LBB75_305
.LBB75_330:
	v_cmp_ne_u32_e32 vcc_lo, 1, v123
	v_lshlrev_b64 v[42:43], 2, v[76:77]
	s_cbranch_vccnz .LBB75_332
; %bb.331:
	v_add_co_u32 v48, vcc_lo, v46, v42
	v_add_co_ci_u32_e64 v49, null, v47, v43, vcc_lo
	global_load_dword v48, v[48:49], off
	s_waitcnt vmcnt(0)
	v_mul_f32_e32 v48, s19, v48
	s_branch .LBB75_333
.LBB75_332:
	v_mov_b32_e32 v48, 0
.LBB75_333:
	v_add_f32_e32 v49, v11, v39
	v_add_f32_e32 v50, v10, v38
	;; [unrolled: 1-line block ×4, first 2 shown]
	v_add_co_u32 v42, vcc_lo, v44, v42
	v_min3_f32 v49, v50, v49, v90
	v_add_co_ci_u32_e64 v43, null, v45, v43, vcc_lo
	v_min_f32_e32 v50, v52, v51
	v_min3_f32 v48, v48, v50, v49
	global_store_dword v[42:43], v48, off
	s_or_b32 exec_lo, exec_lo, s11
	s_and_b32 s11, s7, s8
	s_and_saveexec_b32 s8, s11
	s_cbranch_execz .LBB75_338
.LBB75_334:
	v_cmp_ne_u32_e32 vcc_lo, 1, v123
	v_lshlrev_b64 v[42:43], 2, v[78:79]
	s_cbranch_vccnz .LBB75_336
; %bb.335:
	v_add_co_u32 v46, vcc_lo, v46, v42
	v_add_co_ci_u32_e64 v47, null, v47, v43, vcc_lo
	global_load_dword v46, v[46:47], off
	s_waitcnt vmcnt(0)
	v_mul_f32_e32 v46, s19, v46
	s_branch .LBB75_337
.LBB75_336:
	v_mov_b32_e32 v46, 0
.LBB75_337:
	v_add_f32_e32 v39, v3, v39
	v_add_f32_e32 v38, v2, v38
	v_add_f32_e32 v41, v5, v41
	v_add_f32_e32 v40, v4, v40
	v_min3_f32 v38, v38, v39, v89
	v_min_f32_e32 v39, v40, v41
	v_min3_f32 v40, v46, v39, v38
	v_add_co_u32 v38, vcc_lo, v44, v42
	v_add_co_ci_u32_e64 v39, null, v45, v43, vcc_lo
	global_store_dword v[38:39], v40, off
.LBB75_338:
	s_or_b32 exec_lo, exec_lo, s8
	v_add_nc_u32_e32 v42, 0xe0, v132
	v_mad_i64_i32 v[38:39], null, v42, s15, 0
	v_mad_i64_i32 v[40:41], null, v42, s14, 0
	v_cmp_gt_i32_e64 s8, s13, v42
	v_lshlrev_b64 v[38:39], 2, v[38:39]
	v_lshlrev_b64 v[42:43], 2, v[40:41]
	v_add_co_u32 v40, vcc_lo, s16, v38
	v_add_co_ci_u32_e64 v41, null, s17, v39, vcc_lo
	v_add_co_u32 v38, vcc_lo, s9, v42
	v_add_co_ci_u32_e64 v39, null, s10, v43, vcc_lo
	s_and_b32 s9, s0, s8
	s_and_saveexec_b32 s0, s9
	s_cbranch_execnz .LBB75_347
; %bb.339:
	s_or_b32 exec_lo, exec_lo, s0
	s_and_b32 s1, s1, s8
	s_and_saveexec_b32 s0, s1
	s_cbranch_execnz .LBB75_351
.LBB75_340:
	s_or_b32 exec_lo, exec_lo, s0
	s_and_b32 s1, s2, s8
	s_and_saveexec_b32 s0, s1
	s_cbranch_execnz .LBB75_355
.LBB75_341:
	s_or_b32 exec_lo, exec_lo, s0
	s_and_b32 s1, s3, s8
	s_and_saveexec_b32 s0, s1
	s_cbranch_execnz .LBB75_359
.LBB75_342:
	s_or_b32 exec_lo, exec_lo, s0
	s_and_b32 s1, s4, s8
	s_and_saveexec_b32 s0, s1
	s_cbranch_execnz .LBB75_363
.LBB75_343:
	s_or_b32 exec_lo, exec_lo, s0
	s_and_b32 s1, s5, s8
	s_and_saveexec_b32 s0, s1
	s_cbranch_execnz .LBB75_367
.LBB75_344:
	s_or_b32 exec_lo, exec_lo, s0
	s_and_b32 s1, s6, s8
	s_and_saveexec_b32 s0, s1
	s_cbranch_execnz .LBB75_371
.LBB75_345:
	s_or_b32 exec_lo, exec_lo, s0
	s_and_b32 s0, s7, s8
	s_and_saveexec_b32 s1, s0
	s_cbranch_execnz .LBB75_375
.LBB75_346:
	s_endpgm
.LBB75_347:
	v_cmp_ne_u32_e32 vcc_lo, 1, v123
	v_lshlrev_b64 v[0:1], 2, v[0:1]
	s_cbranch_vccnz .LBB75_349
; %bb.348:
	v_add_co_u32 v42, vcc_lo, v40, v0
	v_add_co_ci_u32_e64 v43, null, v41, v1, vcc_lo
	global_load_dword v42, v[42:43], off
	s_waitcnt vmcnt(0)
	v_mul_f32_e32 v42, s19, v42
	s_branch .LBB75_350
.LBB75_349:
	v_mov_b32_e32 v42, 0
.LBB75_350:
	v_add_f32_e32 v35, v35, v7
	v_add_f32_e32 v34, v34, v6
	;; [unrolled: 1-line block ×4, first 2 shown]
	v_add_co_u32 v0, vcc_lo, v38, v0
	v_min3_f32 v34, v34, v35, v88
	v_add_co_ci_u32_e64 v1, null, v39, v1, vcc_lo
	v_min_f32_e32 v35, v36, v37
	v_min3_f32 v34, v42, v35, v34
	global_store_dword v[0:1], v34, off
	s_or_b32 exec_lo, exec_lo, s0
	s_and_b32 s1, s1, s8
	s_and_saveexec_b32 s0, s1
	s_cbranch_execz .LBB75_340
.LBB75_351:
	v_cmp_ne_u32_e32 vcc_lo, 1, v123
	v_lshlrev_b64 v[0:1], 2, v[66:67]
	s_cbranch_vccnz .LBB75_353
; %bb.352:
	v_add_co_u32 v34, vcc_lo, v40, v0
	v_add_co_ci_u32_e64 v35, null, v41, v1, vcc_lo
	global_load_dword v34, v[34:35], off
	s_waitcnt vmcnt(0)
	v_mul_f32_e32 v34, s19, v34
	s_branch .LBB75_354
.LBB75_353:
	v_mov_b32_e32 v34, 0
.LBB75_354:
	v_add_f32_e32 v31, v31, v7
	v_add_f32_e32 v30, v30, v6
	;; [unrolled: 1-line block ×4, first 2 shown]
	v_add_co_u32 v0, vcc_lo, v38, v0
	v_min3_f32 v30, v30, v31, v87
	v_add_co_ci_u32_e64 v1, null, v39, v1, vcc_lo
	v_min_f32_e32 v31, v32, v33
	v_min3_f32 v30, v34, v31, v30
	global_store_dword v[0:1], v30, off
	s_or_b32 exec_lo, exec_lo, s0
	s_and_b32 s1, s2, s8
	s_and_saveexec_b32 s0, s1
	s_cbranch_execz .LBB75_341
.LBB75_355:
	v_cmp_ne_u32_e32 vcc_lo, 1, v123
	v_lshlrev_b64 v[0:1], 2, v[68:69]
	s_cbranch_vccnz .LBB75_357
; %bb.356:
	v_add_co_u32 v30, vcc_lo, v40, v0
	v_add_co_ci_u32_e64 v31, null, v41, v1, vcc_lo
	global_load_dword v30, v[30:31], off
	s_waitcnt vmcnt(0)
	v_mul_f32_e32 v30, s19, v30
	s_branch .LBB75_358
.LBB75_357:
	v_mov_b32_e32 v30, 0
.LBB75_358:
	v_add_f32_e32 v27, v27, v7
	v_add_f32_e32 v26, v26, v6
	;; [unrolled: 1-line block ×4, first 2 shown]
	v_add_co_u32 v0, vcc_lo, v38, v0
	v_min3_f32 v26, v26, v27, v86
	v_add_co_ci_u32_e64 v1, null, v39, v1, vcc_lo
	v_min_f32_e32 v27, v28, v29
	v_min3_f32 v26, v30, v27, v26
	global_store_dword v[0:1], v26, off
	s_or_b32 exec_lo, exec_lo, s0
	s_and_b32 s1, s3, s8
	s_and_saveexec_b32 s0, s1
	s_cbranch_execz .LBB75_342
.LBB75_359:
	v_cmp_ne_u32_e32 vcc_lo, 1, v123
	v_lshlrev_b64 v[0:1], 2, v[70:71]
	s_cbranch_vccnz .LBB75_361
; %bb.360:
	v_add_co_u32 v26, vcc_lo, v40, v0
	v_add_co_ci_u32_e64 v27, null, v41, v1, vcc_lo
	global_load_dword v26, v[26:27], off
	s_waitcnt vmcnt(0)
	v_mul_f32_e32 v26, s19, v26
	s_branch .LBB75_362
.LBB75_361:
	v_mov_b32_e32 v26, 0
.LBB75_362:
	v_add_f32_e32 v23, v23, v7
	v_add_f32_e32 v22, v22, v6
	v_add_f32_e32 v25, v25, v9
	v_add_f32_e32 v24, v24, v8
	v_add_co_u32 v0, vcc_lo, v38, v0
	v_min3_f32 v22, v22, v23, v85
	v_add_co_ci_u32_e64 v1, null, v39, v1, vcc_lo
	v_min_f32_e32 v23, v24, v25
	v_min3_f32 v22, v26, v23, v22
	global_store_dword v[0:1], v22, off
	s_or_b32 exec_lo, exec_lo, s0
	s_and_b32 s1, s4, s8
	s_and_saveexec_b32 s0, s1
	s_cbranch_execz .LBB75_343
.LBB75_363:
	v_cmp_ne_u32_e32 vcc_lo, 1, v123
	v_lshlrev_b64 v[0:1], 2, v[72:73]
	s_cbranch_vccnz .LBB75_365
; %bb.364:
	v_add_co_u32 v22, vcc_lo, v40, v0
	v_add_co_ci_u32_e64 v23, null, v41, v1, vcc_lo
	global_load_dword v22, v[22:23], off
	s_waitcnt vmcnt(0)
	v_mul_f32_e32 v22, s19, v22
	s_branch .LBB75_366
.LBB75_365:
	v_mov_b32_e32 v22, 0
.LBB75_366:
	v_add_f32_e32 v19, v19, v7
	v_add_f32_e32 v18, v18, v6
	;; [unrolled: 1-line block ×4, first 2 shown]
	v_add_co_u32 v0, vcc_lo, v38, v0
	v_min3_f32 v18, v18, v19, v84
	v_add_co_ci_u32_e64 v1, null, v39, v1, vcc_lo
	v_min_f32_e32 v19, v20, v21
	v_min3_f32 v18, v22, v19, v18
	global_store_dword v[0:1], v18, off
	s_or_b32 exec_lo, exec_lo, s0
	s_and_b32 s1, s5, s8
	s_and_saveexec_b32 s0, s1
	s_cbranch_execz .LBB75_344
.LBB75_367:
	v_cmp_ne_u32_e32 vcc_lo, 1, v123
	v_lshlrev_b64 v[0:1], 2, v[74:75]
	s_cbranch_vccnz .LBB75_369
; %bb.368:
	v_add_co_u32 v18, vcc_lo, v40, v0
	v_add_co_ci_u32_e64 v19, null, v41, v1, vcc_lo
	global_load_dword v18, v[18:19], off
	s_waitcnt vmcnt(0)
	v_mul_f32_e32 v18, s19, v18
	s_branch .LBB75_370
.LBB75_369:
	v_mov_b32_e32 v18, 0
.LBB75_370:
	v_add_f32_e32 v15, v15, v7
	v_add_f32_e32 v14, v14, v6
	;; [unrolled: 1-line block ×4, first 2 shown]
	v_add_co_u32 v0, vcc_lo, v38, v0
	v_min3_f32 v14, v14, v15, v83
	v_add_co_ci_u32_e64 v1, null, v39, v1, vcc_lo
	v_min_f32_e32 v15, v16, v17
	v_min3_f32 v14, v18, v15, v14
	global_store_dword v[0:1], v14, off
	s_or_b32 exec_lo, exec_lo, s0
	s_and_b32 s1, s6, s8
	s_and_saveexec_b32 s0, s1
	s_cbranch_execz .LBB75_345
.LBB75_371:
	v_cmp_ne_u32_e32 vcc_lo, 1, v123
	v_lshlrev_b64 v[0:1], 2, v[76:77]
	s_cbranch_vccnz .LBB75_373
; %bb.372:
	v_add_co_u32 v14, vcc_lo, v40, v0
	v_add_co_ci_u32_e64 v15, null, v41, v1, vcc_lo
	global_load_dword v14, v[14:15], off
	s_waitcnt vmcnt(0)
	v_mul_f32_e32 v14, s19, v14
	s_branch .LBB75_374
.LBB75_373:
	v_mov_b32_e32 v14, 0
.LBB75_374:
	v_add_f32_e32 v11, v11, v7
	v_add_f32_e32 v10, v10, v6
	;; [unrolled: 1-line block ×4, first 2 shown]
	v_add_co_u32 v0, vcc_lo, v38, v0
	v_min3_f32 v10, v10, v11, v82
	v_add_co_ci_u32_e64 v1, null, v39, v1, vcc_lo
	v_min_f32_e32 v11, v12, v13
	v_min3_f32 v10, v14, v11, v10
	global_store_dword v[0:1], v10, off
	s_or_b32 exec_lo, exec_lo, s0
	s_and_b32 s0, s7, s8
	s_and_saveexec_b32 s1, s0
	s_cbranch_execz .LBB75_346
.LBB75_375:
	v_cmp_ne_u32_e32 vcc_lo, 1, v123
	v_lshlrev_b64 v[0:1], 2, v[78:79]
	s_cbranch_vccnz .LBB75_377
; %bb.376:
	v_add_co_u32 v10, vcc_lo, v40, v0
	v_add_co_ci_u32_e64 v11, null, v41, v1, vcc_lo
	global_load_dword v10, v[10:11], off
	s_waitcnt vmcnt(0)
	v_mul_f32_e32 v10, s19, v10
	s_branch .LBB75_378
.LBB75_377:
	v_mov_b32_e32 v10, 0
.LBB75_378:
	v_add_f32_e32 v3, v3, v7
	v_add_f32_e32 v2, v2, v6
	;; [unrolled: 1-line block ×4, first 2 shown]
	v_add_co_u32 v0, vcc_lo, v38, v0
	v_min3_f32 v2, v2, v3, v92
	v_add_co_ci_u32_e64 v1, null, v39, v1, vcc_lo
	v_min_f32_e32 v3, v4, v5
	v_min3_f32 v2, v10, v3, v2
	global_store_dword v[0:1], v2, off
	s_endpgm
	.section	.rodata,"a",@progbits
	.p2align	6, 0x0
	.amdhsa_kernel _ZN12_GLOBAL__N_120geam_min_plus_kernelIf15HIP_vector_typeIfLj2EEfLi8ELi32ELi64ELi256ELi4ELi4ELi64ELi64ELi4ELc84ELc84ELb0ELb1ELb1EPKfS3_fEEviiiT16_PT17_ilS7_ilS5_S7_ilPT18_ili26rocblas_geam_ex_operation_
		.amdhsa_group_segment_fixed_size 10240
		.amdhsa_private_segment_fixed_size 0
		.amdhsa_kernarg_size 136
		.amdhsa_user_sgpr_count 6
		.amdhsa_user_sgpr_private_segment_buffer 1
		.amdhsa_user_sgpr_dispatch_ptr 0
		.amdhsa_user_sgpr_queue_ptr 0
		.amdhsa_user_sgpr_kernarg_segment_ptr 1
		.amdhsa_user_sgpr_dispatch_id 0
		.amdhsa_user_sgpr_flat_scratch_init 0
		.amdhsa_user_sgpr_private_segment_size 0
		.amdhsa_wavefront_size32 1
		.amdhsa_uses_dynamic_stack 0
		.amdhsa_system_sgpr_private_segment_wavefront_offset 0
		.amdhsa_system_sgpr_workgroup_id_x 1
		.amdhsa_system_sgpr_workgroup_id_y 0
		.amdhsa_system_sgpr_workgroup_id_z 1
		.amdhsa_system_sgpr_workgroup_info 0
		.amdhsa_system_vgpr_workitem_id 1
		.amdhsa_next_free_vgpr 158
		.amdhsa_next_free_sgpr 30
		.amdhsa_reserve_vcc 1
		.amdhsa_reserve_flat_scratch 0
		.amdhsa_float_round_mode_32 0
		.amdhsa_float_round_mode_16_64 0
		.amdhsa_float_denorm_mode_32 3
		.amdhsa_float_denorm_mode_16_64 3
		.amdhsa_dx10_clamp 1
		.amdhsa_ieee_mode 1
		.amdhsa_fp16_overflow 0
		.amdhsa_workgroup_processor_mode 1
		.amdhsa_memory_ordered 1
		.amdhsa_forward_progress 1
		.amdhsa_shared_vgpr_count 0
		.amdhsa_exception_fp_ieee_invalid_op 0
		.amdhsa_exception_fp_denorm_src 0
		.amdhsa_exception_fp_ieee_div_zero 0
		.amdhsa_exception_fp_ieee_overflow 0
		.amdhsa_exception_fp_ieee_underflow 0
		.amdhsa_exception_fp_ieee_inexact 0
		.amdhsa_exception_int_div_zero 0
	.end_amdhsa_kernel
	.section	.text._ZN12_GLOBAL__N_120geam_min_plus_kernelIf15HIP_vector_typeIfLj2EEfLi8ELi32ELi64ELi256ELi4ELi4ELi64ELi64ELi4ELc84ELc84ELb0ELb1ELb1EPKfS3_fEEviiiT16_PT17_ilS7_ilS5_S7_ilPT18_ili26rocblas_geam_ex_operation_,"axG",@progbits,_ZN12_GLOBAL__N_120geam_min_plus_kernelIf15HIP_vector_typeIfLj2EEfLi8ELi32ELi64ELi256ELi4ELi4ELi64ELi64ELi4ELc84ELc84ELb0ELb1ELb1EPKfS3_fEEviiiT16_PT17_ilS7_ilS5_S7_ilPT18_ili26rocblas_geam_ex_operation_,comdat
.Lfunc_end75:
	.size	_ZN12_GLOBAL__N_120geam_min_plus_kernelIf15HIP_vector_typeIfLj2EEfLi8ELi32ELi64ELi256ELi4ELi4ELi64ELi64ELi4ELc84ELc84ELb0ELb1ELb1EPKfS3_fEEviiiT16_PT17_ilS7_ilS5_S7_ilPT18_ili26rocblas_geam_ex_operation_, .Lfunc_end75-_ZN12_GLOBAL__N_120geam_min_plus_kernelIf15HIP_vector_typeIfLj2EEfLi8ELi32ELi64ELi256ELi4ELi4ELi64ELi64ELi4ELc84ELc84ELb0ELb1ELb1EPKfS3_fEEviiiT16_PT17_ilS7_ilS5_S7_ilPT18_ili26rocblas_geam_ex_operation_
                                        ; -- End function
	.set _ZN12_GLOBAL__N_120geam_min_plus_kernelIf15HIP_vector_typeIfLj2EEfLi8ELi32ELi64ELi256ELi4ELi4ELi64ELi64ELi4ELc84ELc84ELb0ELb1ELb1EPKfS3_fEEviiiT16_PT17_ilS7_ilS5_S7_ilPT18_ili26rocblas_geam_ex_operation_.num_vgpr, 158
	.set _ZN12_GLOBAL__N_120geam_min_plus_kernelIf15HIP_vector_typeIfLj2EEfLi8ELi32ELi64ELi256ELi4ELi4ELi64ELi64ELi4ELc84ELc84ELb0ELb1ELb1EPKfS3_fEEviiiT16_PT17_ilS7_ilS5_S7_ilPT18_ili26rocblas_geam_ex_operation_.num_agpr, 0
	.set _ZN12_GLOBAL__N_120geam_min_plus_kernelIf15HIP_vector_typeIfLj2EEfLi8ELi32ELi64ELi256ELi4ELi4ELi64ELi64ELi4ELc84ELc84ELb0ELb1ELb1EPKfS3_fEEviiiT16_PT17_ilS7_ilS5_S7_ilPT18_ili26rocblas_geam_ex_operation_.numbered_sgpr, 30
	.set _ZN12_GLOBAL__N_120geam_min_plus_kernelIf15HIP_vector_typeIfLj2EEfLi8ELi32ELi64ELi256ELi4ELi4ELi64ELi64ELi4ELc84ELc84ELb0ELb1ELb1EPKfS3_fEEviiiT16_PT17_ilS7_ilS5_S7_ilPT18_ili26rocblas_geam_ex_operation_.num_named_barrier, 0
	.set _ZN12_GLOBAL__N_120geam_min_plus_kernelIf15HIP_vector_typeIfLj2EEfLi8ELi32ELi64ELi256ELi4ELi4ELi64ELi64ELi4ELc84ELc84ELb0ELb1ELb1EPKfS3_fEEviiiT16_PT17_ilS7_ilS5_S7_ilPT18_ili26rocblas_geam_ex_operation_.private_seg_size, 0
	.set _ZN12_GLOBAL__N_120geam_min_plus_kernelIf15HIP_vector_typeIfLj2EEfLi8ELi32ELi64ELi256ELi4ELi4ELi64ELi64ELi4ELc84ELc84ELb0ELb1ELb1EPKfS3_fEEviiiT16_PT17_ilS7_ilS5_S7_ilPT18_ili26rocblas_geam_ex_operation_.uses_vcc, 1
	.set _ZN12_GLOBAL__N_120geam_min_plus_kernelIf15HIP_vector_typeIfLj2EEfLi8ELi32ELi64ELi256ELi4ELi4ELi64ELi64ELi4ELc84ELc84ELb0ELb1ELb1EPKfS3_fEEviiiT16_PT17_ilS7_ilS5_S7_ilPT18_ili26rocblas_geam_ex_operation_.uses_flat_scratch, 0
	.set _ZN12_GLOBAL__N_120geam_min_plus_kernelIf15HIP_vector_typeIfLj2EEfLi8ELi32ELi64ELi256ELi4ELi4ELi64ELi64ELi4ELc84ELc84ELb0ELb1ELb1EPKfS3_fEEviiiT16_PT17_ilS7_ilS5_S7_ilPT18_ili26rocblas_geam_ex_operation_.has_dyn_sized_stack, 0
	.set _ZN12_GLOBAL__N_120geam_min_plus_kernelIf15HIP_vector_typeIfLj2EEfLi8ELi32ELi64ELi256ELi4ELi4ELi64ELi64ELi4ELc84ELc84ELb0ELb1ELb1EPKfS3_fEEviiiT16_PT17_ilS7_ilS5_S7_ilPT18_ili26rocblas_geam_ex_operation_.has_recursion, 0
	.set _ZN12_GLOBAL__N_120geam_min_plus_kernelIf15HIP_vector_typeIfLj2EEfLi8ELi32ELi64ELi256ELi4ELi4ELi64ELi64ELi4ELc84ELc84ELb0ELb1ELb1EPKfS3_fEEviiiT16_PT17_ilS7_ilS5_S7_ilPT18_ili26rocblas_geam_ex_operation_.has_indirect_call, 0
	.section	.AMDGPU.csdata,"",@progbits
; Kernel info:
; codeLenInByte = 19596
; TotalNumSgprs: 32
; NumVgprs: 158
; ScratchSize: 0
; MemoryBound: 0
; FloatMode: 240
; IeeeMode: 1
; LDSByteSize: 10240 bytes/workgroup (compile time only)
; SGPRBlocks: 0
; VGPRBlocks: 19
; NumSGPRsForWavesPerEU: 32
; NumVGPRsForWavesPerEU: 158
; Occupancy: 6
; WaveLimiterHint : 0
; COMPUTE_PGM_RSRC2:SCRATCH_EN: 0
; COMPUTE_PGM_RSRC2:USER_SGPR: 6
; COMPUTE_PGM_RSRC2:TRAP_HANDLER: 0
; COMPUTE_PGM_RSRC2:TGID_X_EN: 1
; COMPUTE_PGM_RSRC2:TGID_Y_EN: 0
; COMPUTE_PGM_RSRC2:TGID_Z_EN: 1
; COMPUTE_PGM_RSRC2:TIDIG_COMP_CNT: 1
	.section	.text._ZN12_GLOBAL__N_120geam_min_plus_kernelIf15HIP_vector_typeIfLj2EEfLi8ELi32ELi64ELi256ELi4ELi4ELi64ELi64ELi4ELc84ELc84ELb1ELb1ELb1EfKffEEviiiT16_PT17_ilS6_ilS4_S6_ilPT18_ili26rocblas_geam_ex_operation_,"axG",@progbits,_ZN12_GLOBAL__N_120geam_min_plus_kernelIf15HIP_vector_typeIfLj2EEfLi8ELi32ELi64ELi256ELi4ELi4ELi64ELi64ELi4ELc84ELc84ELb1ELb1ELb1EfKffEEviiiT16_PT17_ilS6_ilS4_S6_ilPT18_ili26rocblas_geam_ex_operation_,comdat
	.globl	_ZN12_GLOBAL__N_120geam_min_plus_kernelIf15HIP_vector_typeIfLj2EEfLi8ELi32ELi64ELi256ELi4ELi4ELi64ELi64ELi4ELc84ELc84ELb1ELb1ELb1EfKffEEviiiT16_PT17_ilS6_ilS4_S6_ilPT18_ili26rocblas_geam_ex_operation_ ; -- Begin function _ZN12_GLOBAL__N_120geam_min_plus_kernelIf15HIP_vector_typeIfLj2EEfLi8ELi32ELi64ELi256ELi4ELi4ELi64ELi64ELi4ELc84ELc84ELb1ELb1ELb1EfKffEEviiiT16_PT17_ilS6_ilS4_S6_ilPT18_ili26rocblas_geam_ex_operation_
	.p2align	8
	.type	_ZN12_GLOBAL__N_120geam_min_plus_kernelIf15HIP_vector_typeIfLj2EEfLi8ELi32ELi64ELi256ELi4ELi4ELi64ELi64ELi4ELc84ELc84ELb1ELb1ELb1EfKffEEviiiT16_PT17_ilS6_ilS4_S6_ilPT18_ili26rocblas_geam_ex_operation_,@function
_ZN12_GLOBAL__N_120geam_min_plus_kernelIf15HIP_vector_typeIfLj2EEfLi8ELi32ELi64ELi256ELi4ELi4ELi64ELi64ELi4ELc84ELc84ELb1ELb1ELb1EfKffEEviiiT16_PT17_ilS6_ilS4_S6_ilPT18_ili26rocblas_geam_ex_operation_: ; @_ZN12_GLOBAL__N_120geam_min_plus_kernelIf15HIP_vector_typeIfLj2EEfLi8ELi32ELi64ELi256ELi4ELi4ELi64ELi64ELi4ELc84ELc84ELb1ELb1ELb1EfKffEEviiiT16_PT17_ilS6_ilS4_S6_ilPT18_ili26rocblas_geam_ex_operation_
; %bb.0:
	s_clause 0x1
	s_load_dwordx4 s[12:15], s[4:5], 0x0
	s_load_dwordx4 s[0:3], s[4:5], 0x20
	s_waitcnt lgkmcnt(0)
	v_cmp_eq_f32_e64 s8, s15, 0
	s_and_b32 vcc_lo, exec_lo, s8
	s_cbranch_vccnz .LBB76_53
; %bb.1:
	s_load_dwordx2 s[10:11], s[4:5], 0x10
	s_mul_i32 s1, s1, s7
	s_mul_hi_u32 s9, s0, s7
	s_mul_i32 s0, s0, s7
	s_add_i32 s1, s9, s1
	s_lshl_b64 s[0:1], s[0:1], 2
	s_waitcnt lgkmcnt(0)
	s_add_u32 s18, s10, s0
	s_addc_u32 s19, s11, s1
	s_andn2_b32 vcc_lo, exec_lo, s8
	s_mov_b32 s0, -1
	s_cbranch_vccnz .LBB76_3
.LBB76_2:
	s_mov_b32 s0, 0
.LBB76_3:
	s_mov_b64 s[16:17], 0
	s_andn2_b32 vcc_lo, exec_lo, s0
	s_mov_b64 s[20:21], 0
	s_cbranch_vccnz .LBB76_5
; %bb.4:
	s_load_dwordx2 s[0:1], s[4:5], 0x38
	s_waitcnt lgkmcnt(0)
	s_mul_i32 s1, s1, s7
	s_mul_hi_u32 s8, s0, s7
	s_mul_i32 s0, s0, s7
	s_add_i32 s1, s8, s1
	s_lshl_b64 s[0:1], s[0:1], 2
	s_add_u32 s20, s2, s0
	s_addc_u32 s21, s3, s1
.LBB76_5:
	s_clause 0x1
	s_load_dword s15, s[4:5], 0x40
	s_load_dwordx4 s[8:11], s[4:5], 0x58
	s_waitcnt lgkmcnt(0)
	v_cmp_eq_f32_e64 s0, s15, 0
	v_cmp_neq_f32_e64 s24, s15, 0
	s_and_b32 vcc_lo, exec_lo, s0
	s_cbranch_vccnz .LBB76_7
; %bb.6:
	s_load_dwordx2 s[0:1], s[4:5], 0x48
	s_mul_i32 s2, s9, s7
	s_mul_hi_u32 s3, s8, s7
	s_add_i32 s3, s3, s2
	s_mul_i32 s2, s8, s7
	s_lshl_b64 s[2:3], s[2:3], 2
	s_waitcnt lgkmcnt(0)
	s_add_u32 s16, s0, s2
	s_addc_u32 s17, s1, s3
.LBB76_7:
	s_add_i32 s0, s12, -1
	v_lshl_add_u32 v4, v1, 3, v0
	s_ashr_i32 s1, s0, 31
	s_load_dword s9, s[4:5], 0x18
	s_lshr_b32 s1, s1, 26
	v_and_b32_e32 v72, 3, v0
	s_add_i32 s0, s0, s1
	v_lshrrev_b32_e32 v69, 2, v4
	s_ashr_i32 s0, s0, 6
	v_mov_b32_e32 v3, 0x7f7fffff
	s_add_i32 s2, s0, 1
	s_not_b32 s0, s0
	v_cvt_f32_u32_e32 v2, s2
	v_cmp_gt_i32_e32 vcc_lo, s14, v72
	v_lshlrev_b32_e32 v68, 2, v72
	v_rcp_iflag_f32_e32 v2, v2
	v_mul_f32_e32 v2, 0x4f7ffffe, v2
	v_cvt_u32_f32_e32 v2, v2
	v_readfirstlane_b32 s1, v2
	v_mov_b32_e32 v2, 0x7f7fffff
	s_mul_i32 s0, s0, s1
	s_mul_hi_u32 s0, s1, s0
	s_add_i32 s1, s1, s0
	s_mul_hi_u32 s0, s6, s1
	s_mul_i32 s1, s0, s2
	s_add_i32 s3, s0, 1
	s_sub_i32 s1, s6, s1
	s_sub_i32 s8, s1, s2
	s_cmp_ge_u32 s1, s2
	s_cselect_b32 s0, s3, s0
	s_cselect_b32 s1, s8, s1
	s_add_i32 s3, s0, 1
	s_cmp_ge_u32 s1, s2
	s_cselect_b32 s1, s3, s0
	s_mul_i32 s28, s1, s2
	s_sub_i32 s0, s6, s28
	s_lshl_b32 s25, s0, 6
	v_add_nc_u32_e32 v7, s25, v69
	v_cmp_gt_i32_e64 s0, s12, v7
	v_cmp_le_i32_e64 s3, s12, v7
	s_and_b32 s2, vcc_lo, s0
	s_and_saveexec_b32 s0, s2
	s_cbranch_execz .LBB76_9
; %bb.8:
	s_waitcnt lgkmcnt(0)
	v_mad_i64_i32 v[5:6], null, v7, s9, 0
	v_lshlrev_b64 v[5:6], 2, v[5:6]
	v_add_co_u32 v3, vcc_lo, s18, v5
	v_add_co_ci_u32_e64 v6, null, s19, v6, vcc_lo
	v_add_co_u32 v5, vcc_lo, v3, v68
	v_add_co_ci_u32_e64 v6, null, 0, v6, vcc_lo
	global_load_dword v3, v[5:6], off
.LBB76_9:
	s_or_b32 exec_lo, exec_lo, s0
	s_load_dword s22, s[4:5], 0x30
	v_lshrrev_b32_e32 v73, 6, v4
	v_and_b32_e32 v4, 63, v4
	s_lshl_b32 s26, s1, 8
	v_cmp_le_i32_e64 s8, s14, v73
	v_or_b32_e32 v66, s26, v4
	v_cmp_le_i32_e32 vcc_lo, s13, v66
	v_ashrrev_i32_e32 v67, 31, v66
	s_waitcnt lgkmcnt(0)
	v_mad_i64_i32 v[5:6], null, s22, v73, 0
	v_lshlrev_b64 v[5:6], 2, v[5:6]
	v_add_co_u32 v9, s0, s20, v5
	v_add_co_ci_u32_e64 v10, null, s21, v6, s0
	s_nor_b32 s0, vcc_lo, s8
	s_and_saveexec_b32 s1, s0
	s_cbranch_execz .LBB76_11
; %bb.10:
	v_lshlrev_b64 v[5:6], 2, v[66:67]
	v_add_co_u32 v5, s0, v9, v5
	v_add_co_ci_u32_e64 v6, null, v10, v6, s0
	global_load_dword v2, v[5:6], off
.LBB76_11:
	s_or_b32 exec_lo, exec_lo, s1
	v_or_b32_e32 v5, 64, v66
	v_mov_b32_e32 v6, 0x7f7fffff
	v_cmp_le_i32_e64 s0, s13, v5
	v_mov_b32_e32 v5, 0x7f7fffff
	s_nor_b32 s1, s0, s8
	s_and_saveexec_b32 s2, s1
	s_cbranch_execz .LBB76_13
; %bb.12:
	v_lshlrev_b64 v[11:12], 2, v[66:67]
	v_add_co_u32 v11, s1, v9, v11
	v_add_co_ci_u32_e64 v12, null, v10, v12, s1
	global_load_dword v6, v[11:12], off offset:256
.LBB76_13:
	s_or_b32 exec_lo, exec_lo, s2
	v_or_b32_e32 v8, 0x80, v66
	s_ashr_i32 s23, s22, 31
	v_cmp_le_i32_e64 s1, s13, v8
	s_nor_b32 s2, s1, s8
	s_and_saveexec_b32 s27, s2
	s_cbranch_execz .LBB76_15
; %bb.14:
	v_lshlrev_b64 v[11:12], 2, v[66:67]
	v_add_co_u32 v11, s2, v9, v11
	v_add_co_ci_u32_e64 v12, null, v10, v12, s2
	global_load_dword v5, v[11:12], off offset:512
.LBB76_15:
	s_or_b32 exec_lo, exec_lo, s27
	v_or_b32_e32 v8, 0xc0, v66
	v_mov_b32_e32 v70, 0x7f7fffff
	v_cmp_le_i32_e64 s2, s13, v8
	v_mov_b32_e32 v8, 0x7f7fffff
	s_nor_b32 s8, s2, s8
	s_and_saveexec_b32 s27, s8
	s_cbranch_execz .LBB76_17
; %bb.16:
	v_lshlrev_b64 v[11:12], 2, v[66:67]
	v_add_co_u32 v8, s8, v9, v11
	v_add_co_ci_u32_e64 v9, null, v10, v12, s8
	global_load_dword v8, v[8:9], off offset:768
.LBB76_17:
	s_or_b32 exec_lo, exec_lo, s27
	v_or_b32_e32 v9, 4, v72
	s_xor_b32 s27, s3, -1
	v_cmp_gt_i32_e64 s8, s14, v9
	s_and_b32 s3, s8, s27
	s_and_saveexec_b32 s8, s3
	s_cbranch_execz .LBB76_19
; %bb.18:
	v_mad_i64_i32 v[9:10], null, v7, s9, 0
	v_lshlrev_b64 v[9:10], 2, v[9:10]
	v_add_co_u32 v7, s3, s18, v9
	v_add_co_ci_u32_e64 v10, null, s19, v10, s3
	v_add_co_u32 v9, s3, v7, v68
	v_add_co_ci_u32_e64 v10, null, 0, v10, s3
	global_load_dword v70, v[9:10], off offset:16
.LBB76_19:
	s_or_b32 exec_lo, exec_lo, s8
	v_add_nc_u32_e32 v12, 4, v73
	v_mov_b32_e32 v71, 0x7f7fffff
	v_mov_b32_e32 v123, 0x7f7fffff
	v_mad_u64_u32 v[9:10], null, s22, v12, 0
	v_cmp_le_i32_e64 s3, s14, v12
	v_mov_b32_e32 v7, v10
	s_waitcnt vmcnt(0)
	v_mad_u64_u32 v[10:11], null, s23, v12, v[7:8]
	v_lshlrev_b64 v[9:10], 2, v[9:10]
	v_add_co_u32 v7, s8, s20, v9
	v_add_co_ci_u32_e64 v9, null, s21, v10, s8
	s_nor_b32 s8, vcc_lo, s3
	s_and_saveexec_b32 s29, s8
	s_cbranch_execz .LBB76_21
; %bb.20:
	v_lshlrev_b64 v[10:11], 2, v[66:67]
	v_add_co_u32 v10, s8, v7, v10
	v_add_co_ci_u32_e64 v11, null, v9, v11, s8
	global_load_dword v123, v[10:11], off
.LBB76_21:
	s_or_b32 exec_lo, exec_lo, s29
	s_nor_b32 s8, s0, s3
	s_and_saveexec_b32 s29, s8
	s_cbranch_execz .LBB76_23
; %bb.22:
	v_lshlrev_b64 v[10:11], 2, v[66:67]
	v_add_co_u32 v10, s8, v7, v10
	v_add_co_ci_u32_e64 v11, null, v9, v11, s8
	global_load_dword v71, v[10:11], off offset:256
.LBB76_23:
	s_or_b32 exec_lo, exec_lo, s29
	v_mov_b32_e32 v143, 0x7f7fffff
	v_mov_b32_e32 v144, 0x7f7fffff
	s_nor_b32 s8, s1, s3
	s_and_saveexec_b32 s29, s8
	s_cbranch_execz .LBB76_25
; %bb.24:
	v_lshlrev_b64 v[10:11], 2, v[66:67]
	v_add_co_u32 v10, s8, v7, v10
	v_add_co_ci_u32_e64 v11, null, v9, v11, s8
	global_load_dword v144, v[10:11], off offset:512
.LBB76_25:
	s_or_b32 exec_lo, exec_lo, s29
	s_nor_b32 s3, s2, s3
	s_and_saveexec_b32 s8, s3
	s_cbranch_execz .LBB76_27
; %bb.26:
	v_lshlrev_b64 v[10:11], 2, v[66:67]
	v_add_co_u32 v10, s3, v7, v10
	v_add_co_ci_u32_e64 v11, null, v9, v11, s3
	global_load_dword v143, v[10:11], off offset:768
.LBB76_27:
	s_or_b32 exec_lo, exec_lo, s8
	v_lshl_or_b32 v133, v69, 4, v68
	v_lshlrev_b32_e32 v75, 4, v0
	v_lshlrev_b32_e32 v74, 4, v1
	s_cmp_lt_i32 s14, 9
	ds_write_b32 v133, v3 offset:8192
	v_lshlrev_b32_e32 v3, 4, v4
	v_lshl_add_u32 v76, v73, 2, v3
	ds_write2st64_b32 v76, v2, v6 offset1:4
	ds_write2st64_b32 v76, v5, v8 offset0:8 offset1:12
	s_waitcnt vmcnt(0) lgkmcnt(0)
	s_barrier
	buffer_gl0_inv
	ds_read_b128 v[34:37], v75 offset:8192
	ds_read_b128 v[30:33], v75 offset:8320
	;; [unrolled: 1-line block ×8, first 2 shown]
	ds_read_b128 v[62:65], v74
	ds_read_b128 v[58:61], v74 offset:512
	ds_read_b128 v[54:57], v74 offset:1024
	;; [unrolled: 1-line block ×7, first 2 shown]
	ds_write_b32 v133, v70 offset:9216
	ds_write2st64_b32 v76, v123, v71 offset0:16 offset1:20
	ds_write2st64_b32 v76, v144, v143 offset0:24 offset1:28
	s_waitcnt lgkmcnt(0)
	s_barrier
	buffer_gl0_inv
	v_add_f32_e32 v77, v35, v63
	v_add_f32_e32 v78, v34, v62
	;; [unrolled: 1-line block ×6, first 2 shown]
	v_min3_f32 v77, v78, v77, 0x7f7fffff
	v_add_f32_e32 v78, v31, v63
	v_min3_f32 v78, v79, v78, 0x7f7fffff
	v_add_f32_e32 v79, v27, v63
	;; [unrolled: 2-line block ×5, first 2 shown]
	v_add_f32_e32 v82, v10, v62
	v_min3_f32 v118, v82, v81, 0x7f7fffff
	v_add_f32_e32 v81, v7, v63
	v_add_f32_e32 v82, v6, v62
	;; [unrolled: 1-line block ×4, first 2 shown]
	v_min3_f32 v119, v82, v81, 0x7f7fffff
	v_add_f32_e32 v81, v6, v38
	v_min3_f32 v120, v62, v63, 0x7f7fffff
	v_add_f32_e32 v62, v35, v59
	v_add_f32_e32 v63, v34, v58
	v_min3_f32 v116, v63, v62, 0x7f7fffff
	v_add_f32_e32 v62, v31, v59
	;; [unrolled: 3-line block ×7, first 2 shown]
	v_add_f32_e32 v63, v6, v58
	v_add_f32_e32 v59, v3, v59
	v_add_f32_e32 v58, v2, v58
	v_min3_f32 v110, v63, v62, 0x7f7fffff
	v_min3_f32 v109, v58, v59, 0x7f7fffff
	v_add_f32_e32 v58, v35, v55
	v_add_f32_e32 v59, v34, v54
	v_min3_f32 v108, v59, v58, 0x7f7fffff
	v_add_f32_e32 v58, v31, v55
	v_add_f32_e32 v59, v30, v54
	v_min3_f32 v107, v59, v58, 0x7f7fffff
	v_add_f32_e32 v58, v27, v55
	v_add_f32_e32 v59, v26, v54
	v_min3_f32 v106, v59, v58, 0x7f7fffff
	v_add_f32_e32 v58, v19, v55
	v_add_f32_e32 v59, v18, v54
	v_min3_f32 v105, v59, v58, 0x7f7fffff
	v_add_f32_e32 v58, v15, v55
	v_add_f32_e32 v59, v14, v54
	v_min3_f32 v104, v59, v58, 0x7f7fffff
	v_add_f32_e32 v58, v11, v55
	v_add_f32_e32 v59, v10, v54
	v_min3_f32 v103, v59, v58, 0x7f7fffff
	v_add_f32_e32 v58, v7, v55
	v_add_f32_e32 v59, v6, v54
	v_add_f32_e32 v55, v3, v55
	v_add_f32_e32 v54, v2, v54
	v_min3_f32 v102, v59, v58, 0x7f7fffff
	v_min3_f32 v101, v54, v55, 0x7f7fffff
	v_add_f32_e32 v54, v35, v51
	v_add_f32_e32 v55, v34, v50
	v_min3_f32 v100, v55, v54, 0x7f7fffff
	v_add_f32_e32 v54, v31, v51
	v_add_f32_e32 v55, v30, v50
	v_min3_f32 v99, v55, v54, 0x7f7fffff
	v_add_f32_e32 v54, v27, v51
	v_add_f32_e32 v55, v26, v50
	v_min3_f32 v98, v55, v54, 0x7f7fffff
	v_add_f32_e32 v54, v19, v51
	v_add_f32_e32 v55, v18, v50
	v_min3_f32 v97, v55, v54, 0x7f7fffff
	v_add_f32_e32 v54, v15, v51
	v_add_f32_e32 v55, v14, v50
	v_min3_f32 v96, v55, v54, 0x7f7fffff
	v_add_f32_e32 v54, v11, v51
	v_add_f32_e32 v55, v10, v50
	v_min3_f32 v95, v55, v54, 0x7f7fffff
	v_add_f32_e32 v54, v7, v51
	;; [unrolled: 24-line block ×4, first 2 shown]
	v_add_f32_e32 v47, v6, v42
	v_add_f32_e32 v43, v3, v43
	;; [unrolled: 1-line block ×4, first 2 shown]
	v_min3_f32 v58, v47, v46, 0x7f7fffff
	v_min3_f32 v55, v42, v43, 0x7f7fffff
	v_add_f32_e32 v42, v35, v39
	v_add_f32_e32 v43, v34, v38
	;; [unrolled: 1-line block ×4, first 2 shown]
	v_min3_f32 v54, v43, v42, 0x7f7fffff
	v_add_f32_e32 v42, v31, v39
	v_add_f32_e32 v43, v30, v38
	v_min3_f32 v34, v34, v35, 0x7f7fffff
	v_add_f32_e32 v31, v31, v23
	v_add_f32_e32 v30, v30, v22
	v_min3_f32 v51, v43, v42, 0x7f7fffff
	v_add_f32_e32 v42, v27, v39
	v_add_f32_e32 v43, v26, v38
	v_min3_f32 v30, v30, v31, 0x7f7fffff
	v_add_f32_e32 v27, v27, v23
	v_add_f32_e32 v26, v26, v22
	v_min3_f32 v50, v43, v42, 0x7f7fffff
	v_add_f32_e32 v42, v19, v39
	v_add_f32_e32 v43, v18, v38
	v_min3_f32 v26, v26, v27, 0x7f7fffff
	v_add_f32_e32 v19, v19, v23
	v_add_f32_e32 v18, v18, v22
	v_min3_f32 v47, v43, v42, 0x7f7fffff
	v_add_f32_e32 v42, v15, v39
	v_add_f32_e32 v43, v14, v38
	v_min3_f32 v18, v18, v19, 0x7f7fffff
	v_add_f32_e32 v15, v15, v23
	v_add_f32_e32 v14, v14, v22
	v_min3_f32 v46, v43, v42, 0x7f7fffff
	v_add_f32_e32 v42, v11, v39
	v_add_f32_e32 v43, v10, v38
	v_add_f32_e32 v38, v2, v38
	v_add_f32_e32 v2, v2, v22
	v_min3_f32 v14, v14, v15, 0x7f7fffff
	v_add_f32_e32 v11, v11, v23
	v_min3_f32 v43, v43, v42, 0x7f7fffff
	v_add_f32_e32 v42, v7, v39
	v_add_f32_e32 v39, v3, v39
	;; [unrolled: 1-line block ×5, first 2 shown]
	v_min3_f32 v42, v81, v42, 0x7f7fffff
	v_min3_f32 v38, v38, v39, 0x7f7fffff
	;; [unrolled: 1-line block ×4, first 2 shown]
	v_add_f32_e32 v3, v37, v65
	v_add_f32_e32 v7, v36, v64
	v_min3_f32 v10, v10, v11, 0x7f7fffff
	v_min3_f32 v142, v7, v3, v77
	v_add_f32_e32 v3, v33, v65
	v_add_f32_e32 v7, v32, v64
	v_min3_f32 v141, v7, v3, v78
	v_add_f32_e32 v3, v29, v65
	v_add_f32_e32 v7, v28, v64
	;; [unrolled: 3-line block ×55, first 2 shown]
	v_add_f32_e32 v4, v4, v24
	v_min3_f32 v89, v7, v3, v38
	v_add_f32_e32 v3, v37, v25
	v_add_f32_e32 v7, v36, v24
	v_min3_f32 v88, v7, v3, v34
	v_add_f32_e32 v3, v33, v25
	;; [unrolled: 3-line block ×8, first 2 shown]
	v_min3_f32 v92, v4, v3, v2
	s_cbranch_scc1 .LBB76_50
; %bb.28:
	v_lshl_add_u32 v2, s6, 6, v69
	s_lshl_b32 s3, s28, 6
	v_add_nc_u32_e32 v4, 8, v73
	v_add_nc_u32_e32 v8, 12, v73
	v_lshlrev_b64 v[6:7], 2, v[66:67]
	v_subrev_nc_u32_e32 v2, s3, v2
	v_add_nc_u32_e32 v123, 0x2000, v133
	v_mad_i64_i32 v[4:5], null, v4, s22, 0
	v_mad_i64_i32 v[8:9], null, v8, s22, 0
	;; [unrolled: 1-line block ×3, first 2 shown]
	v_or_b32_e32 v143, 0x2000, v75
	v_add_nc_u32_e32 v133, 0x2400, v133
	v_lshlrev_b64 v[66:67], 2, v[4:5]
	v_add_nc_u32_e32 v144, 0x1000, v76
	v_lshl_add_u32 v145, v0, 4, 0x2400
	v_lshl_or_b32 v146, v1, 4, 0x1000
	v_lshlrev_b64 v[2:3], 2, v[2:3]
	s_lshl_b64 s[8:9], s[22:23], 5
	v_add_co_u32 v2, s3, v2, v68
	v_add_co_ci_u32_e64 v3, null, 0, v3, s3
	v_lshlrev_b64 v[68:69], 2, v[8:9]
	v_add_co_u32 v2, s3, s18, v2
	v_add_co_ci_u32_e64 v3, null, s19, v3, s3
	s_add_i32 s18, s14, -8
	v_add_co_u32 v70, s3, v2, 32
	v_add_co_ci_u32_e64 v71, null, 0, v3, s3
	v_add_co_u32 v147, s3, s20, v6
	v_add_co_ci_u32_e64 v148, null, s21, v7, s3
	s_mov_b32 s19, 0
	s_branch .LBB76_30
.LBB76_29:                              ;   in Loop: Header=BB76_30 Depth=1
	s_or_b32 exec_lo, exec_lo, s6
	v_add_f32_e32 v154, v35, v63
	v_add_f32_e32 v155, v34, v62
	v_add_co_u32 v70, s3, v70, 32
	v_add_co_ci_u32_e64 v71, null, 0, v71, s3
	v_min3_f32 v142, v155, v154, v142
	v_add_f32_e32 v154, v31, v63
	v_add_f32_e32 v155, v30, v62
	v_add_co_u32 v147, s3, v147, s8
	v_add_co_ci_u32_e64 v148, null, s9, v148, s3
	v_min3_f32 v141, v155, v154, v141
	v_add_f32_e32 v154, v27, v63
	v_add_f32_e32 v155, v26, v62
	s_add_i32 s19, s19, 8
	s_cmp_ge_i32 s19, s18
	v_min3_f32 v81, v155, v154, v81
	v_add_f32_e32 v154, v23, v63
	v_add_f32_e32 v155, v22, v62
	v_min3_f32 v79, v155, v154, v79
	v_add_f32_e32 v154, v15, v63
	v_add_f32_e32 v155, v14, v62
	v_min3_f32 v77, v155, v154, v77
	v_add_f32_e32 v154, v11, v63
	v_add_f32_e32 v155, v10, v62
	v_min3_f32 v78, v155, v154, v78
	v_add_f32_e32 v154, v7, v63
	v_add_f32_e32 v155, v6, v62
	v_add_f32_e32 v63, v3, v63
	v_add_f32_e32 v62, v2, v62
	v_min3_f32 v80, v155, v154, v80
	v_min3_f32 v62, v62, v63, v140
	v_add_f32_e32 v63, v35, v59
	v_add_f32_e32 v140, v34, v58
	v_min3_f32 v63, v140, v63, v139
	v_add_f32_e32 v139, v31, v59
	v_add_f32_e32 v140, v30, v58
	v_min3_f32 v138, v140, v139, v138
	v_add_f32_e32 v139, v27, v59
	v_add_f32_e32 v140, v26, v58
	v_min3_f32 v137, v140, v139, v137
	v_add_f32_e32 v139, v23, v59
	v_add_f32_e32 v140, v22, v58
	v_min3_f32 v136, v140, v139, v136
	v_add_f32_e32 v139, v15, v59
	v_add_f32_e32 v140, v14, v58
	v_min3_f32 v135, v140, v139, v135
	v_add_f32_e32 v139, v11, v59
	v_add_f32_e32 v140, v10, v58
	v_min3_f32 v134, v140, v139, v134
	v_add_f32_e32 v139, v7, v59
	v_add_f32_e32 v140, v6, v58
	v_add_f32_e32 v59, v3, v59
	v_add_f32_e32 v58, v2, v58
	v_min3_f32 v132, v140, v139, v132
	v_min3_f32 v58, v58, v59, v131
	v_add_f32_e32 v59, v35, v55
	v_add_f32_e32 v131, v34, v54
	v_min3_f32 v59, v131, v59, v130
	v_add_f32_e32 v130, v31, v55
	v_add_f32_e32 v131, v30, v54
	v_min3_f32 v129, v131, v130, v129
	v_add_f32_e32 v130, v27, v55
	v_add_f32_e32 v131, v26, v54
	;; [unrolled: 24-line block ×5, first 2 shown]
	v_min3_f32 v103, v106, v105, v103
	v_add_f32_e32 v105, v23, v43
	v_add_f32_e32 v106, v22, v42
	v_min3_f32 v102, v106, v105, v102
	v_add_f32_e32 v105, v15, v43
	v_add_f32_e32 v106, v14, v42
	;; [unrolled: 3-line block ×4, first 2 shown]
	v_add_f32_e32 v43, v3, v43
	v_add_f32_e32 v42, v2, v42
	v_min3_f32 v99, v106, v105, v99
	v_min3_f32 v42, v42, v43, v98
	v_add_f32_e32 v43, v35, v39
	v_add_f32_e32 v98, v34, v38
	;; [unrolled: 1-line block ×4, first 2 shown]
	v_min3_f32 v43, v98, v43, v97
	v_add_f32_e32 v97, v31, v39
	v_add_f32_e32 v98, v30, v38
	v_add_f32_e32 v31, v31, v19
	v_add_f32_e32 v30, v30, v18
	v_min3_f32 v34, v34, v35, v88
	v_min3_f32 v96, v98, v97, v96
	v_add_f32_e32 v97, v27, v39
	v_add_f32_e32 v98, v26, v38
	v_add_f32_e32 v27, v27, v19
	v_add_f32_e32 v26, v26, v18
	v_min3_f32 v30, v30, v31, v87
	;; [unrolled: 6-line block ×5, first 2 shown]
	v_min3_f32 v91, v98, v97, v91
	v_add_f32_e32 v97, v7, v39
	v_add_f32_e32 v98, v6, v38
	;; [unrolled: 1-line block ×8, first 2 shown]
	v_min3_f32 v10, v10, v11, v83
	v_min3_f32 v38, v38, v39, v89
	;; [unrolled: 1-line block ×3, first 2 shown]
	v_add_f32_e32 v7, v36, v64
	v_min3_f32 v2, v2, v3, v92
	v_add_f32_e32 v3, v37, v65
	v_min3_f32 v90, v98, v97, v90
	v_min3_f32 v82, v7, v3, v142
	v_add_f32_e32 v3, v33, v65
	v_add_f32_e32 v7, v32, v64
	v_min3_f32 v83, v7, v3, v141
	v_add_f32_e32 v3, v29, v65
	v_add_f32_e32 v7, v28, v64
	;; [unrolled: 3-line block ×55, first 2 shown]
	v_add_f32_e32 v4, v4, v20
	v_min3_f32 v134, v7, v3, v38
	v_add_f32_e32 v3, v37, v21
	v_add_f32_e32 v7, v36, v20
	v_min3_f32 v135, v7, v3, v34
	v_add_f32_e32 v3, v33, v21
	;; [unrolled: 3-line block ×8, first 2 shown]
	v_min3_f32 v142, v4, v3, v2
	ds_read_b128 v[30:33], v143
	ds_read_b128 v[26:29], v143 offset:128
	ds_read_b128 v[22:25], v143 offset:256
	;; [unrolled: 1-line block ×7, first 2 shown]
	ds_read_b128 v[46:49], v74
	ds_read_b128 v[50:53], v74 offset:512
	ds_read_b128 v[54:57], v74 offset:1024
	;; [unrolled: 1-line block ×7, first 2 shown]
	s_waitcnt vmcnt(0)
	ds_write_b32 v133, v149
	ds_write2st64_b32 v144, v151, v150 offset1:4
	ds_write2st64_b32 v144, v153, v152 offset0:8 offset1:12
	s_waitcnt lgkmcnt(0)
	s_barrier
	buffer_gl0_inv
	v_add_f32_e32 v154, v31, v47
	v_add_f32_e32 v155, v30, v46
	v_min3_f32 v82, v155, v154, v82
	v_add_f32_e32 v154, v27, v47
	v_add_f32_e32 v155, v26, v46
	v_min3_f32 v83, v155, v154, v83
	;; [unrolled: 3-line block ×6, first 2 shown]
	v_add_f32_e32 v154, v7, v47
	v_add_f32_e32 v155, v6, v46
	;; [unrolled: 1-line block ×4, first 2 shown]
	v_min3_f32 v80, v155, v154, v80
	v_min3_f32 v46, v46, v47, v84
	v_add_f32_e32 v47, v31, v51
	v_add_f32_e32 v84, v30, v50
	v_min3_f32 v47, v84, v47, v85
	v_add_f32_e32 v84, v27, v51
	v_add_f32_e32 v85, v26, v50
	v_min3_f32 v84, v85, v84, v86
	v_add_f32_e32 v85, v23, v51
	v_add_f32_e32 v86, v22, v50
	v_min3_f32 v85, v86, v85, v87
	v_add_f32_e32 v86, v19, v51
	v_add_f32_e32 v87, v18, v50
	v_min3_f32 v86, v87, v86, v88
	v_add_f32_e32 v87, v15, v51
	v_add_f32_e32 v88, v14, v50
	v_min3_f32 v87, v88, v87, v89
	v_add_f32_e32 v88, v11, v51
	v_add_f32_e32 v89, v10, v50
	v_min3_f32 v88, v89, v88, v92
	v_add_f32_e32 v89, v7, v51
	v_add_f32_e32 v92, v6, v50
	v_add_f32_e32 v51, v3, v51
	v_add_f32_e32 v50, v2, v50
	v_min3_f32 v89, v92, v89, v97
	v_add_f32_e32 v92, v30, v54
	v_min3_f32 v50, v50, v51, v98
	v_add_f32_e32 v51, v31, v55
	v_add_f32_e32 v97, v26, v54
	;; [unrolled: 1-line block ×3, first 2 shown]
	v_min3_f32 v51, v92, v51, v105
	v_add_f32_e32 v92, v27, v55
	v_add_f32_e32 v105, v18, v54
	v_min3_f32 v92, v97, v92, v106
	v_add_f32_e32 v97, v23, v55
	v_add_f32_e32 v106, v14, v54
	;; [unrolled: 3-line block ×4, first 2 shown]
	v_add_f32_e32 v54, v2, v54
	v_min3_f32 v105, v106, v105, v121
	v_add_f32_e32 v106, v11, v55
	v_add_f32_e32 v121, v26, v58
	v_min3_f32 v106, v113, v106, v122
	v_add_f32_e32 v113, v7, v55
	v_add_f32_e32 v55, v3, v55
	v_min3_f32 v113, v114, v113, v124
	v_min3_f32 v54, v54, v55, v125
	v_add_f32_e32 v55, v31, v59
	v_add_f32_e32 v114, v30, v58
	v_min3_f32 v55, v114, v55, v126
	v_add_f32_e32 v114, v27, v59
	v_min3_f32 v114, v121, v114, v120
	v_add_f32_e32 v120, v23, v59
	v_add_f32_e32 v121, v22, v58
	v_min3_f32 v119, v121, v120, v119
	v_add_f32_e32 v120, v19, v59
	v_add_f32_e32 v121, v18, v58
	v_min3_f32 v118, v121, v120, v118
	v_add_f32_e32 v120, v15, v59
	v_add_f32_e32 v121, v14, v58
	v_min3_f32 v117, v121, v120, v117
	v_add_f32_e32 v120, v11, v59
	v_add_f32_e32 v121, v10, v58
	v_min3_f32 v116, v121, v120, v116
	v_add_f32_e32 v120, v7, v59
	v_add_f32_e32 v121, v6, v58
	v_add_f32_e32 v59, v3, v59
	v_add_f32_e32 v58, v2, v58
	v_min3_f32 v115, v121, v120, v115
	v_add_f32_e32 v120, v30, v62
	v_min3_f32 v58, v58, v59, v127
	v_add_f32_e32 v59, v31, v63
	v_add_f32_e32 v121, v26, v62
	v_min3_f32 v59, v120, v59, v128
	v_add_f32_e32 v120, v27, v63
	v_min3_f32 v112, v121, v120, v112
	v_add_f32_e32 v120, v23, v63
	v_add_f32_e32 v121, v22, v62
	v_min3_f32 v111, v121, v120, v111
	v_add_f32_e32 v120, v19, v63
	v_add_f32_e32 v121, v18, v62
	v_min3_f32 v110, v121, v120, v110
	v_add_f32_e32 v120, v15, v63
	v_add_f32_e32 v121, v14, v62
	v_min3_f32 v109, v121, v120, v109
	v_add_f32_e32 v120, v11, v63
	v_add_f32_e32 v121, v10, v62
	v_min3_f32 v108, v121, v120, v108
	v_add_f32_e32 v120, v7, v63
	v_add_f32_e32 v121, v6, v62
	v_add_f32_e32 v63, v3, v63
	v_add_f32_e32 v62, v2, v62
	v_min3_f32 v107, v121, v120, v107
	v_add_f32_e32 v120, v30, v42
	;; [unrolled: 24-line block ×3, first 2 shown]
	v_min3_f32 v42, v42, v43, v131
	v_add_f32_e32 v43, v31, v39
	v_add_f32_e32 v121, v26, v38
	v_add_f32_e32 v26, v26, v34
	v_add_f32_e32 v31, v31, v35
	v_add_f32_e32 v30, v30, v34
	v_min3_f32 v43, v120, v43, v132
	v_add_f32_e32 v120, v27, v39
	v_add_f32_e32 v27, v27, v35
	v_min3_f32 v30, v30, v31, v135
	v_min3_f32 v96, v121, v120, v96
	v_add_f32_e32 v120, v23, v39
	v_add_f32_e32 v121, v22, v38
	v_add_f32_e32 v23, v23, v35
	v_add_f32_e32 v22, v22, v34
	v_min3_f32 v26, v26, v27, v136
	v_min3_f32 v95, v121, v120, v95
	v_add_f32_e32 v120, v19, v39
	v_add_f32_e32 v121, v18, v38
	;; [unrolled: 6-line block ×5, first 2 shown]
	v_add_f32_e32 v39, v3, v39
	v_add_f32_e32 v38, v2, v38
	;; [unrolled: 1-line block ×6, first 2 shown]
	v_min3_f32 v10, v10, v11, v140
	v_min3_f32 v38, v38, v39, v134
	;; [unrolled: 1-line block ×3, first 2 shown]
	v_add_f32_e32 v7, v32, v48
	v_min3_f32 v2, v2, v3, v142
	v_add_f32_e32 v3, v33, v49
	v_min3_f32 v90, v121, v120, v90
	v_min3_f32 v142, v7, v3, v82
	v_add_f32_e32 v3, v29, v49
	v_add_f32_e32 v7, v28, v48
	v_min3_f32 v141, v7, v3, v83
	v_add_f32_e32 v3, v25, v49
	v_add_f32_e32 v7, v24, v48
	;; [unrolled: 3-line block ×55, first 2 shown]
	v_add_f32_e32 v4, v4, v36
	v_min3_f32 v89, v7, v3, v38
	v_add_f32_e32 v3, v33, v37
	v_add_f32_e32 v7, v32, v36
	v_min3_f32 v88, v7, v3, v30
	v_add_f32_e32 v3, v29, v37
	;; [unrolled: 3-line block ×8, first 2 shown]
	v_min3_f32 v92, v4, v3, v2
	s_cbranch_scc1 .LBB76_50
.LBB76_30:                              ; =>This Inner Loop Header: Depth=1
	v_add_nc_u32_e32 v151, s19, v72
	v_mov_b32_e32 v153, 0x7f7fffff
	v_mov_b32_e32 v152, 0x7f7fffff
	v_add_nc_u32_e32 v2, 8, v151
	v_cmp_gt_i32_e64 s3, s14, v2
	s_and_b32 s6, s3, s27
	s_and_saveexec_b32 s3, s6
	s_cbranch_execz .LBB76_32
; %bb.31:                               ;   in Loop: Header=BB76_30 Depth=1
	global_load_dword v152, v[70:71], off
.LBB76_32:                              ;   in Loop: Header=BB76_30 Depth=1
	s_or_b32 exec_lo, exec_lo, s3
	v_add_nc_u32_e32 v150, s19, v73
	v_add_nc_u32_e32 v2, 8, v150
	v_cmp_le_i32_e64 s3, s14, v2
	s_nor_b32 s6, vcc_lo, s3
	s_and_saveexec_b32 s20, s6
	s_cbranch_execz .LBB76_34
; %bb.33:                               ;   in Loop: Header=BB76_30 Depth=1
	v_add_co_u32 v2, s6, v147, v66
	v_add_co_ci_u32_e64 v3, null, v148, v67, s6
	global_load_dword v153, v[2:3], off
.LBB76_34:                              ;   in Loop: Header=BB76_30 Depth=1
	s_or_b32 exec_lo, exec_lo, s20
	v_mov_b32_e32 v154, 0x7f7fffff
	v_mov_b32_e32 v155, 0x7f7fffff
	s_nor_b32 s6, s0, s3
	s_and_saveexec_b32 s20, s6
	s_cbranch_execz .LBB76_36
; %bb.35:                               ;   in Loop: Header=BB76_30 Depth=1
	v_add_co_u32 v2, s6, v147, v66
	v_add_co_ci_u32_e64 v3, null, v148, v67, s6
	global_load_dword v155, v[2:3], off offset:256
.LBB76_36:                              ;   in Loop: Header=BB76_30 Depth=1
	s_or_b32 exec_lo, exec_lo, s20
	s_nor_b32 s6, s1, s3
	s_and_saveexec_b32 s20, s6
	s_cbranch_execz .LBB76_38
; %bb.37:                               ;   in Loop: Header=BB76_30 Depth=1
	v_add_co_u32 v2, s6, v147, v66
	v_add_co_ci_u32_e64 v3, null, v148, v67, s6
	global_load_dword v154, v[2:3], off offset:512
.LBB76_38:                              ;   in Loop: Header=BB76_30 Depth=1
	s_or_b32 exec_lo, exec_lo, s20
	v_mov_b32_e32 v149, 0x7f7fffff
	v_mov_b32_e32 v156, 0x7f7fffff
	s_nor_b32 s3, s2, s3
	s_and_saveexec_b32 s6, s3
	s_cbranch_execz .LBB76_40
; %bb.39:                               ;   in Loop: Header=BB76_30 Depth=1
	v_add_co_u32 v2, s3, v147, v66
	v_add_co_ci_u32_e64 v3, null, v148, v67, s3
	global_load_dword v156, v[2:3], off offset:768
.LBB76_40:                              ;   in Loop: Header=BB76_30 Depth=1
	s_or_b32 exec_lo, exec_lo, s6
	ds_read_b128 v[34:37], v145
	ds_read_b128 v[30:33], v145 offset:128
	ds_read_b128 v[26:29], v145 offset:256
	;; [unrolled: 1-line block ×7, first 2 shown]
	ds_read_b128 v[62:65], v146
	ds_read_b128 v[58:61], v146 offset:512
	ds_read_b128 v[54:57], v146 offset:1024
	;; [unrolled: 1-line block ×7, first 2 shown]
	v_add_nc_u32_e32 v151, 12, v151
	s_waitcnt vmcnt(0)
	ds_write_b32 v123, v152
	ds_write2st64_b32 v76, v153, v155 offset1:4
	ds_write2st64_b32 v76, v154, v156 offset0:8 offset1:12
	s_waitcnt lgkmcnt(0)
	s_barrier
	v_cmp_gt_i32_e64 s3, s14, v151
	buffer_gl0_inv
	s_and_b32 s6, s3, s27
	s_and_saveexec_b32 s3, s6
	s_cbranch_execz .LBB76_42
; %bb.41:                               ;   in Loop: Header=BB76_30 Depth=1
	global_load_dword v149, v[70:71], off offset:16
.LBB76_42:                              ;   in Loop: Header=BB76_30 Depth=1
	s_or_b32 exec_lo, exec_lo, s3
	v_add_nc_u32_e32 v150, 12, v150
	v_mov_b32_e32 v151, 0x7f7fffff
	v_cmp_le_i32_e64 s3, s14, v150
	v_mov_b32_e32 v150, 0x7f7fffff
	s_nor_b32 s6, vcc_lo, s3
	s_and_saveexec_b32 s20, s6
	s_cbranch_execz .LBB76_44
; %bb.43:                               ;   in Loop: Header=BB76_30 Depth=1
	v_add_co_u32 v151, s6, v147, v68
	v_add_co_ci_u32_e64 v152, null, v148, v69, s6
	global_load_dword v151, v[151:152], off
.LBB76_44:                              ;   in Loop: Header=BB76_30 Depth=1
	s_or_b32 exec_lo, exec_lo, s20
	s_nor_b32 s6, s0, s3
	s_and_saveexec_b32 s20, s6
	s_cbranch_execz .LBB76_46
; %bb.45:                               ;   in Loop: Header=BB76_30 Depth=1
	v_add_co_u32 v152, s6, v147, v68
	v_add_co_ci_u32_e64 v153, null, v148, v69, s6
	global_load_dword v150, v[152:153], off offset:256
.LBB76_46:                              ;   in Loop: Header=BB76_30 Depth=1
	s_or_b32 exec_lo, exec_lo, s20
	v_mov_b32_e32 v152, 0x7f7fffff
	v_mov_b32_e32 v153, 0x7f7fffff
	s_nor_b32 s6, s1, s3
	s_and_saveexec_b32 s20, s6
	s_cbranch_execz .LBB76_48
; %bb.47:                               ;   in Loop: Header=BB76_30 Depth=1
	v_add_co_u32 v153, s6, v147, v68
	v_add_co_ci_u32_e64 v154, null, v148, v69, s6
	global_load_dword v153, v[153:154], off offset:512
.LBB76_48:                              ;   in Loop: Header=BB76_30 Depth=1
	s_or_b32 exec_lo, exec_lo, s20
	s_nor_b32 s3, s2, s3
	s_and_saveexec_b32 s6, s3
	s_cbranch_execz .LBB76_29
; %bb.49:                               ;   in Loop: Header=BB76_30 Depth=1
	v_add_co_u32 v154, s3, v147, v68
	v_add_co_ci_u32_e64 v155, null, v148, v69, s3
	global_load_dword v152, v[154:155], off offset:768
	s_branch .LBB76_29
.LBB76_50:
	s_clause 0x2
	s_load_dwordx2 s[0:1], s[4:5], 0x70
	s_load_dword s14, s[4:5], 0x50
	s_load_dword s9, s[4:5], 0x68
	ds_read_b128 v[34:37], v75 offset:9216
	ds_read_b128 v[30:33], v75 offset:9344
	;; [unrolled: 1-line block ×12, first 2 shown]
	v_add_nc_u32_e32 v133, s26, v1
	ds_read_b128 v[46:49], v74 offset:6144
	ds_read_b128 v[42:45], v74 offset:6656
	;; [unrolled: 1-line block ×4, first 2 shown]
	v_add_nc_u32_e32 v0, s25, v0
	v_cndmask_b32_e64 v123, 0, 1, s24
	v_cmp_gt_i32_e64 s8, s13, v133
	v_ashrrev_i32_e32 v1, 31, v0
	s_waitcnt lgkmcnt(0)
	s_mul_i32 s1, s1, s7
	v_mad_i64_i32 v[66:67], null, v133, s14, 0
	v_mad_i64_i32 v[68:69], null, v133, s9, 0
	s_mul_hi_u32 s2, s0, s7
	s_mul_i32 s0, s0, s7
	s_add_i32 s1, s2, s1
	s_lshl_b64 s[0:1], s[0:1], 2
	v_lshlrev_b64 v[66:67], 2, v[66:67]
	v_lshlrev_b64 v[68:69], 2, v[68:69]
	s_add_u32 s10, s10, s0
	s_addc_u32 s11, s11, s1
	v_cmp_gt_i32_e64 s0, s12, v0
	v_add_co_u32 v145, vcc_lo, s16, v66
	v_add_co_ci_u32_e64 v146, null, s17, v67, vcc_lo
	v_add_co_u32 v143, vcc_lo, s10, v68
	v_add_co_ci_u32_e64 v144, null, s11, v69, vcc_lo
	s_and_b32 s2, s0, s8
	s_and_saveexec_b32 s1, s2
	s_cbranch_execz .LBB76_56
; %bb.51:
	v_lshlrev_b64 v[66:67], 2, v[0:1]
	s_andn2_b32 vcc_lo, exec_lo, s24
	s_cbranch_vccnz .LBB76_54
; %bb.52:
	v_add_co_u32 v68, vcc_lo, v145, v66
	v_add_co_ci_u32_e64 v69, null, v146, v67, vcc_lo
	global_load_dword v68, v[68:69], off
	s_waitcnt vmcnt(0)
	v_mul_f32_e32 v68, s15, v68
	s_branch .LBB76_55
.LBB76_53:
	s_mov_b64 s[18:19], 0
	s_andn2_b32 vcc_lo, exec_lo, s8
	s_mov_b32 s0, -1
	s_cbranch_vccz .LBB76_2
	s_branch .LBB76_3
.LBB76_54:
	v_mov_b32_e32 v68, 0
.LBB76_55:
	v_add_f32_e32 v69, v35, v63
	v_add_f32_e32 v70, v34, v62
	;; [unrolled: 1-line block ×4, first 2 shown]
	v_add_co_u32 v66, vcc_lo, v143, v66
	v_min3_f32 v69, v70, v69, v142
	v_add_co_ci_u32_e64 v67, null, v144, v67, vcc_lo
	v_min_f32_e32 v70, v72, v71
	v_min3_f32 v68, v68, v70, v69
	global_store_dword v[66:67], v68, off
.LBB76_56:
	s_or_b32 exec_lo, exec_lo, s1
	v_add_nc_u32_e32 v66, 8, v0
	v_cmp_gt_i32_e64 s1, s12, v66
	v_ashrrev_i32_e32 v67, 31, v66
	s_and_b32 s3, s1, s8
	s_and_saveexec_b32 s2, s3
	s_cbranch_execz .LBB76_61
; %bb.57:
	v_cmp_ne_u32_e32 vcc_lo, 1, v123
	v_lshlrev_b64 v[68:69], 2, v[66:67]
	s_cbranch_vccnz .LBB76_59
; %bb.58:
	v_add_co_u32 v70, vcc_lo, v145, v68
	v_add_co_ci_u32_e64 v71, null, v146, v69, vcc_lo
	global_load_dword v70, v[70:71], off
	s_waitcnt vmcnt(0)
	v_mul_f32_e32 v70, s15, v70
	s_branch .LBB76_60
.LBB76_59:
	v_mov_b32_e32 v70, 0
.LBB76_60:
	v_add_f32_e32 v71, v31, v63
	v_add_f32_e32 v72, v30, v62
	v_add_f32_e32 v73, v33, v65
	v_add_f32_e32 v74, v32, v64
	v_add_co_u32 v68, vcc_lo, v143, v68
	v_min3_f32 v71, v72, v71, v141
	v_add_co_ci_u32_e64 v69, null, v144, v69, vcc_lo
	v_min_f32_e32 v72, v74, v73
	v_min3_f32 v70, v70, v72, v71
	global_store_dword v[68:69], v70, off
.LBB76_61:
	s_or_b32 exec_lo, exec_lo, s2
	v_add_nc_u32_e32 v68, 16, v0
	v_cmp_gt_i32_e64 s2, s12, v68
	v_ashrrev_i32_e32 v69, 31, v68
	s_and_b32 s4, s2, s8
	s_and_saveexec_b32 s3, s4
	s_cbranch_execz .LBB76_66
; %bb.62:
	v_cmp_ne_u32_e32 vcc_lo, 1, v123
	v_lshlrev_b64 v[70:71], 2, v[68:69]
	s_cbranch_vccnz .LBB76_64
; %bb.63:
	v_add_co_u32 v72, vcc_lo, v145, v70
	v_add_co_ci_u32_e64 v73, null, v146, v71, vcc_lo
	global_load_dword v72, v[72:73], off
	s_waitcnt vmcnt(0)
	v_mul_f32_e32 v72, s15, v72
	s_branch .LBB76_65
.LBB76_64:
	v_mov_b32_e32 v72, 0
.LBB76_65:
	v_add_f32_e32 v73, v27, v63
	v_add_f32_e32 v74, v26, v62
	v_add_f32_e32 v75, v29, v65
	v_add_f32_e32 v76, v28, v64
	v_add_co_u32 v70, vcc_lo, v143, v70
	v_min3_f32 v73, v74, v73, v81
	v_add_co_ci_u32_e64 v71, null, v144, v71, vcc_lo
	v_min_f32_e32 v74, v76, v75
	v_min3_f32 v72, v72, v74, v73
	global_store_dword v[70:71], v72, off
.LBB76_66:
	;; [unrolled: 32-line block ×6, first 2 shown]
	s_or_b32 exec_lo, exec_lo, s7
	v_add_nc_u32_e32 v78, 56, v0
	v_cmp_gt_i32_e64 s7, s12, v78
	v_ashrrev_i32_e32 v79, 31, v78
	s_and_b32 s12, s7, s8
	s_and_saveexec_b32 s8, s12
	s_cbranch_execz .LBB76_91
; %bb.87:
	v_cmp_ne_u32_e32 vcc_lo, 1, v123
	v_lshlrev_b64 v[80:81], 2, v[78:79]
	s_cbranch_vccnz .LBB76_89
; %bb.88:
	v_add_co_u32 v141, vcc_lo, v145, v80
	v_add_co_ci_u32_e64 v142, null, v146, v81, vcc_lo
	global_load_dword v141, v[141:142], off
	s_waitcnt vmcnt(0)
	v_mul_f32_e32 v141, s15, v141
	s_branch .LBB76_90
.LBB76_89:
	v_mov_b32_e32 v141, 0
.LBB76_90:
	v_add_f32_e32 v63, v3, v63
	v_add_f32_e32 v62, v2, v62
	;; [unrolled: 1-line block ×4, first 2 shown]
	v_min3_f32 v62, v62, v63, v140
	v_min_f32_e32 v63, v64, v65
	v_min3_f32 v64, v141, v63, v62
	v_add_co_u32 v62, vcc_lo, v143, v80
	v_add_co_ci_u32_e64 v63, null, v144, v81, vcc_lo
	global_store_dword v[62:63], v64, off
.LBB76_91:
	s_or_b32 exec_lo, exec_lo, s8
	v_add_nc_u32_e32 v80, 32, v133
	v_mad_i64_i32 v[62:63], null, v80, s14, 0
	v_mad_i64_i32 v[64:65], null, v80, s9, 0
	v_cmp_gt_i32_e64 s8, s13, v80
	v_lshlrev_b64 v[62:63], 2, v[62:63]
	s_and_b32 s18, s0, s8
	v_lshlrev_b64 v[64:65], 2, v[64:65]
	v_add_co_u32 v80, vcc_lo, s16, v62
	v_add_co_ci_u32_e64 v81, null, s17, v63, vcc_lo
	v_add_co_u32 v64, vcc_lo, s10, v64
	v_add_co_ci_u32_e64 v65, null, s11, v65, vcc_lo
	s_and_saveexec_b32 s12, s18
	s_cbranch_execnz .LBB76_99
; %bb.92:
	s_or_b32 exec_lo, exec_lo, s12
	s_and_b32 s18, s1, s8
	s_and_saveexec_b32 s12, s18
	s_cbranch_execnz .LBB76_103
.LBB76_93:
	s_or_b32 exec_lo, exec_lo, s12
	s_and_b32 s18, s2, s8
	s_and_saveexec_b32 s12, s18
	s_cbranch_execnz .LBB76_107
.LBB76_94:
	s_or_b32 exec_lo, exec_lo, s12
	s_and_b32 s18, s3, s8
	s_and_saveexec_b32 s12, s18
	s_cbranch_execnz .LBB76_111
.LBB76_95:
	s_or_b32 exec_lo, exec_lo, s12
	s_and_b32 s18, s4, s8
	s_and_saveexec_b32 s12, s18
	s_cbranch_execnz .LBB76_115
.LBB76_96:
	s_or_b32 exec_lo, exec_lo, s12
	s_and_b32 s18, s5, s8
	s_and_saveexec_b32 s12, s18
	s_cbranch_execnz .LBB76_119
.LBB76_97:
	s_or_b32 exec_lo, exec_lo, s12
	s_and_b32 s18, s6, s8
	s_and_saveexec_b32 s12, s18
	s_cbranch_execnz .LBB76_123
.LBB76_98:
	s_or_b32 exec_lo, exec_lo, s12
	s_and_b32 s12, s7, s8
	s_and_saveexec_b32 s8, s12
	s_cbranch_execnz .LBB76_127
	s_branch .LBB76_131
.LBB76_99:
	v_cmp_ne_u32_e32 vcc_lo, 1, v123
	v_lshlrev_b64 v[62:63], 2, v[0:1]
	s_cbranch_vccnz .LBB76_101
; %bb.100:
	v_add_co_u32 v140, vcc_lo, v80, v62
	v_add_co_ci_u32_e64 v141, null, v81, v63, vcc_lo
	global_load_dword v140, v[140:141], off
	s_waitcnt vmcnt(0)
	v_mul_f32_e32 v140, s15, v140
	s_branch .LBB76_102
.LBB76_101:
	v_mov_b32_e32 v140, 0
.LBB76_102:
	v_add_f32_e32 v141, v35, v59
	v_add_f32_e32 v142, v34, v58
	;; [unrolled: 1-line block ×4, first 2 shown]
	v_add_co_u32 v62, vcc_lo, v64, v62
	v_min3_f32 v139, v142, v141, v139
	v_add_co_ci_u32_e64 v63, null, v65, v63, vcc_lo
	v_min_f32_e32 v141, v144, v143
	v_min3_f32 v139, v140, v141, v139
	global_store_dword v[62:63], v139, off
	s_or_b32 exec_lo, exec_lo, s12
	s_and_b32 s18, s1, s8
	s_and_saveexec_b32 s12, s18
	s_cbranch_execz .LBB76_93
.LBB76_103:
	v_cmp_ne_u32_e32 vcc_lo, 1, v123
	v_lshlrev_b64 v[62:63], 2, v[66:67]
	s_cbranch_vccnz .LBB76_105
; %bb.104:
	v_add_co_u32 v139, vcc_lo, v80, v62
	v_add_co_ci_u32_e64 v140, null, v81, v63, vcc_lo
	global_load_dword v139, v[139:140], off
	s_waitcnt vmcnt(0)
	v_mul_f32_e32 v139, s15, v139
	s_branch .LBB76_106
.LBB76_105:
	v_mov_b32_e32 v139, 0
.LBB76_106:
	v_add_f32_e32 v140, v31, v59
	v_add_f32_e32 v141, v30, v58
	;; [unrolled: 1-line block ×4, first 2 shown]
	v_add_co_u32 v62, vcc_lo, v64, v62
	v_min3_f32 v138, v141, v140, v138
	v_add_co_ci_u32_e64 v63, null, v65, v63, vcc_lo
	v_min_f32_e32 v140, v143, v142
	v_min3_f32 v138, v139, v140, v138
	global_store_dword v[62:63], v138, off
	s_or_b32 exec_lo, exec_lo, s12
	s_and_b32 s18, s2, s8
	s_and_saveexec_b32 s12, s18
	s_cbranch_execz .LBB76_94
.LBB76_107:
	v_cmp_ne_u32_e32 vcc_lo, 1, v123
	v_lshlrev_b64 v[62:63], 2, v[68:69]
	s_cbranch_vccnz .LBB76_109
; %bb.108:
	v_add_co_u32 v138, vcc_lo, v80, v62
	v_add_co_ci_u32_e64 v139, null, v81, v63, vcc_lo
	global_load_dword v138, v[138:139], off
	s_waitcnt vmcnt(0)
	v_mul_f32_e32 v138, s15, v138
	s_branch .LBB76_110
.LBB76_109:
	v_mov_b32_e32 v138, 0
.LBB76_110:
	v_add_f32_e32 v139, v27, v59
	v_add_f32_e32 v140, v26, v58
	;; [unrolled: 1-line block ×4, first 2 shown]
	v_add_co_u32 v62, vcc_lo, v64, v62
	v_min3_f32 v137, v140, v139, v137
	v_add_co_ci_u32_e64 v63, null, v65, v63, vcc_lo
	v_min_f32_e32 v139, v142, v141
	v_min3_f32 v137, v138, v139, v137
	global_store_dword v[62:63], v137, off
	s_or_b32 exec_lo, exec_lo, s12
	s_and_b32 s18, s3, s8
	s_and_saveexec_b32 s12, s18
	s_cbranch_execz .LBB76_95
.LBB76_111:
	v_cmp_ne_u32_e32 vcc_lo, 1, v123
	v_lshlrev_b64 v[62:63], 2, v[70:71]
	s_cbranch_vccnz .LBB76_113
; %bb.112:
	v_add_co_u32 v137, vcc_lo, v80, v62
	v_add_co_ci_u32_e64 v138, null, v81, v63, vcc_lo
	global_load_dword v137, v[137:138], off
	s_waitcnt vmcnt(0)
	v_mul_f32_e32 v137, s15, v137
	s_branch .LBB76_114
.LBB76_113:
	v_mov_b32_e32 v137, 0
.LBB76_114:
	v_add_f32_e32 v138, v23, v59
	v_add_f32_e32 v139, v22, v58
	;; [unrolled: 1-line block ×4, first 2 shown]
	v_add_co_u32 v62, vcc_lo, v64, v62
	v_min3_f32 v136, v139, v138, v136
	v_add_co_ci_u32_e64 v63, null, v65, v63, vcc_lo
	v_min_f32_e32 v138, v141, v140
	v_min3_f32 v136, v137, v138, v136
	global_store_dword v[62:63], v136, off
	s_or_b32 exec_lo, exec_lo, s12
	s_and_b32 s18, s4, s8
	s_and_saveexec_b32 s12, s18
	s_cbranch_execz .LBB76_96
.LBB76_115:
	v_cmp_ne_u32_e32 vcc_lo, 1, v123
	v_lshlrev_b64 v[62:63], 2, v[72:73]
	s_cbranch_vccnz .LBB76_117
; %bb.116:
	v_add_co_u32 v136, vcc_lo, v80, v62
	v_add_co_ci_u32_e64 v137, null, v81, v63, vcc_lo
	global_load_dword v136, v[136:137], off
	s_waitcnt vmcnt(0)
	v_mul_f32_e32 v136, s15, v136
	s_branch .LBB76_118
.LBB76_117:
	v_mov_b32_e32 v136, 0
.LBB76_118:
	v_add_f32_e32 v137, v19, v59
	v_add_f32_e32 v138, v18, v58
	;; [unrolled: 1-line block ×4, first 2 shown]
	v_add_co_u32 v62, vcc_lo, v64, v62
	v_min3_f32 v135, v138, v137, v135
	v_add_co_ci_u32_e64 v63, null, v65, v63, vcc_lo
	v_min_f32_e32 v137, v140, v139
	v_min3_f32 v135, v136, v137, v135
	global_store_dword v[62:63], v135, off
	s_or_b32 exec_lo, exec_lo, s12
	s_and_b32 s18, s5, s8
	s_and_saveexec_b32 s12, s18
	s_cbranch_execz .LBB76_97
.LBB76_119:
	v_cmp_ne_u32_e32 vcc_lo, 1, v123
	v_lshlrev_b64 v[62:63], 2, v[74:75]
	s_cbranch_vccnz .LBB76_121
; %bb.120:
	v_add_co_u32 v135, vcc_lo, v80, v62
	v_add_co_ci_u32_e64 v136, null, v81, v63, vcc_lo
	global_load_dword v135, v[135:136], off
	s_waitcnt vmcnt(0)
	v_mul_f32_e32 v135, s15, v135
	s_branch .LBB76_122
.LBB76_121:
	v_mov_b32_e32 v135, 0
.LBB76_122:
	v_add_f32_e32 v136, v15, v59
	v_add_f32_e32 v137, v14, v58
	;; [unrolled: 1-line block ×4, first 2 shown]
	v_add_co_u32 v62, vcc_lo, v64, v62
	v_min3_f32 v134, v137, v136, v134
	v_add_co_ci_u32_e64 v63, null, v65, v63, vcc_lo
	v_min_f32_e32 v136, v139, v138
	v_min3_f32 v134, v135, v136, v134
	global_store_dword v[62:63], v134, off
	s_or_b32 exec_lo, exec_lo, s12
	s_and_b32 s18, s6, s8
	s_and_saveexec_b32 s12, s18
	s_cbranch_execz .LBB76_98
.LBB76_123:
	v_cmp_ne_u32_e32 vcc_lo, 1, v123
	v_lshlrev_b64 v[62:63], 2, v[76:77]
	s_cbranch_vccnz .LBB76_125
; %bb.124:
	v_add_co_u32 v134, vcc_lo, v80, v62
	v_add_co_ci_u32_e64 v135, null, v81, v63, vcc_lo
	global_load_dword v134, v[134:135], off
	s_waitcnt vmcnt(0)
	v_mul_f32_e32 v134, s15, v134
	s_branch .LBB76_126
.LBB76_125:
	v_mov_b32_e32 v134, 0
.LBB76_126:
	v_add_f32_e32 v135, v11, v59
	v_add_f32_e32 v136, v10, v58
	;; [unrolled: 1-line block ×4, first 2 shown]
	v_add_co_u32 v62, vcc_lo, v64, v62
	v_min3_f32 v132, v136, v135, v132
	v_add_co_ci_u32_e64 v63, null, v65, v63, vcc_lo
	v_min_f32_e32 v135, v138, v137
	v_min3_f32 v132, v134, v135, v132
	global_store_dword v[62:63], v132, off
	s_or_b32 exec_lo, exec_lo, s12
	s_and_b32 s12, s7, s8
	s_and_saveexec_b32 s8, s12
	s_cbranch_execz .LBB76_131
.LBB76_127:
	v_cmp_ne_u32_e32 vcc_lo, 1, v123
	v_lshlrev_b64 v[62:63], 2, v[78:79]
	s_cbranch_vccnz .LBB76_129
; %bb.128:
	v_add_co_u32 v80, vcc_lo, v80, v62
	v_add_co_ci_u32_e64 v81, null, v81, v63, vcc_lo
	global_load_dword v80, v[80:81], off
	s_waitcnt vmcnt(0)
	v_mul_f32_e32 v80, s15, v80
	s_branch .LBB76_130
.LBB76_129:
	v_mov_b32_e32 v80, 0
.LBB76_130:
	v_add_f32_e32 v59, v3, v59
	v_add_f32_e32 v58, v2, v58
	;; [unrolled: 1-line block ×4, first 2 shown]
	v_min3_f32 v58, v58, v59, v131
	v_min_f32_e32 v59, v60, v61
	v_min3_f32 v60, v80, v59, v58
	v_add_co_u32 v58, vcc_lo, v64, v62
	v_add_co_ci_u32_e64 v59, null, v65, v63, vcc_lo
	global_store_dword v[58:59], v60, off
.LBB76_131:
	s_or_b32 exec_lo, exec_lo, s8
	v_add_nc_u32_e32 v62, 64, v133
	v_mad_i64_i32 v[58:59], null, v62, s14, 0
	v_mad_i64_i32 v[60:61], null, v62, s9, 0
	v_cmp_gt_i32_e64 s8, s13, v62
	v_lshlrev_b64 v[58:59], 2, v[58:59]
	s_and_b32 s18, s0, s8
	v_lshlrev_b64 v[60:61], 2, v[60:61]
	v_add_co_u32 v62, vcc_lo, s16, v58
	v_add_co_ci_u32_e64 v63, null, s17, v59, vcc_lo
	v_add_co_u32 v60, vcc_lo, s10, v60
	v_add_co_ci_u32_e64 v61, null, s11, v61, vcc_lo
	s_and_saveexec_b32 s12, s18
	s_cbranch_execnz .LBB76_139
; %bb.132:
	s_or_b32 exec_lo, exec_lo, s12
	s_and_b32 s18, s1, s8
	s_and_saveexec_b32 s12, s18
	s_cbranch_execnz .LBB76_143
.LBB76_133:
	s_or_b32 exec_lo, exec_lo, s12
	s_and_b32 s18, s2, s8
	s_and_saveexec_b32 s12, s18
	s_cbranch_execnz .LBB76_147
.LBB76_134:
	s_or_b32 exec_lo, exec_lo, s12
	s_and_b32 s18, s3, s8
	s_and_saveexec_b32 s12, s18
	s_cbranch_execnz .LBB76_151
.LBB76_135:
	s_or_b32 exec_lo, exec_lo, s12
	s_and_b32 s18, s4, s8
	s_and_saveexec_b32 s12, s18
	s_cbranch_execnz .LBB76_155
.LBB76_136:
	s_or_b32 exec_lo, exec_lo, s12
	s_and_b32 s18, s5, s8
	s_and_saveexec_b32 s12, s18
	s_cbranch_execnz .LBB76_159
.LBB76_137:
	s_or_b32 exec_lo, exec_lo, s12
	s_and_b32 s18, s6, s8
	s_and_saveexec_b32 s12, s18
	s_cbranch_execnz .LBB76_163
.LBB76_138:
	s_or_b32 exec_lo, exec_lo, s12
	s_and_b32 s12, s7, s8
	s_and_saveexec_b32 s8, s12
	s_cbranch_execnz .LBB76_167
	s_branch .LBB76_171
.LBB76_139:
	v_cmp_ne_u32_e32 vcc_lo, 1, v123
	v_lshlrev_b64 v[58:59], 2, v[0:1]
	s_cbranch_vccnz .LBB76_141
; %bb.140:
	v_add_co_u32 v64, vcc_lo, v62, v58
	v_add_co_ci_u32_e64 v65, null, v63, v59, vcc_lo
	global_load_dword v64, v[64:65], off
	s_waitcnt vmcnt(0)
	v_mul_f32_e32 v64, s15, v64
	s_branch .LBB76_142
.LBB76_141:
	v_mov_b32_e32 v64, 0
.LBB76_142:
	v_add_f32_e32 v65, v35, v55
	v_add_f32_e32 v80, v34, v54
	;; [unrolled: 1-line block ×4, first 2 shown]
	v_add_co_u32 v58, vcc_lo, v60, v58
	v_min3_f32 v65, v80, v65, v130
	v_add_co_ci_u32_e64 v59, null, v61, v59, vcc_lo
	v_min_f32_e32 v80, v131, v81
	v_min3_f32 v64, v64, v80, v65
	global_store_dword v[58:59], v64, off
	s_or_b32 exec_lo, exec_lo, s12
	s_and_b32 s18, s1, s8
	s_and_saveexec_b32 s12, s18
	s_cbranch_execz .LBB76_133
.LBB76_143:
	v_cmp_ne_u32_e32 vcc_lo, 1, v123
	v_lshlrev_b64 v[58:59], 2, v[66:67]
	s_cbranch_vccnz .LBB76_145
; %bb.144:
	v_add_co_u32 v64, vcc_lo, v62, v58
	v_add_co_ci_u32_e64 v65, null, v63, v59, vcc_lo
	global_load_dword v64, v[64:65], off
	s_waitcnt vmcnt(0)
	v_mul_f32_e32 v64, s15, v64
	s_branch .LBB76_146
.LBB76_145:
	v_mov_b32_e32 v64, 0
.LBB76_146:
	v_add_f32_e32 v65, v31, v55
	v_add_f32_e32 v80, v30, v54
	;; [unrolled: 1-line block ×4, first 2 shown]
	v_add_co_u32 v58, vcc_lo, v60, v58
	v_min3_f32 v65, v80, v65, v129
	v_add_co_ci_u32_e64 v59, null, v61, v59, vcc_lo
	v_min_f32_e32 v80, v130, v81
	v_min3_f32 v64, v64, v80, v65
	global_store_dword v[58:59], v64, off
	s_or_b32 exec_lo, exec_lo, s12
	s_and_b32 s18, s2, s8
	s_and_saveexec_b32 s12, s18
	s_cbranch_execz .LBB76_134
.LBB76_147:
	v_cmp_ne_u32_e32 vcc_lo, 1, v123
	v_lshlrev_b64 v[58:59], 2, v[68:69]
	s_cbranch_vccnz .LBB76_149
; %bb.148:
	v_add_co_u32 v64, vcc_lo, v62, v58
	v_add_co_ci_u32_e64 v65, null, v63, v59, vcc_lo
	global_load_dword v64, v[64:65], off
	s_waitcnt vmcnt(0)
	v_mul_f32_e32 v64, s15, v64
	s_branch .LBB76_150
.LBB76_149:
	v_mov_b32_e32 v64, 0
.LBB76_150:
	v_add_f32_e32 v65, v27, v55
	v_add_f32_e32 v80, v26, v54
	;; [unrolled: 1-line block ×4, first 2 shown]
	v_add_co_u32 v58, vcc_lo, v60, v58
	v_min3_f32 v65, v80, v65, v128
	v_add_co_ci_u32_e64 v59, null, v61, v59, vcc_lo
	v_min_f32_e32 v80, v129, v81
	v_min3_f32 v64, v64, v80, v65
	global_store_dword v[58:59], v64, off
	s_or_b32 exec_lo, exec_lo, s12
	s_and_b32 s18, s3, s8
	s_and_saveexec_b32 s12, s18
	s_cbranch_execz .LBB76_135
.LBB76_151:
	v_cmp_ne_u32_e32 vcc_lo, 1, v123
	v_lshlrev_b64 v[58:59], 2, v[70:71]
	s_cbranch_vccnz .LBB76_153
; %bb.152:
	v_add_co_u32 v64, vcc_lo, v62, v58
	v_add_co_ci_u32_e64 v65, null, v63, v59, vcc_lo
	global_load_dword v64, v[64:65], off
	s_waitcnt vmcnt(0)
	v_mul_f32_e32 v64, s15, v64
	s_branch .LBB76_154
.LBB76_153:
	v_mov_b32_e32 v64, 0
.LBB76_154:
	v_add_f32_e32 v65, v23, v55
	v_add_f32_e32 v80, v22, v54
	;; [unrolled: 1-line block ×4, first 2 shown]
	v_add_co_u32 v58, vcc_lo, v60, v58
	v_min3_f32 v65, v80, v65, v127
	v_add_co_ci_u32_e64 v59, null, v61, v59, vcc_lo
	v_min_f32_e32 v80, v128, v81
	v_min3_f32 v64, v64, v80, v65
	global_store_dword v[58:59], v64, off
	s_or_b32 exec_lo, exec_lo, s12
	s_and_b32 s18, s4, s8
	s_and_saveexec_b32 s12, s18
	s_cbranch_execz .LBB76_136
.LBB76_155:
	v_cmp_ne_u32_e32 vcc_lo, 1, v123
	v_lshlrev_b64 v[58:59], 2, v[72:73]
	s_cbranch_vccnz .LBB76_157
; %bb.156:
	v_add_co_u32 v64, vcc_lo, v62, v58
	v_add_co_ci_u32_e64 v65, null, v63, v59, vcc_lo
	global_load_dword v64, v[64:65], off
	s_waitcnt vmcnt(0)
	v_mul_f32_e32 v64, s15, v64
	s_branch .LBB76_158
.LBB76_157:
	v_mov_b32_e32 v64, 0
.LBB76_158:
	v_add_f32_e32 v65, v19, v55
	v_add_f32_e32 v80, v18, v54
	;; [unrolled: 1-line block ×4, first 2 shown]
	v_add_co_u32 v58, vcc_lo, v60, v58
	v_min3_f32 v65, v80, v65, v126
	v_add_co_ci_u32_e64 v59, null, v61, v59, vcc_lo
	v_min_f32_e32 v80, v127, v81
	v_min3_f32 v64, v64, v80, v65
	global_store_dword v[58:59], v64, off
	s_or_b32 exec_lo, exec_lo, s12
	s_and_b32 s18, s5, s8
	s_and_saveexec_b32 s12, s18
	s_cbranch_execz .LBB76_137
.LBB76_159:
	v_cmp_ne_u32_e32 vcc_lo, 1, v123
	v_lshlrev_b64 v[58:59], 2, v[74:75]
	s_cbranch_vccnz .LBB76_161
; %bb.160:
	v_add_co_u32 v64, vcc_lo, v62, v58
	v_add_co_ci_u32_e64 v65, null, v63, v59, vcc_lo
	global_load_dword v64, v[64:65], off
	s_waitcnt vmcnt(0)
	v_mul_f32_e32 v64, s15, v64
	s_branch .LBB76_162
.LBB76_161:
	v_mov_b32_e32 v64, 0
.LBB76_162:
	v_add_f32_e32 v65, v15, v55
	v_add_f32_e32 v80, v14, v54
	;; [unrolled: 1-line block ×4, first 2 shown]
	v_add_co_u32 v58, vcc_lo, v60, v58
	v_min3_f32 v65, v80, v65, v125
	v_add_co_ci_u32_e64 v59, null, v61, v59, vcc_lo
	v_min_f32_e32 v80, v126, v81
	v_min3_f32 v64, v64, v80, v65
	global_store_dword v[58:59], v64, off
	s_or_b32 exec_lo, exec_lo, s12
	s_and_b32 s18, s6, s8
	s_and_saveexec_b32 s12, s18
	s_cbranch_execz .LBB76_138
.LBB76_163:
	v_cmp_ne_u32_e32 vcc_lo, 1, v123
	v_lshlrev_b64 v[58:59], 2, v[76:77]
	s_cbranch_vccnz .LBB76_165
; %bb.164:
	v_add_co_u32 v64, vcc_lo, v62, v58
	v_add_co_ci_u32_e64 v65, null, v63, v59, vcc_lo
	global_load_dword v64, v[64:65], off
	s_waitcnt vmcnt(0)
	v_mul_f32_e32 v64, s15, v64
	s_branch .LBB76_166
.LBB76_165:
	v_mov_b32_e32 v64, 0
.LBB76_166:
	v_add_f32_e32 v65, v11, v55
	v_add_f32_e32 v80, v10, v54
	v_add_f32_e32 v81, v13, v57
	v_add_f32_e32 v125, v12, v56
	v_add_co_u32 v58, vcc_lo, v60, v58
	v_min3_f32 v65, v80, v65, v124
	v_add_co_ci_u32_e64 v59, null, v61, v59, vcc_lo
	v_min_f32_e32 v80, v125, v81
	v_min3_f32 v64, v64, v80, v65
	global_store_dword v[58:59], v64, off
	s_or_b32 exec_lo, exec_lo, s12
	s_and_b32 s12, s7, s8
	s_and_saveexec_b32 s8, s12
	s_cbranch_execz .LBB76_171
.LBB76_167:
	v_cmp_ne_u32_e32 vcc_lo, 1, v123
	v_lshlrev_b64 v[58:59], 2, v[78:79]
	s_cbranch_vccnz .LBB76_169
; %bb.168:
	v_add_co_u32 v62, vcc_lo, v62, v58
	v_add_co_ci_u32_e64 v63, null, v63, v59, vcc_lo
	global_load_dword v62, v[62:63], off
	s_waitcnt vmcnt(0)
	v_mul_f32_e32 v62, s15, v62
	s_branch .LBB76_170
.LBB76_169:
	v_mov_b32_e32 v62, 0
.LBB76_170:
	v_add_f32_e32 v55, v3, v55
	v_add_f32_e32 v54, v2, v54
	;; [unrolled: 1-line block ×4, first 2 shown]
	v_min3_f32 v54, v54, v55, v122
	v_min_f32_e32 v55, v56, v57
	v_min3_f32 v56, v62, v55, v54
	v_add_co_u32 v54, vcc_lo, v60, v58
	v_add_co_ci_u32_e64 v55, null, v61, v59, vcc_lo
	global_store_dword v[54:55], v56, off
.LBB76_171:
	s_or_b32 exec_lo, exec_lo, s8
	v_add_nc_u32_e32 v58, 0x60, v133
	v_mad_i64_i32 v[54:55], null, v58, s14, 0
	v_mad_i64_i32 v[56:57], null, v58, s9, 0
	v_cmp_gt_i32_e64 s8, s13, v58
	v_lshlrev_b64 v[54:55], 2, v[54:55]
	s_and_b32 s18, s0, s8
	v_lshlrev_b64 v[56:57], 2, v[56:57]
	v_add_co_u32 v58, vcc_lo, s16, v54
	v_add_co_ci_u32_e64 v59, null, s17, v55, vcc_lo
	v_add_co_u32 v56, vcc_lo, s10, v56
	v_add_co_ci_u32_e64 v57, null, s11, v57, vcc_lo
	s_and_saveexec_b32 s12, s18
	s_cbranch_execnz .LBB76_179
; %bb.172:
	s_or_b32 exec_lo, exec_lo, s12
	s_and_b32 s18, s1, s8
	s_and_saveexec_b32 s12, s18
	s_cbranch_execnz .LBB76_183
.LBB76_173:
	s_or_b32 exec_lo, exec_lo, s12
	s_and_b32 s18, s2, s8
	s_and_saveexec_b32 s12, s18
	s_cbranch_execnz .LBB76_187
.LBB76_174:
	s_or_b32 exec_lo, exec_lo, s12
	s_and_b32 s18, s3, s8
	s_and_saveexec_b32 s12, s18
	s_cbranch_execnz .LBB76_191
.LBB76_175:
	s_or_b32 exec_lo, exec_lo, s12
	s_and_b32 s18, s4, s8
	s_and_saveexec_b32 s12, s18
	s_cbranch_execnz .LBB76_195
.LBB76_176:
	s_or_b32 exec_lo, exec_lo, s12
	s_and_b32 s18, s5, s8
	s_and_saveexec_b32 s12, s18
	s_cbranch_execnz .LBB76_199
.LBB76_177:
	s_or_b32 exec_lo, exec_lo, s12
	s_and_b32 s18, s6, s8
	s_and_saveexec_b32 s12, s18
	s_cbranch_execnz .LBB76_203
.LBB76_178:
	s_or_b32 exec_lo, exec_lo, s12
	s_and_b32 s12, s7, s8
	s_and_saveexec_b32 s8, s12
	s_cbranch_execnz .LBB76_207
	s_branch .LBB76_211
.LBB76_179:
	v_cmp_ne_u32_e32 vcc_lo, 1, v123
	v_lshlrev_b64 v[54:55], 2, v[0:1]
	s_cbranch_vccnz .LBB76_181
; %bb.180:
	v_add_co_u32 v60, vcc_lo, v58, v54
	v_add_co_ci_u32_e64 v61, null, v59, v55, vcc_lo
	global_load_dword v60, v[60:61], off
	s_waitcnt vmcnt(0)
	v_mul_f32_e32 v60, s15, v60
	s_branch .LBB76_182
.LBB76_181:
	v_mov_b32_e32 v60, 0
.LBB76_182:
	v_add_f32_e32 v61, v35, v51
	v_add_f32_e32 v62, v34, v50
	;; [unrolled: 1-line block ×4, first 2 shown]
	v_add_co_u32 v54, vcc_lo, v56, v54
	v_min3_f32 v61, v62, v61, v121
	v_add_co_ci_u32_e64 v55, null, v57, v55, vcc_lo
	v_min_f32_e32 v62, v64, v63
	v_min3_f32 v60, v60, v62, v61
	global_store_dword v[54:55], v60, off
	s_or_b32 exec_lo, exec_lo, s12
	s_and_b32 s18, s1, s8
	s_and_saveexec_b32 s12, s18
	s_cbranch_execz .LBB76_173
.LBB76_183:
	v_cmp_ne_u32_e32 vcc_lo, 1, v123
	v_lshlrev_b64 v[54:55], 2, v[66:67]
	s_cbranch_vccnz .LBB76_185
; %bb.184:
	v_add_co_u32 v60, vcc_lo, v58, v54
	v_add_co_ci_u32_e64 v61, null, v59, v55, vcc_lo
	global_load_dword v60, v[60:61], off
	s_waitcnt vmcnt(0)
	v_mul_f32_e32 v60, s15, v60
	s_branch .LBB76_186
.LBB76_185:
	v_mov_b32_e32 v60, 0
.LBB76_186:
	v_add_f32_e32 v61, v31, v51
	v_add_f32_e32 v62, v30, v50
	;; [unrolled: 1-line block ×4, first 2 shown]
	v_add_co_u32 v54, vcc_lo, v56, v54
	v_min3_f32 v61, v62, v61, v120
	v_add_co_ci_u32_e64 v55, null, v57, v55, vcc_lo
	v_min_f32_e32 v62, v64, v63
	v_min3_f32 v60, v60, v62, v61
	global_store_dword v[54:55], v60, off
	s_or_b32 exec_lo, exec_lo, s12
	s_and_b32 s18, s2, s8
	s_and_saveexec_b32 s12, s18
	s_cbranch_execz .LBB76_174
.LBB76_187:
	v_cmp_ne_u32_e32 vcc_lo, 1, v123
	v_lshlrev_b64 v[54:55], 2, v[68:69]
	s_cbranch_vccnz .LBB76_189
; %bb.188:
	v_add_co_u32 v60, vcc_lo, v58, v54
	v_add_co_ci_u32_e64 v61, null, v59, v55, vcc_lo
	global_load_dword v60, v[60:61], off
	s_waitcnt vmcnt(0)
	v_mul_f32_e32 v60, s15, v60
	s_branch .LBB76_190
.LBB76_189:
	v_mov_b32_e32 v60, 0
.LBB76_190:
	v_add_f32_e32 v61, v27, v51
	v_add_f32_e32 v62, v26, v50
	;; [unrolled: 1-line block ×4, first 2 shown]
	v_add_co_u32 v54, vcc_lo, v56, v54
	v_min3_f32 v61, v62, v61, v119
	v_add_co_ci_u32_e64 v55, null, v57, v55, vcc_lo
	v_min_f32_e32 v62, v64, v63
	v_min3_f32 v60, v60, v62, v61
	global_store_dword v[54:55], v60, off
	s_or_b32 exec_lo, exec_lo, s12
	s_and_b32 s18, s3, s8
	s_and_saveexec_b32 s12, s18
	s_cbranch_execz .LBB76_175
.LBB76_191:
	v_cmp_ne_u32_e32 vcc_lo, 1, v123
	v_lshlrev_b64 v[54:55], 2, v[70:71]
	s_cbranch_vccnz .LBB76_193
; %bb.192:
	v_add_co_u32 v60, vcc_lo, v58, v54
	v_add_co_ci_u32_e64 v61, null, v59, v55, vcc_lo
	global_load_dword v60, v[60:61], off
	s_waitcnt vmcnt(0)
	v_mul_f32_e32 v60, s15, v60
	s_branch .LBB76_194
.LBB76_193:
	v_mov_b32_e32 v60, 0
.LBB76_194:
	v_add_f32_e32 v61, v23, v51
	v_add_f32_e32 v62, v22, v50
	;; [unrolled: 1-line block ×4, first 2 shown]
	v_add_co_u32 v54, vcc_lo, v56, v54
	v_min3_f32 v61, v62, v61, v118
	v_add_co_ci_u32_e64 v55, null, v57, v55, vcc_lo
	v_min_f32_e32 v62, v64, v63
	v_min3_f32 v60, v60, v62, v61
	global_store_dword v[54:55], v60, off
	s_or_b32 exec_lo, exec_lo, s12
	s_and_b32 s18, s4, s8
	s_and_saveexec_b32 s12, s18
	s_cbranch_execz .LBB76_176
.LBB76_195:
	v_cmp_ne_u32_e32 vcc_lo, 1, v123
	v_lshlrev_b64 v[54:55], 2, v[72:73]
	s_cbranch_vccnz .LBB76_197
; %bb.196:
	v_add_co_u32 v60, vcc_lo, v58, v54
	v_add_co_ci_u32_e64 v61, null, v59, v55, vcc_lo
	global_load_dword v60, v[60:61], off
	s_waitcnt vmcnt(0)
	v_mul_f32_e32 v60, s15, v60
	s_branch .LBB76_198
.LBB76_197:
	v_mov_b32_e32 v60, 0
.LBB76_198:
	v_add_f32_e32 v61, v19, v51
	v_add_f32_e32 v62, v18, v50
	;; [unrolled: 1-line block ×4, first 2 shown]
	v_add_co_u32 v54, vcc_lo, v56, v54
	v_min3_f32 v61, v62, v61, v117
	v_add_co_ci_u32_e64 v55, null, v57, v55, vcc_lo
	v_min_f32_e32 v62, v64, v63
	v_min3_f32 v60, v60, v62, v61
	global_store_dword v[54:55], v60, off
	s_or_b32 exec_lo, exec_lo, s12
	s_and_b32 s18, s5, s8
	s_and_saveexec_b32 s12, s18
	s_cbranch_execz .LBB76_177
.LBB76_199:
	v_cmp_ne_u32_e32 vcc_lo, 1, v123
	v_lshlrev_b64 v[54:55], 2, v[74:75]
	s_cbranch_vccnz .LBB76_201
; %bb.200:
	v_add_co_u32 v60, vcc_lo, v58, v54
	v_add_co_ci_u32_e64 v61, null, v59, v55, vcc_lo
	global_load_dword v60, v[60:61], off
	s_waitcnt vmcnt(0)
	v_mul_f32_e32 v60, s15, v60
	s_branch .LBB76_202
.LBB76_201:
	v_mov_b32_e32 v60, 0
.LBB76_202:
	v_add_f32_e32 v61, v15, v51
	v_add_f32_e32 v62, v14, v50
	;; [unrolled: 1-line block ×4, first 2 shown]
	v_add_co_u32 v54, vcc_lo, v56, v54
	v_min3_f32 v61, v62, v61, v116
	v_add_co_ci_u32_e64 v55, null, v57, v55, vcc_lo
	v_min_f32_e32 v62, v64, v63
	v_min3_f32 v60, v60, v62, v61
	global_store_dword v[54:55], v60, off
	s_or_b32 exec_lo, exec_lo, s12
	s_and_b32 s18, s6, s8
	s_and_saveexec_b32 s12, s18
	s_cbranch_execz .LBB76_178
.LBB76_203:
	v_cmp_ne_u32_e32 vcc_lo, 1, v123
	v_lshlrev_b64 v[54:55], 2, v[76:77]
	s_cbranch_vccnz .LBB76_205
; %bb.204:
	v_add_co_u32 v60, vcc_lo, v58, v54
	v_add_co_ci_u32_e64 v61, null, v59, v55, vcc_lo
	global_load_dword v60, v[60:61], off
	s_waitcnt vmcnt(0)
	v_mul_f32_e32 v60, s15, v60
	s_branch .LBB76_206
.LBB76_205:
	v_mov_b32_e32 v60, 0
.LBB76_206:
	v_add_f32_e32 v61, v11, v51
	v_add_f32_e32 v62, v10, v50
	;; [unrolled: 1-line block ×4, first 2 shown]
	v_add_co_u32 v54, vcc_lo, v56, v54
	v_min3_f32 v61, v62, v61, v115
	v_add_co_ci_u32_e64 v55, null, v57, v55, vcc_lo
	v_min_f32_e32 v62, v64, v63
	v_min3_f32 v60, v60, v62, v61
	global_store_dword v[54:55], v60, off
	s_or_b32 exec_lo, exec_lo, s12
	s_and_b32 s12, s7, s8
	s_and_saveexec_b32 s8, s12
	s_cbranch_execz .LBB76_211
.LBB76_207:
	v_cmp_ne_u32_e32 vcc_lo, 1, v123
	v_lshlrev_b64 v[54:55], 2, v[78:79]
	s_cbranch_vccnz .LBB76_209
; %bb.208:
	v_add_co_u32 v58, vcc_lo, v58, v54
	v_add_co_ci_u32_e64 v59, null, v59, v55, vcc_lo
	global_load_dword v58, v[58:59], off
	s_waitcnt vmcnt(0)
	v_mul_f32_e32 v58, s15, v58
	s_branch .LBB76_210
.LBB76_209:
	v_mov_b32_e32 v58, 0
.LBB76_210:
	v_add_f32_e32 v51, v3, v51
	v_add_f32_e32 v50, v2, v50
	;; [unrolled: 1-line block ×4, first 2 shown]
	v_min3_f32 v50, v50, v51, v114
	v_min_f32_e32 v51, v52, v53
	v_min3_f32 v52, v58, v51, v50
	v_add_co_u32 v50, vcc_lo, v56, v54
	v_add_co_ci_u32_e64 v51, null, v57, v55, vcc_lo
	global_store_dword v[50:51], v52, off
.LBB76_211:
	s_or_b32 exec_lo, exec_lo, s8
	v_add_nc_u32_e32 v54, 0x80, v133
	v_mad_i64_i32 v[50:51], null, v54, s14, 0
	v_mad_i64_i32 v[52:53], null, v54, s9, 0
	v_cmp_gt_i32_e64 s8, s13, v54
	v_lshlrev_b64 v[50:51], 2, v[50:51]
	s_and_b32 s18, s0, s8
	v_lshlrev_b64 v[52:53], 2, v[52:53]
	v_add_co_u32 v54, vcc_lo, s16, v50
	v_add_co_ci_u32_e64 v55, null, s17, v51, vcc_lo
	v_add_co_u32 v52, vcc_lo, s10, v52
	v_add_co_ci_u32_e64 v53, null, s11, v53, vcc_lo
	s_and_saveexec_b32 s12, s18
	s_cbranch_execnz .LBB76_219
; %bb.212:
	s_or_b32 exec_lo, exec_lo, s12
	s_and_b32 s18, s1, s8
	s_and_saveexec_b32 s12, s18
	s_cbranch_execnz .LBB76_223
.LBB76_213:
	s_or_b32 exec_lo, exec_lo, s12
	s_and_b32 s18, s2, s8
	s_and_saveexec_b32 s12, s18
	s_cbranch_execnz .LBB76_227
.LBB76_214:
	s_or_b32 exec_lo, exec_lo, s12
	s_and_b32 s18, s3, s8
	s_and_saveexec_b32 s12, s18
	s_cbranch_execnz .LBB76_231
.LBB76_215:
	s_or_b32 exec_lo, exec_lo, s12
	s_and_b32 s18, s4, s8
	s_and_saveexec_b32 s12, s18
	s_cbranch_execnz .LBB76_235
.LBB76_216:
	s_or_b32 exec_lo, exec_lo, s12
	s_and_b32 s18, s5, s8
	s_and_saveexec_b32 s12, s18
	s_cbranch_execnz .LBB76_239
.LBB76_217:
	s_or_b32 exec_lo, exec_lo, s12
	s_and_b32 s18, s6, s8
	s_and_saveexec_b32 s12, s18
	s_cbranch_execnz .LBB76_243
.LBB76_218:
	s_or_b32 exec_lo, exec_lo, s12
	s_and_b32 s12, s7, s8
	s_and_saveexec_b32 s8, s12
	s_cbranch_execnz .LBB76_247
	s_branch .LBB76_251
.LBB76_219:
	v_cmp_ne_u32_e32 vcc_lo, 1, v123
	v_lshlrev_b64 v[50:51], 2, v[0:1]
	s_cbranch_vccnz .LBB76_221
; %bb.220:
	v_add_co_u32 v56, vcc_lo, v54, v50
	v_add_co_ci_u32_e64 v57, null, v55, v51, vcc_lo
	global_load_dword v56, v[56:57], off
	s_waitcnt vmcnt(0)
	v_mul_f32_e32 v56, s15, v56
	s_branch .LBB76_222
.LBB76_221:
	v_mov_b32_e32 v56, 0
.LBB76_222:
	v_add_f32_e32 v57, v35, v47
	v_add_f32_e32 v58, v34, v46
	;; [unrolled: 1-line block ×4, first 2 shown]
	v_add_co_u32 v50, vcc_lo, v52, v50
	v_min3_f32 v57, v58, v57, v113
	v_add_co_ci_u32_e64 v51, null, v53, v51, vcc_lo
	v_min_f32_e32 v58, v60, v59
	v_min3_f32 v56, v56, v58, v57
	global_store_dword v[50:51], v56, off
	s_or_b32 exec_lo, exec_lo, s12
	s_and_b32 s18, s1, s8
	s_and_saveexec_b32 s12, s18
	s_cbranch_execz .LBB76_213
.LBB76_223:
	v_cmp_ne_u32_e32 vcc_lo, 1, v123
	v_lshlrev_b64 v[50:51], 2, v[66:67]
	s_cbranch_vccnz .LBB76_225
; %bb.224:
	v_add_co_u32 v56, vcc_lo, v54, v50
	v_add_co_ci_u32_e64 v57, null, v55, v51, vcc_lo
	global_load_dword v56, v[56:57], off
	s_waitcnt vmcnt(0)
	v_mul_f32_e32 v56, s15, v56
	s_branch .LBB76_226
.LBB76_225:
	v_mov_b32_e32 v56, 0
.LBB76_226:
	v_add_f32_e32 v57, v31, v47
	v_add_f32_e32 v58, v30, v46
	;; [unrolled: 1-line block ×4, first 2 shown]
	v_add_co_u32 v50, vcc_lo, v52, v50
	v_min3_f32 v57, v58, v57, v112
	v_add_co_ci_u32_e64 v51, null, v53, v51, vcc_lo
	v_min_f32_e32 v58, v60, v59
	v_min3_f32 v56, v56, v58, v57
	global_store_dword v[50:51], v56, off
	s_or_b32 exec_lo, exec_lo, s12
	s_and_b32 s18, s2, s8
	s_and_saveexec_b32 s12, s18
	s_cbranch_execz .LBB76_214
.LBB76_227:
	v_cmp_ne_u32_e32 vcc_lo, 1, v123
	v_lshlrev_b64 v[50:51], 2, v[68:69]
	s_cbranch_vccnz .LBB76_229
; %bb.228:
	v_add_co_u32 v56, vcc_lo, v54, v50
	v_add_co_ci_u32_e64 v57, null, v55, v51, vcc_lo
	global_load_dword v56, v[56:57], off
	s_waitcnt vmcnt(0)
	v_mul_f32_e32 v56, s15, v56
	s_branch .LBB76_230
.LBB76_229:
	v_mov_b32_e32 v56, 0
.LBB76_230:
	v_add_f32_e32 v57, v27, v47
	v_add_f32_e32 v58, v26, v46
	;; [unrolled: 1-line block ×4, first 2 shown]
	v_add_co_u32 v50, vcc_lo, v52, v50
	v_min3_f32 v57, v58, v57, v111
	v_add_co_ci_u32_e64 v51, null, v53, v51, vcc_lo
	v_min_f32_e32 v58, v60, v59
	v_min3_f32 v56, v56, v58, v57
	global_store_dword v[50:51], v56, off
	s_or_b32 exec_lo, exec_lo, s12
	s_and_b32 s18, s3, s8
	s_and_saveexec_b32 s12, s18
	s_cbranch_execz .LBB76_215
.LBB76_231:
	v_cmp_ne_u32_e32 vcc_lo, 1, v123
	v_lshlrev_b64 v[50:51], 2, v[70:71]
	s_cbranch_vccnz .LBB76_233
; %bb.232:
	v_add_co_u32 v56, vcc_lo, v54, v50
	v_add_co_ci_u32_e64 v57, null, v55, v51, vcc_lo
	global_load_dword v56, v[56:57], off
	s_waitcnt vmcnt(0)
	v_mul_f32_e32 v56, s15, v56
	s_branch .LBB76_234
.LBB76_233:
	v_mov_b32_e32 v56, 0
.LBB76_234:
	v_add_f32_e32 v57, v23, v47
	v_add_f32_e32 v58, v22, v46
	;; [unrolled: 1-line block ×4, first 2 shown]
	v_add_co_u32 v50, vcc_lo, v52, v50
	v_min3_f32 v57, v58, v57, v110
	v_add_co_ci_u32_e64 v51, null, v53, v51, vcc_lo
	v_min_f32_e32 v58, v60, v59
	v_min3_f32 v56, v56, v58, v57
	global_store_dword v[50:51], v56, off
	s_or_b32 exec_lo, exec_lo, s12
	s_and_b32 s18, s4, s8
	s_and_saveexec_b32 s12, s18
	s_cbranch_execz .LBB76_216
.LBB76_235:
	v_cmp_ne_u32_e32 vcc_lo, 1, v123
	v_lshlrev_b64 v[50:51], 2, v[72:73]
	s_cbranch_vccnz .LBB76_237
; %bb.236:
	v_add_co_u32 v56, vcc_lo, v54, v50
	v_add_co_ci_u32_e64 v57, null, v55, v51, vcc_lo
	global_load_dword v56, v[56:57], off
	s_waitcnt vmcnt(0)
	v_mul_f32_e32 v56, s15, v56
	s_branch .LBB76_238
.LBB76_237:
	v_mov_b32_e32 v56, 0
.LBB76_238:
	v_add_f32_e32 v57, v19, v47
	v_add_f32_e32 v58, v18, v46
	;; [unrolled: 1-line block ×4, first 2 shown]
	v_add_co_u32 v50, vcc_lo, v52, v50
	v_min3_f32 v57, v58, v57, v109
	v_add_co_ci_u32_e64 v51, null, v53, v51, vcc_lo
	v_min_f32_e32 v58, v60, v59
	v_min3_f32 v56, v56, v58, v57
	global_store_dword v[50:51], v56, off
	s_or_b32 exec_lo, exec_lo, s12
	s_and_b32 s18, s5, s8
	s_and_saveexec_b32 s12, s18
	s_cbranch_execz .LBB76_217
.LBB76_239:
	v_cmp_ne_u32_e32 vcc_lo, 1, v123
	v_lshlrev_b64 v[50:51], 2, v[74:75]
	s_cbranch_vccnz .LBB76_241
; %bb.240:
	v_add_co_u32 v56, vcc_lo, v54, v50
	v_add_co_ci_u32_e64 v57, null, v55, v51, vcc_lo
	global_load_dword v56, v[56:57], off
	s_waitcnt vmcnt(0)
	v_mul_f32_e32 v56, s15, v56
	s_branch .LBB76_242
.LBB76_241:
	v_mov_b32_e32 v56, 0
.LBB76_242:
	v_add_f32_e32 v57, v15, v47
	v_add_f32_e32 v58, v14, v46
	;; [unrolled: 1-line block ×4, first 2 shown]
	v_add_co_u32 v50, vcc_lo, v52, v50
	v_min3_f32 v57, v58, v57, v108
	v_add_co_ci_u32_e64 v51, null, v53, v51, vcc_lo
	v_min_f32_e32 v58, v60, v59
	v_min3_f32 v56, v56, v58, v57
	global_store_dword v[50:51], v56, off
	s_or_b32 exec_lo, exec_lo, s12
	s_and_b32 s18, s6, s8
	s_and_saveexec_b32 s12, s18
	s_cbranch_execz .LBB76_218
.LBB76_243:
	v_cmp_ne_u32_e32 vcc_lo, 1, v123
	v_lshlrev_b64 v[50:51], 2, v[76:77]
	s_cbranch_vccnz .LBB76_245
; %bb.244:
	v_add_co_u32 v56, vcc_lo, v54, v50
	v_add_co_ci_u32_e64 v57, null, v55, v51, vcc_lo
	global_load_dword v56, v[56:57], off
	s_waitcnt vmcnt(0)
	v_mul_f32_e32 v56, s15, v56
	s_branch .LBB76_246
.LBB76_245:
	v_mov_b32_e32 v56, 0
.LBB76_246:
	v_add_f32_e32 v57, v11, v47
	v_add_f32_e32 v58, v10, v46
	;; [unrolled: 1-line block ×4, first 2 shown]
	v_add_co_u32 v50, vcc_lo, v52, v50
	v_min3_f32 v57, v58, v57, v107
	v_add_co_ci_u32_e64 v51, null, v53, v51, vcc_lo
	v_min_f32_e32 v58, v60, v59
	v_min3_f32 v56, v56, v58, v57
	global_store_dword v[50:51], v56, off
	s_or_b32 exec_lo, exec_lo, s12
	s_and_b32 s12, s7, s8
	s_and_saveexec_b32 s8, s12
	s_cbranch_execz .LBB76_251
.LBB76_247:
	v_cmp_ne_u32_e32 vcc_lo, 1, v123
	v_lshlrev_b64 v[50:51], 2, v[78:79]
	s_cbranch_vccnz .LBB76_249
; %bb.248:
	v_add_co_u32 v54, vcc_lo, v54, v50
	v_add_co_ci_u32_e64 v55, null, v55, v51, vcc_lo
	global_load_dword v54, v[54:55], off
	s_waitcnt vmcnt(0)
	v_mul_f32_e32 v54, s15, v54
	s_branch .LBB76_250
.LBB76_249:
	v_mov_b32_e32 v54, 0
.LBB76_250:
	v_add_f32_e32 v47, v3, v47
	v_add_f32_e32 v46, v2, v46
	;; [unrolled: 1-line block ×4, first 2 shown]
	v_min3_f32 v46, v46, v47, v106
	v_min_f32_e32 v47, v48, v49
	v_min3_f32 v48, v54, v47, v46
	v_add_co_u32 v46, vcc_lo, v52, v50
	v_add_co_ci_u32_e64 v47, null, v53, v51, vcc_lo
	global_store_dword v[46:47], v48, off
.LBB76_251:
	s_or_b32 exec_lo, exec_lo, s8
	v_add_nc_u32_e32 v50, 0xa0, v133
	v_mad_i64_i32 v[46:47], null, v50, s14, 0
	v_mad_i64_i32 v[48:49], null, v50, s9, 0
	v_cmp_gt_i32_e64 s8, s13, v50
	v_lshlrev_b64 v[46:47], 2, v[46:47]
	s_and_b32 s18, s0, s8
	v_lshlrev_b64 v[48:49], 2, v[48:49]
	v_add_co_u32 v50, vcc_lo, s16, v46
	v_add_co_ci_u32_e64 v51, null, s17, v47, vcc_lo
	v_add_co_u32 v48, vcc_lo, s10, v48
	v_add_co_ci_u32_e64 v49, null, s11, v49, vcc_lo
	s_and_saveexec_b32 s12, s18
	s_cbranch_execnz .LBB76_259
; %bb.252:
	s_or_b32 exec_lo, exec_lo, s12
	s_and_b32 s18, s1, s8
	s_and_saveexec_b32 s12, s18
	s_cbranch_execnz .LBB76_263
.LBB76_253:
	s_or_b32 exec_lo, exec_lo, s12
	s_and_b32 s18, s2, s8
	s_and_saveexec_b32 s12, s18
	s_cbranch_execnz .LBB76_267
.LBB76_254:
	s_or_b32 exec_lo, exec_lo, s12
	s_and_b32 s18, s3, s8
	s_and_saveexec_b32 s12, s18
	s_cbranch_execnz .LBB76_271
.LBB76_255:
	s_or_b32 exec_lo, exec_lo, s12
	s_and_b32 s18, s4, s8
	s_and_saveexec_b32 s12, s18
	s_cbranch_execnz .LBB76_275
.LBB76_256:
	s_or_b32 exec_lo, exec_lo, s12
	s_and_b32 s18, s5, s8
	s_and_saveexec_b32 s12, s18
	s_cbranch_execnz .LBB76_279
.LBB76_257:
	s_or_b32 exec_lo, exec_lo, s12
	s_and_b32 s18, s6, s8
	s_and_saveexec_b32 s12, s18
	s_cbranch_execnz .LBB76_283
.LBB76_258:
	s_or_b32 exec_lo, exec_lo, s12
	s_and_b32 s12, s7, s8
	s_and_saveexec_b32 s8, s12
	s_cbranch_execnz .LBB76_287
	s_branch .LBB76_291
.LBB76_259:
	v_cmp_ne_u32_e32 vcc_lo, 1, v123
	v_lshlrev_b64 v[46:47], 2, v[0:1]
	s_cbranch_vccnz .LBB76_261
; %bb.260:
	v_add_co_u32 v52, vcc_lo, v50, v46
	v_add_co_ci_u32_e64 v53, null, v51, v47, vcc_lo
	global_load_dword v52, v[52:53], off
	s_waitcnt vmcnt(0)
	v_mul_f32_e32 v52, s15, v52
	s_branch .LBB76_262
.LBB76_261:
	v_mov_b32_e32 v52, 0
.LBB76_262:
	v_add_f32_e32 v53, v35, v43
	v_add_f32_e32 v54, v34, v42
	;; [unrolled: 1-line block ×4, first 2 shown]
	v_add_co_u32 v46, vcc_lo, v48, v46
	v_min3_f32 v53, v54, v53, v105
	v_add_co_ci_u32_e64 v47, null, v49, v47, vcc_lo
	v_min_f32_e32 v54, v56, v55
	v_min3_f32 v52, v52, v54, v53
	global_store_dword v[46:47], v52, off
	s_or_b32 exec_lo, exec_lo, s12
	s_and_b32 s18, s1, s8
	s_and_saveexec_b32 s12, s18
	s_cbranch_execz .LBB76_253
.LBB76_263:
	v_cmp_ne_u32_e32 vcc_lo, 1, v123
	v_lshlrev_b64 v[46:47], 2, v[66:67]
	s_cbranch_vccnz .LBB76_265
; %bb.264:
	v_add_co_u32 v52, vcc_lo, v50, v46
	v_add_co_ci_u32_e64 v53, null, v51, v47, vcc_lo
	global_load_dword v52, v[52:53], off
	s_waitcnt vmcnt(0)
	v_mul_f32_e32 v52, s15, v52
	s_branch .LBB76_266
.LBB76_265:
	v_mov_b32_e32 v52, 0
.LBB76_266:
	v_add_f32_e32 v53, v31, v43
	v_add_f32_e32 v54, v30, v42
	;; [unrolled: 1-line block ×4, first 2 shown]
	v_add_co_u32 v46, vcc_lo, v48, v46
	v_min3_f32 v53, v54, v53, v104
	v_add_co_ci_u32_e64 v47, null, v49, v47, vcc_lo
	v_min_f32_e32 v54, v56, v55
	v_min3_f32 v52, v52, v54, v53
	global_store_dword v[46:47], v52, off
	s_or_b32 exec_lo, exec_lo, s12
	s_and_b32 s18, s2, s8
	s_and_saveexec_b32 s12, s18
	s_cbranch_execz .LBB76_254
.LBB76_267:
	v_cmp_ne_u32_e32 vcc_lo, 1, v123
	v_lshlrev_b64 v[46:47], 2, v[68:69]
	s_cbranch_vccnz .LBB76_269
; %bb.268:
	v_add_co_u32 v52, vcc_lo, v50, v46
	v_add_co_ci_u32_e64 v53, null, v51, v47, vcc_lo
	global_load_dword v52, v[52:53], off
	s_waitcnt vmcnt(0)
	v_mul_f32_e32 v52, s15, v52
	s_branch .LBB76_270
.LBB76_269:
	v_mov_b32_e32 v52, 0
.LBB76_270:
	v_add_f32_e32 v53, v27, v43
	v_add_f32_e32 v54, v26, v42
	;; [unrolled: 1-line block ×4, first 2 shown]
	v_add_co_u32 v46, vcc_lo, v48, v46
	v_min3_f32 v53, v54, v53, v103
	v_add_co_ci_u32_e64 v47, null, v49, v47, vcc_lo
	v_min_f32_e32 v54, v56, v55
	v_min3_f32 v52, v52, v54, v53
	global_store_dword v[46:47], v52, off
	s_or_b32 exec_lo, exec_lo, s12
	s_and_b32 s18, s3, s8
	s_and_saveexec_b32 s12, s18
	s_cbranch_execz .LBB76_255
.LBB76_271:
	v_cmp_ne_u32_e32 vcc_lo, 1, v123
	v_lshlrev_b64 v[46:47], 2, v[70:71]
	s_cbranch_vccnz .LBB76_273
; %bb.272:
	v_add_co_u32 v52, vcc_lo, v50, v46
	v_add_co_ci_u32_e64 v53, null, v51, v47, vcc_lo
	global_load_dword v52, v[52:53], off
	s_waitcnt vmcnt(0)
	v_mul_f32_e32 v52, s15, v52
	s_branch .LBB76_274
.LBB76_273:
	v_mov_b32_e32 v52, 0
.LBB76_274:
	v_add_f32_e32 v53, v23, v43
	v_add_f32_e32 v54, v22, v42
	;; [unrolled: 1-line block ×4, first 2 shown]
	v_add_co_u32 v46, vcc_lo, v48, v46
	v_min3_f32 v53, v54, v53, v102
	v_add_co_ci_u32_e64 v47, null, v49, v47, vcc_lo
	v_min_f32_e32 v54, v56, v55
	v_min3_f32 v52, v52, v54, v53
	global_store_dword v[46:47], v52, off
	s_or_b32 exec_lo, exec_lo, s12
	s_and_b32 s18, s4, s8
	s_and_saveexec_b32 s12, s18
	s_cbranch_execz .LBB76_256
.LBB76_275:
	v_cmp_ne_u32_e32 vcc_lo, 1, v123
	v_lshlrev_b64 v[46:47], 2, v[72:73]
	s_cbranch_vccnz .LBB76_277
; %bb.276:
	v_add_co_u32 v52, vcc_lo, v50, v46
	v_add_co_ci_u32_e64 v53, null, v51, v47, vcc_lo
	global_load_dword v52, v[52:53], off
	s_waitcnt vmcnt(0)
	v_mul_f32_e32 v52, s15, v52
	s_branch .LBB76_278
.LBB76_277:
	v_mov_b32_e32 v52, 0
.LBB76_278:
	v_add_f32_e32 v53, v19, v43
	v_add_f32_e32 v54, v18, v42
	;; [unrolled: 1-line block ×4, first 2 shown]
	v_add_co_u32 v46, vcc_lo, v48, v46
	v_min3_f32 v53, v54, v53, v101
	v_add_co_ci_u32_e64 v47, null, v49, v47, vcc_lo
	v_min_f32_e32 v54, v56, v55
	v_min3_f32 v52, v52, v54, v53
	global_store_dword v[46:47], v52, off
	s_or_b32 exec_lo, exec_lo, s12
	s_and_b32 s18, s5, s8
	s_and_saveexec_b32 s12, s18
	s_cbranch_execz .LBB76_257
.LBB76_279:
	v_cmp_ne_u32_e32 vcc_lo, 1, v123
	v_lshlrev_b64 v[46:47], 2, v[74:75]
	s_cbranch_vccnz .LBB76_281
; %bb.280:
	v_add_co_u32 v52, vcc_lo, v50, v46
	v_add_co_ci_u32_e64 v53, null, v51, v47, vcc_lo
	global_load_dword v52, v[52:53], off
	s_waitcnt vmcnt(0)
	v_mul_f32_e32 v52, s15, v52
	s_branch .LBB76_282
.LBB76_281:
	v_mov_b32_e32 v52, 0
.LBB76_282:
	v_add_f32_e32 v53, v15, v43
	v_add_f32_e32 v54, v14, v42
	;; [unrolled: 1-line block ×4, first 2 shown]
	v_add_co_u32 v46, vcc_lo, v48, v46
	v_min3_f32 v53, v54, v53, v100
	v_add_co_ci_u32_e64 v47, null, v49, v47, vcc_lo
	v_min_f32_e32 v54, v56, v55
	v_min3_f32 v52, v52, v54, v53
	global_store_dword v[46:47], v52, off
	s_or_b32 exec_lo, exec_lo, s12
	s_and_b32 s18, s6, s8
	s_and_saveexec_b32 s12, s18
	s_cbranch_execz .LBB76_258
.LBB76_283:
	v_cmp_ne_u32_e32 vcc_lo, 1, v123
	v_lshlrev_b64 v[46:47], 2, v[76:77]
	s_cbranch_vccnz .LBB76_285
; %bb.284:
	v_add_co_u32 v52, vcc_lo, v50, v46
	v_add_co_ci_u32_e64 v53, null, v51, v47, vcc_lo
	global_load_dword v52, v[52:53], off
	s_waitcnt vmcnt(0)
	v_mul_f32_e32 v52, s15, v52
	s_branch .LBB76_286
.LBB76_285:
	v_mov_b32_e32 v52, 0
.LBB76_286:
	v_add_f32_e32 v53, v11, v43
	v_add_f32_e32 v54, v10, v42
	;; [unrolled: 1-line block ×4, first 2 shown]
	v_add_co_u32 v46, vcc_lo, v48, v46
	v_min3_f32 v53, v54, v53, v99
	v_add_co_ci_u32_e64 v47, null, v49, v47, vcc_lo
	v_min_f32_e32 v54, v56, v55
	v_min3_f32 v52, v52, v54, v53
	global_store_dword v[46:47], v52, off
	s_or_b32 exec_lo, exec_lo, s12
	s_and_b32 s12, s7, s8
	s_and_saveexec_b32 s8, s12
	s_cbranch_execz .LBB76_291
.LBB76_287:
	v_cmp_ne_u32_e32 vcc_lo, 1, v123
	v_lshlrev_b64 v[46:47], 2, v[78:79]
	s_cbranch_vccnz .LBB76_289
; %bb.288:
	v_add_co_u32 v50, vcc_lo, v50, v46
	v_add_co_ci_u32_e64 v51, null, v51, v47, vcc_lo
	global_load_dword v50, v[50:51], off
	s_waitcnt vmcnt(0)
	v_mul_f32_e32 v50, s15, v50
	s_branch .LBB76_290
.LBB76_289:
	v_mov_b32_e32 v50, 0
.LBB76_290:
	v_add_f32_e32 v43, v3, v43
	v_add_f32_e32 v42, v2, v42
	;; [unrolled: 1-line block ×4, first 2 shown]
	v_min3_f32 v42, v42, v43, v98
	v_min_f32_e32 v43, v44, v45
	v_min3_f32 v44, v50, v43, v42
	v_add_co_u32 v42, vcc_lo, v48, v46
	v_add_co_ci_u32_e64 v43, null, v49, v47, vcc_lo
	global_store_dword v[42:43], v44, off
.LBB76_291:
	s_or_b32 exec_lo, exec_lo, s8
	v_add_nc_u32_e32 v46, 0xc0, v133
	v_mad_i64_i32 v[42:43], null, v46, s14, 0
	v_mad_i64_i32 v[44:45], null, v46, s9, 0
	v_cmp_gt_i32_e64 s8, s13, v46
	v_lshlrev_b64 v[42:43], 2, v[42:43]
	s_and_b32 s18, s0, s8
	v_lshlrev_b64 v[44:45], 2, v[44:45]
	v_add_co_u32 v46, vcc_lo, s16, v42
	v_add_co_ci_u32_e64 v47, null, s17, v43, vcc_lo
	v_add_co_u32 v44, vcc_lo, s10, v44
	v_add_co_ci_u32_e64 v45, null, s11, v45, vcc_lo
	s_and_saveexec_b32 s12, s18
	s_cbranch_execnz .LBB76_299
; %bb.292:
	s_or_b32 exec_lo, exec_lo, s12
	s_and_b32 s18, s1, s8
	s_and_saveexec_b32 s12, s18
	s_cbranch_execnz .LBB76_303
.LBB76_293:
	s_or_b32 exec_lo, exec_lo, s12
	s_and_b32 s18, s2, s8
	s_and_saveexec_b32 s12, s18
	s_cbranch_execnz .LBB76_307
.LBB76_294:
	s_or_b32 exec_lo, exec_lo, s12
	s_and_b32 s18, s3, s8
	s_and_saveexec_b32 s12, s18
	s_cbranch_execnz .LBB76_311
.LBB76_295:
	s_or_b32 exec_lo, exec_lo, s12
	s_and_b32 s18, s4, s8
	s_and_saveexec_b32 s12, s18
	s_cbranch_execnz .LBB76_315
.LBB76_296:
	s_or_b32 exec_lo, exec_lo, s12
	s_and_b32 s18, s5, s8
	s_and_saveexec_b32 s12, s18
	s_cbranch_execnz .LBB76_319
.LBB76_297:
	s_or_b32 exec_lo, exec_lo, s12
	s_and_b32 s18, s6, s8
	s_and_saveexec_b32 s12, s18
	s_cbranch_execnz .LBB76_323
.LBB76_298:
	s_or_b32 exec_lo, exec_lo, s12
	s_and_b32 s12, s7, s8
	s_and_saveexec_b32 s8, s12
	s_cbranch_execnz .LBB76_327
	s_branch .LBB76_331
.LBB76_299:
	v_cmp_ne_u32_e32 vcc_lo, 1, v123
	v_lshlrev_b64 v[42:43], 2, v[0:1]
	s_cbranch_vccnz .LBB76_301
; %bb.300:
	v_add_co_u32 v48, vcc_lo, v46, v42
	v_add_co_ci_u32_e64 v49, null, v47, v43, vcc_lo
	global_load_dword v48, v[48:49], off
	s_waitcnt vmcnt(0)
	v_mul_f32_e32 v48, s15, v48
	s_branch .LBB76_302
.LBB76_301:
	v_mov_b32_e32 v48, 0
.LBB76_302:
	v_add_f32_e32 v49, v35, v39
	v_add_f32_e32 v50, v34, v38
	;; [unrolled: 1-line block ×4, first 2 shown]
	v_add_co_u32 v42, vcc_lo, v44, v42
	v_min3_f32 v49, v50, v49, v97
	v_add_co_ci_u32_e64 v43, null, v45, v43, vcc_lo
	v_min_f32_e32 v50, v52, v51
	v_min3_f32 v48, v48, v50, v49
	global_store_dword v[42:43], v48, off
	s_or_b32 exec_lo, exec_lo, s12
	s_and_b32 s18, s1, s8
	s_and_saveexec_b32 s12, s18
	s_cbranch_execz .LBB76_293
.LBB76_303:
	v_cmp_ne_u32_e32 vcc_lo, 1, v123
	v_lshlrev_b64 v[42:43], 2, v[66:67]
	s_cbranch_vccnz .LBB76_305
; %bb.304:
	v_add_co_u32 v48, vcc_lo, v46, v42
	v_add_co_ci_u32_e64 v49, null, v47, v43, vcc_lo
	global_load_dword v48, v[48:49], off
	s_waitcnt vmcnt(0)
	v_mul_f32_e32 v48, s15, v48
	s_branch .LBB76_306
.LBB76_305:
	v_mov_b32_e32 v48, 0
.LBB76_306:
	v_add_f32_e32 v49, v31, v39
	v_add_f32_e32 v50, v30, v38
	;; [unrolled: 1-line block ×4, first 2 shown]
	v_add_co_u32 v42, vcc_lo, v44, v42
	v_min3_f32 v49, v50, v49, v96
	v_add_co_ci_u32_e64 v43, null, v45, v43, vcc_lo
	v_min_f32_e32 v50, v52, v51
	v_min3_f32 v48, v48, v50, v49
	global_store_dword v[42:43], v48, off
	s_or_b32 exec_lo, exec_lo, s12
	s_and_b32 s18, s2, s8
	s_and_saveexec_b32 s12, s18
	s_cbranch_execz .LBB76_294
.LBB76_307:
	v_cmp_ne_u32_e32 vcc_lo, 1, v123
	v_lshlrev_b64 v[42:43], 2, v[68:69]
	s_cbranch_vccnz .LBB76_309
; %bb.308:
	v_add_co_u32 v48, vcc_lo, v46, v42
	v_add_co_ci_u32_e64 v49, null, v47, v43, vcc_lo
	global_load_dword v48, v[48:49], off
	s_waitcnt vmcnt(0)
	v_mul_f32_e32 v48, s15, v48
	s_branch .LBB76_310
.LBB76_309:
	v_mov_b32_e32 v48, 0
.LBB76_310:
	v_add_f32_e32 v49, v27, v39
	v_add_f32_e32 v50, v26, v38
	;; [unrolled: 1-line block ×4, first 2 shown]
	v_add_co_u32 v42, vcc_lo, v44, v42
	v_min3_f32 v49, v50, v49, v95
	v_add_co_ci_u32_e64 v43, null, v45, v43, vcc_lo
	v_min_f32_e32 v50, v52, v51
	v_min3_f32 v48, v48, v50, v49
	global_store_dword v[42:43], v48, off
	s_or_b32 exec_lo, exec_lo, s12
	s_and_b32 s18, s3, s8
	s_and_saveexec_b32 s12, s18
	s_cbranch_execz .LBB76_295
.LBB76_311:
	v_cmp_ne_u32_e32 vcc_lo, 1, v123
	v_lshlrev_b64 v[42:43], 2, v[70:71]
	s_cbranch_vccnz .LBB76_313
; %bb.312:
	v_add_co_u32 v48, vcc_lo, v46, v42
	v_add_co_ci_u32_e64 v49, null, v47, v43, vcc_lo
	global_load_dword v48, v[48:49], off
	s_waitcnt vmcnt(0)
	v_mul_f32_e32 v48, s15, v48
	s_branch .LBB76_314
.LBB76_313:
	v_mov_b32_e32 v48, 0
.LBB76_314:
	v_add_f32_e32 v49, v23, v39
	v_add_f32_e32 v50, v22, v38
	;; [unrolled: 1-line block ×4, first 2 shown]
	v_add_co_u32 v42, vcc_lo, v44, v42
	v_min3_f32 v49, v50, v49, v94
	v_add_co_ci_u32_e64 v43, null, v45, v43, vcc_lo
	v_min_f32_e32 v50, v52, v51
	v_min3_f32 v48, v48, v50, v49
	global_store_dword v[42:43], v48, off
	s_or_b32 exec_lo, exec_lo, s12
	s_and_b32 s18, s4, s8
	s_and_saveexec_b32 s12, s18
	s_cbranch_execz .LBB76_296
.LBB76_315:
	v_cmp_ne_u32_e32 vcc_lo, 1, v123
	v_lshlrev_b64 v[42:43], 2, v[72:73]
	s_cbranch_vccnz .LBB76_317
; %bb.316:
	v_add_co_u32 v48, vcc_lo, v46, v42
	v_add_co_ci_u32_e64 v49, null, v47, v43, vcc_lo
	global_load_dword v48, v[48:49], off
	s_waitcnt vmcnt(0)
	v_mul_f32_e32 v48, s15, v48
	s_branch .LBB76_318
.LBB76_317:
	v_mov_b32_e32 v48, 0
.LBB76_318:
	v_add_f32_e32 v49, v19, v39
	v_add_f32_e32 v50, v18, v38
	;; [unrolled: 1-line block ×4, first 2 shown]
	v_add_co_u32 v42, vcc_lo, v44, v42
	v_min3_f32 v49, v50, v49, v93
	v_add_co_ci_u32_e64 v43, null, v45, v43, vcc_lo
	v_min_f32_e32 v50, v52, v51
	v_min3_f32 v48, v48, v50, v49
	global_store_dword v[42:43], v48, off
	s_or_b32 exec_lo, exec_lo, s12
	s_and_b32 s18, s5, s8
	s_and_saveexec_b32 s12, s18
	s_cbranch_execz .LBB76_297
.LBB76_319:
	v_cmp_ne_u32_e32 vcc_lo, 1, v123
	v_lshlrev_b64 v[42:43], 2, v[74:75]
	s_cbranch_vccnz .LBB76_321
; %bb.320:
	v_add_co_u32 v48, vcc_lo, v46, v42
	v_add_co_ci_u32_e64 v49, null, v47, v43, vcc_lo
	global_load_dword v48, v[48:49], off
	s_waitcnt vmcnt(0)
	v_mul_f32_e32 v48, s15, v48
	s_branch .LBB76_322
.LBB76_321:
	v_mov_b32_e32 v48, 0
.LBB76_322:
	v_add_f32_e32 v49, v15, v39
	v_add_f32_e32 v50, v14, v38
	;; [unrolled: 1-line block ×4, first 2 shown]
	v_add_co_u32 v42, vcc_lo, v44, v42
	v_min3_f32 v49, v50, v49, v91
	v_add_co_ci_u32_e64 v43, null, v45, v43, vcc_lo
	v_min_f32_e32 v50, v52, v51
	v_min3_f32 v48, v48, v50, v49
	global_store_dword v[42:43], v48, off
	s_or_b32 exec_lo, exec_lo, s12
	s_and_b32 s18, s6, s8
	s_and_saveexec_b32 s12, s18
	s_cbranch_execz .LBB76_298
.LBB76_323:
	v_cmp_ne_u32_e32 vcc_lo, 1, v123
	v_lshlrev_b64 v[42:43], 2, v[76:77]
	s_cbranch_vccnz .LBB76_325
; %bb.324:
	v_add_co_u32 v48, vcc_lo, v46, v42
	v_add_co_ci_u32_e64 v49, null, v47, v43, vcc_lo
	global_load_dword v48, v[48:49], off
	s_waitcnt vmcnt(0)
	v_mul_f32_e32 v48, s15, v48
	s_branch .LBB76_326
.LBB76_325:
	v_mov_b32_e32 v48, 0
.LBB76_326:
	v_add_f32_e32 v49, v11, v39
	v_add_f32_e32 v50, v10, v38
	;; [unrolled: 1-line block ×4, first 2 shown]
	v_add_co_u32 v42, vcc_lo, v44, v42
	v_min3_f32 v49, v50, v49, v90
	v_add_co_ci_u32_e64 v43, null, v45, v43, vcc_lo
	v_min_f32_e32 v50, v52, v51
	v_min3_f32 v48, v48, v50, v49
	global_store_dword v[42:43], v48, off
	s_or_b32 exec_lo, exec_lo, s12
	s_and_b32 s12, s7, s8
	s_and_saveexec_b32 s8, s12
	s_cbranch_execz .LBB76_331
.LBB76_327:
	v_cmp_ne_u32_e32 vcc_lo, 1, v123
	v_lshlrev_b64 v[42:43], 2, v[78:79]
	s_cbranch_vccnz .LBB76_329
; %bb.328:
	v_add_co_u32 v46, vcc_lo, v46, v42
	v_add_co_ci_u32_e64 v47, null, v47, v43, vcc_lo
	global_load_dword v46, v[46:47], off
	s_waitcnt vmcnt(0)
	v_mul_f32_e32 v46, s15, v46
	s_branch .LBB76_330
.LBB76_329:
	v_mov_b32_e32 v46, 0
.LBB76_330:
	v_add_f32_e32 v39, v3, v39
	v_add_f32_e32 v38, v2, v38
	;; [unrolled: 1-line block ×4, first 2 shown]
	v_min3_f32 v38, v38, v39, v89
	v_min_f32_e32 v39, v40, v41
	v_min3_f32 v40, v46, v39, v38
	v_add_co_u32 v38, vcc_lo, v44, v42
	v_add_co_ci_u32_e64 v39, null, v45, v43, vcc_lo
	global_store_dword v[38:39], v40, off
.LBB76_331:
	s_or_b32 exec_lo, exec_lo, s8
	v_add_nc_u32_e32 v42, 0xe0, v133
	v_mad_i64_i32 v[38:39], null, v42, s14, 0
	v_mad_i64_i32 v[40:41], null, v42, s9, 0
	v_cmp_gt_i32_e64 s8, s13, v42
	v_lshlrev_b64 v[38:39], 2, v[38:39]
	s_and_b32 s9, s0, s8
	v_lshlrev_b64 v[42:43], 2, v[40:41]
	v_add_co_u32 v40, vcc_lo, s16, v38
	v_add_co_ci_u32_e64 v41, null, s17, v39, vcc_lo
	v_add_co_u32 v38, vcc_lo, s10, v42
	v_add_co_ci_u32_e64 v39, null, s11, v43, vcc_lo
	s_and_saveexec_b32 s0, s9
	s_cbranch_execnz .LBB76_340
; %bb.332:
	s_or_b32 exec_lo, exec_lo, s0
	s_and_b32 s1, s1, s8
	s_and_saveexec_b32 s0, s1
	s_cbranch_execnz .LBB76_344
.LBB76_333:
	s_or_b32 exec_lo, exec_lo, s0
	s_and_b32 s1, s2, s8
	s_and_saveexec_b32 s0, s1
	s_cbranch_execnz .LBB76_348
.LBB76_334:
	s_or_b32 exec_lo, exec_lo, s0
	s_and_b32 s1, s3, s8
	s_and_saveexec_b32 s0, s1
	s_cbranch_execnz .LBB76_352
.LBB76_335:
	s_or_b32 exec_lo, exec_lo, s0
	s_and_b32 s1, s4, s8
	s_and_saveexec_b32 s0, s1
	s_cbranch_execnz .LBB76_356
.LBB76_336:
	s_or_b32 exec_lo, exec_lo, s0
	s_and_b32 s1, s5, s8
	s_and_saveexec_b32 s0, s1
	s_cbranch_execnz .LBB76_360
.LBB76_337:
	s_or_b32 exec_lo, exec_lo, s0
	s_and_b32 s1, s6, s8
	s_and_saveexec_b32 s0, s1
	s_cbranch_execnz .LBB76_364
.LBB76_338:
	s_or_b32 exec_lo, exec_lo, s0
	s_and_b32 s0, s7, s8
	s_and_saveexec_b32 s1, s0
	s_cbranch_execnz .LBB76_368
.LBB76_339:
	s_endpgm
.LBB76_340:
	v_cmp_ne_u32_e32 vcc_lo, 1, v123
	v_lshlrev_b64 v[0:1], 2, v[0:1]
	s_cbranch_vccnz .LBB76_342
; %bb.341:
	v_add_co_u32 v42, vcc_lo, v40, v0
	v_add_co_ci_u32_e64 v43, null, v41, v1, vcc_lo
	global_load_dword v42, v[42:43], off
	s_waitcnt vmcnt(0)
	v_mul_f32_e32 v42, s15, v42
	s_branch .LBB76_343
.LBB76_342:
	v_mov_b32_e32 v42, 0
.LBB76_343:
	v_add_f32_e32 v35, v35, v7
	v_add_f32_e32 v34, v34, v6
	;; [unrolled: 1-line block ×4, first 2 shown]
	v_add_co_u32 v0, vcc_lo, v38, v0
	v_min3_f32 v34, v34, v35, v88
	v_add_co_ci_u32_e64 v1, null, v39, v1, vcc_lo
	v_min_f32_e32 v35, v36, v37
	v_min3_f32 v34, v42, v35, v34
	global_store_dword v[0:1], v34, off
	s_or_b32 exec_lo, exec_lo, s0
	s_and_b32 s1, s1, s8
	s_and_saveexec_b32 s0, s1
	s_cbranch_execz .LBB76_333
.LBB76_344:
	v_cmp_ne_u32_e32 vcc_lo, 1, v123
	v_lshlrev_b64 v[0:1], 2, v[66:67]
	s_cbranch_vccnz .LBB76_346
; %bb.345:
	v_add_co_u32 v34, vcc_lo, v40, v0
	v_add_co_ci_u32_e64 v35, null, v41, v1, vcc_lo
	global_load_dword v34, v[34:35], off
	s_waitcnt vmcnt(0)
	v_mul_f32_e32 v34, s15, v34
	s_branch .LBB76_347
.LBB76_346:
	v_mov_b32_e32 v34, 0
.LBB76_347:
	v_add_f32_e32 v31, v31, v7
	v_add_f32_e32 v30, v30, v6
	;; [unrolled: 1-line block ×4, first 2 shown]
	v_add_co_u32 v0, vcc_lo, v38, v0
	v_min3_f32 v30, v30, v31, v87
	v_add_co_ci_u32_e64 v1, null, v39, v1, vcc_lo
	v_min_f32_e32 v31, v32, v33
	v_min3_f32 v30, v34, v31, v30
	global_store_dword v[0:1], v30, off
	s_or_b32 exec_lo, exec_lo, s0
	s_and_b32 s1, s2, s8
	s_and_saveexec_b32 s0, s1
	s_cbranch_execz .LBB76_334
.LBB76_348:
	v_cmp_ne_u32_e32 vcc_lo, 1, v123
	v_lshlrev_b64 v[0:1], 2, v[68:69]
	s_cbranch_vccnz .LBB76_350
; %bb.349:
	v_add_co_u32 v30, vcc_lo, v40, v0
	v_add_co_ci_u32_e64 v31, null, v41, v1, vcc_lo
	global_load_dword v30, v[30:31], off
	s_waitcnt vmcnt(0)
	v_mul_f32_e32 v30, s15, v30
	s_branch .LBB76_351
.LBB76_350:
	v_mov_b32_e32 v30, 0
.LBB76_351:
	v_add_f32_e32 v27, v27, v7
	v_add_f32_e32 v26, v26, v6
	;; [unrolled: 1-line block ×4, first 2 shown]
	v_add_co_u32 v0, vcc_lo, v38, v0
	v_min3_f32 v26, v26, v27, v86
	v_add_co_ci_u32_e64 v1, null, v39, v1, vcc_lo
	v_min_f32_e32 v27, v28, v29
	v_min3_f32 v26, v30, v27, v26
	global_store_dword v[0:1], v26, off
	s_or_b32 exec_lo, exec_lo, s0
	s_and_b32 s1, s3, s8
	s_and_saveexec_b32 s0, s1
	s_cbranch_execz .LBB76_335
.LBB76_352:
	v_cmp_ne_u32_e32 vcc_lo, 1, v123
	v_lshlrev_b64 v[0:1], 2, v[70:71]
	s_cbranch_vccnz .LBB76_354
; %bb.353:
	v_add_co_u32 v26, vcc_lo, v40, v0
	v_add_co_ci_u32_e64 v27, null, v41, v1, vcc_lo
	global_load_dword v26, v[26:27], off
	s_waitcnt vmcnt(0)
	v_mul_f32_e32 v26, s15, v26
	s_branch .LBB76_355
.LBB76_354:
	v_mov_b32_e32 v26, 0
.LBB76_355:
	v_add_f32_e32 v23, v23, v7
	v_add_f32_e32 v22, v22, v6
	;; [unrolled: 1-line block ×4, first 2 shown]
	v_add_co_u32 v0, vcc_lo, v38, v0
	v_min3_f32 v22, v22, v23, v85
	v_add_co_ci_u32_e64 v1, null, v39, v1, vcc_lo
	v_min_f32_e32 v23, v24, v25
	v_min3_f32 v22, v26, v23, v22
	global_store_dword v[0:1], v22, off
	s_or_b32 exec_lo, exec_lo, s0
	s_and_b32 s1, s4, s8
	s_and_saveexec_b32 s0, s1
	s_cbranch_execz .LBB76_336
.LBB76_356:
	v_cmp_ne_u32_e32 vcc_lo, 1, v123
	v_lshlrev_b64 v[0:1], 2, v[72:73]
	s_cbranch_vccnz .LBB76_358
; %bb.357:
	v_add_co_u32 v22, vcc_lo, v40, v0
	v_add_co_ci_u32_e64 v23, null, v41, v1, vcc_lo
	global_load_dword v22, v[22:23], off
	s_waitcnt vmcnt(0)
	v_mul_f32_e32 v22, s15, v22
	s_branch .LBB76_359
.LBB76_358:
	v_mov_b32_e32 v22, 0
.LBB76_359:
	v_add_f32_e32 v19, v19, v7
	v_add_f32_e32 v18, v18, v6
	;; [unrolled: 1-line block ×4, first 2 shown]
	v_add_co_u32 v0, vcc_lo, v38, v0
	v_min3_f32 v18, v18, v19, v84
	v_add_co_ci_u32_e64 v1, null, v39, v1, vcc_lo
	v_min_f32_e32 v19, v20, v21
	v_min3_f32 v18, v22, v19, v18
	global_store_dword v[0:1], v18, off
	s_or_b32 exec_lo, exec_lo, s0
	s_and_b32 s1, s5, s8
	s_and_saveexec_b32 s0, s1
	s_cbranch_execz .LBB76_337
.LBB76_360:
	v_cmp_ne_u32_e32 vcc_lo, 1, v123
	v_lshlrev_b64 v[0:1], 2, v[74:75]
	s_cbranch_vccnz .LBB76_362
; %bb.361:
	v_add_co_u32 v18, vcc_lo, v40, v0
	v_add_co_ci_u32_e64 v19, null, v41, v1, vcc_lo
	global_load_dword v18, v[18:19], off
	s_waitcnt vmcnt(0)
	v_mul_f32_e32 v18, s15, v18
	s_branch .LBB76_363
.LBB76_362:
	v_mov_b32_e32 v18, 0
.LBB76_363:
	v_add_f32_e32 v15, v15, v7
	v_add_f32_e32 v14, v14, v6
	;; [unrolled: 1-line block ×4, first 2 shown]
	v_add_co_u32 v0, vcc_lo, v38, v0
	v_min3_f32 v14, v14, v15, v83
	v_add_co_ci_u32_e64 v1, null, v39, v1, vcc_lo
	v_min_f32_e32 v15, v16, v17
	v_min3_f32 v14, v18, v15, v14
	global_store_dword v[0:1], v14, off
	s_or_b32 exec_lo, exec_lo, s0
	s_and_b32 s1, s6, s8
	s_and_saveexec_b32 s0, s1
	s_cbranch_execz .LBB76_338
.LBB76_364:
	v_cmp_ne_u32_e32 vcc_lo, 1, v123
	v_lshlrev_b64 v[0:1], 2, v[76:77]
	s_cbranch_vccnz .LBB76_366
; %bb.365:
	v_add_co_u32 v14, vcc_lo, v40, v0
	v_add_co_ci_u32_e64 v15, null, v41, v1, vcc_lo
	global_load_dword v14, v[14:15], off
	s_waitcnt vmcnt(0)
	v_mul_f32_e32 v14, s15, v14
	s_branch .LBB76_367
.LBB76_366:
	v_mov_b32_e32 v14, 0
.LBB76_367:
	v_add_f32_e32 v11, v11, v7
	v_add_f32_e32 v10, v10, v6
	;; [unrolled: 1-line block ×4, first 2 shown]
	v_add_co_u32 v0, vcc_lo, v38, v0
	v_min3_f32 v10, v10, v11, v82
	v_add_co_ci_u32_e64 v1, null, v39, v1, vcc_lo
	v_min_f32_e32 v11, v12, v13
	v_min3_f32 v10, v14, v11, v10
	global_store_dword v[0:1], v10, off
	s_or_b32 exec_lo, exec_lo, s0
	s_and_b32 s0, s7, s8
	s_and_saveexec_b32 s1, s0
	s_cbranch_execz .LBB76_339
.LBB76_368:
	v_cmp_ne_u32_e32 vcc_lo, 1, v123
	v_lshlrev_b64 v[0:1], 2, v[78:79]
	s_cbranch_vccnz .LBB76_370
; %bb.369:
	v_add_co_u32 v10, vcc_lo, v40, v0
	v_add_co_ci_u32_e64 v11, null, v41, v1, vcc_lo
	global_load_dword v10, v[10:11], off
	s_waitcnt vmcnt(0)
	v_mul_f32_e32 v10, s15, v10
	s_branch .LBB76_371
.LBB76_370:
	v_mov_b32_e32 v10, 0
.LBB76_371:
	v_add_f32_e32 v3, v3, v7
	v_add_f32_e32 v2, v2, v6
	;; [unrolled: 1-line block ×4, first 2 shown]
	v_add_co_u32 v0, vcc_lo, v38, v0
	v_min3_f32 v2, v2, v3, v92
	v_add_co_ci_u32_e64 v1, null, v39, v1, vcc_lo
	v_min_f32_e32 v3, v4, v5
	v_min3_f32 v2, v10, v3, v2
	global_store_dword v[0:1], v2, off
	s_endpgm
	.section	.rodata,"a",@progbits
	.p2align	6, 0x0
	.amdhsa_kernel _ZN12_GLOBAL__N_120geam_min_plus_kernelIf15HIP_vector_typeIfLj2EEfLi8ELi32ELi64ELi256ELi4ELi4ELi64ELi64ELi4ELc84ELc84ELb1ELb1ELb1EfKffEEviiiT16_PT17_ilS6_ilS4_S6_ilPT18_ili26rocblas_geam_ex_operation_
		.amdhsa_group_segment_fixed_size 10240
		.amdhsa_private_segment_fixed_size 0
		.amdhsa_kernarg_size 128
		.amdhsa_user_sgpr_count 6
		.amdhsa_user_sgpr_private_segment_buffer 1
		.amdhsa_user_sgpr_dispatch_ptr 0
		.amdhsa_user_sgpr_queue_ptr 0
		.amdhsa_user_sgpr_kernarg_segment_ptr 1
		.amdhsa_user_sgpr_dispatch_id 0
		.amdhsa_user_sgpr_flat_scratch_init 0
		.amdhsa_user_sgpr_private_segment_size 0
		.amdhsa_wavefront_size32 1
		.amdhsa_uses_dynamic_stack 0
		.amdhsa_system_sgpr_private_segment_wavefront_offset 0
		.amdhsa_system_sgpr_workgroup_id_x 1
		.amdhsa_system_sgpr_workgroup_id_y 0
		.amdhsa_system_sgpr_workgroup_id_z 1
		.amdhsa_system_sgpr_workgroup_info 0
		.amdhsa_system_vgpr_workitem_id 1
		.amdhsa_next_free_vgpr 157
		.amdhsa_next_free_sgpr 30
		.amdhsa_reserve_vcc 1
		.amdhsa_reserve_flat_scratch 0
		.amdhsa_float_round_mode_32 0
		.amdhsa_float_round_mode_16_64 0
		.amdhsa_float_denorm_mode_32 3
		.amdhsa_float_denorm_mode_16_64 3
		.amdhsa_dx10_clamp 1
		.amdhsa_ieee_mode 1
		.amdhsa_fp16_overflow 0
		.amdhsa_workgroup_processor_mode 1
		.amdhsa_memory_ordered 1
		.amdhsa_forward_progress 1
		.amdhsa_shared_vgpr_count 0
		.amdhsa_exception_fp_ieee_invalid_op 0
		.amdhsa_exception_fp_denorm_src 0
		.amdhsa_exception_fp_ieee_div_zero 0
		.amdhsa_exception_fp_ieee_overflow 0
		.amdhsa_exception_fp_ieee_underflow 0
		.amdhsa_exception_fp_ieee_inexact 0
		.amdhsa_exception_int_div_zero 0
	.end_amdhsa_kernel
	.section	.text._ZN12_GLOBAL__N_120geam_min_plus_kernelIf15HIP_vector_typeIfLj2EEfLi8ELi32ELi64ELi256ELi4ELi4ELi64ELi64ELi4ELc84ELc84ELb1ELb1ELb1EfKffEEviiiT16_PT17_ilS6_ilS4_S6_ilPT18_ili26rocblas_geam_ex_operation_,"axG",@progbits,_ZN12_GLOBAL__N_120geam_min_plus_kernelIf15HIP_vector_typeIfLj2EEfLi8ELi32ELi64ELi256ELi4ELi4ELi64ELi64ELi4ELc84ELc84ELb1ELb1ELb1EfKffEEviiiT16_PT17_ilS6_ilS4_S6_ilPT18_ili26rocblas_geam_ex_operation_,comdat
.Lfunc_end76:
	.size	_ZN12_GLOBAL__N_120geam_min_plus_kernelIf15HIP_vector_typeIfLj2EEfLi8ELi32ELi64ELi256ELi4ELi4ELi64ELi64ELi4ELc84ELc84ELb1ELb1ELb1EfKffEEviiiT16_PT17_ilS6_ilS4_S6_ilPT18_ili26rocblas_geam_ex_operation_, .Lfunc_end76-_ZN12_GLOBAL__N_120geam_min_plus_kernelIf15HIP_vector_typeIfLj2EEfLi8ELi32ELi64ELi256ELi4ELi4ELi64ELi64ELi4ELc84ELc84ELb1ELb1ELb1EfKffEEviiiT16_PT17_ilS6_ilS4_S6_ilPT18_ili26rocblas_geam_ex_operation_
                                        ; -- End function
	.set _ZN12_GLOBAL__N_120geam_min_plus_kernelIf15HIP_vector_typeIfLj2EEfLi8ELi32ELi64ELi256ELi4ELi4ELi64ELi64ELi4ELc84ELc84ELb1ELb1ELb1EfKffEEviiiT16_PT17_ilS6_ilS4_S6_ilPT18_ili26rocblas_geam_ex_operation_.num_vgpr, 157
	.set _ZN12_GLOBAL__N_120geam_min_plus_kernelIf15HIP_vector_typeIfLj2EEfLi8ELi32ELi64ELi256ELi4ELi4ELi64ELi64ELi4ELc84ELc84ELb1ELb1ELb1EfKffEEviiiT16_PT17_ilS6_ilS4_S6_ilPT18_ili26rocblas_geam_ex_operation_.num_agpr, 0
	.set _ZN12_GLOBAL__N_120geam_min_plus_kernelIf15HIP_vector_typeIfLj2EEfLi8ELi32ELi64ELi256ELi4ELi4ELi64ELi64ELi4ELc84ELc84ELb1ELb1ELb1EfKffEEviiiT16_PT17_ilS6_ilS4_S6_ilPT18_ili26rocblas_geam_ex_operation_.numbered_sgpr, 30
	.set _ZN12_GLOBAL__N_120geam_min_plus_kernelIf15HIP_vector_typeIfLj2EEfLi8ELi32ELi64ELi256ELi4ELi4ELi64ELi64ELi4ELc84ELc84ELb1ELb1ELb1EfKffEEviiiT16_PT17_ilS6_ilS4_S6_ilPT18_ili26rocblas_geam_ex_operation_.num_named_barrier, 0
	.set _ZN12_GLOBAL__N_120geam_min_plus_kernelIf15HIP_vector_typeIfLj2EEfLi8ELi32ELi64ELi256ELi4ELi4ELi64ELi64ELi4ELc84ELc84ELb1ELb1ELb1EfKffEEviiiT16_PT17_ilS6_ilS4_S6_ilPT18_ili26rocblas_geam_ex_operation_.private_seg_size, 0
	.set _ZN12_GLOBAL__N_120geam_min_plus_kernelIf15HIP_vector_typeIfLj2EEfLi8ELi32ELi64ELi256ELi4ELi4ELi64ELi64ELi4ELc84ELc84ELb1ELb1ELb1EfKffEEviiiT16_PT17_ilS6_ilS4_S6_ilPT18_ili26rocblas_geam_ex_operation_.uses_vcc, 1
	.set _ZN12_GLOBAL__N_120geam_min_plus_kernelIf15HIP_vector_typeIfLj2EEfLi8ELi32ELi64ELi256ELi4ELi4ELi64ELi64ELi4ELc84ELc84ELb1ELb1ELb1EfKffEEviiiT16_PT17_ilS6_ilS4_S6_ilPT18_ili26rocblas_geam_ex_operation_.uses_flat_scratch, 0
	.set _ZN12_GLOBAL__N_120geam_min_plus_kernelIf15HIP_vector_typeIfLj2EEfLi8ELi32ELi64ELi256ELi4ELi4ELi64ELi64ELi4ELc84ELc84ELb1ELb1ELb1EfKffEEviiiT16_PT17_ilS6_ilS4_S6_ilPT18_ili26rocblas_geam_ex_operation_.has_dyn_sized_stack, 0
	.set _ZN12_GLOBAL__N_120geam_min_plus_kernelIf15HIP_vector_typeIfLj2EEfLi8ELi32ELi64ELi256ELi4ELi4ELi64ELi64ELi4ELc84ELc84ELb1ELb1ELb1EfKffEEviiiT16_PT17_ilS6_ilS4_S6_ilPT18_ili26rocblas_geam_ex_operation_.has_recursion, 0
	.set _ZN12_GLOBAL__N_120geam_min_plus_kernelIf15HIP_vector_typeIfLj2EEfLi8ELi32ELi64ELi256ELi4ELi4ELi64ELi64ELi4ELc84ELc84ELb1ELb1ELb1EfKffEEviiiT16_PT17_ilS6_ilS4_S6_ilPT18_ili26rocblas_geam_ex_operation_.has_indirect_call, 0
	.section	.AMDGPU.csdata,"",@progbits
; Kernel info:
; codeLenInByte = 19212
; TotalNumSgprs: 32
; NumVgprs: 157
; ScratchSize: 0
; MemoryBound: 0
; FloatMode: 240
; IeeeMode: 1
; LDSByteSize: 10240 bytes/workgroup (compile time only)
; SGPRBlocks: 0
; VGPRBlocks: 19
; NumSGPRsForWavesPerEU: 32
; NumVGPRsForWavesPerEU: 157
; Occupancy: 6
; WaveLimiterHint : 0
; COMPUTE_PGM_RSRC2:SCRATCH_EN: 0
; COMPUTE_PGM_RSRC2:USER_SGPR: 6
; COMPUTE_PGM_RSRC2:TRAP_HANDLER: 0
; COMPUTE_PGM_RSRC2:TGID_X_EN: 1
; COMPUTE_PGM_RSRC2:TGID_Y_EN: 0
; COMPUTE_PGM_RSRC2:TGID_Z_EN: 1
; COMPUTE_PGM_RSRC2:TIDIG_COMP_CNT: 1
	.section	.text._ZN12_GLOBAL__N_120geam_min_plus_kernelIf15HIP_vector_typeIfLj2EEfLi8ELi32ELi64ELi256ELi4ELi4ELi64ELi64ELi4ELc84ELc84ELb0ELb1ELb1EfKffEEviiiT16_PT17_ilS6_ilS4_S6_ilPT18_ili26rocblas_geam_ex_operation_,"axG",@progbits,_ZN12_GLOBAL__N_120geam_min_plus_kernelIf15HIP_vector_typeIfLj2EEfLi8ELi32ELi64ELi256ELi4ELi4ELi64ELi64ELi4ELc84ELc84ELb0ELb1ELb1EfKffEEviiiT16_PT17_ilS6_ilS4_S6_ilPT18_ili26rocblas_geam_ex_operation_,comdat
	.globl	_ZN12_GLOBAL__N_120geam_min_plus_kernelIf15HIP_vector_typeIfLj2EEfLi8ELi32ELi64ELi256ELi4ELi4ELi64ELi64ELi4ELc84ELc84ELb0ELb1ELb1EfKffEEviiiT16_PT17_ilS6_ilS4_S6_ilPT18_ili26rocblas_geam_ex_operation_ ; -- Begin function _ZN12_GLOBAL__N_120geam_min_plus_kernelIf15HIP_vector_typeIfLj2EEfLi8ELi32ELi64ELi256ELi4ELi4ELi64ELi64ELi4ELc84ELc84ELb0ELb1ELb1EfKffEEviiiT16_PT17_ilS6_ilS4_S6_ilPT18_ili26rocblas_geam_ex_operation_
	.p2align	8
	.type	_ZN12_GLOBAL__N_120geam_min_plus_kernelIf15HIP_vector_typeIfLj2EEfLi8ELi32ELi64ELi256ELi4ELi4ELi64ELi64ELi4ELc84ELc84ELb0ELb1ELb1EfKffEEviiiT16_PT17_ilS6_ilS4_S6_ilPT18_ili26rocblas_geam_ex_operation_,@function
_ZN12_GLOBAL__N_120geam_min_plus_kernelIf15HIP_vector_typeIfLj2EEfLi8ELi32ELi64ELi256ELi4ELi4ELi64ELi64ELi4ELc84ELc84ELb0ELb1ELb1EfKffEEviiiT16_PT17_ilS6_ilS4_S6_ilPT18_ili26rocblas_geam_ex_operation_: ; @_ZN12_GLOBAL__N_120geam_min_plus_kernelIf15HIP_vector_typeIfLj2EEfLi8ELi32ELi64ELi256ELi4ELi4ELi64ELi64ELi4ELc84ELc84ELb0ELb1ELb1EfKffEEviiiT16_PT17_ilS6_ilS4_S6_ilPT18_ili26rocblas_geam_ex_operation_
; %bb.0:
	s_clause 0x1
	s_load_dwordx4 s[12:15], s[4:5], 0x0
	s_load_dwordx4 s[0:3], s[4:5], 0x20
	s_waitcnt lgkmcnt(0)
	v_cmp_eq_f32_e64 s8, s15, 0
	s_and_b32 vcc_lo, exec_lo, s8
	s_cbranch_vccnz .LBB77_61
; %bb.1:
	s_load_dwordx2 s[10:11], s[4:5], 0x10
	s_mul_i32 s1, s1, s7
	s_mul_hi_u32 s9, s0, s7
	s_mul_i32 s0, s0, s7
	s_add_i32 s1, s9, s1
	s_lshl_b64 s[0:1], s[0:1], 2
	s_waitcnt lgkmcnt(0)
	s_add_u32 s20, s10, s0
	s_addc_u32 s21, s11, s1
	s_andn2_b32 vcc_lo, exec_lo, s8
	s_mov_b32 s0, -1
	s_cbranch_vccnz .LBB77_3
.LBB77_2:
	s_mov_b32 s0, 0
.LBB77_3:
	s_mov_b64 s[16:17], 0
	s_andn2_b32 vcc_lo, exec_lo, s0
	s_mov_b64 s[18:19], 0
	s_cbranch_vccnz .LBB77_5
; %bb.4:
	s_load_dwordx2 s[0:1], s[4:5], 0x38
	s_waitcnt lgkmcnt(0)
	s_mul_i32 s1, s1, s7
	s_mul_hi_u32 s8, s0, s7
	s_mul_i32 s0, s0, s7
	s_add_i32 s1, s8, s1
	s_lshl_b64 s[0:1], s[0:1], 2
	s_add_u32 s18, s2, s0
	s_addc_u32 s19, s3, s1
.LBB77_5:
	s_clause 0x1
	s_load_dword s22, s[4:5], 0x40
	s_load_dwordx4 s[8:11], s[4:5], 0x58
	s_waitcnt lgkmcnt(0)
	v_cmp_eq_f32_e64 s0, s22, 0
	v_cmp_neq_f32_e64 s23, s22, 0
	s_and_b32 vcc_lo, exec_lo, s0
	s_cbranch_vccnz .LBB77_7
; %bb.6:
	s_load_dwordx2 s[0:1], s[4:5], 0x48
	s_mul_i32 s2, s9, s7
	s_mul_hi_u32 s3, s8, s7
	s_add_i32 s3, s3, s2
	s_mul_i32 s2, s8, s7
	s_lshl_b64 s[2:3], s[2:3], 2
	s_waitcnt lgkmcnt(0)
	s_add_u32 s16, s0, s2
	s_addc_u32 s17, s1, s3
.LBB77_7:
	s_add_i32 s0, s12, -1
	v_lshl_add_u32 v4, v1, 3, v0
	s_ashr_i32 s1, s0, 31
	s_load_dword s27, s[4:5], 0x18
	s_lshr_b32 s1, s1, 26
	v_and_b32_e32 v70, 3, v0
	s_add_i32 s0, s0, s1
	v_cmp_eq_f32_e64 s25, s15, 0
	s_ashr_i32 s0, s0, 6
                                        ; implicit-def: $vgpr3
	s_add_i32 s2, s0, 1
	s_not_b32 s0, s0
	v_cvt_f32_u32_e32 v2, s2
	v_rcp_iflag_f32_e32 v2, v2
	v_mul_f32_e32 v2, 0x4f7ffffe, v2
	v_cvt_u32_f32_e32 v2, v2
	v_readfirstlane_b32 s1, v2
	v_lshrrev_b32_e32 v2, 2, v4
	s_mul_i32 s0, s0, s1
	s_mul_hi_u32 s0, s1, s0
	s_add_i32 s1, s1, s0
	s_mul_hi_u32 s0, s6, s1
	s_mul_i32 s1, s0, s2
	s_add_i32 s3, s0, 1
	s_sub_i32 s1, s6, s1
	s_sub_i32 s8, s1, s2
	s_cmp_ge_u32 s1, s2
	s_cselect_b32 s0, s3, s0
	s_cselect_b32 s1, s8, s1
	s_add_i32 s3, s0, 1
	s_cmp_ge_u32 s1, s2
	s_cselect_b32 s1, s3, s0
	s_mul_i32 s0, s1, s2
	s_sub_i32 s0, s6, s0
                                        ; implicit-def: $sgpr6
	s_lshl_b32 s9, s0, 6
	v_cmp_le_i32_e64 s0, s14, v70
	v_add_nc_u32_e32 v68, s9, v2
	v_cmp_le_i32_e32 vcc_lo, s12, v68
	s_or_b32 s2, s0, vcc_lo
	s_nor_b32 s0, s25, s2
	s_and_saveexec_b32 s3, s0
	s_xor_b32 s3, exec_lo, s3
	s_cbranch_execz .LBB77_9
; %bb.8:
	s_waitcnt lgkmcnt(0)
	v_mad_i64_i32 v[5:6], null, v68, s27, 0
	s_add_i32 s6, s14, -1
	v_min_u32_e32 v3, s6, v70
	v_lshlrev_b64 v[5:6], 2, v[5:6]
	v_lshlrev_b32_e32 v3, 2, v3
	v_add_co_u32 v5, s0, s20, v5
	v_add_co_ci_u32_e64 v6, null, s21, v6, s0
	v_add_co_u32 v5, s0, v5, v3
	v_add_co_ci_u32_e64 v6, null, 0, v6, s0
	global_load_dword v3, v[5:6], off
	s_waitcnt vmcnt(0)
	v_mul_f32_e32 v3, s15, v3
.LBB77_9:
	s_or_saveexec_b32 s0, s3
	v_mov_b32_e32 v5, s6
	s_xor_b32 exec_lo, exec_lo, s0
; %bb.10:
	s_add_i32 s3, s14, -1
	v_cndmask_b32_e64 v3, 0, 0x7f7fffff, s2
	v_mov_b32_e32 v5, s3
; %bb.11:
	s_or_b32 exec_lo, exec_lo, s0
	s_load_dword s26, s[4:5], 0x30
	v_lshrrev_b32_e32 v71, 6, v4
	v_and_b32_e32 v4, 63, v4
	s_lshl_b32 s24, s1, 8
	v_min_i32_e32 v5, v71, v5
	v_or_b32_e32 v66, s24, v4
	v_cmp_le_i32_e64 s6, s14, v71
	v_cmp_le_i32_e64 s0, s13, v66
	v_ashrrev_i32_e32 v67, 31, v66
	s_or_b32 s2, s0, s6
	s_waitcnt lgkmcnt(0)
	v_mad_i64_i32 v[5:6], null, v5, s26, 0
	v_lshlrev_b64 v[6:7], 2, v[5:6]
	v_cndmask_b32_e64 v5, 0, 0x7f7fffff, s2
	v_add_co_u32 v9, s1, s18, v6
	v_add_co_ci_u32_e64 v10, null, s19, v7, s1
	s_nor_b32 s1, s25, s2
	s_and_saveexec_b32 s2, s1
	s_cbranch_execz .LBB77_13
; %bb.12:
	v_lshlrev_b64 v[5:6], 2, v[66:67]
	v_add_co_u32 v5, s1, v9, v5
	v_add_co_ci_u32_e64 v6, null, v10, v6, s1
	global_load_dword v5, v[5:6], off
	s_waitcnt vmcnt(0)
	v_mul_f32_e32 v5, s15, v5
.LBB77_13:
	s_or_b32 exec_lo, exec_lo, s2
	v_or_b32_e32 v6, 64, v66
	v_cmp_le_i32_e64 s1, s13, v6
	s_or_b32 s2, s1, s6
	v_cndmask_b32_e64 v6, 0, 0x7f7fffff, s2
	s_nor_b32 s2, s25, s2
	s_and_saveexec_b32 s3, s2
	s_cbranch_execz .LBB77_15
; %bb.14:
	v_lshlrev_b64 v[6:7], 2, v[66:67]
	v_add_co_u32 v6, s2, v9, v6
	v_add_co_ci_u32_e64 v7, null, v10, v7, s2
	global_load_dword v6, v[6:7], off offset:256
	s_waitcnt vmcnt(0)
	v_mul_f32_e32 v6, s15, v6
.LBB77_15:
	s_or_b32 exec_lo, exec_lo, s3
	v_or_b32_e32 v7, 0x80, v66
	v_cmp_le_i32_e64 s2, s13, v7
	s_or_b32 s3, s2, s6
	v_cndmask_b32_e64 v7, 0, 0x7f7fffff, s3
	s_nor_b32 s3, s25, s3
	s_and_saveexec_b32 s8, s3
	s_cbranch_execz .LBB77_17
; %bb.16:
	v_lshlrev_b64 v[7:8], 2, v[66:67]
	v_add_co_u32 v7, s3, v9, v7
	v_add_co_ci_u32_e64 v8, null, v10, v8, s3
	global_load_dword v7, v[7:8], off offset:512
	s_waitcnt vmcnt(0)
	v_mul_f32_e32 v7, s15, v7
.LBB77_17:
	;; [unrolled: 16-line block ×3, first 2 shown]
	s_or_b32 exec_lo, exec_lo, s8
	v_or_b32_e32 v9, 4, v70
                                        ; implicit-def: $vgpr69
                                        ; implicit-def: $sgpr29
	v_cmp_le_i32_e64 s6, s14, v9
	s_or_b32 s8, s6, vcc_lo
	s_nor_b32 s6, s25, s8
	s_and_saveexec_b32 s28, s6
	s_xor_b32 s28, exec_lo, s28
	s_cbranch_execz .LBB77_21
; %bb.20:
	v_mad_i64_i32 v[10:11], null, v68, s27, 0
	s_add_i32 s29, s14, -1
	v_min_u32_e32 v12, s29, v9
	v_lshlrev_b64 v[9:10], 2, v[10:11]
	v_lshlrev_b32_e32 v11, 2, v12
	v_add_co_u32 v9, s6, s20, v9
	v_add_co_ci_u32_e64 v10, null, s21, v10, s6
	v_add_co_u32 v9, s6, v9, v11
	v_add_co_ci_u32_e64 v10, null, 0, v10, s6
	global_load_dword v9, v[9:10], off
	s_waitcnt vmcnt(0)
	v_mul_f32_e32 v69, s15, v9
.LBB77_21:
	s_or_saveexec_b32 s6, s28
	v_mov_b32_e32 v9, s29
	s_xor_b32 exec_lo, exec_lo, s6
; %bb.22:
	s_add_i32 s28, s14, -1
	v_cndmask_b32_e64 v69, 0, 0x7f7fffff, s8
	v_mov_b32_e32 v9, s28
; %bb.23:
	s_or_b32 exec_lo, exec_lo, s6
	v_add_nc_u32_e32 v11, 4, v71
	v_min_i32_e32 v9, v11, v9
	v_cmp_le_i32_e64 s6, s14, v11
	v_mad_i64_i32 v[9:10], null, v9, s26, 0
	v_lshlrev_b64 v[9:10], 2, v[9:10]
	v_add_co_u32 v9, s8, s18, v9
	v_add_co_ci_u32_e64 v10, null, s19, v10, s8
	s_or_b32 s8, s0, s6
	v_cndmask_b32_e64 v123, 0, 0x7f7fffff, s8
	s_nor_b32 s8, s25, s8
	s_and_saveexec_b32 s28, s8
	s_cbranch_execz .LBB77_25
; %bb.24:
	v_lshlrev_b64 v[11:12], 2, v[66:67]
	v_add_co_u32 v11, s8, v9, v11
	v_add_co_ci_u32_e64 v12, null, v10, v12, s8
	global_load_dword v11, v[11:12], off
	s_waitcnt vmcnt(0)
	v_mul_f32_e32 v123, s15, v11
.LBB77_25:
	s_or_b32 exec_lo, exec_lo, s28
	s_or_b32 s8, s1, s6
	v_cndmask_b32_e64 v132, 0, 0x7f7fffff, s8
	s_nor_b32 s8, s25, s8
	s_and_saveexec_b32 s28, s8
	s_cbranch_execz .LBB77_27
; %bb.26:
	v_lshlrev_b64 v[11:12], 2, v[66:67]
	v_add_co_u32 v11, s8, v9, v11
	v_add_co_ci_u32_e64 v12, null, v10, v12, s8
	global_load_dword v11, v[11:12], off offset:256
	s_waitcnt vmcnt(0)
	v_mul_f32_e32 v132, s15, v11
.LBB77_27:
	s_or_b32 exec_lo, exec_lo, s28
	s_or_b32 s8, s2, s6
	v_cndmask_b32_e64 v143, 0, 0x7f7fffff, s8
	s_nor_b32 s8, s25, s8
	s_and_saveexec_b32 s28, s8
	s_cbranch_execz .LBB77_29
; %bb.28:
	v_lshlrev_b64 v[11:12], 2, v[66:67]
	v_add_co_u32 v11, s8, v9, v11
	v_add_co_ci_u32_e64 v12, null, v10, v12, s8
	global_load_dword v11, v[11:12], off offset:512
	s_waitcnt vmcnt(0)
	v_mul_f32_e32 v143, s15, v11
.LBB77_29:
	;; [unrolled: 14-line block ×3, first 2 shown]
	s_or_b32 exec_lo, exec_lo, s8
	v_lshlrev_b32_e32 v141, 2, v70
	v_lshlrev_b32_e32 v73, 4, v0
	;; [unrolled: 1-line block ×3, first 2 shown]
	s_cmp_lt_i32 s14, 9
	v_lshl_or_b32 v142, v2, 4, v141
	v_lshlrev_b32_e32 v2, 4, v4
	ds_write_b32 v142, v3 offset:8192
	v_lshl_add_u32 v74, v71, 2, v2
	ds_write2st64_b32 v74, v5, v6 offset1:4
	ds_write2st64_b32 v74, v7, v8 offset0:8 offset1:12
	s_waitcnt lgkmcnt(0)
	s_barrier
	buffer_gl0_inv
	ds_read_b128 v[34:37], v73 offset:8192
	ds_read_b128 v[30:33], v73 offset:8320
	;; [unrolled: 1-line block ×8, first 2 shown]
	ds_read_b128 v[62:65], v72
	ds_read_b128 v[58:61], v72 offset:512
	ds_read_b128 v[54:57], v72 offset:1024
	;; [unrolled: 1-line block ×7, first 2 shown]
	ds_write_b32 v142, v69 offset:9216
	ds_write2st64_b32 v74, v123, v132 offset0:16 offset1:20
	ds_write2st64_b32 v74, v143, v144 offset0:24 offset1:28
	s_waitcnt lgkmcnt(0)
	s_barrier
	buffer_gl0_inv
	v_add_f32_e32 v75, v35, v63
	v_add_f32_e32 v76, v34, v62
	;; [unrolled: 1-line block ×6, first 2 shown]
	v_min3_f32 v75, v76, v75, 0x7f7fffff
	v_add_f32_e32 v76, v31, v63
	v_add_f32_e32 v81, v10, v62
	v_min3_f32 v76, v77, v76, 0x7f7fffff
	v_add_f32_e32 v77, v27, v63
	v_min3_f32 v77, v78, v77, 0x7f7fffff
	;; [unrolled: 2-line block ×5, first 2 shown]
	v_add_f32_e32 v79, v7, v63
	v_add_f32_e32 v81, v6, v62
	;; [unrolled: 1-line block ×4, first 2 shown]
	v_min3_f32 v118, v81, v79, 0x7f7fffff
	v_add_f32_e32 v79, v6, v38
	v_min3_f32 v119, v62, v63, 0x7f7fffff
	v_add_f32_e32 v62, v35, v59
	v_add_f32_e32 v63, v34, v58
	v_min3_f32 v116, v63, v62, 0x7f7fffff
	v_add_f32_e32 v62, v31, v59
	;; [unrolled: 3-line block ×7, first 2 shown]
	v_add_f32_e32 v63, v6, v58
	v_add_f32_e32 v59, v3, v59
	v_add_f32_e32 v58, v2, v58
	v_min3_f32 v110, v63, v62, 0x7f7fffff
	v_min3_f32 v109, v58, v59, 0x7f7fffff
	v_add_f32_e32 v58, v35, v55
	v_add_f32_e32 v59, v34, v54
	v_min3_f32 v108, v59, v58, 0x7f7fffff
	v_add_f32_e32 v58, v31, v55
	v_add_f32_e32 v59, v30, v54
	v_min3_f32 v107, v59, v58, 0x7f7fffff
	v_add_f32_e32 v58, v27, v55
	v_add_f32_e32 v59, v26, v54
	v_min3_f32 v106, v59, v58, 0x7f7fffff
	v_add_f32_e32 v58, v19, v55
	v_add_f32_e32 v59, v18, v54
	v_min3_f32 v105, v59, v58, 0x7f7fffff
	v_add_f32_e32 v58, v15, v55
	v_add_f32_e32 v59, v14, v54
	v_min3_f32 v104, v59, v58, 0x7f7fffff
	v_add_f32_e32 v58, v11, v55
	v_add_f32_e32 v59, v10, v54
	v_min3_f32 v103, v59, v58, 0x7f7fffff
	v_add_f32_e32 v58, v7, v55
	v_add_f32_e32 v59, v6, v54
	v_add_f32_e32 v55, v3, v55
	v_add_f32_e32 v54, v2, v54
	v_min3_f32 v102, v59, v58, 0x7f7fffff
	v_min3_f32 v101, v54, v55, 0x7f7fffff
	v_add_f32_e32 v54, v35, v51
	v_add_f32_e32 v55, v34, v50
	v_min3_f32 v100, v55, v54, 0x7f7fffff
	v_add_f32_e32 v54, v31, v51
	v_add_f32_e32 v55, v30, v50
	v_min3_f32 v99, v55, v54, 0x7f7fffff
	v_add_f32_e32 v54, v27, v51
	v_add_f32_e32 v55, v26, v50
	v_min3_f32 v98, v55, v54, 0x7f7fffff
	v_add_f32_e32 v54, v19, v51
	v_add_f32_e32 v55, v18, v50
	v_min3_f32 v97, v55, v54, 0x7f7fffff
	v_add_f32_e32 v54, v15, v51
	v_add_f32_e32 v55, v14, v50
	v_min3_f32 v96, v55, v54, 0x7f7fffff
	v_add_f32_e32 v54, v11, v51
	v_add_f32_e32 v55, v10, v50
	v_min3_f32 v95, v55, v54, 0x7f7fffff
	v_add_f32_e32 v54, v7, v51
	;; [unrolled: 24-line block ×4, first 2 shown]
	v_add_f32_e32 v47, v6, v42
	v_add_f32_e32 v43, v3, v43
	;; [unrolled: 1-line block ×4, first 2 shown]
	v_min3_f32 v58, v47, v46, 0x7f7fffff
	v_min3_f32 v55, v42, v43, 0x7f7fffff
	v_add_f32_e32 v42, v35, v39
	v_add_f32_e32 v43, v34, v38
	;; [unrolled: 1-line block ×4, first 2 shown]
	v_min3_f32 v54, v43, v42, 0x7f7fffff
	v_add_f32_e32 v42, v31, v39
	v_add_f32_e32 v43, v30, v38
	v_min3_f32 v34, v34, v35, 0x7f7fffff
	v_add_f32_e32 v31, v31, v23
	v_add_f32_e32 v30, v30, v22
	;; [unrolled: 3-line block ×9, first 2 shown]
	v_add_f32_e32 v38, v2, v38
	v_add_f32_e32 v2, v2, v22
	v_min3_f32 v14, v14, v15, 0x7f7fffff
	v_add_f32_e32 v11, v11, v23
	v_min3_f32 v43, v43, v42, 0x7f7fffff
	v_add_f32_e32 v42, v7, v39
	v_add_f32_e32 v39, v3, v39
	;; [unrolled: 1-line block ×5, first 2 shown]
	v_min3_f32 v42, v79, v42, 0x7f7fffff
	v_min3_f32 v38, v38, v39, 0x7f7fffff
	;; [unrolled: 1-line block ×4, first 2 shown]
	v_add_f32_e32 v3, v37, v65
	v_add_f32_e32 v7, v36, v64
	v_min3_f32 v10, v10, v11, 0x7f7fffff
	v_min3_f32 v81, v7, v3, v75
	v_add_f32_e32 v3, v33, v65
	v_add_f32_e32 v7, v32, v64
	v_min3_f32 v79, v7, v3, v76
	v_add_f32_e32 v3, v29, v65
	v_add_f32_e32 v7, v28, v64
	;; [unrolled: 3-line block ×55, first 2 shown]
	v_add_f32_e32 v4, v4, v24
	v_min3_f32 v89, v7, v3, v38
	v_add_f32_e32 v3, v37, v25
	v_add_f32_e32 v7, v36, v24
	v_min3_f32 v88, v7, v3, v34
	v_add_f32_e32 v3, v33, v25
	;; [unrolled: 3-line block ×8, first 2 shown]
	v_min3_f32 v92, v4, v3, v2
	s_cbranch_scc1 .LBB77_58
; %bb.32:
	v_mad_i64_i32 v[2:3], null, s27, v68, 0
	v_lshlrev_b64 v[66:67], 2, v[66:67]
	v_add_nc_u32_e32 v123, 0x2000, v142
	v_or_b32_e32 v132, 0x2000, v73
	v_add_nc_u32_e32 v142, 0x2400, v142
	v_add_nc_u32_e32 v143, 0x1000, v74
	v_lshl_add_u32 v144, v0, 4, 0x2400
	v_lshlrev_b64 v[2:3], 2, v[2:3]
	s_mov_b32 s27, 0
	v_add_co_u32 v2, s6, v2, v141
	v_add_co_ci_u32_e64 v3, null, 0, v3, s6
	v_lshl_or_b32 v141, v1, 4, 0x1000
	v_add_co_u32 v2, s6, s20, v2
	v_add_co_ci_u32_e64 v3, null, s21, v3, s6
	s_add_i32 s20, s14, -8
	v_add_co_u32 v68, s6, v2, 32
	v_add_co_ci_u32_e64 v69, null, 0, v3, s6
	s_add_i32 s21, s14, -1
	s_branch .LBB77_34
.LBB77_33:                              ;   in Loop: Header=BB77_34 Depth=1
	s_or_b32 exec_lo, exec_lo, s8
	v_add_f32_e32 v150, v35, v63
	v_add_f32_e32 v151, v34, v62
	;; [unrolled: 1-line block ×6, first 2 shown]
	v_min3_f32 v81, v151, v150, v81
	v_add_f32_e32 v150, v23, v63
	v_min3_f32 v79, v153, v152, v79
	v_add_f32_e32 v151, v22, v62
	;; [unrolled: 2-line block ×3, first 2 shown]
	v_add_f32_e32 v153, v18, v62
	v_add_f32_e32 v154, v15, v63
	;; [unrolled: 1-line block ×7, first 2 shown]
	v_min3_f32 v75, v151, v150, v75
	v_min3_f32 v76, v153, v152, v76
	v_add_f32_e32 v150, v31, v59
	v_add_f32_e32 v151, v30, v58
	v_min3_f32 v62, v62, v63, v140
	v_add_f32_e32 v63, v35, v59
	v_add_f32_e32 v140, v34, v58
	;; [unrolled: 1-line block ×4, first 2 shown]
	v_min3_f32 v78, v155, v154, v78
	v_min3_f32 v80, v157, v156, v80
	v_add_f32_e32 v154, v23, v59
	v_add_f32_e32 v155, v22, v58
	;; [unrolled: 1-line block ×4, first 2 shown]
	v_min3_f32 v63, v140, v63, v139
	v_min3_f32 v138, v151, v150, v138
	;; [unrolled: 1-line block ×3, first 2 shown]
	v_add_f32_e32 v139, v15, v59
	v_add_f32_e32 v140, v14, v58
	;; [unrolled: 1-line block ×8, first 2 shown]
	v_min3_f32 v136, v155, v154, v136
	v_add_f32_e32 v154, v31, v55
	v_add_f32_e32 v155, v30, v54
	v_min3_f32 v134, v140, v139, v134
	v_min3_f32 v133, v151, v150, v133
	;; [unrolled: 1-line block ×4, first 2 shown]
	v_add_f32_e32 v130, v27, v55
	v_add_f32_e32 v131, v26, v54
	;; [unrolled: 1-line block ×6, first 2 shown]
	v_min3_f32 v129, v155, v154, v129
	v_add_f32_e32 v152, v15, v55
	v_add_f32_e32 v153, v14, v54
	;; [unrolled: 1-line block ×4, first 2 shown]
	v_min3_f32 v128, v131, v130, v128
	v_min3_f32 v127, v140, v139, v127
	;; [unrolled: 1-line block ×3, first 2 shown]
	v_add_f32_e32 v55, v3, v55
	v_add_f32_e32 v54, v2, v54
	;; [unrolled: 1-line block ×8, first 2 shown]
	v_min3_f32 v125, v153, v152, v125
	v_add_f32_e32 v152, v23, v51
	v_add_f32_e32 v153, v22, v50
	v_min3_f32 v54, v54, v55, v121
	v_min3_f32 v55, v131, v130, v122
	;; [unrolled: 1-line block ×4, first 2 shown]
	v_add_f32_e32 v121, v19, v51
	v_add_f32_e32 v122, v18, v50
	v_add_f32_e32 v130, v15, v51
	v_add_f32_e32 v131, v14, v50
	v_add_f32_e32 v139, v11, v51
	v_add_f32_e32 v140, v10, v50
	v_add_f32_e32 v51, v3, v51
	v_add_f32_e32 v50, v2, v50
	v_add_f32_e32 v150, v35, v47
	v_add_f32_e32 v151, v34, v46
	v_min3_f32 v117, v122, v121, v117
	v_min3_f32 v116, v131, v130, v116
	;; [unrolled: 1-line block ×3, first 2 shown]
	v_add_f32_e32 v114, v30, v46
	v_min3_f32 v51, v151, v150, v113
	v_add_f32_e32 v113, v31, v47
	v_add_f32_e32 v121, v27, v47
	;; [unrolled: 1-line block ×5, first 2 shown]
	v_min3_f32 v115, v140, v139, v115
	v_add_f32_e32 v139, v19, v47
	v_add_f32_e32 v140, v18, v46
	v_add_f32_e32 v150, v15, v47
	v_add_f32_e32 v151, v14, v46
	v_min3_f32 v112, v114, v113, v112
	v_min3_f32 v111, v122, v121, v111
	;; [unrolled: 1-line block ×3, first 2 shown]
	v_add_f32_e32 v113, v11, v47
	v_add_f32_e32 v114, v10, v46
	;; [unrolled: 1-line block ×8, first 2 shown]
	v_min3_f32 v109, v140, v139, v109
	v_add_f32_e32 v139, v27, v43
	v_add_f32_e32 v140, v26, v42
	v_min3_f32 v107, v114, v113, v107
	v_min3_f32 v46, v46, v47, v106
	;; [unrolled: 1-line block ×4, first 2 shown]
	v_add_f32_e32 v105, v23, v43
	v_add_f32_e32 v106, v22, v42
	;; [unrolled: 1-line block ×10, first 2 shown]
	v_min3_f32 v102, v106, v105, v102
	v_add_f32_e32 v105, v31, v39
	v_add_f32_e32 v106, v30, v38
	v_min3_f32 v101, v114, v113, v101
	v_min3_f32 v42, v42, v43, v98
	v_add_f32_e32 v43, v35, v39
	v_add_f32_e32 v98, v34, v38
	v_min3_f32 v100, v122, v121, v100
	v_min3_f32 v99, v131, v130, v99
	v_add_f32_e32 v113, v27, v39
	v_add_f32_e32 v114, v26, v38
	;; [unrolled: 1-line block ×6, first 2 shown]
	v_min3_f32 v43, v98, v43, v97
	v_min3_f32 v96, v106, v105, v96
	v_add_f32_e32 v97, v15, v39
	v_add_f32_e32 v98, v14, v38
	;; [unrolled: 1-line block ×20, first 2 shown]
	v_min3_f32 v30, v30, v31, v87
	v_min3_f32 v26, v26, v27, v86
	v_min3_f32 v22, v22, v23, v85
	v_min3_f32 v23, v18, v19, v84
	v_min3_f32 v27, v14, v15, v83
	v_min3_f32 v31, v10, v11, v82
	v_add_f32_e32 v3, v3, v7
	v_add_f32_e32 v2, v2, v6
	v_add_f32_e32 v6, v37, v65
	v_add_f32_e32 v7, v36, v64
	v_add_f32_e32 v10, v33, v65
	v_add_f32_e32 v11, v32, v64
	v_add_f32_e32 v14, v29, v65
	v_add_f32_e32 v15, v28, v64
	v_add_f32_e32 v18, v25, v65
	v_add_f32_e32 v19, v24, v64
	v_min3_f32 v34, v34, v35, v88
	v_min3_f32 v35, v2, v3, v92
	v_min3_f32 v81, v7, v6, v81
	v_min3_f32 v79, v11, v10, v79
	v_min3_f32 v77, v15, v14, v77
	v_min3_f32 v75, v19, v18, v75
	v_add_f32_e32 v2, v21, v65
	v_add_f32_e32 v3, v20, v64
	v_add_f32_e32 v6, v17, v65
	v_add_f32_e32 v7, v16, v64
	v_add_f32_e32 v10, v13, v65
	v_add_f32_e32 v11, v12, v64
	v_add_f32_e32 v14, v5, v65
	v_add_f32_e32 v15, v4, v64
	v_add_f32_e32 v18, v37, v61
	v_add_f32_e32 v19, v36, v60
	;; [unrolled: 16-line block ×3, first 2 shown]
	v_min3_f32 v84, v3, v2, v138
	v_min3_f32 v85, v7, v6, v137
	;; [unrolled: 1-line block ×5, first 2 shown]
	v_add_f32_e32 v2, v13, v61
	v_add_f32_e32 v3, v12, v60
	;; [unrolled: 1-line block ×10, first 2 shown]
	v_min3_f32 v124, v155, v154, v124
	v_min3_f32 v91, v98, v97, v91
	;; [unrolled: 1-line block ×9, first 2 shown]
	v_add_f32_e32 v2, v25, v57
	v_add_f32_e32 v3, v24, v56
	;; [unrolled: 1-line block ×10, first 2 shown]
	v_min3_f32 v118, v153, v152, v118
	v_min3_f32 v95, v114, v113, v95
	;; [unrolled: 1-line block ×8, first 2 shown]
	v_add_f32_e32 v2, v37, v53
	v_add_f32_e32 v3, v36, v52
	;; [unrolled: 1-line block ×10, first 2 shown]
	v_min3_f32 v124, v3, v2, v55
	v_min3_f32 v120, v7, v6, v120
	v_min3_f32 v119, v11, v10, v119
	v_min3_f32 v118, v15, v14, v118
	v_min3_f32 v117, v19, v18, v117
	v_add_f32_e32 v2, v17, v53
	v_add_f32_e32 v3, v16, v52
	v_add_f32_e32 v6, v13, v53
	v_add_f32_e32 v7, v12, v52
	v_add_f32_e32 v10, v5, v53
	v_add_f32_e32 v11, v4, v52
	v_add_f32_e32 v14, v37, v49
	v_add_f32_e32 v15, v36, v48
	v_add_f32_e32 v18, v33, v49
	v_add_f32_e32 v19, v32, v48
	v_min3_f32 v108, v151, v150, v108
	v_min3_f32 v116, v3, v2, v116
	v_min3_f32 v115, v7, v6, v115
	v_min3_f32 v125, v11, v10, v50
	v_min3_f32 v126, v15, v14, v51
	v_min3_f32 v112, v19, v18, v112
	v_add_f32_e32 v2, v29, v49
	v_add_f32_e32 v3, v28, v48
	v_add_f32_e32 v6, v25, v49
	v_add_f32_e32 v7, v24, v48
	v_add_f32_e32 v10, v21, v49
	v_add_f32_e32 v11, v20, v48
	v_add_f32_e32 v14, v17, v49
	v_add_f32_e32 v15, v16, v48
	v_add_f32_e32 v18, v13, v49
	v_add_f32_e32 v19, v12, v48
	v_min3_f32 v103, v140, v139, v103
	v_min3_f32 v111, v3, v2, v111
	v_min3_f32 v110, v7, v6, v110
	v_min3_f32 v109, v11, v10, v109
	v_min3_f32 v108, v15, v14, v108
	v_min3_f32 v107, v19, v18, v107
	v_add_f32_e32 v2, v5, v49
	v_add_f32_e32 v3, v4, v48
	v_add_f32_e32 v6, v37, v45
	v_add_f32_e32 v7, v36, v44
	v_add_f32_e32 v10, v33, v45
	v_add_f32_e32 v11, v32, v44
	v_add_f32_e32 v14, v29, v45
	v_add_f32_e32 v15, v28, v44
	v_add_f32_e32 v18, v25, v45
	v_add_f32_e32 v19, v24, v44
	v_min3_f32 v127, v3, v2, v46
	v_min3_f32 v128, v7, v6, v47
	v_min3_f32 v104, v11, v10, v104
	;; [unrolled: 1-line block ×4, first 2 shown]
	v_add_f32_e32 v2, v21, v45
	v_add_f32_e32 v3, v20, v44
	;; [unrolled: 1-line block ×10, first 2 shown]
	v_min3_f32 v93, v131, v130, v93
	v_min3_f32 v101, v3, v2, v101
	;; [unrolled: 1-line block ×6, first 2 shown]
	v_add_f32_e32 v2, v33, v41
	v_add_f32_e32 v3, v32, v40
	;; [unrolled: 1-line block ×10, first 2 shown]
	v_min3_f32 v96, v3, v2, v96
	v_min3_f32 v95, v7, v6, v95
	;; [unrolled: 1-line block ×5, first 2 shown]
	v_add_f32_e32 v2, v13, v41
	v_add_f32_e32 v3, v12, v40
	;; [unrolled: 1-line block ×10, first 2 shown]
	v_min3_f32 v90, v3, v2, v90
	v_min3_f32 v131, v7, v6, v38
	;; [unrolled: 1-line block ×5, first 2 shown]
	v_add_f32_e32 v6, v25, v9
	v_add_f32_e32 v7, v24, v8
	;; [unrolled: 1-line block ×8, first 2 shown]
	ds_read_b128 v[10:13], v132
	ds_read_b128 v[14:17], v72
	v_add_f32_e32 v9, v5, v9
	ds_read_b128 v[18:21], v132 offset:128
	v_add_f32_e32 v8, v4, v8
	ds_read_b128 v[2:5], v132 offset:256
	v_min3_f32 v136, v7, v6, v22
	v_min3_f32 v137, v25, v24, v23
	;; [unrolled: 1-line block ×5, first 2 shown]
	ds_read_b128 v[6:9], v132 offset:384
	ds_read_b128 v[22:25], v132 offset:512
	;; [unrolled: 1-line block ×12, first 2 shown]
	v_add_co_u32 v68, s6, v68, 32
	v_add_co_ci_u32_e64 v69, null, 0, v69, s6
	s_add_i32 s27, s27, 8
	ds_write_b32 v142, v145
	ds_write2st64_b32 v143, v146, v147 offset1:4
	ds_write2st64_b32 v143, v148, v149 offset0:8 offset1:12
	s_cmp_ge_i32 s27, s20
	s_waitcnt lgkmcnt(0)
	v_add_f32_e32 v150, v11, v15
	v_add_f32_e32 v151, v10, v14
	;; [unrolled: 1-line block ×6, first 2 shown]
	v_min3_f32 v81, v151, v150, v81
	v_add_f32_e32 v150, v7, v15
	v_min3_f32 v79, v153, v152, v79
	v_add_f32_e32 v151, v6, v14
	;; [unrolled: 2-line block ×3, first 2 shown]
	v_add_f32_e32 v153, v22, v14
	v_add_f32_e32 v154, v27, v15
	v_add_f32_e32 v155, v26, v14
	v_add_f32_e32 v156, v31, v15
	v_add_f32_e32 v157, v30, v14
	v_add_f32_e32 v15, v35, v15
	v_add_f32_e32 v14, v34, v14
	v_min3_f32 v75, v151, v150, v75
	v_min3_f32 v76, v153, v152, v76
	v_min3_f32 v78, v155, v154, v78
	v_min3_f32 v80, v157, v156, v80
	v_min3_f32 v14, v14, v15, v82
	v_add_f32_e32 v15, v11, v39
	v_add_f32_e32 v82, v10, v38
	v_add_f32_e32 v150, v19, v39
	v_add_f32_e32 v151, v18, v38
	v_add_f32_e32 v152, v3, v39
	v_add_f32_e32 v153, v2, v38
	v_add_f32_e32 v154, v7, v39
	v_add_f32_e32 v155, v6, v38
	v_add_f32_e32 v156, v23, v39
	v_add_f32_e32 v157, v22, v38
	v_min3_f32 v15, v82, v15, v83
	v_min3_f32 v82, v151, v150, v84
	v_min3_f32 v83, v153, v152, v85
	v_min3_f32 v84, v155, v154, v86
	v_min3_f32 v85, v157, v156, v87
	v_add_f32_e32 v86, v27, v39
	v_add_f32_e32 v87, v26, v38
	v_add_f32_e32 v150, v31, v39
	;; [unrolled: 15-line block ×6, first 2 shown]
	v_add_f32_e32 v121, v2, v50
	v_add_f32_e32 v122, v7, v51
	;; [unrolled: 1-line block ×7, first 2 shown]
	v_min3_f32 v112, v119, v118, v112
	v_min3_f32 v111, v121, v120, v111
	;; [unrolled: 1-line block ×4, first 2 shown]
	v_add_f32_e32 v118, v31, v51
	v_add_f32_e32 v119, v30, v50
	;; [unrolled: 1-line block ×10, first 2 shown]
	v_min3_f32 v107, v119, v118, v107
	v_min3_f32 v50, v50, v51, v127
	;; [unrolled: 1-line block ×5, first 2 shown]
	v_add_f32_e32 v118, v7, v55
	v_add_f32_e32 v119, v6, v54
	;; [unrolled: 1-line block ×10, first 2 shown]
	v_min3_f32 v102, v119, v118, v102
	v_min3_f32 v101, v121, v120, v101
	;; [unrolled: 1-line block ×3, first 2 shown]
	v_add_f32_e32 v118, v10, v58
	v_min3_f32 v54, v54, v55, v129
	v_add_f32_e32 v55, v11, v59
	v_add_f32_e32 v119, v19, v59
	v_add_f32_e32 v120, v18, v58
	v_add_f32_e32 v121, v3, v59
	v_add_f32_e32 v122, v2, v58
	v_add_f32_e32 v11, v11, v63
	v_add_f32_e32 v10, v10, v62
	v_add_f32_e32 v19, v19, v63
	v_add_f32_e32 v18, v18, v62
	v_min3_f32 v99, v126, v125, v99
	v_add_f32_e32 v124, v7, v59
	v_add_f32_e32 v125, v6, v58
	;; [unrolled: 1-line block ×4, first 2 shown]
	v_min3_f32 v55, v118, v55, v130
	v_min3_f32 v96, v120, v119, v96
	;; [unrolled: 1-line block ×3, first 2 shown]
	v_add_f32_e32 v118, v27, v59
	v_add_f32_e32 v119, v26, v58
	;; [unrolled: 1-line block ×6, first 2 shown]
	v_min3_f32 v10, v10, v11, v133
	v_min3_f32 v11, v18, v19, v134
	v_add_f32_e32 v3, v3, v63
	v_add_f32_e32 v2, v2, v62
	;; [unrolled: 1-line block ×10, first 2 shown]
	v_min3_f32 v58, v58, v59, v131
	v_min3_f32 v2, v2, v3, v135
	;; [unrolled: 1-line block ×6, first 2 shown]
	v_add_f32_e32 v19, v35, v63
	v_add_f32_e32 v22, v34, v62
	;; [unrolled: 1-line block ×10, first 2 shown]
	v_min3_f32 v19, v22, v19, v140
	v_min3_f32 v81, v26, v23, v81
	;; [unrolled: 1-line block ×5, first 2 shown]
	v_add_f32_e32 v22, v25, v17
	v_add_f32_e32 v23, v24, v16
	;; [unrolled: 1-line block ×10, first 2 shown]
	v_min3_f32 v76, v23, v22, v76
	v_min3_f32 v78, v27, v26, v78
	;; [unrolled: 1-line block ×3, first 2 shown]
	v_add_f32_e32 v14, v21, v41
	v_min3_f32 v139, v35, v34, v15
	v_add_f32_e32 v15, v20, v40
	v_add_f32_e32 v16, v5, v41
	;; [unrolled: 1-line block ×3, first 2 shown]
	v_min3_f32 v80, v31, v30, v80
	v_add_f32_e32 v22, v9, v41
	v_min3_f32 v138, v15, v14, v82
	v_add_f32_e32 v14, v33, v41
	v_add_f32_e32 v15, v32, v40
	;; [unrolled: 1-line block ×7, first 2 shown]
	v_min3_f32 v137, v17, v16, v83
	v_add_f32_e32 v16, v37, v41
	v_add_f32_e32 v17, v36, v40
	v_min3_f32 v133, v15, v14, v87
	v_add_f32_e32 v14, v9, v45
	v_add_f32_e32 v15, v8, v44
	v_min3_f32 v93, v127, v126, v93
	v_min3_f32 v136, v23, v22, v84
	;; [unrolled: 1-line block ×4, first 2 shown]
	v_add_f32_e32 v22, v13, v45
	v_add_f32_e32 v23, v12, v44
	;; [unrolled: 1-line block ×6, first 2 shown]
	v_min3_f32 v131, v17, v16, v38
	v_add_f32_e32 v16, v25, v45
	v_add_f32_e32 v17, v24, v44
	v_min3_f32 v127, v15, v14, v92
	v_add_f32_e32 v14, v13, v49
	v_add_f32_e32 v15, v12, v48
	v_min3_f32 v130, v23, v22, v39
	v_min3_f32 v129, v27, v26, v88
	;; [unrolled: 1-line block ×3, first 2 shown]
	v_add_f32_e32 v22, v29, v45
	v_add_f32_e32 v23, v28, v44
	;; [unrolled: 1-line block ×6, first 2 shown]
	v_min3_f32 v126, v17, v16, v97
	v_add_f32_e32 v16, v21, v49
	v_add_f32_e32 v17, v20, v48
	v_min3_f32 v122, v15, v14, v43
	v_add_f32_e32 v14, v29, v49
	v_add_f32_e32 v15, v28, v48
	v_min3_f32 v94, v125, v124, v94
	v_min3_f32 v90, v121, v120, v90
	;; [unrolled: 1-line block ×5, first 2 shown]
	v_add_f32_e32 v22, v5, v49
	v_add_f32_e32 v23, v4, v48
	;; [unrolled: 1-line block ×6, first 2 shown]
	v_min3_f32 v120, v17, v16, v106
	v_add_f32_e32 v16, v33, v49
	v_add_f32_e32 v17, v32, v48
	v_min3_f32 v116, v15, v14, v116
	v_add_f32_e32 v14, v5, v53
	v_add_f32_e32 v15, v4, v52
	v_min3_f32 v91, v119, v118, v91
	v_min3_f32 v119, v23, v22, v113
	v_min3_f32 v118, v27, v26, v114
	v_min3_f32 v117, v31, v30, v117
	v_add_f32_e32 v22, v37, v49
	v_add_f32_e32 v23, v36, v48
	;; [unrolled: 1-line block ×6, first 2 shown]
	v_min3_f32 v115, v17, v16, v115
	v_add_f32_e32 v16, v9, v53
	v_add_f32_e32 v17, v8, v52
	v_min3_f32 v111, v15, v14, v111
	v_add_f32_e32 v14, v37, v53
	v_add_f32_e32 v15, v36, v52
	v_min3_f32 v108, v151, v150, v108
	v_min3_f32 v114, v23, v22, v46
	;; [unrolled: 1-line block ×4, first 2 shown]
	v_add_f32_e32 v22, v25, v53
	v_add_f32_e32 v23, v24, v52
	;; [unrolled: 1-line block ×6, first 2 shown]
	v_min3_f32 v110, v17, v16, v110
	v_add_f32_e32 v16, v13, v57
	v_add_f32_e32 v17, v12, v56
	v_min3_f32 v106, v15, v14, v50
	v_add_f32_e32 v14, v25, v57
	v_add_f32_e32 v15, v24, v56
	v_min3_f32 v109, v23, v22, v109
	v_min3_f32 v108, v27, v26, v108
	;; [unrolled: 1-line block ×3, first 2 shown]
	v_add_f32_e32 v22, v21, v57
	v_add_f32_e32 v23, v20, v56
	;; [unrolled: 1-line block ×6, first 2 shown]
	v_min3_f32 v105, v17, v16, v51
	v_add_f32_e32 v16, v29, v57
	v_add_f32_e32 v17, v28, v56
	v_min3_f32 v101, v15, v14, v101
	v_add_f32_e32 v14, v21, v61
	v_add_f32_e32 v15, v20, v60
	v_min3_f32 v104, v23, v22, v104
	v_min3_f32 v103, v27, v26, v103
	;; [unrolled: 1-line block ×3, first 2 shown]
	v_add_f32_e32 v22, v33, v57
	v_add_f32_e32 v23, v32, v56
	;; [unrolled: 1-line block ×6, first 2 shown]
	v_min3_f32 v100, v17, v16, v100
	v_add_f32_e32 v16, v5, v61
	v_add_f32_e32 v17, v4, v60
	v_min3_f32 v96, v15, v14, v96
	v_add_f32_e32 v14, v33, v61
	v_add_f32_e32 v15, v32, v60
	;; [unrolled: 1-line block ×8, first 2 shown]
	v_min3_f32 v99, v23, v22, v99
	v_min3_f32 v98, v27, v26, v54
	;; [unrolled: 1-line block ×3, first 2 shown]
	v_add_f32_e32 v22, v9, v61
	v_add_f32_e32 v23, v8, v60
	;; [unrolled: 1-line block ×6, first 2 shown]
	v_min3_f32 v95, v17, v16, v95
	v_add_f32_e32 v16, v37, v61
	v_add_f32_e32 v17, v36, v60
	v_min3_f32 v90, v15, v14, v90
	v_min3_f32 v88, v12, v13, v10
	;; [unrolled: 1-line block ×4, first 2 shown]
	v_add_f32_e32 v2, v9, v65
	v_add_f32_e32 v4, v8, v64
	;; [unrolled: 1-line block ×10, first 2 shown]
	v_min3_f32 v94, v23, v22, v94
	v_min3_f32 v93, v27, v26, v93
	v_min3_f32 v91, v31, v30, v91
	v_min3_f32 v89, v17, v16, v58
	v_min3_f32 v85, v4, v2, v3
	v_min3_f32 v84, v8, v5, v6
	v_min3_f32 v83, v10, v9, v7
	v_min3_f32 v82, v12, v11, v18
	v_min3_f32 v92, v14, v13, v19
	s_barrier
	buffer_gl0_inv
	s_cbranch_scc1 .LBB77_58
.LBB77_34:                              ; =>This Inner Loop Header: Depth=1
	v_add_nc_u32_e32 v145, s27, v70
                                        ; implicit-def: $vgpr147
	v_add_nc_u32_e32 v2, 8, v145
	v_cmp_le_i32_e64 s6, s14, v2
	s_or_b32 s6, s6, vcc_lo
	s_nor_b32 s8, s25, s6
	s_and_saveexec_b32 s28, s8
	s_xor_b32 s8, exec_lo, s28
	s_cbranch_execz .LBB77_36
; %bb.35:                               ;   in Loop: Header=BB77_34 Depth=1
	global_load_dword v2, v[68:69], off
	s_waitcnt vmcnt(0)
	v_mul_f32_e32 v147, s15, v2
.LBB77_36:                              ;   in Loop: Header=BB77_34 Depth=1
	s_andn2_saveexec_b32 s8, s8
; %bb.37:                               ;   in Loop: Header=BB77_34 Depth=1
	v_cndmask_b32_e64 v147, 0, 0x7f7fffff, s6
; %bb.38:                               ;   in Loop: Header=BB77_34 Depth=1
	s_or_b32 exec_lo, exec_lo, s8
	v_add_nc_u32_e32 v146, s27, v71
	v_add_nc_u32_e32 v4, 8, v146
	v_min_i32_e32 v2, s21, v4
	v_cmp_le_i32_e64 s6, s14, v4
	v_mad_i64_i32 v[2:3], null, v2, s26, 0
	v_lshlrev_b64 v[2:3], 2, v[2:3]
	v_add_co_u32 v2, s8, s18, v2
	v_add_co_ci_u32_e64 v3, null, s19, v3, s8
	s_or_b32 s8, s0, s6
	v_cndmask_b32_e64 v148, 0, 0x7f7fffff, s8
	s_nor_b32 s8, s25, s8
	s_and_saveexec_b32 s28, s8
	s_cbranch_execz .LBB77_40
; %bb.39:                               ;   in Loop: Header=BB77_34 Depth=1
	v_add_co_u32 v4, s8, v2, v66
	v_add_co_ci_u32_e64 v5, null, v3, v67, s8
	global_load_dword v4, v[4:5], off
	s_waitcnt vmcnt(0)
	v_mul_f32_e32 v148, s15, v4
.LBB77_40:                              ;   in Loop: Header=BB77_34 Depth=1
	s_or_b32 exec_lo, exec_lo, s28
	s_or_b32 s8, s1, s6
	v_cndmask_b32_e64 v149, 0, 0x7f7fffff, s8
	s_nor_b32 s8, s25, s8
	s_and_saveexec_b32 s28, s8
	s_cbranch_execz .LBB77_42
; %bb.41:                               ;   in Loop: Header=BB77_34 Depth=1
	v_add_co_u32 v4, s8, v2, v66
	v_add_co_ci_u32_e64 v5, null, v3, v67, s8
	global_load_dword v4, v[4:5], off offset:256
	s_waitcnt vmcnt(0)
	v_mul_f32_e32 v149, s15, v4
.LBB77_42:                              ;   in Loop: Header=BB77_34 Depth=1
	s_or_b32 exec_lo, exec_lo, s28
	s_or_b32 s8, s2, s6
	v_cndmask_b32_e64 v150, 0, 0x7f7fffff, s8
	s_nor_b32 s8, s25, s8
	s_and_saveexec_b32 s28, s8
	s_cbranch_execz .LBB77_44
; %bb.43:                               ;   in Loop: Header=BB77_34 Depth=1
	v_add_co_u32 v4, s8, v2, v66
	v_add_co_ci_u32_e64 v5, null, v3, v67, s8
	global_load_dword v4, v[4:5], off offset:512
	s_waitcnt vmcnt(0)
	v_mul_f32_e32 v150, s15, v4
.LBB77_44:                              ;   in Loop: Header=BB77_34 Depth=1
	;; [unrolled: 13-line block ×3, first 2 shown]
	s_or_b32 exec_lo, exec_lo, s8
	ds_read_b128 v[34:37], v144
	ds_read_b128 v[30:33], v144 offset:128
	ds_read_b128 v[26:29], v144 offset:256
	;; [unrolled: 1-line block ×7, first 2 shown]
	ds_read_b128 v[62:65], v141
	ds_read_b128 v[58:61], v141 offset:512
	ds_read_b128 v[54:57], v141 offset:1024
	;; [unrolled: 1-line block ×7, first 2 shown]
	v_add_nc_u32_e32 v145, 12, v145
	ds_write_b32 v123, v147
	ds_write2st64_b32 v74, v148, v149 offset1:4
	ds_write2st64_b32 v74, v150, v151 offset0:8 offset1:12
	s_waitcnt lgkmcnt(0)
	s_barrier
	buffer_gl0_inv
	v_cmp_le_i32_e64 s6, s14, v145
                                        ; implicit-def: $vgpr145
	s_or_b32 s6, s6, vcc_lo
	s_nor_b32 s8, s25, s6
	s_and_saveexec_b32 s28, s8
	s_xor_b32 s8, exec_lo, s28
	s_cbranch_execz .LBB77_48
; %bb.47:                               ;   in Loop: Header=BB77_34 Depth=1
	global_load_dword v145, v[68:69], off offset:16
	s_waitcnt vmcnt(0)
	v_mul_f32_e32 v145, s15, v145
.LBB77_48:                              ;   in Loop: Header=BB77_34 Depth=1
	s_andn2_saveexec_b32 s8, s8
; %bb.49:                               ;   in Loop: Header=BB77_34 Depth=1
	v_cndmask_b32_e64 v145, 0, 0x7f7fffff, s6
; %bb.50:                               ;   in Loop: Header=BB77_34 Depth=1
	s_or_b32 exec_lo, exec_lo, s8
	v_add_nc_u32_e32 v148, 12, v146
	v_min_i32_e32 v146, s21, v148
	v_cmp_le_i32_e64 s6, s14, v148
	v_mad_i64_i32 v[146:147], null, v146, s26, 0
	v_lshlrev_b64 v[146:147], 2, v[146:147]
	v_add_co_u32 v150, s8, s18, v146
	v_add_co_ci_u32_e64 v151, null, s19, v147, s8
	s_or_b32 s8, s0, s6
	v_cndmask_b32_e64 v146, 0, 0x7f7fffff, s8
	s_nor_b32 s8, s25, s8
	s_and_saveexec_b32 s28, s8
	s_cbranch_execz .LBB77_52
; %bb.51:                               ;   in Loop: Header=BB77_34 Depth=1
	v_add_co_u32 v146, s8, v150, v66
	v_add_co_ci_u32_e64 v147, null, v151, v67, s8
	global_load_dword v146, v[146:147], off
	s_waitcnt vmcnt(0)
	v_mul_f32_e32 v146, s15, v146
.LBB77_52:                              ;   in Loop: Header=BB77_34 Depth=1
	s_or_b32 exec_lo, exec_lo, s28
	s_or_b32 s8, s1, s6
	v_cndmask_b32_e64 v147, 0, 0x7f7fffff, s8
	s_nor_b32 s8, s25, s8
	s_and_saveexec_b32 s28, s8
	s_cbranch_execz .LBB77_54
; %bb.53:                               ;   in Loop: Header=BB77_34 Depth=1
	v_add_co_u32 v147, s8, v150, v66
	v_add_co_ci_u32_e64 v148, null, v151, v67, s8
	global_load_dword v147, v[147:148], off offset:256
	s_waitcnt vmcnt(0)
	v_mul_f32_e32 v147, s15, v147
.LBB77_54:                              ;   in Loop: Header=BB77_34 Depth=1
	s_or_b32 exec_lo, exec_lo, s28
	s_or_b32 s8, s2, s6
	v_cndmask_b32_e64 v148, 0, 0x7f7fffff, s8
	s_nor_b32 s8, s25, s8
	s_and_saveexec_b32 s28, s8
	s_cbranch_execz .LBB77_56
; %bb.55:                               ;   in Loop: Header=BB77_34 Depth=1
	v_add_co_u32 v148, s8, v150, v66
	v_add_co_ci_u32_e64 v149, null, v151, v67, s8
	global_load_dword v148, v[148:149], off offset:512
	s_waitcnt vmcnt(0)
	v_mul_f32_e32 v148, s15, v148
.LBB77_56:                              ;   in Loop: Header=BB77_34 Depth=1
	s_or_b32 exec_lo, exec_lo, s28
	s_or_b32 s6, s3, s6
	v_cndmask_b32_e64 v149, 0, 0x7f7fffff, s6
	s_nor_b32 s6, s25, s6
	s_and_saveexec_b32 s8, s6
	s_cbranch_execz .LBB77_33
; %bb.57:                               ;   in Loop: Header=BB77_34 Depth=1
	v_add_co_u32 v149, s6, v150, v66
	v_add_co_ci_u32_e64 v150, null, v151, v67, s6
	global_load_dword v149, v[149:150], off offset:768
	s_waitcnt vmcnt(0)
	v_mul_f32_e32 v149, s15, v149
	s_branch .LBB77_33
.LBB77_58:
	s_clause 0x2
	s_load_dwordx2 s[0:1], s[4:5], 0x70
	s_load_dword s15, s[4:5], 0x50
	s_load_dword s14, s[4:5], 0x68
	ds_read_b128 v[34:37], v73 offset:9216
	ds_read_b128 v[30:33], v73 offset:9344
	;; [unrolled: 1-line block ×12, first 2 shown]
	v_add_nc_u32_e32 v132, s24, v1
	ds_read_b128 v[46:49], v72 offset:6144
	ds_read_b128 v[42:45], v72 offset:6656
	;; [unrolled: 1-line block ×4, first 2 shown]
	v_add_nc_u32_e32 v0, s9, v0
	v_cndmask_b32_e64 v123, 0, 1, s23
	v_cmp_gt_i32_e64 s8, s13, v132
	v_ashrrev_i32_e32 v1, 31, v0
	s_waitcnt lgkmcnt(0)
	s_mul_i32 s1, s1, s7
	v_mad_i64_i32 v[66:67], null, v132, s15, 0
	v_mad_i64_i32 v[68:69], null, v132, s14, 0
	s_mul_hi_u32 s2, s0, s7
	s_mul_i32 s0, s0, s7
	s_add_i32 s1, s2, s1
	s_lshl_b64 s[0:1], s[0:1], 2
	v_lshlrev_b64 v[66:67], 2, v[66:67]
	v_lshlrev_b64 v[68:69], 2, v[68:69]
	s_add_u32 s10, s10, s0
	s_addc_u32 s11, s11, s1
	v_cmp_gt_i32_e64 s0, s12, v0
	v_add_co_u32 v143, vcc_lo, s16, v66
	v_add_co_ci_u32_e64 v144, null, s17, v67, vcc_lo
	v_add_co_u32 v141, vcc_lo, s10, v68
	v_add_co_ci_u32_e64 v142, null, s11, v69, vcc_lo
	s_and_b32 s2, s0, s8
	s_and_saveexec_b32 s1, s2
	s_cbranch_execz .LBB77_64
; %bb.59:
	v_lshlrev_b64 v[66:67], 2, v[0:1]
	s_andn2_b32 vcc_lo, exec_lo, s23
	s_cbranch_vccnz .LBB77_62
; %bb.60:
	v_add_co_u32 v68, vcc_lo, v143, v66
	v_add_co_ci_u32_e64 v69, null, v144, v67, vcc_lo
	global_load_dword v68, v[68:69], off
	s_waitcnt vmcnt(0)
	v_mul_f32_e32 v68, s22, v68
	s_branch .LBB77_63
.LBB77_61:
	s_mov_b64 s[20:21], 0
	s_andn2_b32 vcc_lo, exec_lo, s8
	s_mov_b32 s0, -1
	s_cbranch_vccz .LBB77_2
	s_branch .LBB77_3
.LBB77_62:
	v_mov_b32_e32 v68, 0
.LBB77_63:
	v_add_f32_e32 v69, v35, v63
	v_add_f32_e32 v70, v34, v62
	;; [unrolled: 1-line block ×4, first 2 shown]
	v_add_co_u32 v66, vcc_lo, v141, v66
	v_min3_f32 v69, v70, v69, v81
	v_add_co_ci_u32_e64 v67, null, v142, v67, vcc_lo
	v_min_f32_e32 v70, v72, v71
	v_min3_f32 v68, v68, v70, v69
	global_store_dword v[66:67], v68, off
.LBB77_64:
	s_or_b32 exec_lo, exec_lo, s1
	v_add_nc_u32_e32 v66, 8, v0
	v_cmp_gt_i32_e64 s1, s12, v66
	v_ashrrev_i32_e32 v67, 31, v66
	s_and_b32 s3, s1, s8
	s_and_saveexec_b32 s2, s3
	s_cbranch_execz .LBB77_69
; %bb.65:
	v_cmp_ne_u32_e32 vcc_lo, 1, v123
	v_lshlrev_b64 v[68:69], 2, v[66:67]
	s_cbranch_vccnz .LBB77_67
; %bb.66:
	v_add_co_u32 v70, vcc_lo, v143, v68
	v_add_co_ci_u32_e64 v71, null, v144, v69, vcc_lo
	global_load_dword v70, v[70:71], off
	s_waitcnt vmcnt(0)
	v_mul_f32_e32 v70, s22, v70
	s_branch .LBB77_68
.LBB77_67:
	v_mov_b32_e32 v70, 0
.LBB77_68:
	v_add_f32_e32 v71, v31, v63
	v_add_f32_e32 v72, v30, v62
	v_add_f32_e32 v73, v33, v65
	v_add_f32_e32 v74, v32, v64
	v_add_co_u32 v68, vcc_lo, v141, v68
	v_min3_f32 v71, v72, v71, v79
	v_add_co_ci_u32_e64 v69, null, v142, v69, vcc_lo
	v_min_f32_e32 v72, v74, v73
	v_min3_f32 v70, v70, v72, v71
	global_store_dword v[68:69], v70, off
.LBB77_69:
	s_or_b32 exec_lo, exec_lo, s2
	v_add_nc_u32_e32 v68, 16, v0
	v_cmp_gt_i32_e64 s2, s12, v68
	v_ashrrev_i32_e32 v69, 31, v68
	s_and_b32 s4, s2, s8
	s_and_saveexec_b32 s3, s4
	s_cbranch_execz .LBB77_74
; %bb.70:
	v_cmp_ne_u32_e32 vcc_lo, 1, v123
	v_lshlrev_b64 v[70:71], 2, v[68:69]
	s_cbranch_vccnz .LBB77_72
; %bb.71:
	v_add_co_u32 v72, vcc_lo, v143, v70
	v_add_co_ci_u32_e64 v73, null, v144, v71, vcc_lo
	global_load_dword v72, v[72:73], off
	s_waitcnt vmcnt(0)
	v_mul_f32_e32 v72, s22, v72
	s_branch .LBB77_73
.LBB77_72:
	v_mov_b32_e32 v72, 0
.LBB77_73:
	v_add_f32_e32 v73, v27, v63
	v_add_f32_e32 v74, v26, v62
	v_add_f32_e32 v79, v29, v65
	v_add_f32_e32 v81, v28, v64
	v_add_co_u32 v70, vcc_lo, v141, v70
	v_min3_f32 v73, v74, v73, v77
	v_add_co_ci_u32_e64 v71, null, v142, v71, vcc_lo
	v_min_f32_e32 v74, v81, v79
	v_min3_f32 v72, v72, v74, v73
	global_store_dword v[70:71], v72, off
.LBB77_74:
	;; [unrolled: 32-line block ×6, first 2 shown]
	s_or_b32 exec_lo, exec_lo, s7
	v_add_nc_u32_e32 v78, 56, v0
	v_cmp_gt_i32_e64 s7, s12, v78
	v_ashrrev_i32_e32 v79, 31, v78
	s_and_b32 s9, s7, s8
	s_and_saveexec_b32 s8, s9
	s_cbranch_execz .LBB77_99
; %bb.95:
	v_cmp_ne_u32_e32 vcc_lo, 1, v123
	v_lshlrev_b64 v[80:81], 2, v[78:79]
	s_cbranch_vccnz .LBB77_97
; %bb.96:
	v_add_co_u32 v143, vcc_lo, v143, v80
	v_add_co_ci_u32_e64 v144, null, v144, v81, vcc_lo
	global_load_dword v143, v[143:144], off
	s_waitcnt vmcnt(0)
	v_mul_f32_e32 v143, s22, v143
	s_branch .LBB77_98
.LBB77_97:
	v_mov_b32_e32 v143, 0
.LBB77_98:
	v_add_f32_e32 v63, v3, v63
	v_add_f32_e32 v62, v2, v62
	;; [unrolled: 1-line block ×4, first 2 shown]
	v_min3_f32 v62, v62, v63, v140
	v_min_f32_e32 v63, v64, v65
	v_min3_f32 v64, v143, v63, v62
	v_add_co_u32 v62, vcc_lo, v141, v80
	v_add_co_ci_u32_e64 v63, null, v142, v81, vcc_lo
	global_store_dword v[62:63], v64, off
.LBB77_99:
	s_or_b32 exec_lo, exec_lo, s8
	v_add_nc_u32_e32 v80, 32, v132
	v_mad_i64_i32 v[62:63], null, v80, s15, 0
	v_mad_i64_i32 v[64:65], null, v80, s14, 0
	v_cmp_gt_i32_e64 s8, s13, v80
	v_lshlrev_b64 v[62:63], 2, v[62:63]
	s_and_b32 s12, s0, s8
	v_lshlrev_b64 v[64:65], 2, v[64:65]
	v_add_co_u32 v80, vcc_lo, s16, v62
	v_add_co_ci_u32_e64 v81, null, s17, v63, vcc_lo
	v_add_co_u32 v64, vcc_lo, s10, v64
	v_add_co_ci_u32_e64 v65, null, s11, v65, vcc_lo
	s_and_saveexec_b32 s9, s12
	s_cbranch_execnz .LBB77_107
; %bb.100:
	s_or_b32 exec_lo, exec_lo, s9
	s_and_b32 s12, s1, s8
	s_and_saveexec_b32 s9, s12
	s_cbranch_execnz .LBB77_111
.LBB77_101:
	s_or_b32 exec_lo, exec_lo, s9
	s_and_b32 s12, s2, s8
	s_and_saveexec_b32 s9, s12
	s_cbranch_execnz .LBB77_115
.LBB77_102:
	s_or_b32 exec_lo, exec_lo, s9
	s_and_b32 s12, s3, s8
	s_and_saveexec_b32 s9, s12
	s_cbranch_execnz .LBB77_119
.LBB77_103:
	s_or_b32 exec_lo, exec_lo, s9
	s_and_b32 s12, s4, s8
	s_and_saveexec_b32 s9, s12
	s_cbranch_execnz .LBB77_123
.LBB77_104:
	s_or_b32 exec_lo, exec_lo, s9
	s_and_b32 s12, s5, s8
	s_and_saveexec_b32 s9, s12
	s_cbranch_execnz .LBB77_127
.LBB77_105:
	s_or_b32 exec_lo, exec_lo, s9
	s_and_b32 s12, s6, s8
	s_and_saveexec_b32 s9, s12
	s_cbranch_execnz .LBB77_131
.LBB77_106:
	s_or_b32 exec_lo, exec_lo, s9
	s_and_b32 s9, s7, s8
	s_and_saveexec_b32 s8, s9
	s_cbranch_execnz .LBB77_135
	s_branch .LBB77_139
.LBB77_107:
	v_cmp_ne_u32_e32 vcc_lo, 1, v123
	v_lshlrev_b64 v[62:63], 2, v[0:1]
	s_cbranch_vccnz .LBB77_109
; %bb.108:
	v_add_co_u32 v140, vcc_lo, v80, v62
	v_add_co_ci_u32_e64 v141, null, v81, v63, vcc_lo
	global_load_dword v140, v[140:141], off
	s_waitcnt vmcnt(0)
	v_mul_f32_e32 v140, s22, v140
	s_branch .LBB77_110
.LBB77_109:
	v_mov_b32_e32 v140, 0
.LBB77_110:
	v_add_f32_e32 v141, v35, v59
	v_add_f32_e32 v142, v34, v58
	;; [unrolled: 1-line block ×4, first 2 shown]
	v_add_co_u32 v62, vcc_lo, v64, v62
	v_min3_f32 v139, v142, v141, v139
	v_add_co_ci_u32_e64 v63, null, v65, v63, vcc_lo
	v_min_f32_e32 v141, v144, v143
	v_min3_f32 v139, v140, v141, v139
	global_store_dword v[62:63], v139, off
	s_or_b32 exec_lo, exec_lo, s9
	s_and_b32 s12, s1, s8
	s_and_saveexec_b32 s9, s12
	s_cbranch_execz .LBB77_101
.LBB77_111:
	v_cmp_ne_u32_e32 vcc_lo, 1, v123
	v_lshlrev_b64 v[62:63], 2, v[66:67]
	s_cbranch_vccnz .LBB77_113
; %bb.112:
	v_add_co_u32 v139, vcc_lo, v80, v62
	v_add_co_ci_u32_e64 v140, null, v81, v63, vcc_lo
	global_load_dword v139, v[139:140], off
	s_waitcnt vmcnt(0)
	v_mul_f32_e32 v139, s22, v139
	s_branch .LBB77_114
.LBB77_113:
	v_mov_b32_e32 v139, 0
.LBB77_114:
	v_add_f32_e32 v140, v31, v59
	v_add_f32_e32 v141, v30, v58
	;; [unrolled: 1-line block ×4, first 2 shown]
	v_add_co_u32 v62, vcc_lo, v64, v62
	v_min3_f32 v138, v141, v140, v138
	v_add_co_ci_u32_e64 v63, null, v65, v63, vcc_lo
	v_min_f32_e32 v140, v143, v142
	v_min3_f32 v138, v139, v140, v138
	global_store_dword v[62:63], v138, off
	s_or_b32 exec_lo, exec_lo, s9
	s_and_b32 s12, s2, s8
	s_and_saveexec_b32 s9, s12
	s_cbranch_execz .LBB77_102
.LBB77_115:
	v_cmp_ne_u32_e32 vcc_lo, 1, v123
	v_lshlrev_b64 v[62:63], 2, v[68:69]
	s_cbranch_vccnz .LBB77_117
; %bb.116:
	v_add_co_u32 v138, vcc_lo, v80, v62
	v_add_co_ci_u32_e64 v139, null, v81, v63, vcc_lo
	global_load_dword v138, v[138:139], off
	s_waitcnt vmcnt(0)
	v_mul_f32_e32 v138, s22, v138
	s_branch .LBB77_118
.LBB77_117:
	v_mov_b32_e32 v138, 0
.LBB77_118:
	v_add_f32_e32 v139, v27, v59
	v_add_f32_e32 v140, v26, v58
	;; [unrolled: 1-line block ×4, first 2 shown]
	v_add_co_u32 v62, vcc_lo, v64, v62
	v_min3_f32 v137, v140, v139, v137
	v_add_co_ci_u32_e64 v63, null, v65, v63, vcc_lo
	v_min_f32_e32 v139, v142, v141
	v_min3_f32 v137, v138, v139, v137
	global_store_dword v[62:63], v137, off
	s_or_b32 exec_lo, exec_lo, s9
	s_and_b32 s12, s3, s8
	s_and_saveexec_b32 s9, s12
	s_cbranch_execz .LBB77_103
.LBB77_119:
	v_cmp_ne_u32_e32 vcc_lo, 1, v123
	v_lshlrev_b64 v[62:63], 2, v[70:71]
	s_cbranch_vccnz .LBB77_121
; %bb.120:
	v_add_co_u32 v137, vcc_lo, v80, v62
	v_add_co_ci_u32_e64 v138, null, v81, v63, vcc_lo
	global_load_dword v137, v[137:138], off
	s_waitcnt vmcnt(0)
	v_mul_f32_e32 v137, s22, v137
	s_branch .LBB77_122
.LBB77_121:
	v_mov_b32_e32 v137, 0
.LBB77_122:
	v_add_f32_e32 v138, v23, v59
	v_add_f32_e32 v139, v22, v58
	;; [unrolled: 1-line block ×4, first 2 shown]
	v_add_co_u32 v62, vcc_lo, v64, v62
	v_min3_f32 v136, v139, v138, v136
	v_add_co_ci_u32_e64 v63, null, v65, v63, vcc_lo
	v_min_f32_e32 v138, v141, v140
	v_min3_f32 v136, v137, v138, v136
	global_store_dword v[62:63], v136, off
	s_or_b32 exec_lo, exec_lo, s9
	s_and_b32 s12, s4, s8
	s_and_saveexec_b32 s9, s12
	s_cbranch_execz .LBB77_104
.LBB77_123:
	v_cmp_ne_u32_e32 vcc_lo, 1, v123
	v_lshlrev_b64 v[62:63], 2, v[72:73]
	s_cbranch_vccnz .LBB77_125
; %bb.124:
	v_add_co_u32 v136, vcc_lo, v80, v62
	v_add_co_ci_u32_e64 v137, null, v81, v63, vcc_lo
	global_load_dword v136, v[136:137], off
	s_waitcnt vmcnt(0)
	v_mul_f32_e32 v136, s22, v136
	s_branch .LBB77_126
.LBB77_125:
	v_mov_b32_e32 v136, 0
.LBB77_126:
	v_add_f32_e32 v137, v19, v59
	v_add_f32_e32 v138, v18, v58
	;; [unrolled: 1-line block ×4, first 2 shown]
	v_add_co_u32 v62, vcc_lo, v64, v62
	v_min3_f32 v135, v138, v137, v135
	v_add_co_ci_u32_e64 v63, null, v65, v63, vcc_lo
	v_min_f32_e32 v137, v140, v139
	v_min3_f32 v135, v136, v137, v135
	global_store_dword v[62:63], v135, off
	s_or_b32 exec_lo, exec_lo, s9
	s_and_b32 s12, s5, s8
	s_and_saveexec_b32 s9, s12
	s_cbranch_execz .LBB77_105
.LBB77_127:
	v_cmp_ne_u32_e32 vcc_lo, 1, v123
	v_lshlrev_b64 v[62:63], 2, v[74:75]
	s_cbranch_vccnz .LBB77_129
; %bb.128:
	v_add_co_u32 v135, vcc_lo, v80, v62
	v_add_co_ci_u32_e64 v136, null, v81, v63, vcc_lo
	global_load_dword v135, v[135:136], off
	s_waitcnt vmcnt(0)
	v_mul_f32_e32 v135, s22, v135
	s_branch .LBB77_130
.LBB77_129:
	v_mov_b32_e32 v135, 0
.LBB77_130:
	v_add_f32_e32 v136, v15, v59
	v_add_f32_e32 v137, v14, v58
	;; [unrolled: 1-line block ×4, first 2 shown]
	v_add_co_u32 v62, vcc_lo, v64, v62
	v_min3_f32 v134, v137, v136, v134
	v_add_co_ci_u32_e64 v63, null, v65, v63, vcc_lo
	v_min_f32_e32 v136, v139, v138
	v_min3_f32 v134, v135, v136, v134
	global_store_dword v[62:63], v134, off
	s_or_b32 exec_lo, exec_lo, s9
	s_and_b32 s12, s6, s8
	s_and_saveexec_b32 s9, s12
	s_cbranch_execz .LBB77_106
.LBB77_131:
	v_cmp_ne_u32_e32 vcc_lo, 1, v123
	v_lshlrev_b64 v[62:63], 2, v[76:77]
	s_cbranch_vccnz .LBB77_133
; %bb.132:
	v_add_co_u32 v134, vcc_lo, v80, v62
	v_add_co_ci_u32_e64 v135, null, v81, v63, vcc_lo
	global_load_dword v134, v[134:135], off
	s_waitcnt vmcnt(0)
	v_mul_f32_e32 v134, s22, v134
	s_branch .LBB77_134
.LBB77_133:
	v_mov_b32_e32 v134, 0
.LBB77_134:
	v_add_f32_e32 v135, v11, v59
	v_add_f32_e32 v136, v10, v58
	;; [unrolled: 1-line block ×4, first 2 shown]
	v_add_co_u32 v62, vcc_lo, v64, v62
	v_min3_f32 v133, v136, v135, v133
	v_add_co_ci_u32_e64 v63, null, v65, v63, vcc_lo
	v_min_f32_e32 v135, v138, v137
	v_min3_f32 v133, v134, v135, v133
	global_store_dword v[62:63], v133, off
	s_or_b32 exec_lo, exec_lo, s9
	s_and_b32 s9, s7, s8
	s_and_saveexec_b32 s8, s9
	s_cbranch_execz .LBB77_139
.LBB77_135:
	v_cmp_ne_u32_e32 vcc_lo, 1, v123
	v_lshlrev_b64 v[62:63], 2, v[78:79]
	s_cbranch_vccnz .LBB77_137
; %bb.136:
	v_add_co_u32 v80, vcc_lo, v80, v62
	v_add_co_ci_u32_e64 v81, null, v81, v63, vcc_lo
	global_load_dword v80, v[80:81], off
	s_waitcnt vmcnt(0)
	v_mul_f32_e32 v80, s22, v80
	s_branch .LBB77_138
.LBB77_137:
	v_mov_b32_e32 v80, 0
.LBB77_138:
	v_add_f32_e32 v59, v3, v59
	v_add_f32_e32 v58, v2, v58
	;; [unrolled: 1-line block ×4, first 2 shown]
	v_min3_f32 v58, v58, v59, v131
	v_min_f32_e32 v59, v60, v61
	v_min3_f32 v60, v80, v59, v58
	v_add_co_u32 v58, vcc_lo, v64, v62
	v_add_co_ci_u32_e64 v59, null, v65, v63, vcc_lo
	global_store_dword v[58:59], v60, off
.LBB77_139:
	s_or_b32 exec_lo, exec_lo, s8
	v_add_nc_u32_e32 v62, 64, v132
	v_mad_i64_i32 v[58:59], null, v62, s15, 0
	v_mad_i64_i32 v[60:61], null, v62, s14, 0
	v_cmp_gt_i32_e64 s8, s13, v62
	v_lshlrev_b64 v[58:59], 2, v[58:59]
	s_and_b32 s12, s0, s8
	v_lshlrev_b64 v[60:61], 2, v[60:61]
	v_add_co_u32 v62, vcc_lo, s16, v58
	v_add_co_ci_u32_e64 v63, null, s17, v59, vcc_lo
	v_add_co_u32 v60, vcc_lo, s10, v60
	v_add_co_ci_u32_e64 v61, null, s11, v61, vcc_lo
	s_and_saveexec_b32 s9, s12
	s_cbranch_execnz .LBB77_147
; %bb.140:
	s_or_b32 exec_lo, exec_lo, s9
	s_and_b32 s12, s1, s8
	s_and_saveexec_b32 s9, s12
	s_cbranch_execnz .LBB77_151
.LBB77_141:
	s_or_b32 exec_lo, exec_lo, s9
	s_and_b32 s12, s2, s8
	s_and_saveexec_b32 s9, s12
	s_cbranch_execnz .LBB77_155
.LBB77_142:
	s_or_b32 exec_lo, exec_lo, s9
	s_and_b32 s12, s3, s8
	s_and_saveexec_b32 s9, s12
	s_cbranch_execnz .LBB77_159
.LBB77_143:
	s_or_b32 exec_lo, exec_lo, s9
	s_and_b32 s12, s4, s8
	s_and_saveexec_b32 s9, s12
	s_cbranch_execnz .LBB77_163
.LBB77_144:
	s_or_b32 exec_lo, exec_lo, s9
	s_and_b32 s12, s5, s8
	s_and_saveexec_b32 s9, s12
	s_cbranch_execnz .LBB77_167
.LBB77_145:
	s_or_b32 exec_lo, exec_lo, s9
	s_and_b32 s12, s6, s8
	s_and_saveexec_b32 s9, s12
	s_cbranch_execnz .LBB77_171
.LBB77_146:
	s_or_b32 exec_lo, exec_lo, s9
	s_and_b32 s9, s7, s8
	s_and_saveexec_b32 s8, s9
	s_cbranch_execnz .LBB77_175
	s_branch .LBB77_179
.LBB77_147:
	v_cmp_ne_u32_e32 vcc_lo, 1, v123
	v_lshlrev_b64 v[58:59], 2, v[0:1]
	s_cbranch_vccnz .LBB77_149
; %bb.148:
	v_add_co_u32 v64, vcc_lo, v62, v58
	v_add_co_ci_u32_e64 v65, null, v63, v59, vcc_lo
	global_load_dword v64, v[64:65], off
	s_waitcnt vmcnt(0)
	v_mul_f32_e32 v64, s22, v64
	s_branch .LBB77_150
.LBB77_149:
	v_mov_b32_e32 v64, 0
.LBB77_150:
	v_add_f32_e32 v65, v35, v55
	v_add_f32_e32 v80, v34, v54
	;; [unrolled: 1-line block ×4, first 2 shown]
	v_add_co_u32 v58, vcc_lo, v60, v58
	v_min3_f32 v65, v80, v65, v130
	v_add_co_ci_u32_e64 v59, null, v61, v59, vcc_lo
	v_min_f32_e32 v80, v131, v81
	v_min3_f32 v64, v64, v80, v65
	global_store_dword v[58:59], v64, off
	s_or_b32 exec_lo, exec_lo, s9
	s_and_b32 s12, s1, s8
	s_and_saveexec_b32 s9, s12
	s_cbranch_execz .LBB77_141
.LBB77_151:
	v_cmp_ne_u32_e32 vcc_lo, 1, v123
	v_lshlrev_b64 v[58:59], 2, v[66:67]
	s_cbranch_vccnz .LBB77_153
; %bb.152:
	v_add_co_u32 v64, vcc_lo, v62, v58
	v_add_co_ci_u32_e64 v65, null, v63, v59, vcc_lo
	global_load_dword v64, v[64:65], off
	s_waitcnt vmcnt(0)
	v_mul_f32_e32 v64, s22, v64
	s_branch .LBB77_154
.LBB77_153:
	v_mov_b32_e32 v64, 0
.LBB77_154:
	v_add_f32_e32 v65, v31, v55
	v_add_f32_e32 v80, v30, v54
	;; [unrolled: 1-line block ×4, first 2 shown]
	v_add_co_u32 v58, vcc_lo, v60, v58
	v_min3_f32 v65, v80, v65, v129
	v_add_co_ci_u32_e64 v59, null, v61, v59, vcc_lo
	v_min_f32_e32 v80, v130, v81
	v_min3_f32 v64, v64, v80, v65
	global_store_dword v[58:59], v64, off
	s_or_b32 exec_lo, exec_lo, s9
	s_and_b32 s12, s2, s8
	s_and_saveexec_b32 s9, s12
	s_cbranch_execz .LBB77_142
.LBB77_155:
	v_cmp_ne_u32_e32 vcc_lo, 1, v123
	v_lshlrev_b64 v[58:59], 2, v[68:69]
	s_cbranch_vccnz .LBB77_157
; %bb.156:
	v_add_co_u32 v64, vcc_lo, v62, v58
	v_add_co_ci_u32_e64 v65, null, v63, v59, vcc_lo
	global_load_dword v64, v[64:65], off
	s_waitcnt vmcnt(0)
	v_mul_f32_e32 v64, s22, v64
	s_branch .LBB77_158
.LBB77_157:
	v_mov_b32_e32 v64, 0
.LBB77_158:
	v_add_f32_e32 v65, v27, v55
	v_add_f32_e32 v80, v26, v54
	;; [unrolled: 1-line block ×4, first 2 shown]
	v_add_co_u32 v58, vcc_lo, v60, v58
	v_min3_f32 v65, v80, v65, v128
	v_add_co_ci_u32_e64 v59, null, v61, v59, vcc_lo
	v_min_f32_e32 v80, v129, v81
	v_min3_f32 v64, v64, v80, v65
	global_store_dword v[58:59], v64, off
	s_or_b32 exec_lo, exec_lo, s9
	s_and_b32 s12, s3, s8
	s_and_saveexec_b32 s9, s12
	s_cbranch_execz .LBB77_143
.LBB77_159:
	v_cmp_ne_u32_e32 vcc_lo, 1, v123
	v_lshlrev_b64 v[58:59], 2, v[70:71]
	s_cbranch_vccnz .LBB77_161
; %bb.160:
	v_add_co_u32 v64, vcc_lo, v62, v58
	v_add_co_ci_u32_e64 v65, null, v63, v59, vcc_lo
	global_load_dword v64, v[64:65], off
	s_waitcnt vmcnt(0)
	v_mul_f32_e32 v64, s22, v64
	s_branch .LBB77_162
.LBB77_161:
	v_mov_b32_e32 v64, 0
.LBB77_162:
	v_add_f32_e32 v65, v23, v55
	v_add_f32_e32 v80, v22, v54
	;; [unrolled: 1-line block ×4, first 2 shown]
	v_add_co_u32 v58, vcc_lo, v60, v58
	v_min3_f32 v65, v80, v65, v127
	v_add_co_ci_u32_e64 v59, null, v61, v59, vcc_lo
	v_min_f32_e32 v80, v128, v81
	v_min3_f32 v64, v64, v80, v65
	global_store_dword v[58:59], v64, off
	s_or_b32 exec_lo, exec_lo, s9
	s_and_b32 s12, s4, s8
	s_and_saveexec_b32 s9, s12
	s_cbranch_execz .LBB77_144
.LBB77_163:
	v_cmp_ne_u32_e32 vcc_lo, 1, v123
	v_lshlrev_b64 v[58:59], 2, v[72:73]
	s_cbranch_vccnz .LBB77_165
; %bb.164:
	v_add_co_u32 v64, vcc_lo, v62, v58
	v_add_co_ci_u32_e64 v65, null, v63, v59, vcc_lo
	global_load_dword v64, v[64:65], off
	s_waitcnt vmcnt(0)
	v_mul_f32_e32 v64, s22, v64
	s_branch .LBB77_166
.LBB77_165:
	v_mov_b32_e32 v64, 0
.LBB77_166:
	v_add_f32_e32 v65, v19, v55
	v_add_f32_e32 v80, v18, v54
	;; [unrolled: 1-line block ×4, first 2 shown]
	v_add_co_u32 v58, vcc_lo, v60, v58
	v_min3_f32 v65, v80, v65, v126
	v_add_co_ci_u32_e64 v59, null, v61, v59, vcc_lo
	v_min_f32_e32 v80, v127, v81
	v_min3_f32 v64, v64, v80, v65
	global_store_dword v[58:59], v64, off
	s_or_b32 exec_lo, exec_lo, s9
	s_and_b32 s12, s5, s8
	s_and_saveexec_b32 s9, s12
	s_cbranch_execz .LBB77_145
.LBB77_167:
	v_cmp_ne_u32_e32 vcc_lo, 1, v123
	v_lshlrev_b64 v[58:59], 2, v[74:75]
	s_cbranch_vccnz .LBB77_169
; %bb.168:
	v_add_co_u32 v64, vcc_lo, v62, v58
	v_add_co_ci_u32_e64 v65, null, v63, v59, vcc_lo
	global_load_dword v64, v[64:65], off
	s_waitcnt vmcnt(0)
	v_mul_f32_e32 v64, s22, v64
	s_branch .LBB77_170
.LBB77_169:
	v_mov_b32_e32 v64, 0
.LBB77_170:
	v_add_f32_e32 v65, v15, v55
	v_add_f32_e32 v80, v14, v54
	;; [unrolled: 1-line block ×4, first 2 shown]
	v_add_co_u32 v58, vcc_lo, v60, v58
	v_min3_f32 v65, v80, v65, v125
	v_add_co_ci_u32_e64 v59, null, v61, v59, vcc_lo
	v_min_f32_e32 v80, v126, v81
	v_min3_f32 v64, v64, v80, v65
	global_store_dword v[58:59], v64, off
	s_or_b32 exec_lo, exec_lo, s9
	s_and_b32 s12, s6, s8
	s_and_saveexec_b32 s9, s12
	s_cbranch_execz .LBB77_146
.LBB77_171:
	v_cmp_ne_u32_e32 vcc_lo, 1, v123
	v_lshlrev_b64 v[58:59], 2, v[76:77]
	s_cbranch_vccnz .LBB77_173
; %bb.172:
	v_add_co_u32 v64, vcc_lo, v62, v58
	v_add_co_ci_u32_e64 v65, null, v63, v59, vcc_lo
	global_load_dword v64, v[64:65], off
	s_waitcnt vmcnt(0)
	v_mul_f32_e32 v64, s22, v64
	s_branch .LBB77_174
.LBB77_173:
	v_mov_b32_e32 v64, 0
.LBB77_174:
	v_add_f32_e32 v65, v11, v55
	v_add_f32_e32 v80, v10, v54
	;; [unrolled: 1-line block ×4, first 2 shown]
	v_add_co_u32 v58, vcc_lo, v60, v58
	v_min3_f32 v65, v80, v65, v124
	v_add_co_ci_u32_e64 v59, null, v61, v59, vcc_lo
	v_min_f32_e32 v80, v125, v81
	v_min3_f32 v64, v64, v80, v65
	global_store_dword v[58:59], v64, off
	s_or_b32 exec_lo, exec_lo, s9
	s_and_b32 s9, s7, s8
	s_and_saveexec_b32 s8, s9
	s_cbranch_execz .LBB77_179
.LBB77_175:
	v_cmp_ne_u32_e32 vcc_lo, 1, v123
	v_lshlrev_b64 v[58:59], 2, v[78:79]
	s_cbranch_vccnz .LBB77_177
; %bb.176:
	v_add_co_u32 v62, vcc_lo, v62, v58
	v_add_co_ci_u32_e64 v63, null, v63, v59, vcc_lo
	global_load_dword v62, v[62:63], off
	s_waitcnt vmcnt(0)
	v_mul_f32_e32 v62, s22, v62
	s_branch .LBB77_178
.LBB77_177:
	v_mov_b32_e32 v62, 0
.LBB77_178:
	v_add_f32_e32 v55, v3, v55
	v_add_f32_e32 v54, v2, v54
	;; [unrolled: 1-line block ×4, first 2 shown]
	v_min3_f32 v54, v54, v55, v121
	v_min_f32_e32 v55, v56, v57
	v_min3_f32 v56, v62, v55, v54
	v_add_co_u32 v54, vcc_lo, v60, v58
	v_add_co_ci_u32_e64 v55, null, v61, v59, vcc_lo
	global_store_dword v[54:55], v56, off
.LBB77_179:
	s_or_b32 exec_lo, exec_lo, s8
	v_add_nc_u32_e32 v58, 0x60, v132
	v_mad_i64_i32 v[54:55], null, v58, s15, 0
	v_mad_i64_i32 v[56:57], null, v58, s14, 0
	v_cmp_gt_i32_e64 s8, s13, v58
	v_lshlrev_b64 v[54:55], 2, v[54:55]
	s_and_b32 s12, s0, s8
	v_lshlrev_b64 v[56:57], 2, v[56:57]
	v_add_co_u32 v58, vcc_lo, s16, v54
	v_add_co_ci_u32_e64 v59, null, s17, v55, vcc_lo
	v_add_co_u32 v56, vcc_lo, s10, v56
	v_add_co_ci_u32_e64 v57, null, s11, v57, vcc_lo
	s_and_saveexec_b32 s9, s12
	s_cbranch_execnz .LBB77_187
; %bb.180:
	s_or_b32 exec_lo, exec_lo, s9
	s_and_b32 s12, s1, s8
	s_and_saveexec_b32 s9, s12
	s_cbranch_execnz .LBB77_191
.LBB77_181:
	s_or_b32 exec_lo, exec_lo, s9
	s_and_b32 s12, s2, s8
	s_and_saveexec_b32 s9, s12
	s_cbranch_execnz .LBB77_195
.LBB77_182:
	s_or_b32 exec_lo, exec_lo, s9
	s_and_b32 s12, s3, s8
	s_and_saveexec_b32 s9, s12
	s_cbranch_execnz .LBB77_199
.LBB77_183:
	s_or_b32 exec_lo, exec_lo, s9
	s_and_b32 s12, s4, s8
	s_and_saveexec_b32 s9, s12
	s_cbranch_execnz .LBB77_203
.LBB77_184:
	s_or_b32 exec_lo, exec_lo, s9
	s_and_b32 s12, s5, s8
	s_and_saveexec_b32 s9, s12
	s_cbranch_execnz .LBB77_207
.LBB77_185:
	s_or_b32 exec_lo, exec_lo, s9
	s_and_b32 s12, s6, s8
	s_and_saveexec_b32 s9, s12
	s_cbranch_execnz .LBB77_211
.LBB77_186:
	s_or_b32 exec_lo, exec_lo, s9
	s_and_b32 s9, s7, s8
	s_and_saveexec_b32 s8, s9
	s_cbranch_execnz .LBB77_215
	s_branch .LBB77_219
.LBB77_187:
	v_cmp_ne_u32_e32 vcc_lo, 1, v123
	v_lshlrev_b64 v[54:55], 2, v[0:1]
	s_cbranch_vccnz .LBB77_189
; %bb.188:
	v_add_co_u32 v60, vcc_lo, v58, v54
	v_add_co_ci_u32_e64 v61, null, v59, v55, vcc_lo
	global_load_dword v60, v[60:61], off
	s_waitcnt vmcnt(0)
	v_mul_f32_e32 v60, s22, v60
	s_branch .LBB77_190
.LBB77_189:
	v_mov_b32_e32 v60, 0
.LBB77_190:
	v_add_f32_e32 v61, v35, v51
	v_add_f32_e32 v62, v34, v50
	;; [unrolled: 1-line block ×4, first 2 shown]
	v_add_co_u32 v54, vcc_lo, v56, v54
	v_min3_f32 v61, v62, v61, v122
	v_add_co_ci_u32_e64 v55, null, v57, v55, vcc_lo
	v_min_f32_e32 v62, v64, v63
	v_min3_f32 v60, v60, v62, v61
	global_store_dword v[54:55], v60, off
	s_or_b32 exec_lo, exec_lo, s9
	s_and_b32 s12, s1, s8
	s_and_saveexec_b32 s9, s12
	s_cbranch_execz .LBB77_181
.LBB77_191:
	v_cmp_ne_u32_e32 vcc_lo, 1, v123
	v_lshlrev_b64 v[54:55], 2, v[66:67]
	s_cbranch_vccnz .LBB77_193
; %bb.192:
	v_add_co_u32 v60, vcc_lo, v58, v54
	v_add_co_ci_u32_e64 v61, null, v59, v55, vcc_lo
	global_load_dword v60, v[60:61], off
	s_waitcnt vmcnt(0)
	v_mul_f32_e32 v60, s22, v60
	s_branch .LBB77_194
.LBB77_193:
	v_mov_b32_e32 v60, 0
.LBB77_194:
	v_add_f32_e32 v61, v31, v51
	v_add_f32_e32 v62, v30, v50
	;; [unrolled: 1-line block ×4, first 2 shown]
	v_add_co_u32 v54, vcc_lo, v56, v54
	v_min3_f32 v61, v62, v61, v120
	v_add_co_ci_u32_e64 v55, null, v57, v55, vcc_lo
	v_min_f32_e32 v62, v64, v63
	v_min3_f32 v60, v60, v62, v61
	global_store_dword v[54:55], v60, off
	s_or_b32 exec_lo, exec_lo, s9
	s_and_b32 s12, s2, s8
	s_and_saveexec_b32 s9, s12
	s_cbranch_execz .LBB77_182
.LBB77_195:
	v_cmp_ne_u32_e32 vcc_lo, 1, v123
	v_lshlrev_b64 v[54:55], 2, v[68:69]
	s_cbranch_vccnz .LBB77_197
; %bb.196:
	v_add_co_u32 v60, vcc_lo, v58, v54
	v_add_co_ci_u32_e64 v61, null, v59, v55, vcc_lo
	global_load_dword v60, v[60:61], off
	s_waitcnt vmcnt(0)
	v_mul_f32_e32 v60, s22, v60
	s_branch .LBB77_198
.LBB77_197:
	v_mov_b32_e32 v60, 0
.LBB77_198:
	v_add_f32_e32 v61, v27, v51
	v_add_f32_e32 v62, v26, v50
	v_add_f32_e32 v63, v29, v53
	v_add_f32_e32 v64, v28, v52
	v_add_co_u32 v54, vcc_lo, v56, v54
	v_min3_f32 v61, v62, v61, v119
	v_add_co_ci_u32_e64 v55, null, v57, v55, vcc_lo
	v_min_f32_e32 v62, v64, v63
	v_min3_f32 v60, v60, v62, v61
	global_store_dword v[54:55], v60, off
	s_or_b32 exec_lo, exec_lo, s9
	s_and_b32 s12, s3, s8
	s_and_saveexec_b32 s9, s12
	s_cbranch_execz .LBB77_183
.LBB77_199:
	v_cmp_ne_u32_e32 vcc_lo, 1, v123
	v_lshlrev_b64 v[54:55], 2, v[70:71]
	s_cbranch_vccnz .LBB77_201
; %bb.200:
	v_add_co_u32 v60, vcc_lo, v58, v54
	v_add_co_ci_u32_e64 v61, null, v59, v55, vcc_lo
	global_load_dword v60, v[60:61], off
	s_waitcnt vmcnt(0)
	v_mul_f32_e32 v60, s22, v60
	s_branch .LBB77_202
.LBB77_201:
	v_mov_b32_e32 v60, 0
.LBB77_202:
	v_add_f32_e32 v61, v23, v51
	v_add_f32_e32 v62, v22, v50
	;; [unrolled: 1-line block ×4, first 2 shown]
	v_add_co_u32 v54, vcc_lo, v56, v54
	v_min3_f32 v61, v62, v61, v118
	v_add_co_ci_u32_e64 v55, null, v57, v55, vcc_lo
	v_min_f32_e32 v62, v64, v63
	v_min3_f32 v60, v60, v62, v61
	global_store_dword v[54:55], v60, off
	s_or_b32 exec_lo, exec_lo, s9
	s_and_b32 s12, s4, s8
	s_and_saveexec_b32 s9, s12
	s_cbranch_execz .LBB77_184
.LBB77_203:
	v_cmp_ne_u32_e32 vcc_lo, 1, v123
	v_lshlrev_b64 v[54:55], 2, v[72:73]
	s_cbranch_vccnz .LBB77_205
; %bb.204:
	v_add_co_u32 v60, vcc_lo, v58, v54
	v_add_co_ci_u32_e64 v61, null, v59, v55, vcc_lo
	global_load_dword v60, v[60:61], off
	s_waitcnt vmcnt(0)
	v_mul_f32_e32 v60, s22, v60
	s_branch .LBB77_206
.LBB77_205:
	v_mov_b32_e32 v60, 0
.LBB77_206:
	v_add_f32_e32 v61, v19, v51
	v_add_f32_e32 v62, v18, v50
	;; [unrolled: 1-line block ×4, first 2 shown]
	v_add_co_u32 v54, vcc_lo, v56, v54
	v_min3_f32 v61, v62, v61, v117
	v_add_co_ci_u32_e64 v55, null, v57, v55, vcc_lo
	v_min_f32_e32 v62, v64, v63
	v_min3_f32 v60, v60, v62, v61
	global_store_dword v[54:55], v60, off
	s_or_b32 exec_lo, exec_lo, s9
	s_and_b32 s12, s5, s8
	s_and_saveexec_b32 s9, s12
	s_cbranch_execz .LBB77_185
.LBB77_207:
	v_cmp_ne_u32_e32 vcc_lo, 1, v123
	v_lshlrev_b64 v[54:55], 2, v[74:75]
	s_cbranch_vccnz .LBB77_209
; %bb.208:
	v_add_co_u32 v60, vcc_lo, v58, v54
	v_add_co_ci_u32_e64 v61, null, v59, v55, vcc_lo
	global_load_dword v60, v[60:61], off
	s_waitcnt vmcnt(0)
	v_mul_f32_e32 v60, s22, v60
	s_branch .LBB77_210
.LBB77_209:
	v_mov_b32_e32 v60, 0
.LBB77_210:
	v_add_f32_e32 v61, v15, v51
	v_add_f32_e32 v62, v14, v50
	;; [unrolled: 1-line block ×4, first 2 shown]
	v_add_co_u32 v54, vcc_lo, v56, v54
	v_min3_f32 v61, v62, v61, v116
	v_add_co_ci_u32_e64 v55, null, v57, v55, vcc_lo
	v_min_f32_e32 v62, v64, v63
	v_min3_f32 v60, v60, v62, v61
	global_store_dword v[54:55], v60, off
	s_or_b32 exec_lo, exec_lo, s9
	s_and_b32 s12, s6, s8
	s_and_saveexec_b32 s9, s12
	s_cbranch_execz .LBB77_186
.LBB77_211:
	v_cmp_ne_u32_e32 vcc_lo, 1, v123
	v_lshlrev_b64 v[54:55], 2, v[76:77]
	s_cbranch_vccnz .LBB77_213
; %bb.212:
	v_add_co_u32 v60, vcc_lo, v58, v54
	v_add_co_ci_u32_e64 v61, null, v59, v55, vcc_lo
	global_load_dword v60, v[60:61], off
	s_waitcnt vmcnt(0)
	v_mul_f32_e32 v60, s22, v60
	s_branch .LBB77_214
.LBB77_213:
	v_mov_b32_e32 v60, 0
.LBB77_214:
	v_add_f32_e32 v61, v11, v51
	v_add_f32_e32 v62, v10, v50
	;; [unrolled: 1-line block ×4, first 2 shown]
	v_add_co_u32 v54, vcc_lo, v56, v54
	v_min3_f32 v61, v62, v61, v115
	v_add_co_ci_u32_e64 v55, null, v57, v55, vcc_lo
	v_min_f32_e32 v62, v64, v63
	v_min3_f32 v60, v60, v62, v61
	global_store_dword v[54:55], v60, off
	s_or_b32 exec_lo, exec_lo, s9
	s_and_b32 s9, s7, s8
	s_and_saveexec_b32 s8, s9
	s_cbranch_execz .LBB77_219
.LBB77_215:
	v_cmp_ne_u32_e32 vcc_lo, 1, v123
	v_lshlrev_b64 v[54:55], 2, v[78:79]
	s_cbranch_vccnz .LBB77_217
; %bb.216:
	v_add_co_u32 v58, vcc_lo, v58, v54
	v_add_co_ci_u32_e64 v59, null, v59, v55, vcc_lo
	global_load_dword v58, v[58:59], off
	s_waitcnt vmcnt(0)
	v_mul_f32_e32 v58, s22, v58
	s_branch .LBB77_218
.LBB77_217:
	v_mov_b32_e32 v58, 0
.LBB77_218:
	v_add_f32_e32 v51, v3, v51
	v_add_f32_e32 v50, v2, v50
	;; [unrolled: 1-line block ×4, first 2 shown]
	v_min3_f32 v50, v50, v51, v114
	v_min_f32_e32 v51, v52, v53
	v_min3_f32 v52, v58, v51, v50
	v_add_co_u32 v50, vcc_lo, v56, v54
	v_add_co_ci_u32_e64 v51, null, v57, v55, vcc_lo
	global_store_dword v[50:51], v52, off
.LBB77_219:
	s_or_b32 exec_lo, exec_lo, s8
	v_add_nc_u32_e32 v54, 0x80, v132
	v_mad_i64_i32 v[50:51], null, v54, s15, 0
	v_mad_i64_i32 v[52:53], null, v54, s14, 0
	v_cmp_gt_i32_e64 s8, s13, v54
	v_lshlrev_b64 v[50:51], 2, v[50:51]
	s_and_b32 s12, s0, s8
	v_lshlrev_b64 v[52:53], 2, v[52:53]
	v_add_co_u32 v54, vcc_lo, s16, v50
	v_add_co_ci_u32_e64 v55, null, s17, v51, vcc_lo
	v_add_co_u32 v52, vcc_lo, s10, v52
	v_add_co_ci_u32_e64 v53, null, s11, v53, vcc_lo
	s_and_saveexec_b32 s9, s12
	s_cbranch_execnz .LBB77_227
; %bb.220:
	s_or_b32 exec_lo, exec_lo, s9
	s_and_b32 s12, s1, s8
	s_and_saveexec_b32 s9, s12
	s_cbranch_execnz .LBB77_231
.LBB77_221:
	s_or_b32 exec_lo, exec_lo, s9
	s_and_b32 s12, s2, s8
	s_and_saveexec_b32 s9, s12
	s_cbranch_execnz .LBB77_235
.LBB77_222:
	s_or_b32 exec_lo, exec_lo, s9
	s_and_b32 s12, s3, s8
	s_and_saveexec_b32 s9, s12
	s_cbranch_execnz .LBB77_239
.LBB77_223:
	s_or_b32 exec_lo, exec_lo, s9
	s_and_b32 s12, s4, s8
	s_and_saveexec_b32 s9, s12
	s_cbranch_execnz .LBB77_243
.LBB77_224:
	s_or_b32 exec_lo, exec_lo, s9
	s_and_b32 s12, s5, s8
	s_and_saveexec_b32 s9, s12
	s_cbranch_execnz .LBB77_247
.LBB77_225:
	s_or_b32 exec_lo, exec_lo, s9
	s_and_b32 s12, s6, s8
	s_and_saveexec_b32 s9, s12
	s_cbranch_execnz .LBB77_251
.LBB77_226:
	s_or_b32 exec_lo, exec_lo, s9
	s_and_b32 s9, s7, s8
	s_and_saveexec_b32 s8, s9
	s_cbranch_execnz .LBB77_255
	s_branch .LBB77_259
.LBB77_227:
	v_cmp_ne_u32_e32 vcc_lo, 1, v123
	v_lshlrev_b64 v[50:51], 2, v[0:1]
	s_cbranch_vccnz .LBB77_229
; %bb.228:
	v_add_co_u32 v56, vcc_lo, v54, v50
	v_add_co_ci_u32_e64 v57, null, v55, v51, vcc_lo
	global_load_dword v56, v[56:57], off
	s_waitcnt vmcnt(0)
	v_mul_f32_e32 v56, s22, v56
	s_branch .LBB77_230
.LBB77_229:
	v_mov_b32_e32 v56, 0
.LBB77_230:
	v_add_f32_e32 v57, v35, v47
	v_add_f32_e32 v58, v34, v46
	;; [unrolled: 1-line block ×4, first 2 shown]
	v_add_co_u32 v50, vcc_lo, v52, v50
	v_min3_f32 v57, v58, v57, v113
	v_add_co_ci_u32_e64 v51, null, v53, v51, vcc_lo
	v_min_f32_e32 v58, v60, v59
	v_min3_f32 v56, v56, v58, v57
	global_store_dword v[50:51], v56, off
	s_or_b32 exec_lo, exec_lo, s9
	s_and_b32 s12, s1, s8
	s_and_saveexec_b32 s9, s12
	s_cbranch_execz .LBB77_221
.LBB77_231:
	v_cmp_ne_u32_e32 vcc_lo, 1, v123
	v_lshlrev_b64 v[50:51], 2, v[66:67]
	s_cbranch_vccnz .LBB77_233
; %bb.232:
	v_add_co_u32 v56, vcc_lo, v54, v50
	v_add_co_ci_u32_e64 v57, null, v55, v51, vcc_lo
	global_load_dword v56, v[56:57], off
	s_waitcnt vmcnt(0)
	v_mul_f32_e32 v56, s22, v56
	s_branch .LBB77_234
.LBB77_233:
	v_mov_b32_e32 v56, 0
.LBB77_234:
	v_add_f32_e32 v57, v31, v47
	v_add_f32_e32 v58, v30, v46
	;; [unrolled: 1-line block ×4, first 2 shown]
	v_add_co_u32 v50, vcc_lo, v52, v50
	v_min3_f32 v57, v58, v57, v112
	v_add_co_ci_u32_e64 v51, null, v53, v51, vcc_lo
	v_min_f32_e32 v58, v60, v59
	v_min3_f32 v56, v56, v58, v57
	global_store_dword v[50:51], v56, off
	s_or_b32 exec_lo, exec_lo, s9
	s_and_b32 s12, s2, s8
	s_and_saveexec_b32 s9, s12
	s_cbranch_execz .LBB77_222
.LBB77_235:
	v_cmp_ne_u32_e32 vcc_lo, 1, v123
	v_lshlrev_b64 v[50:51], 2, v[68:69]
	s_cbranch_vccnz .LBB77_237
; %bb.236:
	v_add_co_u32 v56, vcc_lo, v54, v50
	v_add_co_ci_u32_e64 v57, null, v55, v51, vcc_lo
	global_load_dword v56, v[56:57], off
	s_waitcnt vmcnt(0)
	v_mul_f32_e32 v56, s22, v56
	s_branch .LBB77_238
.LBB77_237:
	v_mov_b32_e32 v56, 0
.LBB77_238:
	v_add_f32_e32 v57, v27, v47
	v_add_f32_e32 v58, v26, v46
	;; [unrolled: 1-line block ×4, first 2 shown]
	v_add_co_u32 v50, vcc_lo, v52, v50
	v_min3_f32 v57, v58, v57, v111
	v_add_co_ci_u32_e64 v51, null, v53, v51, vcc_lo
	v_min_f32_e32 v58, v60, v59
	v_min3_f32 v56, v56, v58, v57
	global_store_dword v[50:51], v56, off
	s_or_b32 exec_lo, exec_lo, s9
	s_and_b32 s12, s3, s8
	s_and_saveexec_b32 s9, s12
	s_cbranch_execz .LBB77_223
.LBB77_239:
	v_cmp_ne_u32_e32 vcc_lo, 1, v123
	v_lshlrev_b64 v[50:51], 2, v[70:71]
	s_cbranch_vccnz .LBB77_241
; %bb.240:
	v_add_co_u32 v56, vcc_lo, v54, v50
	v_add_co_ci_u32_e64 v57, null, v55, v51, vcc_lo
	global_load_dword v56, v[56:57], off
	s_waitcnt vmcnt(0)
	v_mul_f32_e32 v56, s22, v56
	s_branch .LBB77_242
.LBB77_241:
	v_mov_b32_e32 v56, 0
.LBB77_242:
	v_add_f32_e32 v57, v23, v47
	v_add_f32_e32 v58, v22, v46
	;; [unrolled: 1-line block ×4, first 2 shown]
	v_add_co_u32 v50, vcc_lo, v52, v50
	v_min3_f32 v57, v58, v57, v110
	v_add_co_ci_u32_e64 v51, null, v53, v51, vcc_lo
	v_min_f32_e32 v58, v60, v59
	v_min3_f32 v56, v56, v58, v57
	global_store_dword v[50:51], v56, off
	s_or_b32 exec_lo, exec_lo, s9
	s_and_b32 s12, s4, s8
	s_and_saveexec_b32 s9, s12
	s_cbranch_execz .LBB77_224
.LBB77_243:
	v_cmp_ne_u32_e32 vcc_lo, 1, v123
	v_lshlrev_b64 v[50:51], 2, v[72:73]
	s_cbranch_vccnz .LBB77_245
; %bb.244:
	v_add_co_u32 v56, vcc_lo, v54, v50
	v_add_co_ci_u32_e64 v57, null, v55, v51, vcc_lo
	global_load_dword v56, v[56:57], off
	s_waitcnt vmcnt(0)
	v_mul_f32_e32 v56, s22, v56
	s_branch .LBB77_246
.LBB77_245:
	v_mov_b32_e32 v56, 0
.LBB77_246:
	v_add_f32_e32 v57, v19, v47
	v_add_f32_e32 v58, v18, v46
	;; [unrolled: 1-line block ×4, first 2 shown]
	v_add_co_u32 v50, vcc_lo, v52, v50
	v_min3_f32 v57, v58, v57, v109
	v_add_co_ci_u32_e64 v51, null, v53, v51, vcc_lo
	v_min_f32_e32 v58, v60, v59
	v_min3_f32 v56, v56, v58, v57
	global_store_dword v[50:51], v56, off
	s_or_b32 exec_lo, exec_lo, s9
	s_and_b32 s12, s5, s8
	s_and_saveexec_b32 s9, s12
	s_cbranch_execz .LBB77_225
.LBB77_247:
	v_cmp_ne_u32_e32 vcc_lo, 1, v123
	v_lshlrev_b64 v[50:51], 2, v[74:75]
	s_cbranch_vccnz .LBB77_249
; %bb.248:
	v_add_co_u32 v56, vcc_lo, v54, v50
	v_add_co_ci_u32_e64 v57, null, v55, v51, vcc_lo
	global_load_dword v56, v[56:57], off
	s_waitcnt vmcnt(0)
	v_mul_f32_e32 v56, s22, v56
	s_branch .LBB77_250
.LBB77_249:
	v_mov_b32_e32 v56, 0
.LBB77_250:
	v_add_f32_e32 v57, v15, v47
	v_add_f32_e32 v58, v14, v46
	;; [unrolled: 1-line block ×4, first 2 shown]
	v_add_co_u32 v50, vcc_lo, v52, v50
	v_min3_f32 v57, v58, v57, v108
	v_add_co_ci_u32_e64 v51, null, v53, v51, vcc_lo
	v_min_f32_e32 v58, v60, v59
	v_min3_f32 v56, v56, v58, v57
	global_store_dword v[50:51], v56, off
	s_or_b32 exec_lo, exec_lo, s9
	s_and_b32 s12, s6, s8
	s_and_saveexec_b32 s9, s12
	s_cbranch_execz .LBB77_226
.LBB77_251:
	v_cmp_ne_u32_e32 vcc_lo, 1, v123
	v_lshlrev_b64 v[50:51], 2, v[76:77]
	s_cbranch_vccnz .LBB77_253
; %bb.252:
	v_add_co_u32 v56, vcc_lo, v54, v50
	v_add_co_ci_u32_e64 v57, null, v55, v51, vcc_lo
	global_load_dword v56, v[56:57], off
	s_waitcnt vmcnt(0)
	v_mul_f32_e32 v56, s22, v56
	s_branch .LBB77_254
.LBB77_253:
	v_mov_b32_e32 v56, 0
.LBB77_254:
	v_add_f32_e32 v57, v11, v47
	v_add_f32_e32 v58, v10, v46
	;; [unrolled: 1-line block ×4, first 2 shown]
	v_add_co_u32 v50, vcc_lo, v52, v50
	v_min3_f32 v57, v58, v57, v107
	v_add_co_ci_u32_e64 v51, null, v53, v51, vcc_lo
	v_min_f32_e32 v58, v60, v59
	v_min3_f32 v56, v56, v58, v57
	global_store_dword v[50:51], v56, off
	s_or_b32 exec_lo, exec_lo, s9
	s_and_b32 s9, s7, s8
	s_and_saveexec_b32 s8, s9
	s_cbranch_execz .LBB77_259
.LBB77_255:
	v_cmp_ne_u32_e32 vcc_lo, 1, v123
	v_lshlrev_b64 v[50:51], 2, v[78:79]
	s_cbranch_vccnz .LBB77_257
; %bb.256:
	v_add_co_u32 v54, vcc_lo, v54, v50
	v_add_co_ci_u32_e64 v55, null, v55, v51, vcc_lo
	global_load_dword v54, v[54:55], off
	s_waitcnt vmcnt(0)
	v_mul_f32_e32 v54, s22, v54
	s_branch .LBB77_258
.LBB77_257:
	v_mov_b32_e32 v54, 0
.LBB77_258:
	v_add_f32_e32 v47, v3, v47
	v_add_f32_e32 v46, v2, v46
	;; [unrolled: 1-line block ×4, first 2 shown]
	v_min3_f32 v46, v46, v47, v106
	v_min_f32_e32 v47, v48, v49
	v_min3_f32 v48, v54, v47, v46
	v_add_co_u32 v46, vcc_lo, v52, v50
	v_add_co_ci_u32_e64 v47, null, v53, v51, vcc_lo
	global_store_dword v[46:47], v48, off
.LBB77_259:
	s_or_b32 exec_lo, exec_lo, s8
	v_add_nc_u32_e32 v50, 0xa0, v132
	v_mad_i64_i32 v[46:47], null, v50, s15, 0
	v_mad_i64_i32 v[48:49], null, v50, s14, 0
	v_cmp_gt_i32_e64 s8, s13, v50
	v_lshlrev_b64 v[46:47], 2, v[46:47]
	s_and_b32 s12, s0, s8
	v_lshlrev_b64 v[48:49], 2, v[48:49]
	v_add_co_u32 v50, vcc_lo, s16, v46
	v_add_co_ci_u32_e64 v51, null, s17, v47, vcc_lo
	v_add_co_u32 v48, vcc_lo, s10, v48
	v_add_co_ci_u32_e64 v49, null, s11, v49, vcc_lo
	s_and_saveexec_b32 s9, s12
	s_cbranch_execnz .LBB77_267
; %bb.260:
	s_or_b32 exec_lo, exec_lo, s9
	s_and_b32 s12, s1, s8
	s_and_saveexec_b32 s9, s12
	s_cbranch_execnz .LBB77_271
.LBB77_261:
	s_or_b32 exec_lo, exec_lo, s9
	s_and_b32 s12, s2, s8
	s_and_saveexec_b32 s9, s12
	s_cbranch_execnz .LBB77_275
.LBB77_262:
	s_or_b32 exec_lo, exec_lo, s9
	s_and_b32 s12, s3, s8
	s_and_saveexec_b32 s9, s12
	s_cbranch_execnz .LBB77_279
.LBB77_263:
	s_or_b32 exec_lo, exec_lo, s9
	s_and_b32 s12, s4, s8
	s_and_saveexec_b32 s9, s12
	s_cbranch_execnz .LBB77_283
.LBB77_264:
	s_or_b32 exec_lo, exec_lo, s9
	s_and_b32 s12, s5, s8
	s_and_saveexec_b32 s9, s12
	s_cbranch_execnz .LBB77_287
.LBB77_265:
	s_or_b32 exec_lo, exec_lo, s9
	s_and_b32 s12, s6, s8
	s_and_saveexec_b32 s9, s12
	s_cbranch_execnz .LBB77_291
.LBB77_266:
	s_or_b32 exec_lo, exec_lo, s9
	s_and_b32 s9, s7, s8
	s_and_saveexec_b32 s8, s9
	s_cbranch_execnz .LBB77_295
	s_branch .LBB77_299
.LBB77_267:
	v_cmp_ne_u32_e32 vcc_lo, 1, v123
	v_lshlrev_b64 v[46:47], 2, v[0:1]
	s_cbranch_vccnz .LBB77_269
; %bb.268:
	v_add_co_u32 v52, vcc_lo, v50, v46
	v_add_co_ci_u32_e64 v53, null, v51, v47, vcc_lo
	global_load_dword v52, v[52:53], off
	s_waitcnt vmcnt(0)
	v_mul_f32_e32 v52, s22, v52
	s_branch .LBB77_270
.LBB77_269:
	v_mov_b32_e32 v52, 0
.LBB77_270:
	v_add_f32_e32 v53, v35, v43
	v_add_f32_e32 v54, v34, v42
	;; [unrolled: 1-line block ×4, first 2 shown]
	v_add_co_u32 v46, vcc_lo, v48, v46
	v_min3_f32 v53, v54, v53, v105
	v_add_co_ci_u32_e64 v47, null, v49, v47, vcc_lo
	v_min_f32_e32 v54, v56, v55
	v_min3_f32 v52, v52, v54, v53
	global_store_dword v[46:47], v52, off
	s_or_b32 exec_lo, exec_lo, s9
	s_and_b32 s12, s1, s8
	s_and_saveexec_b32 s9, s12
	s_cbranch_execz .LBB77_261
.LBB77_271:
	v_cmp_ne_u32_e32 vcc_lo, 1, v123
	v_lshlrev_b64 v[46:47], 2, v[66:67]
	s_cbranch_vccnz .LBB77_273
; %bb.272:
	v_add_co_u32 v52, vcc_lo, v50, v46
	v_add_co_ci_u32_e64 v53, null, v51, v47, vcc_lo
	global_load_dword v52, v[52:53], off
	s_waitcnt vmcnt(0)
	v_mul_f32_e32 v52, s22, v52
	s_branch .LBB77_274
.LBB77_273:
	v_mov_b32_e32 v52, 0
.LBB77_274:
	v_add_f32_e32 v53, v31, v43
	v_add_f32_e32 v54, v30, v42
	;; [unrolled: 1-line block ×4, first 2 shown]
	v_add_co_u32 v46, vcc_lo, v48, v46
	v_min3_f32 v53, v54, v53, v104
	v_add_co_ci_u32_e64 v47, null, v49, v47, vcc_lo
	v_min_f32_e32 v54, v56, v55
	v_min3_f32 v52, v52, v54, v53
	global_store_dword v[46:47], v52, off
	s_or_b32 exec_lo, exec_lo, s9
	s_and_b32 s12, s2, s8
	s_and_saveexec_b32 s9, s12
	s_cbranch_execz .LBB77_262
.LBB77_275:
	v_cmp_ne_u32_e32 vcc_lo, 1, v123
	v_lshlrev_b64 v[46:47], 2, v[68:69]
	s_cbranch_vccnz .LBB77_277
; %bb.276:
	v_add_co_u32 v52, vcc_lo, v50, v46
	v_add_co_ci_u32_e64 v53, null, v51, v47, vcc_lo
	global_load_dword v52, v[52:53], off
	s_waitcnt vmcnt(0)
	v_mul_f32_e32 v52, s22, v52
	s_branch .LBB77_278
.LBB77_277:
	v_mov_b32_e32 v52, 0
.LBB77_278:
	v_add_f32_e32 v53, v27, v43
	v_add_f32_e32 v54, v26, v42
	;; [unrolled: 1-line block ×4, first 2 shown]
	v_add_co_u32 v46, vcc_lo, v48, v46
	v_min3_f32 v53, v54, v53, v103
	v_add_co_ci_u32_e64 v47, null, v49, v47, vcc_lo
	v_min_f32_e32 v54, v56, v55
	v_min3_f32 v52, v52, v54, v53
	global_store_dword v[46:47], v52, off
	s_or_b32 exec_lo, exec_lo, s9
	s_and_b32 s12, s3, s8
	s_and_saveexec_b32 s9, s12
	s_cbranch_execz .LBB77_263
.LBB77_279:
	v_cmp_ne_u32_e32 vcc_lo, 1, v123
	v_lshlrev_b64 v[46:47], 2, v[70:71]
	s_cbranch_vccnz .LBB77_281
; %bb.280:
	v_add_co_u32 v52, vcc_lo, v50, v46
	v_add_co_ci_u32_e64 v53, null, v51, v47, vcc_lo
	global_load_dword v52, v[52:53], off
	s_waitcnt vmcnt(0)
	v_mul_f32_e32 v52, s22, v52
	s_branch .LBB77_282
.LBB77_281:
	v_mov_b32_e32 v52, 0
.LBB77_282:
	v_add_f32_e32 v53, v23, v43
	v_add_f32_e32 v54, v22, v42
	;; [unrolled: 1-line block ×4, first 2 shown]
	v_add_co_u32 v46, vcc_lo, v48, v46
	v_min3_f32 v53, v54, v53, v102
	v_add_co_ci_u32_e64 v47, null, v49, v47, vcc_lo
	v_min_f32_e32 v54, v56, v55
	v_min3_f32 v52, v52, v54, v53
	global_store_dword v[46:47], v52, off
	s_or_b32 exec_lo, exec_lo, s9
	s_and_b32 s12, s4, s8
	s_and_saveexec_b32 s9, s12
	s_cbranch_execz .LBB77_264
.LBB77_283:
	v_cmp_ne_u32_e32 vcc_lo, 1, v123
	v_lshlrev_b64 v[46:47], 2, v[72:73]
	s_cbranch_vccnz .LBB77_285
; %bb.284:
	v_add_co_u32 v52, vcc_lo, v50, v46
	v_add_co_ci_u32_e64 v53, null, v51, v47, vcc_lo
	global_load_dword v52, v[52:53], off
	s_waitcnt vmcnt(0)
	v_mul_f32_e32 v52, s22, v52
	s_branch .LBB77_286
.LBB77_285:
	v_mov_b32_e32 v52, 0
.LBB77_286:
	v_add_f32_e32 v53, v19, v43
	v_add_f32_e32 v54, v18, v42
	v_add_f32_e32 v55, v21, v45
	v_add_f32_e32 v56, v20, v44
	v_add_co_u32 v46, vcc_lo, v48, v46
	v_min3_f32 v53, v54, v53, v101
	v_add_co_ci_u32_e64 v47, null, v49, v47, vcc_lo
	v_min_f32_e32 v54, v56, v55
	v_min3_f32 v52, v52, v54, v53
	global_store_dword v[46:47], v52, off
	s_or_b32 exec_lo, exec_lo, s9
	s_and_b32 s12, s5, s8
	s_and_saveexec_b32 s9, s12
	s_cbranch_execz .LBB77_265
.LBB77_287:
	v_cmp_ne_u32_e32 vcc_lo, 1, v123
	v_lshlrev_b64 v[46:47], 2, v[74:75]
	s_cbranch_vccnz .LBB77_289
; %bb.288:
	v_add_co_u32 v52, vcc_lo, v50, v46
	v_add_co_ci_u32_e64 v53, null, v51, v47, vcc_lo
	global_load_dword v52, v[52:53], off
	s_waitcnt vmcnt(0)
	v_mul_f32_e32 v52, s22, v52
	s_branch .LBB77_290
.LBB77_289:
	v_mov_b32_e32 v52, 0
.LBB77_290:
	v_add_f32_e32 v53, v15, v43
	v_add_f32_e32 v54, v14, v42
	;; [unrolled: 1-line block ×4, first 2 shown]
	v_add_co_u32 v46, vcc_lo, v48, v46
	v_min3_f32 v53, v54, v53, v100
	v_add_co_ci_u32_e64 v47, null, v49, v47, vcc_lo
	v_min_f32_e32 v54, v56, v55
	v_min3_f32 v52, v52, v54, v53
	global_store_dword v[46:47], v52, off
	s_or_b32 exec_lo, exec_lo, s9
	s_and_b32 s12, s6, s8
	s_and_saveexec_b32 s9, s12
	s_cbranch_execz .LBB77_266
.LBB77_291:
	v_cmp_ne_u32_e32 vcc_lo, 1, v123
	v_lshlrev_b64 v[46:47], 2, v[76:77]
	s_cbranch_vccnz .LBB77_293
; %bb.292:
	v_add_co_u32 v52, vcc_lo, v50, v46
	v_add_co_ci_u32_e64 v53, null, v51, v47, vcc_lo
	global_load_dword v52, v[52:53], off
	s_waitcnt vmcnt(0)
	v_mul_f32_e32 v52, s22, v52
	s_branch .LBB77_294
.LBB77_293:
	v_mov_b32_e32 v52, 0
.LBB77_294:
	v_add_f32_e32 v53, v11, v43
	v_add_f32_e32 v54, v10, v42
	;; [unrolled: 1-line block ×4, first 2 shown]
	v_add_co_u32 v46, vcc_lo, v48, v46
	v_min3_f32 v53, v54, v53, v99
	v_add_co_ci_u32_e64 v47, null, v49, v47, vcc_lo
	v_min_f32_e32 v54, v56, v55
	v_min3_f32 v52, v52, v54, v53
	global_store_dword v[46:47], v52, off
	s_or_b32 exec_lo, exec_lo, s9
	s_and_b32 s9, s7, s8
	s_and_saveexec_b32 s8, s9
	s_cbranch_execz .LBB77_299
.LBB77_295:
	v_cmp_ne_u32_e32 vcc_lo, 1, v123
	v_lshlrev_b64 v[46:47], 2, v[78:79]
	s_cbranch_vccnz .LBB77_297
; %bb.296:
	v_add_co_u32 v50, vcc_lo, v50, v46
	v_add_co_ci_u32_e64 v51, null, v51, v47, vcc_lo
	global_load_dword v50, v[50:51], off
	s_waitcnt vmcnt(0)
	v_mul_f32_e32 v50, s22, v50
	s_branch .LBB77_298
.LBB77_297:
	v_mov_b32_e32 v50, 0
.LBB77_298:
	v_add_f32_e32 v43, v3, v43
	v_add_f32_e32 v42, v2, v42
	;; [unrolled: 1-line block ×4, first 2 shown]
	v_min3_f32 v42, v42, v43, v98
	v_min_f32_e32 v43, v44, v45
	v_min3_f32 v44, v50, v43, v42
	v_add_co_u32 v42, vcc_lo, v48, v46
	v_add_co_ci_u32_e64 v43, null, v49, v47, vcc_lo
	global_store_dword v[42:43], v44, off
.LBB77_299:
	s_or_b32 exec_lo, exec_lo, s8
	v_add_nc_u32_e32 v46, 0xc0, v132
	v_mad_i64_i32 v[42:43], null, v46, s15, 0
	v_mad_i64_i32 v[44:45], null, v46, s14, 0
	v_cmp_gt_i32_e64 s8, s13, v46
	v_lshlrev_b64 v[42:43], 2, v[42:43]
	s_and_b32 s12, s0, s8
	v_lshlrev_b64 v[44:45], 2, v[44:45]
	v_add_co_u32 v46, vcc_lo, s16, v42
	v_add_co_ci_u32_e64 v47, null, s17, v43, vcc_lo
	v_add_co_u32 v44, vcc_lo, s10, v44
	v_add_co_ci_u32_e64 v45, null, s11, v45, vcc_lo
	s_and_saveexec_b32 s9, s12
	s_cbranch_execnz .LBB77_307
; %bb.300:
	s_or_b32 exec_lo, exec_lo, s9
	s_and_b32 s12, s1, s8
	s_and_saveexec_b32 s9, s12
	s_cbranch_execnz .LBB77_311
.LBB77_301:
	s_or_b32 exec_lo, exec_lo, s9
	s_and_b32 s12, s2, s8
	s_and_saveexec_b32 s9, s12
	s_cbranch_execnz .LBB77_315
.LBB77_302:
	s_or_b32 exec_lo, exec_lo, s9
	s_and_b32 s12, s3, s8
	s_and_saveexec_b32 s9, s12
	s_cbranch_execnz .LBB77_319
.LBB77_303:
	s_or_b32 exec_lo, exec_lo, s9
	s_and_b32 s12, s4, s8
	s_and_saveexec_b32 s9, s12
	s_cbranch_execnz .LBB77_323
.LBB77_304:
	s_or_b32 exec_lo, exec_lo, s9
	s_and_b32 s12, s5, s8
	s_and_saveexec_b32 s9, s12
	s_cbranch_execnz .LBB77_327
.LBB77_305:
	s_or_b32 exec_lo, exec_lo, s9
	s_and_b32 s12, s6, s8
	s_and_saveexec_b32 s9, s12
	s_cbranch_execnz .LBB77_331
.LBB77_306:
	s_or_b32 exec_lo, exec_lo, s9
	s_and_b32 s9, s7, s8
	s_and_saveexec_b32 s8, s9
	s_cbranch_execnz .LBB77_335
	s_branch .LBB77_339
.LBB77_307:
	v_cmp_ne_u32_e32 vcc_lo, 1, v123
	v_lshlrev_b64 v[42:43], 2, v[0:1]
	s_cbranch_vccnz .LBB77_309
; %bb.308:
	v_add_co_u32 v48, vcc_lo, v46, v42
	v_add_co_ci_u32_e64 v49, null, v47, v43, vcc_lo
	global_load_dword v48, v[48:49], off
	s_waitcnt vmcnt(0)
	v_mul_f32_e32 v48, s22, v48
	s_branch .LBB77_310
.LBB77_309:
	v_mov_b32_e32 v48, 0
.LBB77_310:
	v_add_f32_e32 v49, v35, v39
	v_add_f32_e32 v50, v34, v38
	;; [unrolled: 1-line block ×4, first 2 shown]
	v_add_co_u32 v42, vcc_lo, v44, v42
	v_min3_f32 v49, v50, v49, v97
	v_add_co_ci_u32_e64 v43, null, v45, v43, vcc_lo
	v_min_f32_e32 v50, v52, v51
	v_min3_f32 v48, v48, v50, v49
	global_store_dword v[42:43], v48, off
	s_or_b32 exec_lo, exec_lo, s9
	s_and_b32 s12, s1, s8
	s_and_saveexec_b32 s9, s12
	s_cbranch_execz .LBB77_301
.LBB77_311:
	v_cmp_ne_u32_e32 vcc_lo, 1, v123
	v_lshlrev_b64 v[42:43], 2, v[66:67]
	s_cbranch_vccnz .LBB77_313
; %bb.312:
	v_add_co_u32 v48, vcc_lo, v46, v42
	v_add_co_ci_u32_e64 v49, null, v47, v43, vcc_lo
	global_load_dword v48, v[48:49], off
	s_waitcnt vmcnt(0)
	v_mul_f32_e32 v48, s22, v48
	s_branch .LBB77_314
.LBB77_313:
	v_mov_b32_e32 v48, 0
.LBB77_314:
	v_add_f32_e32 v49, v31, v39
	v_add_f32_e32 v50, v30, v38
	v_add_f32_e32 v51, v33, v41
	v_add_f32_e32 v52, v32, v40
	v_add_co_u32 v42, vcc_lo, v44, v42
	v_min3_f32 v49, v50, v49, v96
	v_add_co_ci_u32_e64 v43, null, v45, v43, vcc_lo
	v_min_f32_e32 v50, v52, v51
	v_min3_f32 v48, v48, v50, v49
	global_store_dword v[42:43], v48, off
	s_or_b32 exec_lo, exec_lo, s9
	s_and_b32 s12, s2, s8
	s_and_saveexec_b32 s9, s12
	s_cbranch_execz .LBB77_302
.LBB77_315:
	v_cmp_ne_u32_e32 vcc_lo, 1, v123
	v_lshlrev_b64 v[42:43], 2, v[68:69]
	s_cbranch_vccnz .LBB77_317
; %bb.316:
	v_add_co_u32 v48, vcc_lo, v46, v42
	v_add_co_ci_u32_e64 v49, null, v47, v43, vcc_lo
	global_load_dword v48, v[48:49], off
	s_waitcnt vmcnt(0)
	v_mul_f32_e32 v48, s22, v48
	s_branch .LBB77_318
.LBB77_317:
	v_mov_b32_e32 v48, 0
.LBB77_318:
	v_add_f32_e32 v49, v27, v39
	v_add_f32_e32 v50, v26, v38
	;; [unrolled: 1-line block ×4, first 2 shown]
	v_add_co_u32 v42, vcc_lo, v44, v42
	v_min3_f32 v49, v50, v49, v95
	v_add_co_ci_u32_e64 v43, null, v45, v43, vcc_lo
	v_min_f32_e32 v50, v52, v51
	v_min3_f32 v48, v48, v50, v49
	global_store_dword v[42:43], v48, off
	s_or_b32 exec_lo, exec_lo, s9
	s_and_b32 s12, s3, s8
	s_and_saveexec_b32 s9, s12
	s_cbranch_execz .LBB77_303
.LBB77_319:
	v_cmp_ne_u32_e32 vcc_lo, 1, v123
	v_lshlrev_b64 v[42:43], 2, v[70:71]
	s_cbranch_vccnz .LBB77_321
; %bb.320:
	v_add_co_u32 v48, vcc_lo, v46, v42
	v_add_co_ci_u32_e64 v49, null, v47, v43, vcc_lo
	global_load_dword v48, v[48:49], off
	s_waitcnt vmcnt(0)
	v_mul_f32_e32 v48, s22, v48
	s_branch .LBB77_322
.LBB77_321:
	v_mov_b32_e32 v48, 0
.LBB77_322:
	v_add_f32_e32 v49, v23, v39
	v_add_f32_e32 v50, v22, v38
	;; [unrolled: 1-line block ×4, first 2 shown]
	v_add_co_u32 v42, vcc_lo, v44, v42
	v_min3_f32 v49, v50, v49, v94
	v_add_co_ci_u32_e64 v43, null, v45, v43, vcc_lo
	v_min_f32_e32 v50, v52, v51
	v_min3_f32 v48, v48, v50, v49
	global_store_dword v[42:43], v48, off
	s_or_b32 exec_lo, exec_lo, s9
	s_and_b32 s12, s4, s8
	s_and_saveexec_b32 s9, s12
	s_cbranch_execz .LBB77_304
.LBB77_323:
	v_cmp_ne_u32_e32 vcc_lo, 1, v123
	v_lshlrev_b64 v[42:43], 2, v[72:73]
	s_cbranch_vccnz .LBB77_325
; %bb.324:
	v_add_co_u32 v48, vcc_lo, v46, v42
	v_add_co_ci_u32_e64 v49, null, v47, v43, vcc_lo
	global_load_dword v48, v[48:49], off
	s_waitcnt vmcnt(0)
	v_mul_f32_e32 v48, s22, v48
	s_branch .LBB77_326
.LBB77_325:
	v_mov_b32_e32 v48, 0
.LBB77_326:
	v_add_f32_e32 v49, v19, v39
	v_add_f32_e32 v50, v18, v38
	;; [unrolled: 1-line block ×4, first 2 shown]
	v_add_co_u32 v42, vcc_lo, v44, v42
	v_min3_f32 v49, v50, v49, v93
	v_add_co_ci_u32_e64 v43, null, v45, v43, vcc_lo
	v_min_f32_e32 v50, v52, v51
	v_min3_f32 v48, v48, v50, v49
	global_store_dword v[42:43], v48, off
	s_or_b32 exec_lo, exec_lo, s9
	s_and_b32 s12, s5, s8
	s_and_saveexec_b32 s9, s12
	s_cbranch_execz .LBB77_305
.LBB77_327:
	v_cmp_ne_u32_e32 vcc_lo, 1, v123
	v_lshlrev_b64 v[42:43], 2, v[74:75]
	s_cbranch_vccnz .LBB77_329
; %bb.328:
	v_add_co_u32 v48, vcc_lo, v46, v42
	v_add_co_ci_u32_e64 v49, null, v47, v43, vcc_lo
	global_load_dword v48, v[48:49], off
	s_waitcnt vmcnt(0)
	v_mul_f32_e32 v48, s22, v48
	s_branch .LBB77_330
.LBB77_329:
	v_mov_b32_e32 v48, 0
.LBB77_330:
	v_add_f32_e32 v49, v15, v39
	v_add_f32_e32 v50, v14, v38
	;; [unrolled: 1-line block ×4, first 2 shown]
	v_add_co_u32 v42, vcc_lo, v44, v42
	v_min3_f32 v49, v50, v49, v91
	v_add_co_ci_u32_e64 v43, null, v45, v43, vcc_lo
	v_min_f32_e32 v50, v52, v51
	v_min3_f32 v48, v48, v50, v49
	global_store_dword v[42:43], v48, off
	s_or_b32 exec_lo, exec_lo, s9
	s_and_b32 s12, s6, s8
	s_and_saveexec_b32 s9, s12
	s_cbranch_execz .LBB77_306
.LBB77_331:
	v_cmp_ne_u32_e32 vcc_lo, 1, v123
	v_lshlrev_b64 v[42:43], 2, v[76:77]
	s_cbranch_vccnz .LBB77_333
; %bb.332:
	v_add_co_u32 v48, vcc_lo, v46, v42
	v_add_co_ci_u32_e64 v49, null, v47, v43, vcc_lo
	global_load_dword v48, v[48:49], off
	s_waitcnt vmcnt(0)
	v_mul_f32_e32 v48, s22, v48
	s_branch .LBB77_334
.LBB77_333:
	v_mov_b32_e32 v48, 0
.LBB77_334:
	v_add_f32_e32 v49, v11, v39
	v_add_f32_e32 v50, v10, v38
	;; [unrolled: 1-line block ×4, first 2 shown]
	v_add_co_u32 v42, vcc_lo, v44, v42
	v_min3_f32 v49, v50, v49, v90
	v_add_co_ci_u32_e64 v43, null, v45, v43, vcc_lo
	v_min_f32_e32 v50, v52, v51
	v_min3_f32 v48, v48, v50, v49
	global_store_dword v[42:43], v48, off
	s_or_b32 exec_lo, exec_lo, s9
	s_and_b32 s9, s7, s8
	s_and_saveexec_b32 s8, s9
	s_cbranch_execz .LBB77_339
.LBB77_335:
	v_cmp_ne_u32_e32 vcc_lo, 1, v123
	v_lshlrev_b64 v[42:43], 2, v[78:79]
	s_cbranch_vccnz .LBB77_337
; %bb.336:
	v_add_co_u32 v46, vcc_lo, v46, v42
	v_add_co_ci_u32_e64 v47, null, v47, v43, vcc_lo
	global_load_dword v46, v[46:47], off
	s_waitcnt vmcnt(0)
	v_mul_f32_e32 v46, s22, v46
	s_branch .LBB77_338
.LBB77_337:
	v_mov_b32_e32 v46, 0
.LBB77_338:
	v_add_f32_e32 v39, v3, v39
	v_add_f32_e32 v38, v2, v38
	;; [unrolled: 1-line block ×4, first 2 shown]
	v_min3_f32 v38, v38, v39, v89
	v_min_f32_e32 v39, v40, v41
	v_min3_f32 v40, v46, v39, v38
	v_add_co_u32 v38, vcc_lo, v44, v42
	v_add_co_ci_u32_e64 v39, null, v45, v43, vcc_lo
	global_store_dword v[38:39], v40, off
.LBB77_339:
	s_or_b32 exec_lo, exec_lo, s8
	v_add_nc_u32_e32 v42, 0xe0, v132
	v_mad_i64_i32 v[38:39], null, v42, s15, 0
	v_mad_i64_i32 v[40:41], null, v42, s14, 0
	v_cmp_gt_i32_e64 s8, s13, v42
	v_lshlrev_b64 v[38:39], 2, v[38:39]
	s_and_b32 s9, s0, s8
	v_lshlrev_b64 v[42:43], 2, v[40:41]
	v_add_co_u32 v40, vcc_lo, s16, v38
	v_add_co_ci_u32_e64 v41, null, s17, v39, vcc_lo
	v_add_co_u32 v38, vcc_lo, s10, v42
	v_add_co_ci_u32_e64 v39, null, s11, v43, vcc_lo
	s_and_saveexec_b32 s0, s9
	s_cbranch_execnz .LBB77_348
; %bb.340:
	s_or_b32 exec_lo, exec_lo, s0
	s_and_b32 s1, s1, s8
	s_and_saveexec_b32 s0, s1
	s_cbranch_execnz .LBB77_352
.LBB77_341:
	s_or_b32 exec_lo, exec_lo, s0
	s_and_b32 s1, s2, s8
	s_and_saveexec_b32 s0, s1
	s_cbranch_execnz .LBB77_356
.LBB77_342:
	s_or_b32 exec_lo, exec_lo, s0
	s_and_b32 s1, s3, s8
	s_and_saveexec_b32 s0, s1
	s_cbranch_execnz .LBB77_360
.LBB77_343:
	s_or_b32 exec_lo, exec_lo, s0
	s_and_b32 s1, s4, s8
	s_and_saveexec_b32 s0, s1
	s_cbranch_execnz .LBB77_364
.LBB77_344:
	s_or_b32 exec_lo, exec_lo, s0
	s_and_b32 s1, s5, s8
	s_and_saveexec_b32 s0, s1
	s_cbranch_execnz .LBB77_368
.LBB77_345:
	s_or_b32 exec_lo, exec_lo, s0
	s_and_b32 s1, s6, s8
	s_and_saveexec_b32 s0, s1
	s_cbranch_execnz .LBB77_372
.LBB77_346:
	s_or_b32 exec_lo, exec_lo, s0
	s_and_b32 s0, s7, s8
	s_and_saveexec_b32 s1, s0
	s_cbranch_execnz .LBB77_376
.LBB77_347:
	s_endpgm
.LBB77_348:
	v_cmp_ne_u32_e32 vcc_lo, 1, v123
	v_lshlrev_b64 v[0:1], 2, v[0:1]
	s_cbranch_vccnz .LBB77_350
; %bb.349:
	v_add_co_u32 v42, vcc_lo, v40, v0
	v_add_co_ci_u32_e64 v43, null, v41, v1, vcc_lo
	global_load_dword v42, v[42:43], off
	s_waitcnt vmcnt(0)
	v_mul_f32_e32 v42, s22, v42
	s_branch .LBB77_351
.LBB77_350:
	v_mov_b32_e32 v42, 0
.LBB77_351:
	v_add_f32_e32 v35, v35, v7
	v_add_f32_e32 v34, v34, v6
	;; [unrolled: 1-line block ×4, first 2 shown]
	v_add_co_u32 v0, vcc_lo, v38, v0
	v_min3_f32 v34, v34, v35, v88
	v_add_co_ci_u32_e64 v1, null, v39, v1, vcc_lo
	v_min_f32_e32 v35, v36, v37
	v_min3_f32 v34, v42, v35, v34
	global_store_dword v[0:1], v34, off
	s_or_b32 exec_lo, exec_lo, s0
	s_and_b32 s1, s1, s8
	s_and_saveexec_b32 s0, s1
	s_cbranch_execz .LBB77_341
.LBB77_352:
	v_cmp_ne_u32_e32 vcc_lo, 1, v123
	v_lshlrev_b64 v[0:1], 2, v[66:67]
	s_cbranch_vccnz .LBB77_354
; %bb.353:
	v_add_co_u32 v34, vcc_lo, v40, v0
	v_add_co_ci_u32_e64 v35, null, v41, v1, vcc_lo
	global_load_dword v34, v[34:35], off
	s_waitcnt vmcnt(0)
	v_mul_f32_e32 v34, s22, v34
	s_branch .LBB77_355
.LBB77_354:
	v_mov_b32_e32 v34, 0
.LBB77_355:
	v_add_f32_e32 v31, v31, v7
	v_add_f32_e32 v30, v30, v6
	;; [unrolled: 1-line block ×4, first 2 shown]
	v_add_co_u32 v0, vcc_lo, v38, v0
	v_min3_f32 v30, v30, v31, v87
	v_add_co_ci_u32_e64 v1, null, v39, v1, vcc_lo
	v_min_f32_e32 v31, v32, v33
	v_min3_f32 v30, v34, v31, v30
	global_store_dword v[0:1], v30, off
	s_or_b32 exec_lo, exec_lo, s0
	s_and_b32 s1, s2, s8
	s_and_saveexec_b32 s0, s1
	s_cbranch_execz .LBB77_342
.LBB77_356:
	v_cmp_ne_u32_e32 vcc_lo, 1, v123
	v_lshlrev_b64 v[0:1], 2, v[68:69]
	s_cbranch_vccnz .LBB77_358
; %bb.357:
	v_add_co_u32 v30, vcc_lo, v40, v0
	v_add_co_ci_u32_e64 v31, null, v41, v1, vcc_lo
	global_load_dword v30, v[30:31], off
	s_waitcnt vmcnt(0)
	v_mul_f32_e32 v30, s22, v30
	s_branch .LBB77_359
.LBB77_358:
	v_mov_b32_e32 v30, 0
.LBB77_359:
	v_add_f32_e32 v27, v27, v7
	v_add_f32_e32 v26, v26, v6
	;; [unrolled: 1-line block ×4, first 2 shown]
	v_add_co_u32 v0, vcc_lo, v38, v0
	v_min3_f32 v26, v26, v27, v86
	v_add_co_ci_u32_e64 v1, null, v39, v1, vcc_lo
	v_min_f32_e32 v27, v28, v29
	v_min3_f32 v26, v30, v27, v26
	global_store_dword v[0:1], v26, off
	s_or_b32 exec_lo, exec_lo, s0
	s_and_b32 s1, s3, s8
	s_and_saveexec_b32 s0, s1
	s_cbranch_execz .LBB77_343
.LBB77_360:
	v_cmp_ne_u32_e32 vcc_lo, 1, v123
	v_lshlrev_b64 v[0:1], 2, v[70:71]
	s_cbranch_vccnz .LBB77_362
; %bb.361:
	v_add_co_u32 v26, vcc_lo, v40, v0
	v_add_co_ci_u32_e64 v27, null, v41, v1, vcc_lo
	global_load_dword v26, v[26:27], off
	s_waitcnt vmcnt(0)
	v_mul_f32_e32 v26, s22, v26
	s_branch .LBB77_363
.LBB77_362:
	v_mov_b32_e32 v26, 0
.LBB77_363:
	v_add_f32_e32 v23, v23, v7
	v_add_f32_e32 v22, v22, v6
	;; [unrolled: 1-line block ×4, first 2 shown]
	v_add_co_u32 v0, vcc_lo, v38, v0
	v_min3_f32 v22, v22, v23, v85
	v_add_co_ci_u32_e64 v1, null, v39, v1, vcc_lo
	v_min_f32_e32 v23, v24, v25
	v_min3_f32 v22, v26, v23, v22
	global_store_dword v[0:1], v22, off
	s_or_b32 exec_lo, exec_lo, s0
	s_and_b32 s1, s4, s8
	s_and_saveexec_b32 s0, s1
	s_cbranch_execz .LBB77_344
.LBB77_364:
	v_cmp_ne_u32_e32 vcc_lo, 1, v123
	v_lshlrev_b64 v[0:1], 2, v[72:73]
	s_cbranch_vccnz .LBB77_366
; %bb.365:
	v_add_co_u32 v22, vcc_lo, v40, v0
	v_add_co_ci_u32_e64 v23, null, v41, v1, vcc_lo
	global_load_dword v22, v[22:23], off
	s_waitcnt vmcnt(0)
	v_mul_f32_e32 v22, s22, v22
	s_branch .LBB77_367
.LBB77_366:
	v_mov_b32_e32 v22, 0
.LBB77_367:
	v_add_f32_e32 v19, v19, v7
	v_add_f32_e32 v18, v18, v6
	;; [unrolled: 1-line block ×4, first 2 shown]
	v_add_co_u32 v0, vcc_lo, v38, v0
	v_min3_f32 v18, v18, v19, v84
	v_add_co_ci_u32_e64 v1, null, v39, v1, vcc_lo
	v_min_f32_e32 v19, v20, v21
	v_min3_f32 v18, v22, v19, v18
	global_store_dword v[0:1], v18, off
	s_or_b32 exec_lo, exec_lo, s0
	s_and_b32 s1, s5, s8
	s_and_saveexec_b32 s0, s1
	s_cbranch_execz .LBB77_345
.LBB77_368:
	v_cmp_ne_u32_e32 vcc_lo, 1, v123
	v_lshlrev_b64 v[0:1], 2, v[74:75]
	s_cbranch_vccnz .LBB77_370
; %bb.369:
	v_add_co_u32 v18, vcc_lo, v40, v0
	v_add_co_ci_u32_e64 v19, null, v41, v1, vcc_lo
	global_load_dword v18, v[18:19], off
	s_waitcnt vmcnt(0)
	v_mul_f32_e32 v18, s22, v18
	s_branch .LBB77_371
.LBB77_370:
	v_mov_b32_e32 v18, 0
.LBB77_371:
	v_add_f32_e32 v15, v15, v7
	v_add_f32_e32 v14, v14, v6
	;; [unrolled: 1-line block ×4, first 2 shown]
	v_add_co_u32 v0, vcc_lo, v38, v0
	v_min3_f32 v14, v14, v15, v83
	v_add_co_ci_u32_e64 v1, null, v39, v1, vcc_lo
	v_min_f32_e32 v15, v16, v17
	v_min3_f32 v14, v18, v15, v14
	global_store_dword v[0:1], v14, off
	s_or_b32 exec_lo, exec_lo, s0
	s_and_b32 s1, s6, s8
	s_and_saveexec_b32 s0, s1
	s_cbranch_execz .LBB77_346
.LBB77_372:
	v_cmp_ne_u32_e32 vcc_lo, 1, v123
	v_lshlrev_b64 v[0:1], 2, v[76:77]
	s_cbranch_vccnz .LBB77_374
; %bb.373:
	v_add_co_u32 v14, vcc_lo, v40, v0
	v_add_co_ci_u32_e64 v15, null, v41, v1, vcc_lo
	global_load_dword v14, v[14:15], off
	s_waitcnt vmcnt(0)
	v_mul_f32_e32 v14, s22, v14
	s_branch .LBB77_375
.LBB77_374:
	v_mov_b32_e32 v14, 0
.LBB77_375:
	v_add_f32_e32 v11, v11, v7
	v_add_f32_e32 v10, v10, v6
	v_add_f32_e32 v13, v13, v9
	v_add_f32_e32 v12, v12, v8
	v_add_co_u32 v0, vcc_lo, v38, v0
	v_min3_f32 v10, v10, v11, v82
	v_add_co_ci_u32_e64 v1, null, v39, v1, vcc_lo
	v_min_f32_e32 v11, v12, v13
	v_min3_f32 v10, v14, v11, v10
	global_store_dword v[0:1], v10, off
	s_or_b32 exec_lo, exec_lo, s0
	s_and_b32 s0, s7, s8
	s_and_saveexec_b32 s1, s0
	s_cbranch_execz .LBB77_347
.LBB77_376:
	v_cmp_ne_u32_e32 vcc_lo, 1, v123
	v_lshlrev_b64 v[0:1], 2, v[78:79]
	s_cbranch_vccnz .LBB77_378
; %bb.377:
	v_add_co_u32 v10, vcc_lo, v40, v0
	v_add_co_ci_u32_e64 v11, null, v41, v1, vcc_lo
	global_load_dword v10, v[10:11], off
	s_waitcnt vmcnt(0)
	v_mul_f32_e32 v10, s22, v10
	s_branch .LBB77_379
.LBB77_378:
	v_mov_b32_e32 v10, 0
.LBB77_379:
	v_add_f32_e32 v3, v3, v7
	v_add_f32_e32 v2, v2, v6
	;; [unrolled: 1-line block ×4, first 2 shown]
	v_add_co_u32 v0, vcc_lo, v38, v0
	v_min3_f32 v2, v2, v3, v92
	v_add_co_ci_u32_e64 v1, null, v39, v1, vcc_lo
	v_min_f32_e32 v3, v4, v5
	v_min3_f32 v2, v10, v3, v2
	global_store_dword v[0:1], v2, off
	s_endpgm
	.section	.rodata,"a",@progbits
	.p2align	6, 0x0
	.amdhsa_kernel _ZN12_GLOBAL__N_120geam_min_plus_kernelIf15HIP_vector_typeIfLj2EEfLi8ELi32ELi64ELi256ELi4ELi4ELi64ELi64ELi4ELc84ELc84ELb0ELb1ELb1EfKffEEviiiT16_PT17_ilS6_ilS4_S6_ilPT18_ili26rocblas_geam_ex_operation_
		.amdhsa_group_segment_fixed_size 10240
		.amdhsa_private_segment_fixed_size 0
		.amdhsa_kernarg_size 128
		.amdhsa_user_sgpr_count 6
		.amdhsa_user_sgpr_private_segment_buffer 1
		.amdhsa_user_sgpr_dispatch_ptr 0
		.amdhsa_user_sgpr_queue_ptr 0
		.amdhsa_user_sgpr_kernarg_segment_ptr 1
		.amdhsa_user_sgpr_dispatch_id 0
		.amdhsa_user_sgpr_flat_scratch_init 0
		.amdhsa_user_sgpr_private_segment_size 0
		.amdhsa_wavefront_size32 1
		.amdhsa_uses_dynamic_stack 0
		.amdhsa_system_sgpr_private_segment_wavefront_offset 0
		.amdhsa_system_sgpr_workgroup_id_x 1
		.amdhsa_system_sgpr_workgroup_id_y 0
		.amdhsa_system_sgpr_workgroup_id_z 1
		.amdhsa_system_sgpr_workgroup_info 0
		.amdhsa_system_vgpr_workitem_id 1
		.amdhsa_next_free_vgpr 158
		.amdhsa_next_free_sgpr 30
		.amdhsa_reserve_vcc 1
		.amdhsa_reserve_flat_scratch 0
		.amdhsa_float_round_mode_32 0
		.amdhsa_float_round_mode_16_64 0
		.amdhsa_float_denorm_mode_32 3
		.amdhsa_float_denorm_mode_16_64 3
		.amdhsa_dx10_clamp 1
		.amdhsa_ieee_mode 1
		.amdhsa_fp16_overflow 0
		.amdhsa_workgroup_processor_mode 1
		.amdhsa_memory_ordered 1
		.amdhsa_forward_progress 1
		.amdhsa_shared_vgpr_count 0
		.amdhsa_exception_fp_ieee_invalid_op 0
		.amdhsa_exception_fp_denorm_src 0
		.amdhsa_exception_fp_ieee_div_zero 0
		.amdhsa_exception_fp_ieee_overflow 0
		.amdhsa_exception_fp_ieee_underflow 0
		.amdhsa_exception_fp_ieee_inexact 0
		.amdhsa_exception_int_div_zero 0
	.end_amdhsa_kernel
	.section	.text._ZN12_GLOBAL__N_120geam_min_plus_kernelIf15HIP_vector_typeIfLj2EEfLi8ELi32ELi64ELi256ELi4ELi4ELi64ELi64ELi4ELc84ELc84ELb0ELb1ELb1EfKffEEviiiT16_PT17_ilS6_ilS4_S6_ilPT18_ili26rocblas_geam_ex_operation_,"axG",@progbits,_ZN12_GLOBAL__N_120geam_min_plus_kernelIf15HIP_vector_typeIfLj2EEfLi8ELi32ELi64ELi256ELi4ELi4ELi64ELi64ELi4ELc84ELc84ELb0ELb1ELb1EfKffEEviiiT16_PT17_ilS6_ilS4_S6_ilPT18_ili26rocblas_geam_ex_operation_,comdat
.Lfunc_end77:
	.size	_ZN12_GLOBAL__N_120geam_min_plus_kernelIf15HIP_vector_typeIfLj2EEfLi8ELi32ELi64ELi256ELi4ELi4ELi64ELi64ELi4ELc84ELc84ELb0ELb1ELb1EfKffEEviiiT16_PT17_ilS6_ilS4_S6_ilPT18_ili26rocblas_geam_ex_operation_, .Lfunc_end77-_ZN12_GLOBAL__N_120geam_min_plus_kernelIf15HIP_vector_typeIfLj2EEfLi8ELi32ELi64ELi256ELi4ELi4ELi64ELi64ELi4ELc84ELc84ELb0ELb1ELb1EfKffEEviiiT16_PT17_ilS6_ilS4_S6_ilPT18_ili26rocblas_geam_ex_operation_
                                        ; -- End function
	.set _ZN12_GLOBAL__N_120geam_min_plus_kernelIf15HIP_vector_typeIfLj2EEfLi8ELi32ELi64ELi256ELi4ELi4ELi64ELi64ELi4ELc84ELc84ELb0ELb1ELb1EfKffEEviiiT16_PT17_ilS6_ilS4_S6_ilPT18_ili26rocblas_geam_ex_operation_.num_vgpr, 158
	.set _ZN12_GLOBAL__N_120geam_min_plus_kernelIf15HIP_vector_typeIfLj2EEfLi8ELi32ELi64ELi256ELi4ELi4ELi64ELi64ELi4ELc84ELc84ELb0ELb1ELb1EfKffEEviiiT16_PT17_ilS6_ilS4_S6_ilPT18_ili26rocblas_geam_ex_operation_.num_agpr, 0
	.set _ZN12_GLOBAL__N_120geam_min_plus_kernelIf15HIP_vector_typeIfLj2EEfLi8ELi32ELi64ELi256ELi4ELi4ELi64ELi64ELi4ELc84ELc84ELb0ELb1ELb1EfKffEEviiiT16_PT17_ilS6_ilS4_S6_ilPT18_ili26rocblas_geam_ex_operation_.numbered_sgpr, 30
	.set _ZN12_GLOBAL__N_120geam_min_plus_kernelIf15HIP_vector_typeIfLj2EEfLi8ELi32ELi64ELi256ELi4ELi4ELi64ELi64ELi4ELc84ELc84ELb0ELb1ELb1EfKffEEviiiT16_PT17_ilS6_ilS4_S6_ilPT18_ili26rocblas_geam_ex_operation_.num_named_barrier, 0
	.set _ZN12_GLOBAL__N_120geam_min_plus_kernelIf15HIP_vector_typeIfLj2EEfLi8ELi32ELi64ELi256ELi4ELi4ELi64ELi64ELi4ELc84ELc84ELb0ELb1ELb1EfKffEEviiiT16_PT17_ilS6_ilS4_S6_ilPT18_ili26rocblas_geam_ex_operation_.private_seg_size, 0
	.set _ZN12_GLOBAL__N_120geam_min_plus_kernelIf15HIP_vector_typeIfLj2EEfLi8ELi32ELi64ELi256ELi4ELi4ELi64ELi64ELi4ELc84ELc84ELb0ELb1ELb1EfKffEEviiiT16_PT17_ilS6_ilS4_S6_ilPT18_ili26rocblas_geam_ex_operation_.uses_vcc, 1
	.set _ZN12_GLOBAL__N_120geam_min_plus_kernelIf15HIP_vector_typeIfLj2EEfLi8ELi32ELi64ELi256ELi4ELi4ELi64ELi64ELi4ELc84ELc84ELb0ELb1ELb1EfKffEEviiiT16_PT17_ilS6_ilS4_S6_ilPT18_ili26rocblas_geam_ex_operation_.uses_flat_scratch, 0
	.set _ZN12_GLOBAL__N_120geam_min_plus_kernelIf15HIP_vector_typeIfLj2EEfLi8ELi32ELi64ELi256ELi4ELi4ELi64ELi64ELi4ELc84ELc84ELb0ELb1ELb1EfKffEEviiiT16_PT17_ilS6_ilS4_S6_ilPT18_ili26rocblas_geam_ex_operation_.has_dyn_sized_stack, 0
	.set _ZN12_GLOBAL__N_120geam_min_plus_kernelIf15HIP_vector_typeIfLj2EEfLi8ELi32ELi64ELi256ELi4ELi4ELi64ELi64ELi4ELc84ELc84ELb0ELb1ELb1EfKffEEviiiT16_PT17_ilS6_ilS4_S6_ilPT18_ili26rocblas_geam_ex_operation_.has_recursion, 0
	.set _ZN12_GLOBAL__N_120geam_min_plus_kernelIf15HIP_vector_typeIfLj2EEfLi8ELi32ELi64ELi256ELi4ELi4ELi64ELi64ELi4ELc84ELc84ELb0ELb1ELb1EfKffEEviiiT16_PT17_ilS6_ilS4_S6_ilPT18_ili26rocblas_geam_ex_operation_.has_indirect_call, 0
	.section	.AMDGPU.csdata,"",@progbits
; Kernel info:
; codeLenInByte = 19584
; TotalNumSgprs: 32
; NumVgprs: 158
; ScratchSize: 0
; MemoryBound: 0
; FloatMode: 240
; IeeeMode: 1
; LDSByteSize: 10240 bytes/workgroup (compile time only)
; SGPRBlocks: 0
; VGPRBlocks: 19
; NumSGPRsForWavesPerEU: 32
; NumVGPRsForWavesPerEU: 158
; Occupancy: 6
; WaveLimiterHint : 0
; COMPUTE_PGM_RSRC2:SCRATCH_EN: 0
; COMPUTE_PGM_RSRC2:USER_SGPR: 6
; COMPUTE_PGM_RSRC2:TRAP_HANDLER: 0
; COMPUTE_PGM_RSRC2:TGID_X_EN: 1
; COMPUTE_PGM_RSRC2:TGID_Y_EN: 0
; COMPUTE_PGM_RSRC2:TGID_Z_EN: 1
; COMPUTE_PGM_RSRC2:TIDIG_COMP_CNT: 1
	.section	.text._ZN12_GLOBAL__N_120geam_min_plus_kernelIf15HIP_vector_typeIfLj2EES2_Li8ELi32ELi64ELi128ELi4ELi64ELi4ELi4ELi64ELc78ELc78ELb0ELb0ELb0EPKfS3_fEEviiiT16_PT17_ilS7_ilS5_S7_ilPT18_ili26rocblas_geam_ex_operation_,"axG",@progbits,_ZN12_GLOBAL__N_120geam_min_plus_kernelIf15HIP_vector_typeIfLj2EES2_Li8ELi32ELi64ELi128ELi4ELi64ELi4ELi4ELi64ELc78ELc78ELb0ELb0ELb0EPKfS3_fEEviiiT16_PT17_ilS7_ilS5_S7_ilPT18_ili26rocblas_geam_ex_operation_,comdat
	.globl	_ZN12_GLOBAL__N_120geam_min_plus_kernelIf15HIP_vector_typeIfLj2EES2_Li8ELi32ELi64ELi128ELi4ELi64ELi4ELi4ELi64ELc78ELc78ELb0ELb0ELb0EPKfS3_fEEviiiT16_PT17_ilS7_ilS5_S7_ilPT18_ili26rocblas_geam_ex_operation_ ; -- Begin function _ZN12_GLOBAL__N_120geam_min_plus_kernelIf15HIP_vector_typeIfLj2EES2_Li8ELi32ELi64ELi128ELi4ELi64ELi4ELi4ELi64ELc78ELc78ELb0ELb0ELb0EPKfS3_fEEviiiT16_PT17_ilS7_ilS5_S7_ilPT18_ili26rocblas_geam_ex_operation_
	.p2align	8
	.type	_ZN12_GLOBAL__N_120geam_min_plus_kernelIf15HIP_vector_typeIfLj2EES2_Li8ELi32ELi64ELi128ELi4ELi64ELi4ELi4ELi64ELc78ELc78ELb0ELb0ELb0EPKfS3_fEEviiiT16_PT17_ilS7_ilS5_S7_ilPT18_ili26rocblas_geam_ex_operation_,@function
_ZN12_GLOBAL__N_120geam_min_plus_kernelIf15HIP_vector_typeIfLj2EES2_Li8ELi32ELi64ELi128ELi4ELi64ELi4ELi4ELi64ELc78ELc78ELb0ELb0ELb0EPKfS3_fEEviiiT16_PT17_ilS7_ilS5_S7_ilPT18_ili26rocblas_geam_ex_operation_: ; @_ZN12_GLOBAL__N_120geam_min_plus_kernelIf15HIP_vector_typeIfLj2EES2_Li8ELi32ELi64ELi128ELi4ELi64ELi4ELi4ELi64ELc78ELc78ELb0ELb0ELb0EPKfS3_fEEviiiT16_PT17_ilS7_ilS5_S7_ilPT18_ili26rocblas_geam_ex_operation_
; %bb.0:
	s_clause 0x1
	s_load_dwordx4 s[0:3], s[4:5], 0x10
	s_load_dwordx4 s[8:11], s[4:5], 0x28
	s_mov_b32 s16, s7
	s_mov_b32 s17, 0
	s_lshl_b64 s[18:19], s[16:17], 2
	s_waitcnt lgkmcnt(0)
	s_add_u32 s0, s0, s18
	s_addc_u32 s1, s1, s19
	s_load_dword s17, s[0:1], 0x0
	s_clause 0x1
	s_load_dwordx4 s[12:15], s[4:5], 0x40
	s_load_dwordx2 s[20:21], s[4:5], 0x50
	s_waitcnt lgkmcnt(0)
	v_cmp_eq_f32_e64 s1, s17, 0
	s_add_u32 s22, s14, s18
	v_cmp_neq_f32_e64 s0, s17, 0
	s_addc_u32 s23, s15, s19
	s_mov_b64 s[14:15], 0
	s_and_b32 s1, exec_lo, s1
	s_mov_b64 s[18:19], 0
	s_mov_b32 vcc_lo, s1
	s_cbranch_vccnz .LBB78_2
; %bb.1:
	s_mul_i32 s7, s9, s16
	s_mul_hi_u32 s9, s8, s16
	s_mul_i32 s8, s8, s16
	s_add_i32 s9, s9, s7
	s_lshl_b64 s[8:9], s[8:9], 2
	s_add_u32 s18, s2, s8
	s_addc_u32 s19, s3, s9
.LBB78_2:
	s_load_dword s3, s[22:23], 0x0
	v_cndmask_b32_e64 v2, 0, 1, s0
	s_andn2_b32 vcc_lo, exec_lo, s0
	v_cmp_ne_u32_e64 s2, 1, v2
	s_cbranch_vccnz .LBB78_4
; %bb.3:
	s_mul_i32 s0, s13, s16
	s_mul_hi_u32 s7, s12, s16
	s_mul_i32 s8, s12, s16
	s_add_i32 s9, s7, s0
	s_lshl_b64 s[8:9], s[8:9], 2
	s_add_u32 s14, s10, s8
	s_addc_u32 s15, s11, s9
.LBB78_4:
	s_load_dwordx4 s[8:11], s[4:5], 0x60
	s_waitcnt lgkmcnt(0)
	v_cmp_eq_f32_e64 s0, s3, 0
	s_and_b32 s0, exec_lo, s0
	s_mov_b32 vcc_lo, s0
	s_cbranch_vccnz .LBB78_6
; %bb.5:
	s_mul_i32 s7, s9, s16
	s_mul_hi_u32 s9, s8, s16
	s_mul_i32 s8, s8, s16
	s_add_i32 s9, s9, s7
	s_lshl_b64 s[8:9], s[8:9], 2
	s_add_u32 s8, s20, s8
	s_addc_u32 s9, s21, s9
	s_branch .LBB78_7
.LBB78_6:
	s_mov_b64 s[8:9], 0
.LBB78_7:
	s_clause 0x2
	s_load_dword s7, s[4:5], 0x0
	s_load_dword s12, s[4:5], 0x20
	;; [unrolled: 1-line block ×3, first 2 shown]
	v_lshl_add_u32 v3, v1, 3, v0
	v_and_b32_e32 v12, 3, v0
	v_mov_b32_e32 v8, 0
	v_mov_b32_e32 v10, 0
	;; [unrolled: 1-line block ×3, first 2 shown]
	v_lshrrev_b32_e32 v6, 2, v3
	v_and_b32_e32 v9, 63, v3
	v_lshrrev_b32_e32 v13, 6, v3
	v_lshlrev_b32_e32 v7, 2, v12
	v_mov_b32_e32 v14, 0
	s_waitcnt lgkmcnt(0)
	s_add_i32 s7, s7, -1
	s_ashr_i32 s13, s7, 31
	s_lshr_b32 s13, s13, 26
	s_add_i32 s7, s7, s13
	s_ashr_i32 s7, s7, 6
	s_add_i32 s21, s7, 1
	s_not_b32 s7, s7
	v_cvt_f32_u32_e32 v2, s21
	v_rcp_iflag_f32_e32 v2, v2
	v_mul_f32_e32 v2, 0x4f7ffffe, v2
	v_cvt_u32_f32_e32 v2, v2
	v_readfirstlane_b32 s13, v2
	s_mul_i32 s7, s7, s13
	s_mul_hi_u32 s7, s13, s7
	s_add_i32 s13, s13, s7
	s_mul_hi_u32 s7, s6, s13
	s_ashr_i32 s13, s12, 31
	s_mul_i32 s22, s7, s21
	s_add_i32 s23, s7, 1
	s_sub_i32 s22, s6, s22
	s_sub_i32 s24, s22, s21
	s_cmp_ge_u32 s22, s21
	s_cselect_b32 s7, s23, s7
	s_cselect_b32 s22, s24, s22
	s_add_i32 s23, s7, 1
	s_cmp_ge_u32 s22, s21
	s_cselect_b32 s7, s23, s7
	s_and_b32 vcc_lo, exec_lo, s2
	s_mul_i32 s21, s7, s21
	s_lshl_b32 s7, s7, 7
	s_sub_i32 s6, s6, s21
	v_add_nc_u32_e32 v4, s7, v6
	s_lshl_b32 s6, s6, 6
	v_or_b32_e32 v2, s6, v9
	v_add_nc_u32_e32 v5, 64, v4
	v_ashrrev_i32_e32 v3, 31, v2
	s_cbranch_vccnz .LBB78_9
; %bb.8:
	v_mad_i64_i32 v[10:11], null, s12, v13, 0
	v_mad_i64_i32 v[14:15], null, v4, s20, 0
	v_lshlrev_b64 v[16:17], 2, v[2:3]
	v_mad_i64_i32 v[18:19], null, v5, s20, 0
	v_lshlrev_b64 v[10:11], 2, v[10:11]
	v_add_co_u32 v20, vcc_lo, s18, v10
	v_add_co_ci_u32_e64 v21, null, s19, v11, vcc_lo
	v_lshlrev_b64 v[10:11], 2, v[14:15]
	v_add_co_u32 v14, vcc_lo, v20, v16
	v_add_co_u32 v20, s21, s14, v7
	v_add_co_ci_u32_e64 v15, null, v21, v17, vcc_lo
	v_lshlrev_b64 v[16:17], 2, v[18:19]
	v_add_co_ci_u32_e64 v21, null, s15, 0, s21
	v_add_co_u32 v10, vcc_lo, v20, v10
	v_add_co_ci_u32_e64 v11, null, v21, v11, vcc_lo
	v_add_co_u32 v16, vcc_lo, v20, v16
	v_add_co_ci_u32_e64 v17, null, v21, v17, vcc_lo
	global_load_dword v10, v[10:11], off
	global_load_dword v11, v[14:15], off
	;; [unrolled: 1-line block ×3, first 2 shown]
	s_waitcnt vmcnt(2)
	v_mul_f32_e32 v14, s17, v10
	s_waitcnt vmcnt(1)
	v_mul_f32_e32 v10, s17, v11
	;; [unrolled: 2-line block ×3, first 2 shown]
.LBB78_9:
	v_add_nc_u32_e32 v76, 4, v13
	v_mov_b32_e32 v78, 0
	v_mov_b32_e32 v77, 0
	s_and_b32 vcc_lo, exec_lo, s2
	s_cbranch_vccnz .LBB78_11
; %bb.10:
	v_mad_i64_i32 v[15:16], null, s12, v76, 0
	v_mad_i64_i32 v[17:18], null, v4, s20, 0
	v_lshlrev_b64 v[19:20], 2, v[2:3]
	v_mad_i64_i32 v[21:22], null, v5, s20, 0
	v_lshlrev_b64 v[15:16], 2, v[15:16]
	v_add_co_u32 v8, vcc_lo, s18, v15
	v_add_co_ci_u32_e64 v23, null, s19, v16, vcc_lo
	v_lshlrev_b64 v[15:16], 2, v[17:18]
	v_add_co_u32 v17, vcc_lo, v8, v19
	v_add_co_u32 v8, s2, s14, v7
	v_add_co_ci_u32_e64 v18, null, v23, v20, vcc_lo
	v_lshlrev_b64 v[19:20], 2, v[21:22]
	v_add_co_ci_u32_e64 v23, null, s15, 0, s2
	v_add_co_u32 v15, vcc_lo, v8, v15
	v_add_co_ci_u32_e64 v16, null, v23, v16, vcc_lo
	v_add_co_u32 v19, vcc_lo, v8, v19
	v_add_co_ci_u32_e64 v20, null, v23, v20, vcc_lo
	global_load_dword v8, v[15:16], off offset:16
	global_load_dword v15, v[17:18], off
	global_load_dword v16, v[19:20], off offset:16
	s_waitcnt vmcnt(2)
	v_mul_f32_e32 v77, s17, v8
	s_waitcnt vmcnt(1)
	v_mul_f32_e32 v8, s17, v15
	s_waitcnt vmcnt(0)
	v_mul_f32_e32 v78, s17, v16
.LBB78_11:
	v_lshlrev_b32_e32 v9, 4, v9
	v_lshlrev_b32_e32 v15, 4, v6
	v_mov_b32_e32 v74, 0
	v_cmp_neq_f32_e64 s2, s3, 0
	v_lshl_or_b32 v80, v0, 4, 0x1000
	v_lshl_add_u32 v9, v13, 2, v9
	v_lshl_or_b32 v79, v12, 2, v15
	v_lshlrev_b32_e32 v82, 4, v1
	v_mov_b32_e32 v75, v74
	v_mov_b32_e32 v72, v74
	v_or_b32_e32 v81, 0x1000, v9
	ds_write_b32 v9, v10 offset:4096
	ds_write2st64_b32 v79, v14, v11 offset1:4
	v_mov_b32_e32 v73, v74
	v_mov_b32_e32 v70, v74
	;; [unrolled: 1-line block ×61, first 2 shown]
	s_mov_b32 s22, 0
	s_mov_b32 s21, -1
	s_waitcnt lgkmcnt(0)
	s_barrier
	buffer_gl0_inv
.LBB78_12:                              ; =>This Inner Loop Header: Depth=1
	s_lshl_b32 s22, s22, 2
	s_andn2_b32 vcc_lo, exec_lo, s21
	v_add_nc_u32_e32 v95, s22, v80
	v_add_nc_u32_e32 v103, s22, v82
	s_mov_b32 s21, 0
	s_mov_b32 s22, 2
	ds_read2_b64 v[83:86], v95 offset1:16
	ds_read2_b64 v[87:90], v95 offset0:32 offset1:48
	ds_read2_b64 v[91:94], v95 offset0:64 offset1:80
	ds_read2_b64 v[95:98], v95 offset0:96 offset1:112
	ds_read2st64_b64 v[99:102], v103 offset1:1
	ds_read2st64_b64 v[103:106], v103 offset0:2 offset1:3
	s_waitcnt lgkmcnt(5)
	v_max_f32_e32 v83, v83, v83
	v_max_f32_e32 v84, v84, v84
	;; [unrolled: 1-line block ×3, first 2 shown]
	s_waitcnt lgkmcnt(1)
	v_max_f32_e32 v99, v99, v99
	v_max_f32_e32 v100, v100, v100
	;; [unrolled: 1-line block ×5, first 2 shown]
	v_min_f32_e32 v107, v83, v99
	v_min_f32_e32 v108, v84, v100
	v_max_f32_e32 v89, v89, v89
	v_max_f32_e32 v90, v90, v90
	;; [unrolled: 1-line block ×3, first 2 shown]
	v_add_f32_e32 v74, v107, v74
	v_min_f32_e32 v107, v85, v99
	v_add_f32_e32 v75, v108, v75
	v_min_f32_e32 v108, v86, v100
	v_max_f32_e32 v92, v92, v92
	v_max_f32_e32 v93, v93, v93
	v_add_f32_e32 v72, v107, v72
	v_min_f32_e32 v107, v87, v99
	v_add_f32_e32 v73, v108, v73
	v_min_f32_e32 v108, v88, v100
	v_max_f32_e32 v94, v94, v94
	v_max_f32_e32 v95, v95, v95
	;; [unrolled: 6-line block ×3, first 2 shown]
	v_add_f32_e32 v10, v107, v10
	v_min_f32_e32 v107, v91, v99
	v_add_f32_e32 v11, v108, v11
	v_min_f32_e32 v108, v92, v100
	v_max_f32_e32 v98, v98, v98
	v_add_f32_e32 v14, v107, v14
	v_min_f32_e32 v107, v93, v99
	v_add_f32_e32 v15, v108, v15
	v_min_f32_e32 v108, v94, v100
	;; [unrolled: 2-line block ×3, first 2 shown]
	v_min_f32_e32 v99, v97, v99
	v_add_f32_e32 v69, v108, v69
	v_min_f32_e32 v108, v96, v100
	v_min_f32_e32 v100, v98, v100
	v_add_f32_e32 v66, v107, v66
	v_add_f32_e32 v64, v99, v64
	v_max_f32_e32 v99, v101, v101
	v_max_f32_e32 v101, v102, v102
	v_add_f32_e32 v65, v100, v65
	v_add_f32_e32 v67, v108, v67
	v_min_f32_e32 v100, v83, v99
	v_min_f32_e32 v102, v84, v101
	v_add_f32_e32 v62, v100, v62
	v_min_f32_e32 v100, v85, v99
	v_add_f32_e32 v63, v102, v63
	;; [unrolled: 2-line block ×11, first 2 shown]
	v_min_f32_e32 v100, v95, v99
	v_min_f32_e32 v99, v97, v99
	v_add_f32_e32 v53, v102, v53
	v_min_f32_e32 v102, v96, v101
	v_add_f32_e32 v50, v100, v50
	;; [unrolled: 2-line block ×3, first 2 shown]
	s_waitcnt lgkmcnt(0)
	v_max_f32_e32 v99, v103, v103
	v_max_f32_e32 v101, v104, v104
	v_add_f32_e32 v51, v102, v51
	v_add_f32_e32 v49, v100, v49
	v_min_f32_e32 v100, v83, v99
	v_min_f32_e32 v102, v84, v101
	v_add_f32_e32 v46, v100, v46
	v_min_f32_e32 v100, v85, v99
	v_add_f32_e32 v47, v102, v47
	;; [unrolled: 2-line block ×11, first 2 shown]
	v_min_f32_e32 v100, v95, v99
	v_min_f32_e32 v99, v97, v99
	v_add_f32_e32 v37, v102, v37
	v_min_f32_e32 v102, v96, v101
	v_add_f32_e32 v34, v100, v34
	v_min_f32_e32 v100, v98, v101
	v_add_f32_e32 v32, v99, v32
	v_max_f32_e32 v99, v105, v105
	v_add_f32_e32 v35, v102, v35
	v_add_f32_e32 v33, v100, v33
	v_max_f32_e32 v100, v106, v106
	v_min_f32_e32 v83, v83, v99
	v_min_f32_e32 v84, v84, v100
	v_add_f32_e32 v30, v83, v30
	v_min_f32_e32 v83, v85, v99
	v_add_f32_e32 v31, v84, v31
	v_min_f32_e32 v84, v86, v100
	v_add_f32_e32 v28, v83, v28
	v_min_f32_e32 v83, v87, v99
	v_add_f32_e32 v29, v84, v29
	v_min_f32_e32 v84, v88, v100
	v_add_f32_e32 v26, v83, v26
	v_min_f32_e32 v83, v89, v99
	v_add_f32_e32 v27, v84, v27
	v_min_f32_e32 v84, v90, v100
	v_add_f32_e32 v24, v83, v24
	v_min_f32_e32 v83, v91, v99
	v_add_f32_e32 v25, v84, v25
	v_min_f32_e32 v84, v92, v100
	v_add_f32_e32 v22, v83, v22
	v_min_f32_e32 v83, v93, v99
	v_add_f32_e32 v23, v84, v23
	v_min_f32_e32 v84, v94, v100
	v_add_f32_e32 v20, v83, v20
	v_min_f32_e32 v83, v95, v99
	v_add_f32_e32 v21, v84, v21
	v_min_f32_e32 v84, v96, v100
	v_add_f32_e32 v18, v83, v18
	v_min_f32_e32 v83, v97, v99
	v_add_f32_e32 v19, v84, v19
	v_min_f32_e32 v84, v98, v100
	v_add_f32_e32 v16, v83, v16
	v_add_f32_e32 v17, v84, v17
	s_cbranch_vccz .LBB78_12
; %bb.13:
	s_load_dword s21, s[4:5], 0x8
	v_lshl_or_b32 v6, v6, 4, v7
	ds_write_b32 v9, v8 offset:5120
	ds_write2st64_b32 v6, v77, v78 offset0:8 offset1:12
	v_lshl_add_u32 v77, v0, 4, 0x1400
	v_lshl_add_u32 v78, v1, 4, 0x800
	s_waitcnt lgkmcnt(0)
	s_barrier
	buffer_gl0_inv
	s_cmp_lt_i32 s21, 9
	s_cbranch_scc1 .LBB78_28
; %bb.14:
	v_lshlrev_b64 v[2:3], 2, v[2:3]
	v_mad_i64_i32 v[7:8], null, v4, s20, 0
	v_mad_i64_i32 v[4:5], null, v5, s20, 0
	v_add_nc_u32_e32 v83, 0x1400, v9
	v_add_co_u32 v85, vcc_lo, s18, v2
	v_add_co_ci_u32_e64 v86, null, s19, v3, vcc_lo
	v_lshlrev_b64 v[2:3], 2, v[7:8]
	v_lshlrev_b64 v[4:5], 2, v[4:5]
	v_add_nc_u32_e32 v84, 0x800, v6
	v_mov_b32_e32 v7, 0
	s_add_i32 s18, s21, -8
	s_mov_b32 s19, 8
	s_mov_b32 s20, 0
.LBB78_15:                              ; =>This Loop Header: Depth=1
                                        ;     Child Loop BB78_20 Depth 2
                                        ;     Child Loop BB78_26 Depth 2
	s_mov_b32 s21, -1
	s_mov_b32 vcc_lo, s1
                                        ; implicit-def: $vgpr8_vgpr9
	s_cbranch_vccz .LBB78_17
; %bb.16:                               ;   in Loop: Header=BB78_15 Depth=1
	v_mov_b32_e32 v8, v7
	s_mov_b32 s21, 0
.LBB78_17:                              ;   in Loop: Header=BB78_15 Depth=1
	v_mov_b32_e32 v6, 0
	v_mov_b32_e32 v9, 0
	s_andn2_b32 vcc_lo, exec_lo, s21
	s_cbranch_vccnz .LBB78_19
; %bb.18:                               ;   in Loop: Header=BB78_15 Depth=1
	v_add_nc_u32_e32 v87, s19, v13
	v_or_b32_e32 v6, s19, v12
	v_mad_u64_u32 v[8:9], null, v87, s12, 0
	v_mad_u64_u32 v[87:88], null, v87, s13, v[9:10]
	v_lshlrev_b64 v[88:89], 2, v[6:7]
	v_add_co_u32 v6, vcc_lo, s14, v88
	v_mov_b32_e32 v9, v87
	v_add_co_ci_u32_e64 v90, null, s15, v89, vcc_lo
	v_add_co_u32 v87, vcc_lo, v6, v2
	v_lshlrev_b64 v[8:9], 2, v[8:9]
	v_add_co_ci_u32_e64 v88, null, v90, v3, vcc_lo
	v_add_co_u32 v8, vcc_lo, v85, v8
	v_add_co_ci_u32_e64 v9, null, v86, v9, vcc_lo
	v_add_co_u32 v89, vcc_lo, v6, v4
	v_add_co_ci_u32_e64 v90, null, v90, v5, vcc_lo
	global_load_dword v6, v[87:88], off
	global_load_dword v9, v[8:9], off
	;; [unrolled: 1-line block ×3, first 2 shown]
	s_waitcnt vmcnt(2)
	v_mul_f32_e32 v8, s17, v6
	s_waitcnt vmcnt(1)
	v_mul_f32_e32 v6, s17, v9
	;; [unrolled: 2-line block ×3, first 2 shown]
.LBB78_19:                              ;   in Loop: Header=BB78_15 Depth=1
	s_mov_b32 s22, 0
	s_mov_b32 s21, -1
.LBB78_20:                              ;   Parent Loop BB78_15 Depth=1
                                        ; =>  This Inner Loop Header: Depth=2
	s_lshl_b32 s22, s22, 2
	s_andn2_b32 vcc_lo, exec_lo, s21
	v_add_nc_u32_e32 v99, s22, v77
	v_add_nc_u32_e32 v107, s22, v78
	s_mov_b32 s21, 0
	s_mov_b32 s22, 2
	ds_read2_b64 v[87:90], v99 offset1:16
	ds_read2_b64 v[91:94], v99 offset0:32 offset1:48
	ds_read2_b64 v[95:98], v99 offset0:64 offset1:80
	;; [unrolled: 1-line block ×3, first 2 shown]
	ds_read2st64_b64 v[103:106], v107 offset1:1
	ds_read2st64_b64 v[107:110], v107 offset0:2 offset1:3
	s_waitcnt lgkmcnt(5)
	v_max_f32_e32 v112, v88, v88
	v_max_f32_e32 v111, v87, v87
	s_waitcnt lgkmcnt(1)
	v_max_f32_e32 v104, v104, v104
	v_max_f32_e32 v103, v103, v103
	v_min_f32_e32 v88, v112, v104
	v_min_f32_e32 v87, v111, v103
	v_add_f32_e32 v75, v88, v75
	v_max_f32_e32 v88, v89, v89
	v_max_f32_e32 v89, v90, v90
	v_add_f32_e32 v74, v87, v74
	v_min_f32_e32 v87, v88, v103
	v_min_f32_e32 v90, v89, v104
	v_add_f32_e32 v72, v87, v72
	v_add_f32_e32 v73, v90, v73
	v_max_f32_e32 v90, v91, v91
	v_max_f32_e32 v91, v92, v92
	v_min_f32_e32 v87, v90, v103
	v_min_f32_e32 v92, v91, v104
	v_add_f32_e32 v70, v87, v70
	v_add_f32_e32 v71, v92, v71
	v_max_f32_e32 v92, v93, v93
	v_max_f32_e32 v93, v94, v94
	;; [unrolled: 6-line block ×6, first 2 shown]
	v_min_f32_e32 v101, v100, v103
	v_min_f32_e32 v102, v87, v104
	v_max_f32_e32 v103, v106, v106
	v_add_f32_e32 v64, v101, v64
	v_max_f32_e32 v101, v105, v105
	v_add_f32_e32 v65, v102, v65
	v_min_f32_e32 v104, v112, v103
	v_min_f32_e32 v102, v111, v101
	v_add_f32_e32 v63, v104, v63
	v_min_f32_e32 v104, v89, v103
	v_add_f32_e32 v62, v102, v62
	;; [unrolled: 2-line block ×12, first 2 shown]
	v_min_f32_e32 v102, v98, v101
	v_min_f32_e32 v101, v100, v101
	v_add_f32_e32 v51, v104, v51
	v_add_f32_e32 v50, v102, v50
	v_min_f32_e32 v102, v87, v103
	v_add_f32_e32 v48, v101, v48
	s_waitcnt lgkmcnt(0)
	v_max_f32_e32 v101, v107, v107
	v_max_f32_e32 v103, v108, v108
	v_add_f32_e32 v49, v102, v49
	v_min_f32_e32 v102, v111, v101
	v_min_f32_e32 v104, v112, v103
	v_add_f32_e32 v46, v102, v46
	v_min_f32_e32 v102, v88, v101
	v_add_f32_e32 v47, v104, v47
	;; [unrolled: 2-line block ×11, first 2 shown]
	v_min_f32_e32 v102, v98, v101
	v_min_f32_e32 v101, v100, v101
	v_add_f32_e32 v37, v104, v37
	v_min_f32_e32 v104, v99, v103
	v_add_f32_e32 v34, v102, v34
	v_add_f32_e32 v32, v101, v32
	v_max_f32_e32 v101, v109, v109
	v_min_f32_e32 v102, v87, v103
	v_max_f32_e32 v103, v110, v110
	v_add_f32_e32 v35, v104, v35
	v_min_f32_e32 v88, v88, v101
	v_add_f32_e32 v33, v102, v33
	v_min_f32_e32 v89, v89, v103
	v_min_f32_e32 v102, v111, v101
	v_min_f32_e32 v104, v112, v103
	v_add_f32_e32 v28, v88, v28
	v_min_f32_e32 v88, v90, v101
	v_add_f32_e32 v29, v89, v29
	v_min_f32_e32 v89, v91, v103
	v_min_f32_e32 v87, v87, v103
	v_add_f32_e32 v31, v104, v31
	v_add_f32_e32 v26, v88, v26
	v_min_f32_e32 v88, v92, v101
	v_add_f32_e32 v27, v89, v27
	v_min_f32_e32 v89, v93, v103
	v_add_f32_e32 v30, v102, v30
	v_add_f32_e32 v17, v87, v17
	;; [unrolled: 1-line block ×3, first 2 shown]
	v_min_f32_e32 v88, v94, v101
	v_add_f32_e32 v25, v89, v25
	v_min_f32_e32 v89, v95, v103
	v_add_f32_e32 v22, v88, v22
	;; [unrolled: 2-line block ×7, first 2 shown]
	v_add_f32_e32 v16, v88, v16
	s_cbranch_vccz .LBB78_20
; %bb.21:                               ;   in Loop: Header=BB78_15 Depth=1
	s_mov_b32 s21, -1
	s_mov_b32 vcc_lo, s1
	ds_write_b32 v81, v6
	ds_write2st64_b32 v79, v8, v9 offset1:4
	s_waitcnt lgkmcnt(0)
	s_barrier
	buffer_gl0_inv
                                        ; implicit-def: $vgpr8_vgpr9
	s_cbranch_vccz .LBB78_23
; %bb.22:                               ;   in Loop: Header=BB78_15 Depth=1
	v_mov_b32_e32 v8, v7
	s_mov_b32 s21, 0
.LBB78_23:                              ;   in Loop: Header=BB78_15 Depth=1
	v_mov_b32_e32 v6, 0
	v_mov_b32_e32 v9, 0
	s_andn2_b32 vcc_lo, exec_lo, s21
	s_cbranch_vccnz .LBB78_25
; %bb.24:                               ;   in Loop: Header=BB78_15 Depth=1
	v_add_nc_u32_e32 v87, s19, v76
	v_or_b32_e32 v6, s19, v12
	v_mad_u64_u32 v[8:9], null, v87, s12, 0
	v_mad_u64_u32 v[87:88], null, v87, s13, v[9:10]
	v_lshlrev_b64 v[88:89], 2, v[6:7]
	v_add_co_u32 v6, vcc_lo, s14, v88
	v_mov_b32_e32 v9, v87
	v_add_co_ci_u32_e64 v90, null, s15, v89, vcc_lo
	v_add_co_u32 v87, vcc_lo, v6, v2
	v_lshlrev_b64 v[8:9], 2, v[8:9]
	v_add_co_ci_u32_e64 v88, null, v90, v3, vcc_lo
	v_add_co_u32 v8, vcc_lo, v85, v8
	v_add_co_ci_u32_e64 v9, null, v86, v9, vcc_lo
	v_add_co_u32 v89, vcc_lo, v6, v4
	v_add_co_ci_u32_e64 v90, null, v90, v5, vcc_lo
	global_load_dword v6, v[87:88], off offset:16
	global_load_dword v9, v[8:9], off
	global_load_dword v87, v[89:90], off offset:16
	s_waitcnt vmcnt(2)
	v_mul_f32_e32 v8, s17, v6
	s_waitcnt vmcnt(1)
	v_mul_f32_e32 v6, s17, v9
	;; [unrolled: 2-line block ×3, first 2 shown]
.LBB78_25:                              ;   in Loop: Header=BB78_15 Depth=1
	s_mov_b32 s22, 0
	s_mov_b32 s21, -1
.LBB78_26:                              ;   Parent Loop BB78_15 Depth=1
                                        ; =>  This Inner Loop Header: Depth=2
	s_lshl_b32 s22, s22, 2
	s_andn2_b32 vcc_lo, exec_lo, s21
	v_add_nc_u32_e32 v99, s22, v80
	v_add_nc_u32_e32 v107, s22, v82
	s_mov_b32 s21, 0
	s_mov_b32 s22, 2
	ds_read2_b64 v[87:90], v99 offset1:16
	ds_read2_b64 v[91:94], v99 offset0:32 offset1:48
	ds_read2_b64 v[95:98], v99 offset0:64 offset1:80
	;; [unrolled: 1-line block ×3, first 2 shown]
	ds_read2st64_b64 v[103:106], v107 offset1:1
	ds_read2st64_b64 v[107:110], v107 offset0:2 offset1:3
	s_waitcnt lgkmcnt(5)
	v_max_f32_e32 v87, v87, v87
	v_max_f32_e32 v88, v88, v88
	;; [unrolled: 1-line block ×3, first 2 shown]
	s_waitcnt lgkmcnt(1)
	v_max_f32_e32 v103, v103, v103
	v_max_f32_e32 v104, v104, v104
	;; [unrolled: 1-line block ×5, first 2 shown]
	v_min_f32_e32 v111, v87, v103
	v_min_f32_e32 v112, v88, v104
	v_max_f32_e32 v93, v93, v93
	v_max_f32_e32 v94, v94, v94
	;; [unrolled: 1-line block ×3, first 2 shown]
	v_add_f32_e32 v74, v111, v74
	v_min_f32_e32 v111, v89, v103
	v_add_f32_e32 v75, v112, v75
	v_min_f32_e32 v112, v90, v104
	v_max_f32_e32 v96, v96, v96
	v_max_f32_e32 v97, v97, v97
	v_add_f32_e32 v72, v111, v72
	v_min_f32_e32 v111, v91, v103
	v_add_f32_e32 v73, v112, v73
	v_min_f32_e32 v112, v92, v104
	v_max_f32_e32 v98, v98, v98
	v_max_f32_e32 v99, v99, v99
	;; [unrolled: 6-line block ×3, first 2 shown]
	v_add_f32_e32 v10, v111, v10
	v_min_f32_e32 v111, v95, v103
	v_add_f32_e32 v11, v112, v11
	v_min_f32_e32 v112, v96, v104
	v_max_f32_e32 v102, v102, v102
	v_add_f32_e32 v14, v111, v14
	v_min_f32_e32 v111, v97, v103
	v_add_f32_e32 v15, v112, v15
	v_min_f32_e32 v112, v98, v104
	;; [unrolled: 2-line block ×3, first 2 shown]
	v_min_f32_e32 v103, v101, v103
	v_add_f32_e32 v69, v112, v69
	v_min_f32_e32 v112, v100, v104
	v_min_f32_e32 v104, v102, v104
	v_add_f32_e32 v66, v111, v66
	v_add_f32_e32 v64, v103, v64
	v_max_f32_e32 v103, v105, v105
	v_max_f32_e32 v105, v106, v106
	v_add_f32_e32 v65, v104, v65
	v_add_f32_e32 v67, v112, v67
	v_min_f32_e32 v104, v87, v103
	v_min_f32_e32 v106, v88, v105
	v_add_f32_e32 v62, v104, v62
	v_min_f32_e32 v104, v89, v103
	v_add_f32_e32 v63, v106, v63
	;; [unrolled: 2-line block ×11, first 2 shown]
	v_min_f32_e32 v104, v99, v103
	v_min_f32_e32 v103, v101, v103
	v_add_f32_e32 v53, v106, v53
	v_min_f32_e32 v106, v100, v105
	v_add_f32_e32 v50, v104, v50
	;; [unrolled: 2-line block ×3, first 2 shown]
	s_waitcnt lgkmcnt(0)
	v_max_f32_e32 v103, v107, v107
	v_max_f32_e32 v105, v108, v108
	v_add_f32_e32 v51, v106, v51
	v_add_f32_e32 v49, v104, v49
	v_min_f32_e32 v104, v87, v103
	v_min_f32_e32 v106, v88, v105
	v_add_f32_e32 v46, v104, v46
	v_min_f32_e32 v104, v89, v103
	v_add_f32_e32 v47, v106, v47
	;; [unrolled: 2-line block ×11, first 2 shown]
	v_min_f32_e32 v104, v99, v103
	v_min_f32_e32 v103, v101, v103
	v_add_f32_e32 v37, v106, v37
	v_min_f32_e32 v106, v100, v105
	v_add_f32_e32 v34, v104, v34
	;; [unrolled: 2-line block ×3, first 2 shown]
	v_max_f32_e32 v103, v109, v109
	v_add_f32_e32 v35, v106, v35
	v_add_f32_e32 v33, v104, v33
	v_max_f32_e32 v104, v110, v110
	v_min_f32_e32 v87, v87, v103
	v_min_f32_e32 v88, v88, v104
	v_add_f32_e32 v30, v87, v30
	v_min_f32_e32 v87, v89, v103
	v_add_f32_e32 v31, v88, v31
	;; [unrolled: 2-line block ×15, first 2 shown]
	v_add_f32_e32 v17, v88, v17
	s_cbranch_vccz .LBB78_26
; %bb.27:                               ;   in Loop: Header=BB78_15 Depth=1
	s_add_i32 s20, s20, 8
	s_add_i32 s19, s19, 8
	s_cmp_ge_i32 s20, s18
	ds_write_b32 v83, v6
	ds_write2st64_b32 v84, v8, v9 offset1:4
	s_waitcnt lgkmcnt(0)
	s_barrier
	buffer_gl0_inv
	s_cbranch_scc0 .LBB78_15
.LBB78_28:
	s_mov_b32 s12, 0
	s_mov_b32 s1, -1
.LBB78_29:                              ; =>This Inner Loop Header: Depth=1
	s_lshl_b32 s12, s12, 2
	s_andn2_b32 vcc_lo, exec_lo, s1
	v_add_nc_u32_e32 v12, s12, v77
	s_mov_b32 s1, 0
	ds_read2_b64 v[2:5], v12 offset1:16
	ds_read2_b64 v[6:9], v12 offset0:32 offset1:48
	ds_read2_b64 v[79:82], v12 offset0:64 offset1:80
	;; [unrolled: 1-line block ×3, first 2 shown]
	v_add_nc_u32_e32 v12, s12, v78
	s_mov_b32 s12, 2
	ds_read2st64_b64 v[87:90], v12 offset1:1
	ds_read2st64_b64 v[91:94], v12 offset0:2 offset1:3
	s_waitcnt lgkmcnt(5)
	v_max_f32_e32 v2, v2, v2
	v_max_f32_e32 v4, v4, v4
	s_waitcnt lgkmcnt(4)
	v_max_f32_e32 v6, v6, v6
	v_max_f32_e32 v8, v8, v8
	;; [unrolled: 1-line block ×6, first 2 shown]
	s_waitcnt lgkmcnt(1)
	v_max_f32_e32 v12, v87, v87
	v_max_f32_e32 v76, v88, v88
	;; [unrolled: 1-line block ×5, first 2 shown]
	v_min_f32_e32 v13, v2, v12
	v_min_f32_e32 v87, v3, v76
	v_add_f32_e32 v74, v13, v74
	v_min_f32_e32 v13, v4, v12
	v_add_f32_e32 v75, v87, v75
	;; [unrolled: 2-line block ×7, first 2 shown]
	v_max_f32_e32 v13, v79, v79
	v_add_f32_e32 v11, v87, v11
	v_min_f32_e32 v87, v80, v76
	v_min_f32_e32 v79, v13, v12
	v_add_f32_e32 v15, v87, v15
	v_min_f32_e32 v87, v82, v76
	v_add_f32_e32 v14, v79, v14
	v_max_f32_e32 v79, v81, v81
	v_add_f32_e32 v69, v87, v69
	v_min_f32_e32 v87, v84, v76
	v_min_f32_e32 v81, v79, v12
	v_add_f32_e32 v67, v87, v67
	v_add_f32_e32 v68, v81, v68
	v_max_f32_e32 v81, v83, v83
	v_min_f32_e32 v83, v81, v12
	v_add_f32_e32 v66, v83, v66
	v_max_f32_e32 v83, v85, v85
	v_max_f32_e32 v85, v86, v86
	v_max_f32_e32 v86, v90, v90
	v_min_f32_e32 v12, v83, v12
	v_min_f32_e32 v76, v85, v76
	v_min_f32_e32 v87, v3, v86
	v_add_f32_e32 v64, v12, v64
	v_max_f32_e32 v12, v89, v89
	v_add_f32_e32 v65, v76, v65
	v_add_f32_e32 v63, v87, v63
	v_min_f32_e32 v87, v5, v86
	v_min_f32_e32 v76, v2, v12
	v_add_f32_e32 v61, v87, v61
	v_min_f32_e32 v87, v7, v86
	v_add_f32_e32 v62, v76, v62
	;; [unrolled: 2-line block ×11, first 2 shown]
	v_add_f32_e32 v52, v76, v52
	v_min_f32_e32 v76, v81, v12
	v_min_f32_e32 v12, v83, v12
	v_add_f32_e32 v50, v76, v50
	v_min_f32_e32 v76, v85, v86
	v_add_f32_e32 v48, v12, v48
	s_waitcnt lgkmcnt(0)
	v_max_f32_e32 v12, v91, v91
	v_max_f32_e32 v86, v92, v92
	v_add_f32_e32 v49, v76, v49
	v_min_f32_e32 v76, v2, v12
	v_min_f32_e32 v87, v3, v86
	v_add_f32_e32 v46, v76, v46
	v_min_f32_e32 v76, v4, v12
	v_add_f32_e32 v47, v87, v47
	;; [unrolled: 2-line block ×11, first 2 shown]
	v_min_f32_e32 v76, v81, v12
	v_min_f32_e32 v12, v83, v12
	v_add_f32_e32 v37, v87, v37
	v_min_f32_e32 v87, v84, v86
	v_add_f32_e32 v34, v76, v34
	;; [unrolled: 2-line block ×3, first 2 shown]
	v_max_f32_e32 v12, v93, v93
	v_add_f32_e32 v35, v87, v35
	v_add_f32_e32 v33, v76, v33
	v_max_f32_e32 v76, v94, v94
	v_min_f32_e32 v2, v2, v12
	v_min_f32_e32 v3, v3, v76
	v_add_f32_e32 v30, v2, v30
	v_min_f32_e32 v2, v4, v12
	v_add_f32_e32 v31, v3, v31
	;; [unrolled: 2-line block ×15, first 2 shown]
	v_add_f32_e32 v17, v3, v17
	s_cbranch_vccz .LBB78_29
; %bb.30:
	s_load_dword s12, s[4:5], 0x58
	v_add_nc_u32_e32 v76, s7, v1
	v_add_nc_u32_e32 v12, s6, v0
	v_cndmask_b32_e64 v0, 0, 1, s2
	v_mov_b32_e32 v4, 0
	v_ashrrev_i32_e32 v13, 31, v12
	v_cmp_ne_u32_e64 s1, 1, v0
	s_waitcnt lgkmcnt(0)
	v_mad_i64_i32 v[1:2], null, v76, s12, 0
	v_lshlrev_b64 v[2:3], 2, v[1:2]
	v_lshlrev_b64 v[0:1], 2, v[12:13]
	v_add_co_u32 v77, vcc_lo, s8, v2
	v_add_co_ci_u32_e64 v78, null, s9, v3, vcc_lo
	v_mov_b32_e32 v2, 0
	s_andn2_b32 vcc_lo, exec_lo, s2
	s_cbranch_vccnz .LBB78_32
; %bb.31:
	v_add_co_u32 v2, vcc_lo, v77, v0
	v_add_co_ci_u32_e64 v3, null, v78, v1, vcc_lo
	global_load_dword v2, v[2:3], off
	s_waitcnt vmcnt(0)
	v_mul_f32_e32 v2, s3, v2
.LBB78_32:
	s_clause 0x1
	s_load_dword s2, s[4:5], 0x70
	s_load_dwordx2 s[4:5], s[4:5], 0x78
	v_add_nc_u32_e32 v7, 8, v12
	v_add_f32_e32 v3, v74, v75
	v_ashrrev_i32_e32 v8, 31, v7
	v_add_f32_e32 v9, v3, v2
	v_lshlrev_b64 v[2:3], 2, v[7:8]
	s_waitcnt lgkmcnt(0)
	v_mad_i64_i32 v[5:6], null, v76, s2, 0
	s_mul_i32 s5, s5, s16
	s_mul_hi_u32 s6, s4, s16
	s_mul_i32 s4, s4, s16
	s_add_i32 s5, s6, s5
	s_lshl_b64 s[4:5], s[4:5], 2
	v_lshlrev_b64 v[5:6], 2, v[5:6]
	s_add_u32 s4, s10, s4
	s_addc_u32 s5, s11, s5
	v_add_co_u32 v74, vcc_lo, s4, v5
	v_add_co_ci_u32_e64 v75, null, s5, v6, vcc_lo
	v_add_co_u32 v5, vcc_lo, v74, v0
	v_add_co_ci_u32_e64 v6, null, v75, v1, vcc_lo
	s_and_b32 vcc_lo, exec_lo, s1
	global_store_dword v[5:6], v9, off
	s_cbranch_vccnz .LBB78_34
; %bb.33:
	v_add_co_u32 v4, vcc_lo, v77, v2
	v_add_co_ci_u32_e64 v5, null, v78, v3, vcc_lo
	global_load_dword v4, v[4:5], off
	s_waitcnt vmcnt(0)
	v_mul_f32_e32 v4, s3, v4
.LBB78_34:
	v_add_nc_u32_e32 v5, 16, v12
	v_add_f32_e32 v7, v72, v73
	v_add_co_u32 v72, vcc_lo, v74, v2
	v_add_co_ci_u32_e64 v73, null, v75, v3, vcc_lo
	v_ashrrev_i32_e32 v6, 31, v5
	v_add_f32_e32 v7, v7, v4
	v_mov_b32_e32 v8, 0
	s_and_b32 vcc_lo, exec_lo, s1
	v_lshlrev_b64 v[4:5], 2, v[5:6]
	v_mov_b32_e32 v6, 0
	global_store_dword v[72:73], v7, off
	s_cbranch_vccnz .LBB78_36
; %bb.35:
	v_add_co_u32 v6, vcc_lo, v77, v4
	v_add_co_ci_u32_e64 v7, null, v78, v5, vcc_lo
	global_load_dword v6, v[6:7], off
	s_waitcnt vmcnt(0)
	v_mul_f32_e32 v6, s3, v6
.LBB78_36:
	v_add_nc_u32_e32 v72, 24, v12
	v_add_f32_e32 v7, v70, v71
	v_add_co_u32 v70, vcc_lo, v74, v4
	v_add_co_ci_u32_e64 v71, null, v75, v5, vcc_lo
	v_ashrrev_i32_e32 v73, 31, v72
	v_add_f32_e32 v9, v7, v6
	s_and_b32 vcc_lo, exec_lo, s1
	v_lshlrev_b64 v[6:7], 2, v[72:73]
	global_store_dword v[70:71], v9, off
	s_cbranch_vccnz .LBB78_38
; %bb.37:
	v_add_co_u32 v8, vcc_lo, v77, v6
	v_add_co_ci_u32_e64 v9, null, v78, v7, vcc_lo
	global_load_dword v8, v[8:9], off
	s_waitcnt vmcnt(0)
	v_mul_f32_e32 v8, s3, v8
.LBB78_38:
	v_add_nc_u32_e32 v9, 32, v12
	v_add_f32_e32 v11, v10, v11
	v_add_co_u32 v70, vcc_lo, v74, v6
	v_add_co_ci_u32_e64 v71, null, v75, v7, vcc_lo
	v_ashrrev_i32_e32 v10, 31, v9
	v_add_f32_e32 v13, v11, v8
	v_mov_b32_e32 v8, 0
	s_and_b32 vcc_lo, exec_lo, s1
	v_lshlrev_b64 v[10:11], 2, v[9:10]
	v_mov_b32_e32 v9, 0
	global_store_dword v[70:71], v13, off
	s_cbranch_vccnz .LBB78_40
; %bb.39:
	v_add_co_u32 v70, vcc_lo, v77, v10
	v_add_co_ci_u32_e64 v71, null, v78, v11, vcc_lo
	global_load_dword v9, v[70:71], off
	s_waitcnt vmcnt(0)
	v_mul_f32_e32 v9, s3, v9
.LBB78_40:
	v_add_nc_u32_e32 v13, 40, v12
	v_add_f32_e32 v15, v14, v15
	v_add_co_u32 v70, vcc_lo, v74, v10
	v_add_co_ci_u32_e64 v71, null, v75, v11, vcc_lo
	v_ashrrev_i32_e32 v14, 31, v13
	v_add_f32_e32 v9, v15, v9
	s_and_b32 vcc_lo, exec_lo, s1
	v_lshlrev_b64 v[14:15], 2, v[13:14]
	global_store_dword v[70:71], v9, off
	s_cbranch_vccnz .LBB78_42
; %bb.41:
	v_add_co_u32 v8, vcc_lo, v77, v14
	v_add_co_ci_u32_e64 v9, null, v78, v15, vcc_lo
	global_load_dword v8, v[8:9], off
	s_waitcnt vmcnt(0)
	v_mul_f32_e32 v8, s3, v8
.LBB78_42:
	v_add_nc_u32_e32 v70, 48, v12
	v_add_f32_e32 v9, v68, v69
	v_add_co_u32 v72, vcc_lo, v74, v14
	v_add_co_ci_u32_e64 v73, null, v75, v15, vcc_lo
	v_ashrrev_i32_e32 v71, 31, v70
	v_add_f32_e32 v69, v9, v8
	v_mov_b32_e32 v68, 0
	v_mov_b32_e32 v13, 0
	s_and_b32 vcc_lo, exec_lo, s1
	v_lshlrev_b64 v[8:9], 2, v[70:71]
	global_store_dword v[72:73], v69, off
	s_cbranch_vccnz .LBB78_44
; %bb.43:
	v_add_co_u32 v69, vcc_lo, v77, v8
	v_add_co_ci_u32_e64 v70, null, v78, v9, vcc_lo
	global_load_dword v13, v[69:70], off
	s_waitcnt vmcnt(0)
	v_mul_f32_e32 v13, s3, v13
.LBB78_44:
	v_add_nc_u32_e32 v69, 56, v12
	v_add_f32_e32 v12, v66, v67
	v_add_co_u32 v66, vcc_lo, v74, v8
	v_add_co_ci_u32_e64 v67, null, v75, v9, vcc_lo
	v_ashrrev_i32_e32 v70, 31, v69
	v_add_f32_e32 v71, v12, v13
	s_and_b32 vcc_lo, exec_lo, s1
	v_lshlrev_b64 v[12:13], 2, v[69:70]
	global_store_dword v[66:67], v71, off
	s_cbranch_vccnz .LBB78_46
; %bb.45:
	v_add_co_u32 v66, vcc_lo, v77, v12
	v_add_co_ci_u32_e64 v67, null, v78, v13, vcc_lo
	global_load_dword v66, v[66:67], off
	s_waitcnt vmcnt(0)
	v_mul_f32_e32 v68, s3, v66
.LBB78_46:
	v_add_nc_u32_e32 v67, 32, v76
	v_add_f32_e32 v71, v64, v65
	v_mov_b32_e32 v66, 0
	v_mad_i64_i32 v[69:70], null, v67, s12, 0
	v_add_f32_e32 v71, v71, v68
	v_mov_b32_e32 v68, 0
	v_lshlrev_b64 v[64:65], 2, v[69:70]
	v_add_co_u32 v69, vcc_lo, v74, v12
	v_add_co_ci_u32_e64 v70, null, v75, v13, vcc_lo
	v_add_co_u32 v64, vcc_lo, s8, v64
	v_add_co_ci_u32_e64 v65, null, s9, v65, vcc_lo
	s_and_b32 vcc_lo, exec_lo, s1
	global_store_dword v[69:70], v71, off
	s_cbranch_vccnz .LBB78_48
; %bb.47:
	v_add_co_u32 v68, vcc_lo, v64, v0
	v_add_co_ci_u32_e64 v69, null, v65, v1, vcc_lo
	global_load_dword v68, v[68:69], off
	s_waitcnt vmcnt(0)
	v_mul_f32_e32 v68, s3, v68
.LBB78_48:
	v_mad_i64_i32 v[69:70], null, v67, s2, 0
	v_add_f32_e32 v67, v62, v63
	v_lshlrev_b64 v[69:70], 2, v[69:70]
	v_add_co_u32 v62, vcc_lo, s4, v69
	v_add_co_ci_u32_e64 v63, null, s5, v70, vcc_lo
	v_add_f32_e32 v69, v67, v68
	v_add_co_u32 v67, vcc_lo, v62, v0
	v_add_co_ci_u32_e64 v68, null, v63, v1, vcc_lo
	s_and_b32 vcc_lo, exec_lo, s1
	global_store_dword v[67:68], v69, off
	s_cbranch_vccnz .LBB78_50
; %bb.49:
	v_add_co_u32 v66, vcc_lo, v64, v2
	v_add_co_ci_u32_e64 v67, null, v65, v3, vcc_lo
	global_load_dword v66, v[66:67], off
	s_waitcnt vmcnt(0)
	v_mul_f32_e32 v66, s3, v66
.LBB78_50:
	v_add_f32_e32 v60, v60, v61
	v_add_co_u32 v67, vcc_lo, v62, v2
	v_add_co_ci_u32_e64 v68, null, v63, v3, vcc_lo
	v_add_f32_e32 v66, v60, v66
	v_mov_b32_e32 v60, 0
	v_mov_b32_e32 v61, 0
	s_and_b32 vcc_lo, exec_lo, s1
	global_store_dword v[67:68], v66, off
	s_cbranch_vccnz .LBB78_52
; %bb.51:
	v_add_co_u32 v66, vcc_lo, v64, v4
	v_add_co_ci_u32_e64 v67, null, v65, v5, vcc_lo
	global_load_dword v61, v[66:67], off
	s_waitcnt vmcnt(0)
	v_mul_f32_e32 v61, s3, v61
.LBB78_52:
	v_add_f32_e32 v58, v58, v59
	v_add_f32_e32 v61, v58, v61
	v_add_co_u32 v58, vcc_lo, v62, v4
	v_add_co_ci_u32_e64 v59, null, v63, v5, vcc_lo
	s_and_b32 vcc_lo, exec_lo, s1
	global_store_dword v[58:59], v61, off
	s_cbranch_vccnz .LBB78_54
; %bb.53:
	v_add_co_u32 v58, vcc_lo, v64, v6
	v_add_co_ci_u32_e64 v59, null, v65, v7, vcc_lo
	global_load_dword v58, v[58:59], off
	s_waitcnt vmcnt(0)
	v_mul_f32_e32 v60, s3, v58
.LBB78_54:
	v_add_f32_e32 v56, v56, v57
	v_add_co_u32 v58, vcc_lo, v62, v6
	v_add_co_ci_u32_e64 v59, null, v63, v7, vcc_lo
	v_add_f32_e32 v60, v56, v60
	v_mov_b32_e32 v56, 0
	v_mov_b32_e32 v57, 0
	s_and_b32 vcc_lo, exec_lo, s1
	global_store_dword v[58:59], v60, off
	s_cbranch_vccnz .LBB78_56
; %bb.55:
	v_add_co_u32 v57, vcc_lo, v64, v10
	v_add_co_ci_u32_e64 v58, null, v65, v11, vcc_lo
	global_load_dword v57, v[57:58], off
	s_waitcnt vmcnt(0)
	v_mul_f32_e32 v57, s3, v57
.LBB78_56:
	v_add_f32_e32 v54, v54, v55
	;; [unrolled: 30-line block ×3, first 2 shown]
	v_add_f32_e32 v53, v50, v53
	v_add_co_u32 v50, vcc_lo, v62, v8
	v_add_co_ci_u32_e64 v51, null, v63, v9, vcc_lo
	s_and_b32 vcc_lo, exec_lo, s1
	global_store_dword v[50:51], v53, off
	s_cbranch_vccnz .LBB78_62
; %bb.61:
	v_add_co_u32 v50, vcc_lo, v64, v12
	v_add_co_ci_u32_e64 v51, null, v65, v13, vcc_lo
	global_load_dword v50, v[50:51], off
	s_waitcnt vmcnt(0)
	v_mul_f32_e32 v52, s3, v50
.LBB78_62:
	v_add_nc_u32_e32 v51, 64, v76
	v_add_f32_e32 v55, v48, v49
	v_mov_b32_e32 v50, 0
	v_mad_i64_i32 v[53:54], null, v51, s12, 0
	v_add_f32_e32 v55, v55, v52
	v_mov_b32_e32 v52, 0
	v_lshlrev_b64 v[48:49], 2, v[53:54]
	v_add_co_u32 v53, vcc_lo, v62, v12
	v_add_co_ci_u32_e64 v54, null, v63, v13, vcc_lo
	v_add_co_u32 v48, vcc_lo, s8, v48
	v_add_co_ci_u32_e64 v49, null, s9, v49, vcc_lo
	s_and_b32 vcc_lo, exec_lo, s1
	global_store_dword v[53:54], v55, off
	s_cbranch_vccnz .LBB78_64
; %bb.63:
	v_add_co_u32 v52, vcc_lo, v48, v0
	v_add_co_ci_u32_e64 v53, null, v49, v1, vcc_lo
	global_load_dword v52, v[52:53], off
	s_waitcnt vmcnt(0)
	v_mul_f32_e32 v52, s3, v52
.LBB78_64:
	v_mad_i64_i32 v[53:54], null, v51, s2, 0
	v_add_f32_e32 v51, v46, v47
	v_lshlrev_b64 v[53:54], 2, v[53:54]
	v_add_co_u32 v46, vcc_lo, s4, v53
	v_add_co_ci_u32_e64 v47, null, s5, v54, vcc_lo
	v_add_f32_e32 v53, v51, v52
	v_add_co_u32 v51, vcc_lo, v46, v0
	v_add_co_ci_u32_e64 v52, null, v47, v1, vcc_lo
	s_and_b32 vcc_lo, exec_lo, s1
	global_store_dword v[51:52], v53, off
	s_cbranch_vccnz .LBB78_66
; %bb.65:
	v_add_co_u32 v50, vcc_lo, v48, v2
	v_add_co_ci_u32_e64 v51, null, v49, v3, vcc_lo
	global_load_dword v50, v[50:51], off
	s_waitcnt vmcnt(0)
	v_mul_f32_e32 v50, s3, v50
.LBB78_66:
	v_add_f32_e32 v44, v44, v45
	v_add_co_u32 v51, vcc_lo, v46, v2
	v_add_co_ci_u32_e64 v52, null, v47, v3, vcc_lo
	v_add_f32_e32 v50, v44, v50
	v_mov_b32_e32 v44, 0
	v_mov_b32_e32 v45, 0
	s_and_b32 vcc_lo, exec_lo, s1
	global_store_dword v[51:52], v50, off
	s_cbranch_vccnz .LBB78_68
; %bb.67:
	v_add_co_u32 v50, vcc_lo, v48, v4
	v_add_co_ci_u32_e64 v51, null, v49, v5, vcc_lo
	global_load_dword v45, v[50:51], off
	s_waitcnt vmcnt(0)
	v_mul_f32_e32 v45, s3, v45
.LBB78_68:
	v_add_f32_e32 v42, v42, v43
	v_add_f32_e32 v45, v42, v45
	v_add_co_u32 v42, vcc_lo, v46, v4
	v_add_co_ci_u32_e64 v43, null, v47, v5, vcc_lo
	s_and_b32 vcc_lo, exec_lo, s1
	global_store_dword v[42:43], v45, off
	s_cbranch_vccnz .LBB78_70
; %bb.69:
	v_add_co_u32 v42, vcc_lo, v48, v6
	v_add_co_ci_u32_e64 v43, null, v49, v7, vcc_lo
	global_load_dword v42, v[42:43], off
	s_waitcnt vmcnt(0)
	v_mul_f32_e32 v44, s3, v42
.LBB78_70:
	v_add_f32_e32 v40, v40, v41
	v_add_co_u32 v42, vcc_lo, v46, v6
	v_add_co_ci_u32_e64 v43, null, v47, v7, vcc_lo
	v_add_f32_e32 v44, v40, v44
	v_mov_b32_e32 v40, 0
	v_mov_b32_e32 v41, 0
	s_and_b32 vcc_lo, exec_lo, s1
	global_store_dword v[42:43], v44, off
	s_cbranch_vccnz .LBB78_72
; %bb.71:
	v_add_co_u32 v41, vcc_lo, v48, v10
	v_add_co_ci_u32_e64 v42, null, v49, v11, vcc_lo
	global_load_dword v41, v[41:42], off
	s_waitcnt vmcnt(0)
	v_mul_f32_e32 v41, s3, v41
.LBB78_72:
	v_add_f32_e32 v38, v38, v39
	;; [unrolled: 30-line block ×3, first 2 shown]
	v_add_f32_e32 v37, v34, v37
	v_add_co_u32 v34, vcc_lo, v46, v8
	v_add_co_ci_u32_e64 v35, null, v47, v9, vcc_lo
	s_and_b32 vcc_lo, exec_lo, s1
	global_store_dword v[34:35], v37, off
	s_cbranch_vccnz .LBB78_78
; %bb.77:
	v_add_co_u32 v34, vcc_lo, v48, v12
	v_add_co_ci_u32_e64 v35, null, v49, v13, vcc_lo
	global_load_dword v34, v[34:35], off
	s_waitcnt vmcnt(0)
	v_mul_f32_e32 v36, s3, v34
.LBB78_78:
	v_add_nc_u32_e32 v35, 0x60, v76
	v_add_f32_e32 v39, v32, v33
	v_mov_b32_e32 v34, 0
	v_mad_i64_i32 v[37:38], null, v35, s12, 0
	v_add_f32_e32 v39, v39, v36
	v_mov_b32_e32 v36, 0
	v_lshlrev_b64 v[32:33], 2, v[37:38]
	v_add_co_u32 v37, vcc_lo, v46, v12
	v_add_co_ci_u32_e64 v38, null, v47, v13, vcc_lo
	v_add_co_u32 v32, vcc_lo, s8, v32
	v_add_co_ci_u32_e64 v33, null, s9, v33, vcc_lo
	s_and_b32 vcc_lo, exec_lo, s1
	global_store_dword v[37:38], v39, off
	s_cbranch_vccnz .LBB78_80
; %bb.79:
	v_add_co_u32 v36, vcc_lo, v32, v0
	v_add_co_ci_u32_e64 v37, null, v33, v1, vcc_lo
	global_load_dword v36, v[36:37], off
	s_waitcnt vmcnt(0)
	v_mul_f32_e32 v36, s3, v36
.LBB78_80:
	v_mad_i64_i32 v[37:38], null, v35, s2, 0
	v_add_f32_e32 v35, v30, v31
	v_add_f32_e32 v35, v35, v36
	v_lshlrev_b64 v[37:38], 2, v[37:38]
	v_add_co_u32 v30, vcc_lo, s4, v37
	v_add_co_ci_u32_e64 v31, null, s5, v38, vcc_lo
	v_add_co_u32 v0, vcc_lo, v30, v0
	v_add_co_ci_u32_e64 v1, null, v31, v1, vcc_lo
	s_and_b32 vcc_lo, exec_lo, s1
	global_store_dword v[0:1], v35, off
	s_cbranch_vccnz .LBB78_82
; %bb.81:
	v_add_co_u32 v0, vcc_lo, v32, v2
	v_add_co_ci_u32_e64 v1, null, v33, v3, vcc_lo
	global_load_dword v0, v[0:1], off
	s_waitcnt vmcnt(0)
	v_mul_f32_e32 v34, s3, v0
.LBB78_82:
	v_add_f32_e32 v0, v28, v29
	v_add_co_u32 v2, vcc_lo, v30, v2
	v_add_co_ci_u32_e64 v3, null, v31, v3, vcc_lo
	v_add_f32_e32 v28, v0, v34
	v_mov_b32_e32 v0, 0
	v_mov_b32_e32 v1, 0
	s_and_b32 vcc_lo, exec_lo, s1
	global_store_dword v[2:3], v28, off
	s_cbranch_vccnz .LBB78_84
; %bb.83:
	v_add_co_u32 v1, vcc_lo, v32, v4
	v_add_co_ci_u32_e64 v2, null, v33, v5, vcc_lo
	global_load_dword v1, v[1:2], off
	s_waitcnt vmcnt(0)
	v_mul_f32_e32 v1, s3, v1
.LBB78_84:
	v_add_f32_e32 v2, v26, v27
	v_add_f32_e32 v3, v2, v1
	v_add_co_u32 v1, vcc_lo, v30, v4
	v_add_co_ci_u32_e64 v2, null, v31, v5, vcc_lo
	s_and_b32 vcc_lo, exec_lo, s1
	global_store_dword v[1:2], v3, off
	s_cbranch_vccnz .LBB78_86
; %bb.85:
	v_add_co_u32 v0, vcc_lo, v32, v6
	v_add_co_ci_u32_e64 v1, null, v33, v7, vcc_lo
	global_load_dword v0, v[0:1], off
	s_waitcnt vmcnt(0)
	v_mul_f32_e32 v0, s3, v0
.LBB78_86:
	v_add_f32_e32 v1, v24, v25
	v_add_co_u32 v2, vcc_lo, v30, v6
	v_add_co_ci_u32_e64 v3, null, v31, v7, vcc_lo
	v_add_f32_e32 v4, v1, v0
	v_mov_b32_e32 v0, 0
	v_mov_b32_e32 v1, 0
	s_and_b32 vcc_lo, exec_lo, s1
	global_store_dword v[2:3], v4, off
	s_cbranch_vccnz .LBB78_88
; %bb.87:
	v_add_co_u32 v1, vcc_lo, v32, v10
	v_add_co_ci_u32_e64 v2, null, v33, v11, vcc_lo
	global_load_dword v1, v[1:2], off
	s_waitcnt vmcnt(0)
	v_mul_f32_e32 v1, s3, v1
.LBB78_88:
	v_add_f32_e32 v2, v22, v23
	v_add_f32_e32 v3, v2, v1
	v_add_co_u32 v1, vcc_lo, v30, v10
	v_add_co_ci_u32_e64 v2, null, v31, v11, vcc_lo
	s_and_b32 vcc_lo, exec_lo, s1
	global_store_dword v[1:2], v3, off
	s_cbranch_vccnz .LBB78_90
; %bb.89:
	v_add_co_u32 v0, vcc_lo, v32, v14
	v_add_co_ci_u32_e64 v1, null, v33, v15, vcc_lo
	global_load_dword v0, v[0:1], off
	s_waitcnt vmcnt(0)
	v_mul_f32_e32 v0, s3, v0
.LBB78_90:
	v_add_f32_e32 v3, v20, v21
	v_add_co_u32 v1, vcc_lo, v30, v14
	v_add_co_ci_u32_e64 v2, null, v31, v15, vcc_lo
	v_add_f32_e32 v3, v3, v0
	v_add_f32_e32 v0, v18, v19
	s_mov_b32 s1, -1
	s_mov_b32 vcc_lo, s0
	global_store_dword v[1:2], v3, off
	s_cbranch_vccz .LBB78_92
; %bb.91:
	v_add_co_u32 v1, vcc_lo, v30, v8
	v_add_f32_e32 v3, 0, v0
	v_add_co_ci_u32_e64 v2, null, v31, v9, vcc_lo
	s_mov_b32 s1, 0
	global_store_dword v[1:2], v3, off
.LBB78_92:
	v_mov_b32_e32 v1, 0
	s_andn2_b32 vcc_lo, exec_lo, s1
	s_cbranch_vccnz .LBB78_94
; %bb.93:
	v_add_co_u32 v1, vcc_lo, v32, v8
	v_add_co_ci_u32_e64 v2, null, v33, v9, vcc_lo
	global_load_dword v3, v[1:2], off
	v_add_co_u32 v1, vcc_lo, v30, v8
	v_add_co_ci_u32_e64 v2, null, v31, v9, vcc_lo
	s_waitcnt vmcnt(0)
	v_fmac_f32_e32 v0, s3, v3
	v_add_co_u32 v3, vcc_lo, v32, v12
	v_add_co_ci_u32_e64 v4, null, v33, v13, vcc_lo
	global_store_dword v[1:2], v0, off
	global_load_dword v0, v[3:4], off
	s_waitcnt vmcnt(0)
	v_mul_f32_e32 v1, s3, v0
.LBB78_94:
	v_add_f32_e32 v0, v16, v17
	v_add_f32_e32 v2, v0, v1
	v_add_co_u32 v0, vcc_lo, v30, v12
	v_add_co_ci_u32_e64 v1, null, v31, v13, vcc_lo
	global_store_dword v[0:1], v2, off
	s_endpgm
	.section	.rodata,"a",@progbits
	.p2align	6, 0x0
	.amdhsa_kernel _ZN12_GLOBAL__N_120geam_min_plus_kernelIf15HIP_vector_typeIfLj2EES2_Li8ELi32ELi64ELi128ELi4ELi64ELi4ELi4ELi64ELc78ELc78ELb0ELb0ELb0EPKfS3_fEEviiiT16_PT17_ilS7_ilS5_S7_ilPT18_ili26rocblas_geam_ex_operation_
		.amdhsa_group_segment_fixed_size 6144
		.amdhsa_private_segment_fixed_size 0
		.amdhsa_kernarg_size 136
		.amdhsa_user_sgpr_count 6
		.amdhsa_user_sgpr_private_segment_buffer 1
		.amdhsa_user_sgpr_dispatch_ptr 0
		.amdhsa_user_sgpr_queue_ptr 0
		.amdhsa_user_sgpr_kernarg_segment_ptr 1
		.amdhsa_user_sgpr_dispatch_id 0
		.amdhsa_user_sgpr_flat_scratch_init 0
		.amdhsa_user_sgpr_private_segment_size 0
		.amdhsa_wavefront_size32 1
		.amdhsa_uses_dynamic_stack 0
		.amdhsa_system_sgpr_private_segment_wavefront_offset 0
		.amdhsa_system_sgpr_workgroup_id_x 1
		.amdhsa_system_sgpr_workgroup_id_y 0
		.amdhsa_system_sgpr_workgroup_id_z 1
		.amdhsa_system_sgpr_workgroup_info 0
		.amdhsa_system_vgpr_workitem_id 1
		.amdhsa_next_free_vgpr 113
		.amdhsa_next_free_sgpr 25
		.amdhsa_reserve_vcc 1
		.amdhsa_reserve_flat_scratch 0
		.amdhsa_float_round_mode_32 0
		.amdhsa_float_round_mode_16_64 0
		.amdhsa_float_denorm_mode_32 3
		.amdhsa_float_denorm_mode_16_64 3
		.amdhsa_dx10_clamp 1
		.amdhsa_ieee_mode 1
		.amdhsa_fp16_overflow 0
		.amdhsa_workgroup_processor_mode 1
		.amdhsa_memory_ordered 1
		.amdhsa_forward_progress 1
		.amdhsa_shared_vgpr_count 0
		.amdhsa_exception_fp_ieee_invalid_op 0
		.amdhsa_exception_fp_denorm_src 0
		.amdhsa_exception_fp_ieee_div_zero 0
		.amdhsa_exception_fp_ieee_overflow 0
		.amdhsa_exception_fp_ieee_underflow 0
		.amdhsa_exception_fp_ieee_inexact 0
		.amdhsa_exception_int_div_zero 0
	.end_amdhsa_kernel
	.section	.text._ZN12_GLOBAL__N_120geam_min_plus_kernelIf15HIP_vector_typeIfLj2EES2_Li8ELi32ELi64ELi128ELi4ELi64ELi4ELi4ELi64ELc78ELc78ELb0ELb0ELb0EPKfS3_fEEviiiT16_PT17_ilS7_ilS5_S7_ilPT18_ili26rocblas_geam_ex_operation_,"axG",@progbits,_ZN12_GLOBAL__N_120geam_min_plus_kernelIf15HIP_vector_typeIfLj2EES2_Li8ELi32ELi64ELi128ELi4ELi64ELi4ELi4ELi64ELc78ELc78ELb0ELb0ELb0EPKfS3_fEEviiiT16_PT17_ilS7_ilS5_S7_ilPT18_ili26rocblas_geam_ex_operation_,comdat
.Lfunc_end78:
	.size	_ZN12_GLOBAL__N_120geam_min_plus_kernelIf15HIP_vector_typeIfLj2EES2_Li8ELi32ELi64ELi128ELi4ELi64ELi4ELi4ELi64ELc78ELc78ELb0ELb0ELb0EPKfS3_fEEviiiT16_PT17_ilS7_ilS5_S7_ilPT18_ili26rocblas_geam_ex_operation_, .Lfunc_end78-_ZN12_GLOBAL__N_120geam_min_plus_kernelIf15HIP_vector_typeIfLj2EES2_Li8ELi32ELi64ELi128ELi4ELi64ELi4ELi4ELi64ELc78ELc78ELb0ELb0ELb0EPKfS3_fEEviiiT16_PT17_ilS7_ilS5_S7_ilPT18_ili26rocblas_geam_ex_operation_
                                        ; -- End function
	.set _ZN12_GLOBAL__N_120geam_min_plus_kernelIf15HIP_vector_typeIfLj2EES2_Li8ELi32ELi64ELi128ELi4ELi64ELi4ELi4ELi64ELc78ELc78ELb0ELb0ELb0EPKfS3_fEEviiiT16_PT17_ilS7_ilS5_S7_ilPT18_ili26rocblas_geam_ex_operation_.num_vgpr, 113
	.set _ZN12_GLOBAL__N_120geam_min_plus_kernelIf15HIP_vector_typeIfLj2EES2_Li8ELi32ELi64ELi128ELi4ELi64ELi4ELi4ELi64ELc78ELc78ELb0ELb0ELb0EPKfS3_fEEviiiT16_PT17_ilS7_ilS5_S7_ilPT18_ili26rocblas_geam_ex_operation_.num_agpr, 0
	.set _ZN12_GLOBAL__N_120geam_min_plus_kernelIf15HIP_vector_typeIfLj2EES2_Li8ELi32ELi64ELi128ELi4ELi64ELi4ELi4ELi64ELc78ELc78ELb0ELb0ELb0EPKfS3_fEEviiiT16_PT17_ilS7_ilS5_S7_ilPT18_ili26rocblas_geam_ex_operation_.numbered_sgpr, 25
	.set _ZN12_GLOBAL__N_120geam_min_plus_kernelIf15HIP_vector_typeIfLj2EES2_Li8ELi32ELi64ELi128ELi4ELi64ELi4ELi4ELi64ELc78ELc78ELb0ELb0ELb0EPKfS3_fEEviiiT16_PT17_ilS7_ilS5_S7_ilPT18_ili26rocblas_geam_ex_operation_.num_named_barrier, 0
	.set _ZN12_GLOBAL__N_120geam_min_plus_kernelIf15HIP_vector_typeIfLj2EES2_Li8ELi32ELi64ELi128ELi4ELi64ELi4ELi4ELi64ELc78ELc78ELb0ELb0ELb0EPKfS3_fEEviiiT16_PT17_ilS7_ilS5_S7_ilPT18_ili26rocblas_geam_ex_operation_.private_seg_size, 0
	.set _ZN12_GLOBAL__N_120geam_min_plus_kernelIf15HIP_vector_typeIfLj2EES2_Li8ELi32ELi64ELi128ELi4ELi64ELi4ELi4ELi64ELc78ELc78ELb0ELb0ELb0EPKfS3_fEEviiiT16_PT17_ilS7_ilS5_S7_ilPT18_ili26rocblas_geam_ex_operation_.uses_vcc, 1
	.set _ZN12_GLOBAL__N_120geam_min_plus_kernelIf15HIP_vector_typeIfLj2EES2_Li8ELi32ELi64ELi128ELi4ELi64ELi4ELi4ELi64ELc78ELc78ELb0ELb0ELb0EPKfS3_fEEviiiT16_PT17_ilS7_ilS5_S7_ilPT18_ili26rocblas_geam_ex_operation_.uses_flat_scratch, 0
	.set _ZN12_GLOBAL__N_120geam_min_plus_kernelIf15HIP_vector_typeIfLj2EES2_Li8ELi32ELi64ELi128ELi4ELi64ELi4ELi4ELi64ELc78ELc78ELb0ELb0ELb0EPKfS3_fEEviiiT16_PT17_ilS7_ilS5_S7_ilPT18_ili26rocblas_geam_ex_operation_.has_dyn_sized_stack, 0
	.set _ZN12_GLOBAL__N_120geam_min_plus_kernelIf15HIP_vector_typeIfLj2EES2_Li8ELi32ELi64ELi128ELi4ELi64ELi4ELi4ELi64ELc78ELc78ELb0ELb0ELb0EPKfS3_fEEviiiT16_PT17_ilS7_ilS5_S7_ilPT18_ili26rocblas_geam_ex_operation_.has_recursion, 0
	.set _ZN12_GLOBAL__N_120geam_min_plus_kernelIf15HIP_vector_typeIfLj2EES2_Li8ELi32ELi64ELi128ELi4ELi64ELi4ELi4ELi64ELc78ELc78ELb0ELb0ELb0EPKfS3_fEEviiiT16_PT17_ilS7_ilS5_S7_ilPT18_ili26rocblas_geam_ex_operation_.has_indirect_call, 0
	.section	.AMDGPU.csdata,"",@progbits
; Kernel info:
; codeLenInByte = 7636
; TotalNumSgprs: 27
; NumVgprs: 113
; ScratchSize: 0
; MemoryBound: 0
; FloatMode: 240
; IeeeMode: 1
; LDSByteSize: 6144 bytes/workgroup (compile time only)
; SGPRBlocks: 0
; VGPRBlocks: 14
; NumSGPRsForWavesPerEU: 27
; NumVGPRsForWavesPerEU: 113
; Occupancy: 8
; WaveLimiterHint : 0
; COMPUTE_PGM_RSRC2:SCRATCH_EN: 0
; COMPUTE_PGM_RSRC2:USER_SGPR: 6
; COMPUTE_PGM_RSRC2:TRAP_HANDLER: 0
; COMPUTE_PGM_RSRC2:TGID_X_EN: 1
; COMPUTE_PGM_RSRC2:TGID_Y_EN: 0
; COMPUTE_PGM_RSRC2:TGID_Z_EN: 1
; COMPUTE_PGM_RSRC2:TIDIG_COMP_CNT: 1
	.section	.text._ZN12_GLOBAL__N_120geam_min_plus_kernelIf15HIP_vector_typeIfLj2EES2_Li8ELi32ELi64ELi128ELi4ELi64ELi4ELi4ELi64ELc78ELc78ELb1ELb0ELb0EfKffEEviiiT16_PT17_ilS6_ilS4_S6_ilPT18_ili26rocblas_geam_ex_operation_,"axG",@progbits,_ZN12_GLOBAL__N_120geam_min_plus_kernelIf15HIP_vector_typeIfLj2EES2_Li8ELi32ELi64ELi128ELi4ELi64ELi4ELi4ELi64ELc78ELc78ELb1ELb0ELb0EfKffEEviiiT16_PT17_ilS6_ilS4_S6_ilPT18_ili26rocblas_geam_ex_operation_,comdat
	.globl	_ZN12_GLOBAL__N_120geam_min_plus_kernelIf15HIP_vector_typeIfLj2EES2_Li8ELi32ELi64ELi128ELi4ELi64ELi4ELi4ELi64ELc78ELc78ELb1ELb0ELb0EfKffEEviiiT16_PT17_ilS6_ilS4_S6_ilPT18_ili26rocblas_geam_ex_operation_ ; -- Begin function _ZN12_GLOBAL__N_120geam_min_plus_kernelIf15HIP_vector_typeIfLj2EES2_Li8ELi32ELi64ELi128ELi4ELi64ELi4ELi4ELi64ELc78ELc78ELb1ELb0ELb0EfKffEEviiiT16_PT17_ilS6_ilS4_S6_ilPT18_ili26rocblas_geam_ex_operation_
	.p2align	8
	.type	_ZN12_GLOBAL__N_120geam_min_plus_kernelIf15HIP_vector_typeIfLj2EES2_Li8ELi32ELi64ELi128ELi4ELi64ELi4ELi4ELi64ELc78ELc78ELb1ELb0ELb0EfKffEEviiiT16_PT17_ilS6_ilS4_S6_ilPT18_ili26rocblas_geam_ex_operation_,@function
_ZN12_GLOBAL__N_120geam_min_plus_kernelIf15HIP_vector_typeIfLj2EES2_Li8ELi32ELi64ELi128ELi4ELi64ELi4ELi4ELi64ELc78ELc78ELb1ELb0ELb0EfKffEEviiiT16_PT17_ilS6_ilS4_S6_ilPT18_ili26rocblas_geam_ex_operation_: ; @_ZN12_GLOBAL__N_120geam_min_plus_kernelIf15HIP_vector_typeIfLj2EES2_Li8ELi32ELi64ELi128ELi4ELi64ELi4ELi4ELi64ELc78ELc78ELb1ELb0ELb0EfKffEEviiiT16_PT17_ilS6_ilS4_S6_ilPT18_ili26rocblas_geam_ex_operation_
; %bb.0:
	s_clause 0x1
	s_load_dwordx2 s[16:17], s[4:5], 0x8
	s_load_dwordx4 s[0:3], s[4:5], 0x20
	s_waitcnt lgkmcnt(0)
	v_cmp_eq_f32_e64 s8, s17, 0
	s_and_b32 vcc_lo, exec_lo, s8
	s_cbranch_vccnz .LBB79_83
; %bb.1:
	s_load_dwordx2 s[10:11], s[4:5], 0x10
	s_mul_i32 s1, s1, s7
	s_mul_hi_u32 s9, s0, s7
	s_mul_i32 s0, s0, s7
	s_add_i32 s1, s9, s1
	s_lshl_b64 s[0:1], s[0:1], 2
	s_waitcnt lgkmcnt(0)
	s_add_u32 s18, s10, s0
	s_addc_u32 s19, s11, s1
	s_andn2_b32 vcc_lo, exec_lo, s8
	s_mov_b32 s0, -1
	s_cbranch_vccnz .LBB79_3
.LBB79_2:
	s_mov_b32 s0, 0
.LBB79_3:
	s_mov_b64 s[12:13], 0
	s_andn2_b32 vcc_lo, exec_lo, s0
	s_mov_b64 s[14:15], 0
	s_cbranch_vccnz .LBB79_5
; %bb.4:
	s_load_dwordx2 s[0:1], s[4:5], 0x38
	s_waitcnt lgkmcnt(0)
	s_mul_i32 s1, s1, s7
	s_mul_hi_u32 s8, s0, s7
	s_mul_i32 s0, s0, s7
	s_add_i32 s1, s8, s1
	s_lshl_b64 s[0:1], s[0:1], 2
	s_add_u32 s14, s2, s0
	s_addc_u32 s15, s3, s1
.LBB79_5:
	s_clause 0x1
	s_load_dword s2, s[4:5], 0x40
	s_load_dwordx4 s[8:11], s[4:5], 0x58
	s_mov_b32 s17, 0
	s_waitcnt lgkmcnt(0)
	v_cmp_eq_f32_e64 s0, s2, 0
	s_and_b32 s0, exec_lo, s0
	s_mov_b32 vcc_lo, s0
	s_cbranch_vccnz .LBB79_7
; %bb.6:
	s_load_dwordx2 s[12:13], s[4:5], 0x48
	s_mul_i32 s1, s9, s7
	s_mul_hi_u32 s3, s8, s7
	s_mul_i32 s8, s8, s7
	s_add_i32 s9, s3, s1
	s_lshl_b64 s[8:9], s[8:9], 2
	s_waitcnt lgkmcnt(0)
	s_add_u32 s12, s12, s8
	s_addc_u32 s13, s13, s9
.LBB79_7:
	s_clause 0x2
	s_load_dword s1, s[4:5], 0x0
	s_load_dword s8, s[4:5], 0x18
	;; [unrolled: 1-line block ×3, first 2 shown]
	v_and_b32_e32 v12, 3, v0
	v_lshl_add_u32 v3, v1, 3, v0
	v_mov_b32_e32 v76, 0
	v_lshl_or_b32 v81, v0, 4, 0x1000
	v_lshlrev_b32_e32 v82, 4, v1
	v_lshlrev_b32_e32 v79, 2, v12
	v_lshrrev_b32_e32 v13, 6, v3
	v_lshrrev_b32_e32 v80, 2, v3
	v_and_b32_e32 v18, 63, v3
	v_mov_b32_e32 v77, v76
	v_mov_b32_e32 v74, v76
	v_add_nc_u32_e32 v78, 4, v13
	v_mov_b32_e32 v75, v76
	v_mov_b32_e32 v72, v76
	;; [unrolled: 1-line block ×5, first 2 shown]
	s_waitcnt lgkmcnt(0)
	s_add_i32 s1, s1, -1
	v_mad_i64_i32 v[4:5], null, s8, v78, 0
	s_ashr_i32 s3, s1, 31
	v_mov_b32_e32 v68, v76
	s_lshr_b32 s3, s3, 26
	v_mov_b32_e32 v69, v76
	s_add_i32 s1, s1, s3
	v_mov_b32_e32 v66, v76
	s_ashr_i32 s1, s1, 6
	v_lshlrev_b64 v[4:5], 2, v[4:5]
	s_add_i32 s3, s1, 1
	s_not_b32 s1, s1
	v_cvt_f32_u32_e32 v2, s3
	v_mov_b32_e32 v67, v76
	v_mov_b32_e32 v64, v76
	;; [unrolled: 1-line block ×4, first 2 shown]
	v_rcp_iflag_f32_e32 v2, v2
	v_mov_b32_e32 v63, v76
	v_mov_b32_e32 v60, v76
	;; [unrolled: 1-line block ×9, first 2 shown]
	v_mul_f32_e32 v2, 0x4f7ffffe, v2
	v_mov_b32_e32 v52, v76
	v_mov_b32_e32 v53, v76
	;; [unrolled: 1-line block ×4, first 2 shown]
	v_cvt_u32_f32_e32 v2, v2
	v_mov_b32_e32 v48, v76
	v_mov_b32_e32 v49, v76
	;; [unrolled: 1-line block ×4, first 2 shown]
	v_readfirstlane_b32 s9, v2
	v_mad_i64_i32 v[2:3], null, s8, v13, 0
	v_mov_b32_e32 v44, v76
	v_mov_b32_e32 v45, v76
	s_mul_i32 s1, s1, s9
	v_mov_b32_e32 v42, v76
	s_mul_hi_u32 s1, s9, s1
	v_mov_b32_e32 v43, v76
	s_add_i32 s9, s9, s1
	v_add_co_u32 v14, s1, s14, v79
	v_add_co_ci_u32_e64 v15, null, s15, 0, s1
	s_mul_hi_u32 s1, s6, s9
	s_ashr_i32 s9, s8, 31
	s_mul_i32 s21, s1, s3
	s_add_i32 s22, s1, 1
	s_sub_i32 s21, s6, s21
	v_lshlrev_b64 v[2:3], 2, v[2:3]
	s_sub_i32 s23, s21, s3
	s_cmp_ge_u32 s21, s3
	v_mov_b32_e32 v40, v76
	s_cselect_b32 s1, s22, s1
	s_cselect_b32 s21, s23, s21
	s_add_i32 s22, s1, 1
	s_cmp_ge_u32 s21, s3
	v_add_co_u32 v16, vcc_lo, s18, v2
	s_cselect_b32 s1, s22, s1
	v_add_co_ci_u32_e64 v17, null, s19, v3, vcc_lo
	s_mul_i32 s21, s1, s3
	s_lshl_b32 s3, s1, 7
	s_sub_i32 s1, s6, s21
	v_add_nc_u32_e32 v7, s3, v80
	s_lshl_b32 s1, s1, 6
	v_add_co_u32 v19, vcc_lo, s18, v4
	v_or_b32_e32 v6, s1, v18
	v_mad_i64_i32 v[8:9], null, v7, s20, 0
	v_add_nc_u32_e32 v7, 64, v7
	v_add_co_ci_u32_e64 v20, null, s19, v5, vcc_lo
	v_cmp_neq_f32_e64 s6, s2, 0
	v_mov_b32_e32 v41, v76
	v_mad_i64_i32 v[10:11], null, v7, s20, 0
	v_ashrrev_i32_e32 v7, 31, v6
	v_lshlrev_b64 v[2:3], 2, v[8:9]
	v_mov_b32_e32 v38, v76
	v_mov_b32_e32 v39, v76
	;; [unrolled: 1-line block ×3, first 2 shown]
	v_lshlrev_b64 v[6:7], 2, v[6:7]
	v_lshlrev_b64 v[4:5], 2, v[10:11]
	v_add_co_u32 v10, vcc_lo, v14, v2
	v_add_co_ci_u32_e64 v11, null, v15, v3, vcc_lo
	v_add_co_u32 v8, vcc_lo, v16, v6
	v_add_co_ci_u32_e64 v9, null, v17, v7, vcc_lo
	;; [unrolled: 2-line block ×4, first 2 shown]
	global_load_dword v85, v[8:9], off
	s_clause 0x1
	global_load_dword v86, v[10:11], off
	global_load_dword v87, v[14:15], off
	;; [unrolled: 1-line block ×3, first 2 shown]
	s_clause 0x1
	global_load_dword v9, v[14:15], off offset:16
	global_load_dword v10, v[10:11], off offset:16
	v_lshlrev_b32_e32 v11, 4, v18
	v_mov_b32_e32 v14, v76
	v_mov_b32_e32 v15, v76
	v_mov_b32_e32 v37, v76
	v_mov_b32_e32 v34, v76
	v_lshl_add_u32 v11, v13, 2, v11
	v_mov_b32_e32 v35, v76
	v_mov_b32_e32 v32, v76
	;; [unrolled: 1-line block ×17, first 2 shown]
	v_lshl_or_b32 v83, v80, 4, v79
	v_mov_b32_e32 v16, v76
	v_mov_b32_e32 v17, v76
	v_or_b32_e32 v84, 0x1000, v11
	s_mov_b32 s20, -1
	s_waitcnt vmcnt(5)
	ds_write_b32 v11, v85 offset:4096
	s_waitcnt vmcnt(3)
	ds_write2st64_b32 v83, v86, v87 offset1:4
	s_waitcnt vmcnt(0) lgkmcnt(0)
	s_barrier
	buffer_gl0_inv
.LBB79_8:                               ; =>This Inner Loop Header: Depth=1
	v_cndmask_b32_e64 v79, 0, 1, s20
	s_lshl_b32 s17, s17, 2
	s_mov_b32 s20, 0
	v_cmp_ne_u32_e32 vcc_lo, 1, v79
	v_add_nc_u32_e32 v79, s17, v81
	ds_read2_b64 v[85:88], v79 offset1:16
	ds_read2_b64 v[89:92], v79 offset0:32 offset1:48
	ds_read2_b64 v[93:96], v79 offset0:64 offset1:80
	;; [unrolled: 1-line block ×3, first 2 shown]
	v_add_nc_u32_e32 v79, s17, v82
	s_and_b32 vcc_lo, exec_lo, vcc_lo
	s_mov_b32 s17, 2
	ds_read2st64_b64 v[101:104], v79 offset1:1
	ds_read2st64_b64 v[105:108], v79 offset0:2 offset1:3
	s_waitcnt lgkmcnt(5)
	v_max_f32_e32 v80, v85, v85
	v_max_f32_e32 v86, v86, v86
	;; [unrolled: 1-line block ×3, first 2 shown]
	s_waitcnt lgkmcnt(4)
	v_max_f32_e32 v90, v90, v90
	v_max_f32_e32 v92, v92, v92
	s_waitcnt lgkmcnt(3)
	v_max_f32_e32 v94, v94, v94
	v_max_f32_e32 v96, v96, v96
	s_waitcnt lgkmcnt(2)
	v_max_f32_e32 v98, v98, v98
	s_waitcnt lgkmcnt(1)
	v_max_f32_e32 v79, v101, v101
	v_max_f32_e32 v101, v102, v102
	v_min_f32_e32 v85, v80, v79
	v_min_f32_e32 v102, v86, v101
	v_add_f32_e32 v76, v85, v76
	v_max_f32_e32 v85, v87, v87
	v_add_f32_e32 v77, v102, v77
	v_min_f32_e32 v102, v88, v101
	v_min_f32_e32 v87, v85, v79
	v_add_f32_e32 v75, v102, v75
	v_min_f32_e32 v102, v90, v101
	v_add_f32_e32 v74, v87, v74
	v_max_f32_e32 v87, v89, v89
	v_add_f32_e32 v73, v102, v73
	v_min_f32_e32 v102, v92, v101
	v_min_f32_e32 v89, v87, v79
	v_add_f32_e32 v71, v102, v71
	;; [unrolled: 7-line block ×3, first 2 shown]
	v_add_f32_e32 v70, v91, v70
	v_max_f32_e32 v91, v93, v93
	v_min_f32_e32 v102, v98, v101
	v_min_f32_e32 v93, v91, v79
	v_add_f32_e32 v67, v102, v67
	v_add_f32_e32 v14, v93, v14
	v_max_f32_e32 v93, v95, v95
	v_min_f32_e32 v95, v93, v79
	v_add_f32_e32 v68, v95, v68
	v_max_f32_e32 v95, v97, v97
	v_min_f32_e32 v97, v95, v79
	v_add_f32_e32 v66, v97, v66
	v_max_f32_e32 v97, v99, v99
	v_max_f32_e32 v99, v100, v100
	v_min_f32_e32 v79, v97, v79
	v_min_f32_e32 v100, v99, v101
	v_max_f32_e32 v101, v104, v104
	v_add_f32_e32 v64, v79, v64
	v_max_f32_e32 v79, v103, v103
	v_add_f32_e32 v65, v100, v65
	v_min_f32_e32 v102, v86, v101
	v_min_f32_e32 v100, v80, v79
	v_add_f32_e32 v63, v102, v63
	v_min_f32_e32 v102, v88, v101
	v_add_f32_e32 v62, v100, v62
	v_min_f32_e32 v100, v85, v79
	v_add_f32_e32 v61, v102, v61
	v_min_f32_e32 v102, v90, v101
	v_add_f32_e32 v60, v100, v60
	v_min_f32_e32 v100, v87, v79
	v_add_f32_e32 v59, v102, v59
	v_min_f32_e32 v102, v92, v101
	v_add_f32_e32 v58, v100, v58
	v_min_f32_e32 v100, v89, v79
	v_add_f32_e32 v57, v102, v57
	v_min_f32_e32 v102, v94, v101
	v_add_f32_e32 v56, v100, v56
	v_min_f32_e32 v100, v91, v79
	v_add_f32_e32 v55, v102, v55
	v_min_f32_e32 v102, v96, v101
	v_add_f32_e32 v54, v100, v54
	v_min_f32_e32 v100, v93, v79
	v_add_f32_e32 v53, v102, v53
	v_min_f32_e32 v102, v98, v101
	v_add_f32_e32 v52, v100, v52
	v_min_f32_e32 v100, v95, v79
	v_min_f32_e32 v79, v97, v79
	v_add_f32_e32 v51, v102, v51
	v_add_f32_e32 v50, v100, v50
	v_min_f32_e32 v100, v99, v101
	v_add_f32_e32 v48, v79, v48
	s_waitcnt lgkmcnt(0)
	v_max_f32_e32 v79, v105, v105
	v_max_f32_e32 v101, v106, v106
	v_add_f32_e32 v49, v100, v49
	v_min_f32_e32 v100, v80, v79
	v_min_f32_e32 v102, v86, v101
	v_add_f32_e32 v46, v100, v46
	v_min_f32_e32 v100, v85, v79
	v_add_f32_e32 v47, v102, v47
	v_min_f32_e32 v102, v88, v101
	v_add_f32_e32 v44, v100, v44
	v_min_f32_e32 v100, v87, v79
	v_add_f32_e32 v45, v102, v45
	v_min_f32_e32 v102, v90, v101
	v_add_f32_e32 v42, v100, v42
	v_min_f32_e32 v100, v89, v79
	v_add_f32_e32 v43, v102, v43
	v_min_f32_e32 v102, v92, v101
	v_add_f32_e32 v40, v100, v40
	v_min_f32_e32 v100, v91, v79
	v_add_f32_e32 v41, v102, v41
	v_min_f32_e32 v102, v94, v101
	v_add_f32_e32 v38, v100, v38
	v_min_f32_e32 v100, v93, v79
	v_add_f32_e32 v39, v102, v39
	v_min_f32_e32 v102, v96, v101
	v_add_f32_e32 v36, v100, v36
	v_min_f32_e32 v100, v95, v79
	v_min_f32_e32 v79, v97, v79
	v_add_f32_e32 v37, v102, v37
	v_min_f32_e32 v102, v98, v101
	v_add_f32_e32 v34, v100, v34
	v_add_f32_e32 v32, v79, v32
	v_max_f32_e32 v79, v107, v107
	v_min_f32_e32 v100, v99, v101
	v_add_f32_e32 v35, v102, v35
	v_min_f32_e32 v80, v80, v79
	v_add_f32_e32 v33, v100, v33
	v_max_f32_e32 v100, v108, v108
	v_add_f32_e32 v30, v80, v30
	v_min_f32_e32 v80, v85, v79
	v_min_f32_e32 v85, v88, v100
	;; [unrolled: 1-line block ×3, first 2 shown]
	v_add_f32_e32 v28, v80, v28
	v_min_f32_e32 v80, v87, v79
	v_add_f32_e32 v29, v85, v29
	v_min_f32_e32 v85, v90, v100
	v_add_f32_e32 v31, v86, v31
	v_add_f32_e32 v26, v80, v26
	v_min_f32_e32 v80, v89, v79
	v_add_f32_e32 v27, v85, v27
	v_min_f32_e32 v85, v92, v100
	;; [unrolled: 2-line block ×8, first 2 shown]
	v_min_f32_e32 v79, v97, v79
	v_add_f32_e32 v18, v80, v18
	v_min_f32_e32 v80, v99, v100
	v_add_f32_e32 v19, v85, v19
	v_add_f32_e32 v16, v79, v16
	;; [unrolled: 1-line block ×3, first 2 shown]
	s_cbranch_vccz .LBB79_8
; %bb.9:
	v_lshl_add_u32 v79, v0, 4, 0x1400
	v_lshl_add_u32 v80, v1, 4, 0x800
	s_cmp_lt_i32 s16, 9
	ds_write_b32 v11, v8 offset:5120
	ds_write2st64_b32 v83, v10, v9 offset0:8 offset1:12
	s_waitcnt lgkmcnt(0)
	s_barrier
	buffer_gl0_inv
	s_cbranch_scc1 .LBB79_16
; %bb.10:
	v_add_co_u32 v87, vcc_lo, s18, v6
	v_add_nc_u32_e32 v85, 0x1400, v11
	v_add_nc_u32_e32 v86, 0x800, v83
	v_add_co_ci_u32_e64 v88, null, s19, v7, vcc_lo
	v_mov_b32_e32 v7, 0
	s_add_i32 s16, s16, -8
	s_mov_b32 s17, 8
	s_mov_b32 s18, 0
.LBB79_11:                              ; =>This Loop Header: Depth=1
                                        ;     Child Loop BB79_12 Depth 2
                                        ;     Child Loop BB79_14 Depth 2
	v_add_nc_u32_e32 v10, s17, v13
	v_or_b32_e32 v6, s17, v12
	s_mov_b32 s20, -1
	s_mov_b32 s19, 0
	v_mad_u64_u32 v[8:9], null, v10, s8, 0
	v_mad_u64_u32 v[9:10], null, v10, s9, v[9:10]
	v_lshlrev_b64 v[10:11], 2, v[6:7]
	v_add_co_u32 v6, vcc_lo, s14, v10
	v_add_co_ci_u32_e64 v91, null, s15, v11, vcc_lo
	v_lshlrev_b64 v[10:11], 2, v[8:9]
	v_add_co_u32 v8, vcc_lo, v6, v2
	v_add_co_ci_u32_e64 v9, null, v91, v3, vcc_lo
	v_add_co_u32 v89, vcc_lo, v87, v10
	v_add_co_ci_u32_e64 v90, null, v88, v11, vcc_lo
	;; [unrolled: 2-line block ×3, first 2 shown]
	global_load_dword v89, v[89:90], off
	s_clause 0x1
	global_load_dword v6, v[8:9], off
	global_load_dword v90, v[10:11], off
.LBB79_12:                              ;   Parent Loop BB79_11 Depth=1
                                        ; =>  This Inner Loop Header: Depth=2
	s_lshl_b32 s19, s19, 2
	v_cndmask_b32_e64 v91, 0, 1, s20
	v_add_nc_u32_e32 v103, s19, v79
	v_add_nc_u32_e32 v111, s19, v80
	s_mov_b32 s20, 0
	s_mov_b32 s19, 2
	v_cmp_ne_u32_e32 vcc_lo, 1, v91
	ds_read2_b64 v[91:94], v103 offset1:16
	ds_read2_b64 v[95:98], v103 offset0:32 offset1:48
	ds_read2_b64 v[99:102], v103 offset0:64 offset1:80
	ds_read2_b64 v[103:106], v103 offset0:96 offset1:112
	ds_read2st64_b64 v[107:110], v111 offset1:1
	ds_read2st64_b64 v[111:114], v111 offset0:2 offset1:3
	s_and_b32 vcc_lo, exec_lo, vcc_lo
	s_waitcnt lgkmcnt(5)
	v_max_f32_e32 v116, v92, v92
	v_max_f32_e32 v115, v91, v91
	s_waitcnt lgkmcnt(1)
	v_max_f32_e32 v108, v108, v108
	v_max_f32_e32 v107, v107, v107
	v_min_f32_e32 v92, v116, v108
	v_min_f32_e32 v91, v115, v107
	v_add_f32_e32 v77, v92, v77
	v_max_f32_e32 v92, v93, v93
	v_max_f32_e32 v93, v94, v94
	v_add_f32_e32 v76, v91, v76
	v_min_f32_e32 v91, v92, v107
	v_min_f32_e32 v94, v93, v108
	v_add_f32_e32 v74, v91, v74
	v_add_f32_e32 v75, v94, v75
	v_max_f32_e32 v94, v95, v95
	v_max_f32_e32 v95, v96, v96
	v_min_f32_e32 v91, v94, v107
	v_min_f32_e32 v96, v95, v108
	v_add_f32_e32 v72, v91, v72
	v_add_f32_e32 v73, v96, v73
	v_max_f32_e32 v96, v97, v97
	v_max_f32_e32 v97, v98, v98
	;; [unrolled: 6-line block ×6, first 2 shown]
	v_min_f32_e32 v105, v104, v107
	v_min_f32_e32 v106, v91, v108
	v_max_f32_e32 v107, v110, v110
	v_add_f32_e32 v64, v105, v64
	v_max_f32_e32 v105, v109, v109
	v_add_f32_e32 v65, v106, v65
	v_min_f32_e32 v108, v116, v107
	v_min_f32_e32 v106, v115, v105
	v_add_f32_e32 v63, v108, v63
	v_min_f32_e32 v108, v93, v107
	v_add_f32_e32 v62, v106, v62
	;; [unrolled: 2-line block ×12, first 2 shown]
	v_min_f32_e32 v106, v102, v105
	v_min_f32_e32 v105, v104, v105
	v_add_f32_e32 v51, v108, v51
	v_add_f32_e32 v50, v106, v50
	v_min_f32_e32 v106, v91, v107
	v_add_f32_e32 v48, v105, v48
	s_waitcnt lgkmcnt(0)
	v_max_f32_e32 v105, v111, v111
	v_max_f32_e32 v107, v112, v112
	v_add_f32_e32 v49, v106, v49
	v_min_f32_e32 v106, v115, v105
	v_min_f32_e32 v108, v116, v107
	v_add_f32_e32 v46, v106, v46
	v_min_f32_e32 v106, v92, v105
	v_add_f32_e32 v47, v108, v47
	;; [unrolled: 2-line block ×11, first 2 shown]
	v_min_f32_e32 v106, v102, v105
	v_min_f32_e32 v105, v104, v105
	v_add_f32_e32 v37, v108, v37
	v_min_f32_e32 v108, v103, v107
	v_add_f32_e32 v34, v106, v34
	v_add_f32_e32 v32, v105, v32
	v_max_f32_e32 v105, v113, v113
	v_min_f32_e32 v106, v91, v107
	v_max_f32_e32 v107, v114, v114
	v_add_f32_e32 v35, v108, v35
	v_min_f32_e32 v92, v92, v105
	v_add_f32_e32 v33, v106, v33
	v_min_f32_e32 v93, v93, v107
	v_min_f32_e32 v106, v115, v105
	;; [unrolled: 1-line block ×3, first 2 shown]
	v_add_f32_e32 v28, v92, v28
	v_min_f32_e32 v92, v94, v105
	v_add_f32_e32 v29, v93, v29
	v_min_f32_e32 v93, v95, v107
	v_min_f32_e32 v91, v91, v107
	v_add_f32_e32 v31, v108, v31
	v_add_f32_e32 v26, v92, v26
	v_min_f32_e32 v92, v96, v105
	v_add_f32_e32 v27, v93, v27
	v_min_f32_e32 v93, v97, v107
	v_add_f32_e32 v30, v106, v30
	v_add_f32_e32 v17, v91, v17
	;; [unrolled: 1-line block ×3, first 2 shown]
	v_min_f32_e32 v92, v98, v105
	v_add_f32_e32 v25, v93, v25
	v_min_f32_e32 v93, v99, v107
	v_add_f32_e32 v22, v92, v22
	;; [unrolled: 2-line block ×7, first 2 shown]
	v_add_f32_e32 v16, v92, v16
	s_cbranch_vccz .LBB79_12
; %bb.13:                               ;   in Loop: Header=BB79_11 Depth=1
	v_add_nc_u32_e32 v93, s17, v78
	s_waitcnt vmcnt(2)
	ds_write_b32 v84, v89
	s_waitcnt vmcnt(0)
	ds_write2st64_b32 v83, v6, v90 offset1:4
	s_waitcnt lgkmcnt(0)
	s_barrier
	v_mad_u64_u32 v[91:92], null, v93, s8, 0
	buffer_gl0_inv
	s_mov_b32 s19, -1
	v_mad_u64_u32 v[92:93], null, v93, s9, v[92:93]
	v_lshlrev_b64 v[91:92], 2, v[91:92]
	v_add_co_u32 v91, vcc_lo, v87, v91
	v_add_co_ci_u32_e64 v92, null, v88, v92, vcc_lo
	global_load_dword v6, v[91:92], off
	s_clause 0x1
	global_load_dword v8, v[8:9], off offset:16
	global_load_dword v9, v[10:11], off offset:16
.LBB79_14:                              ;   Parent Loop BB79_11 Depth=1
                                        ; =>  This Inner Loop Header: Depth=2
	s_lshl_b32 s20, s20, 2
	s_andn2_b32 vcc_lo, exec_lo, s19
	v_add_nc_u32_e32 v10, s20, v81
	s_mov_b32 s19, 0
	ds_read2_b64 v[89:92], v10 offset1:16
	ds_read2_b64 v[93:96], v10 offset0:32 offset1:48
	ds_read2_b64 v[97:100], v10 offset0:64 offset1:80
	;; [unrolled: 1-line block ×3, first 2 shown]
	v_add_nc_u32_e32 v10, s20, v82
	s_mov_b32 s20, 2
	ds_read2st64_b64 v[105:108], v10 offset1:1
	ds_read2st64_b64 v[109:112], v10 offset0:2 offset1:3
	s_waitcnt lgkmcnt(5)
	v_max_f32_e32 v11, v89, v89
	v_max_f32_e32 v90, v90, v90
	v_max_f32_e32 v92, v92, v92
	s_waitcnt lgkmcnt(4)
	v_max_f32_e32 v94, v94, v94
	v_max_f32_e32 v96, v96, v96
	s_waitcnt lgkmcnt(3)
	v_max_f32_e32 v98, v98, v98
	v_max_f32_e32 v100, v100, v100
	s_waitcnt lgkmcnt(2)
	v_max_f32_e32 v102, v102, v102
	s_waitcnt lgkmcnt(1)
	v_max_f32_e32 v10, v105, v105
	v_max_f32_e32 v105, v106, v106
	v_min_f32_e32 v89, v11, v10
	v_min_f32_e32 v106, v90, v105
	v_add_f32_e32 v76, v89, v76
	v_max_f32_e32 v89, v91, v91
	v_add_f32_e32 v77, v106, v77
	v_min_f32_e32 v106, v92, v105
	v_min_f32_e32 v91, v89, v10
	v_add_f32_e32 v75, v106, v75
	v_min_f32_e32 v106, v94, v105
	v_add_f32_e32 v74, v91, v74
	v_max_f32_e32 v91, v93, v93
	v_add_f32_e32 v73, v106, v73
	v_min_f32_e32 v106, v96, v105
	v_min_f32_e32 v93, v91, v10
	v_add_f32_e32 v71, v106, v71
	;; [unrolled: 7-line block ×3, first 2 shown]
	v_add_f32_e32 v70, v95, v70
	v_max_f32_e32 v95, v97, v97
	v_min_f32_e32 v106, v102, v105
	v_min_f32_e32 v97, v95, v10
	v_add_f32_e32 v67, v106, v67
	v_add_f32_e32 v14, v97, v14
	v_max_f32_e32 v97, v99, v99
	v_min_f32_e32 v99, v97, v10
	v_add_f32_e32 v68, v99, v68
	v_max_f32_e32 v99, v101, v101
	v_min_f32_e32 v101, v99, v10
	v_add_f32_e32 v66, v101, v66
	v_max_f32_e32 v101, v103, v103
	v_max_f32_e32 v103, v104, v104
	v_min_f32_e32 v10, v101, v10
	v_min_f32_e32 v104, v103, v105
	v_max_f32_e32 v105, v108, v108
	v_add_f32_e32 v64, v10, v64
	v_max_f32_e32 v10, v107, v107
	v_add_f32_e32 v65, v104, v65
	v_min_f32_e32 v106, v90, v105
	v_min_f32_e32 v104, v11, v10
	v_add_f32_e32 v63, v106, v63
	v_min_f32_e32 v106, v92, v105
	v_add_f32_e32 v62, v104, v62
	;; [unrolled: 2-line block ×12, first 2 shown]
	v_min_f32_e32 v104, v99, v10
	v_min_f32_e32 v10, v101, v10
	v_add_f32_e32 v51, v106, v51
	v_add_f32_e32 v50, v104, v50
	v_min_f32_e32 v104, v103, v105
	v_add_f32_e32 v48, v10, v48
	s_waitcnt lgkmcnt(0)
	v_max_f32_e32 v10, v109, v109
	v_max_f32_e32 v105, v110, v110
	v_add_f32_e32 v49, v104, v49
	v_min_f32_e32 v104, v11, v10
	v_min_f32_e32 v106, v90, v105
	v_add_f32_e32 v46, v104, v46
	v_min_f32_e32 v104, v89, v10
	v_add_f32_e32 v47, v106, v47
	;; [unrolled: 2-line block ×11, first 2 shown]
	v_min_f32_e32 v104, v99, v10
	v_min_f32_e32 v10, v101, v10
	v_add_f32_e32 v37, v106, v37
	v_min_f32_e32 v106, v102, v105
	v_add_f32_e32 v34, v104, v34
	v_add_f32_e32 v32, v10, v32
	v_max_f32_e32 v10, v111, v111
	v_min_f32_e32 v104, v103, v105
	v_add_f32_e32 v35, v106, v35
	v_min_f32_e32 v11, v11, v10
	v_add_f32_e32 v33, v104, v33
	v_max_f32_e32 v104, v112, v112
	v_add_f32_e32 v30, v11, v30
	v_min_f32_e32 v11, v89, v10
	v_min_f32_e32 v89, v92, v104
	v_min_f32_e32 v90, v90, v104
	v_add_f32_e32 v28, v11, v28
	v_min_f32_e32 v11, v91, v10
	v_add_f32_e32 v29, v89, v29
	v_min_f32_e32 v89, v94, v104
	v_add_f32_e32 v31, v90, v31
	v_add_f32_e32 v26, v11, v26
	v_min_f32_e32 v11, v93, v10
	v_add_f32_e32 v27, v89, v27
	v_min_f32_e32 v89, v96, v104
	;; [unrolled: 2-line block ×8, first 2 shown]
	v_min_f32_e32 v10, v101, v10
	v_add_f32_e32 v18, v11, v18
	v_min_f32_e32 v11, v103, v104
	v_add_f32_e32 v19, v89, v19
	v_add_f32_e32 v16, v10, v16
	;; [unrolled: 1-line block ×3, first 2 shown]
	s_cbranch_vccz .LBB79_14
; %bb.15:                               ;   in Loop: Header=BB79_11 Depth=1
	s_add_i32 s18, s18, 8
	s_add_i32 s17, s17, 8
	s_cmp_ge_i32 s18, s16
	s_waitcnt vmcnt(2)
	ds_write_b32 v85, v6
	s_waitcnt vmcnt(0)
	ds_write2st64_b32 v86, v8, v9 offset1:4
	s_waitcnt lgkmcnt(0)
	s_barrier
	buffer_gl0_inv
	s_cbranch_scc0 .LBB79_11
.LBB79_16:
	s_mov_b32 s9, 0
	s_mov_b32 s8, -1
.LBB79_17:                              ; =>This Inner Loop Header: Depth=1
	s_lshl_b32 s9, s9, 2
	s_andn2_b32 vcc_lo, exec_lo, s8
	v_add_nc_u32_e32 v78, s9, v79
	s_mov_b32 s8, 0
	ds_read2_b64 v[2:5], v78 offset1:16
	ds_read2_b64 v[6:9], v78 offset0:32 offset1:48
	ds_read2_b64 v[10:13], v78 offset0:64 offset1:80
	;; [unrolled: 1-line block ×3, first 2 shown]
	v_add_nc_u32_e32 v78, s9, v80
	s_mov_b32 s9, 2
	ds_read2st64_b64 v[85:88], v78 offset1:1
	ds_read2st64_b64 v[89:92], v78 offset0:2 offset1:3
	s_waitcnt lgkmcnt(5)
	v_max_f32_e32 v2, v2, v2
	v_max_f32_e32 v4, v4, v4
	s_waitcnt lgkmcnt(4)
	v_max_f32_e32 v6, v6, v6
	v_max_f32_e32 v8, v8, v8
	;; [unrolled: 3-line block ×5, first 2 shown]
	v_max_f32_e32 v84, v84, v84
	v_max_f32_e32 v3, v3, v3
	;; [unrolled: 1-line block ×3, first 2 shown]
	v_min_f32_e32 v85, v2, v78
	v_max_f32_e32 v7, v7, v7
	v_max_f32_e32 v9, v9, v9
	v_min_f32_e32 v93, v3, v86
	v_max_f32_e32 v11, v11, v11
	v_add_f32_e32 v76, v85, v76
	v_min_f32_e32 v85, v4, v78
	v_max_f32_e32 v13, v13, v13
	v_add_f32_e32 v77, v93, v77
	;; [unrolled: 3-line block ×3, first 2 shown]
	v_min_f32_e32 v85, v6, v78
	v_add_f32_e32 v75, v93, v75
	v_min_f32_e32 v93, v7, v86
	v_add_f32_e32 v72, v85, v72
	;; [unrolled: 2-line block ×8, first 2 shown]
	v_min_f32_e32 v85, v81, v78
	v_min_f32_e32 v78, v83, v78
	v_add_f32_e32 v69, v93, v69
	v_min_f32_e32 v93, v82, v86
	v_add_f32_e32 v66, v85, v66
	;; [unrolled: 2-line block ×3, first 2 shown]
	v_max_f32_e32 v78, v87, v87
	v_max_f32_e32 v86, v88, v88
	v_add_f32_e32 v67, v93, v67
	v_add_f32_e32 v65, v85, v65
	v_min_f32_e32 v85, v2, v78
	v_min_f32_e32 v87, v3, v86
	v_add_f32_e32 v62, v85, v62
	v_min_f32_e32 v85, v4, v78
	v_add_f32_e32 v63, v87, v63
	;; [unrolled: 2-line block ×11, first 2 shown]
	v_min_f32_e32 v85, v81, v78
	v_min_f32_e32 v78, v83, v78
	v_add_f32_e32 v53, v87, v53
	v_min_f32_e32 v87, v82, v86
	v_add_f32_e32 v50, v85, v50
	;; [unrolled: 2-line block ×3, first 2 shown]
	s_waitcnt lgkmcnt(0)
	v_max_f32_e32 v78, v89, v89
	v_max_f32_e32 v86, v90, v90
	v_add_f32_e32 v51, v87, v51
	v_add_f32_e32 v49, v85, v49
	v_min_f32_e32 v85, v2, v78
	v_min_f32_e32 v87, v3, v86
	v_add_f32_e32 v46, v85, v46
	v_min_f32_e32 v85, v4, v78
	v_add_f32_e32 v47, v87, v47
	;; [unrolled: 2-line block ×11, first 2 shown]
	v_min_f32_e32 v85, v81, v78
	v_min_f32_e32 v78, v83, v78
	v_add_f32_e32 v37, v87, v37
	v_min_f32_e32 v87, v82, v86
	v_add_f32_e32 v34, v85, v34
	;; [unrolled: 2-line block ×3, first 2 shown]
	v_max_f32_e32 v78, v91, v91
	v_add_f32_e32 v35, v87, v35
	v_add_f32_e32 v33, v85, v33
	v_max_f32_e32 v85, v92, v92
	v_min_f32_e32 v2, v2, v78
	v_min_f32_e32 v3, v3, v85
	v_add_f32_e32 v30, v2, v30
	v_min_f32_e32 v2, v4, v78
	v_add_f32_e32 v31, v3, v31
	;; [unrolled: 2-line block ×15, first 2 shown]
	v_add_f32_e32 v17, v3, v17
	s_cbranch_vccz .LBB79_17
; %bb.18:
	s_load_dword s8, s[4:5], 0x50
	v_add_nc_u32_e32 v78, s3, v1
	v_add_nc_u32_e32 v12, s1, v0
	v_cndmask_b32_e64 v0, 0, 1, s6
	v_mov_b32_e32 v4, 0
	v_ashrrev_i32_e32 v13, 31, v12
	v_cmp_ne_u32_e64 s1, 1, v0
	s_waitcnt lgkmcnt(0)
	v_mad_i64_i32 v[1:2], null, v78, s8, 0
	v_lshlrev_b64 v[2:3], 2, v[1:2]
	v_lshlrev_b64 v[0:1], 2, v[12:13]
	v_add_co_u32 v79, vcc_lo, s12, v2
	v_add_co_ci_u32_e64 v80, null, s13, v3, vcc_lo
	v_mov_b32_e32 v2, 0
	s_andn2_b32 vcc_lo, exec_lo, s6
	s_cbranch_vccnz .LBB79_20
; %bb.19:
	v_add_co_u32 v2, vcc_lo, v79, v0
	v_add_co_ci_u32_e64 v3, null, v80, v1, vcc_lo
	global_load_dword v2, v[2:3], off
	s_waitcnt vmcnt(0)
	v_mul_f32_e32 v2, s2, v2
.LBB79_20:
	s_clause 0x1
	s_load_dword s3, s[4:5], 0x68
	s_load_dwordx2 s[4:5], s[4:5], 0x70
	v_add_nc_u32_e32 v7, 8, v12
	v_add_f32_e32 v3, v76, v77
	v_ashrrev_i32_e32 v8, 31, v7
	v_add_f32_e32 v9, v3, v2
	v_lshlrev_b64 v[2:3], 2, v[7:8]
	s_waitcnt lgkmcnt(0)
	v_mad_i64_i32 v[5:6], null, v78, s3, 0
	s_mul_i32 s5, s5, s7
	s_mul_hi_u32 s6, s4, s7
	s_mul_i32 s4, s4, s7
	s_add_i32 s5, s6, s5
	s_lshl_b64 s[4:5], s[4:5], 2
	v_lshlrev_b64 v[5:6], 2, v[5:6]
	s_add_u32 s4, s10, s4
	s_addc_u32 s5, s11, s5
	v_add_co_u32 v76, vcc_lo, s4, v5
	v_add_co_ci_u32_e64 v77, null, s5, v6, vcc_lo
	v_add_co_u32 v5, vcc_lo, v76, v0
	v_add_co_ci_u32_e64 v6, null, v77, v1, vcc_lo
	s_and_b32 vcc_lo, exec_lo, s1
	global_store_dword v[5:6], v9, off
	s_cbranch_vccnz .LBB79_22
; %bb.21:
	v_add_co_u32 v4, vcc_lo, v79, v2
	v_add_co_ci_u32_e64 v5, null, v80, v3, vcc_lo
	global_load_dword v4, v[4:5], off
	s_waitcnt vmcnt(0)
	v_mul_f32_e32 v4, s2, v4
.LBB79_22:
	v_add_nc_u32_e32 v5, 16, v12
	v_add_f32_e32 v7, v74, v75
	v_add_co_u32 v9, vcc_lo, v76, v2
	v_add_co_ci_u32_e64 v10, null, v77, v3, vcc_lo
	v_ashrrev_i32_e32 v6, 31, v5
	v_add_f32_e32 v7, v7, v4
	v_mov_b32_e32 v8, 0
	s_and_b32 vcc_lo, exec_lo, s1
	v_lshlrev_b64 v[4:5], 2, v[5:6]
	v_mov_b32_e32 v6, 0
	global_store_dword v[9:10], v7, off
	s_cbranch_vccnz .LBB79_24
; %bb.23:
	v_add_co_u32 v6, vcc_lo, v79, v4
	v_add_co_ci_u32_e64 v7, null, v80, v5, vcc_lo
	global_load_dword v6, v[6:7], off
	s_waitcnt vmcnt(0)
	v_mul_f32_e32 v6, s2, v6
.LBB79_24:
	v_add_nc_u32_e32 v9, 24, v12
	v_add_f32_e32 v7, v72, v73
	v_add_co_u32 v72, vcc_lo, v76, v4
	v_add_co_ci_u32_e64 v73, null, v77, v5, vcc_lo
	v_ashrrev_i32_e32 v10, 31, v9
	v_add_f32_e32 v11, v7, v6
	s_and_b32 vcc_lo, exec_lo, s1
	v_lshlrev_b64 v[6:7], 2, v[9:10]
	global_store_dword v[72:73], v11, off
	s_cbranch_vccnz .LBB79_26
; %bb.25:
	v_add_co_u32 v8, vcc_lo, v79, v6
	v_add_co_ci_u32_e64 v9, null, v80, v7, vcc_lo
	global_load_dword v8, v[8:9], off
	s_waitcnt vmcnt(0)
	v_mul_f32_e32 v8, s2, v8
.LBB79_26:
	v_add_nc_u32_e32 v9, 32, v12
	v_add_f32_e32 v11, v70, v71
	v_add_co_u32 v70, vcc_lo, v76, v6
	v_add_co_ci_u32_e64 v71, null, v77, v7, vcc_lo
	v_ashrrev_i32_e32 v10, 31, v9
	v_add_f32_e32 v13, v11, v8
	v_mov_b32_e32 v8, 0
	s_and_b32 vcc_lo, exec_lo, s1
	v_lshlrev_b64 v[10:11], 2, v[9:10]
	v_mov_b32_e32 v9, 0
	global_store_dword v[70:71], v13, off
	s_cbranch_vccnz .LBB79_28
; %bb.27:
	v_add_co_u32 v70, vcc_lo, v79, v10
	v_add_co_ci_u32_e64 v71, null, v80, v11, vcc_lo
	global_load_dword v9, v[70:71], off
	s_waitcnt vmcnt(0)
	v_mul_f32_e32 v9, s2, v9
.LBB79_28:
	v_add_nc_u32_e32 v13, 40, v12
	v_add_f32_e32 v15, v14, v15
	v_add_co_u32 v70, vcc_lo, v76, v10
	v_add_co_ci_u32_e64 v71, null, v77, v11, vcc_lo
	v_ashrrev_i32_e32 v14, 31, v13
	v_add_f32_e32 v9, v15, v9
	s_and_b32 vcc_lo, exec_lo, s1
	v_lshlrev_b64 v[14:15], 2, v[13:14]
	global_store_dword v[70:71], v9, off
	s_cbranch_vccnz .LBB79_30
; %bb.29:
	v_add_co_u32 v8, vcc_lo, v79, v14
	v_add_co_ci_u32_e64 v9, null, v80, v15, vcc_lo
	global_load_dword v8, v[8:9], off
	s_waitcnt vmcnt(0)
	v_mul_f32_e32 v8, s2, v8
.LBB79_30:
	v_add_nc_u32_e32 v70, 48, v12
	v_add_f32_e32 v9, v68, v69
	v_add_co_u32 v72, vcc_lo, v76, v14
	v_add_co_ci_u32_e64 v73, null, v77, v15, vcc_lo
	v_ashrrev_i32_e32 v71, 31, v70
	v_add_f32_e32 v69, v9, v8
	v_mov_b32_e32 v68, 0
	v_mov_b32_e32 v13, 0
	s_and_b32 vcc_lo, exec_lo, s1
	v_lshlrev_b64 v[8:9], 2, v[70:71]
	global_store_dword v[72:73], v69, off
	s_cbranch_vccnz .LBB79_32
; %bb.31:
	v_add_co_u32 v69, vcc_lo, v79, v8
	v_add_co_ci_u32_e64 v70, null, v80, v9, vcc_lo
	global_load_dword v13, v[69:70], off
	s_waitcnt vmcnt(0)
	v_mul_f32_e32 v13, s2, v13
.LBB79_32:
	v_add_nc_u32_e32 v69, 56, v12
	v_add_f32_e32 v12, v66, v67
	v_add_co_u32 v66, vcc_lo, v76, v8
	v_add_co_ci_u32_e64 v67, null, v77, v9, vcc_lo
	v_ashrrev_i32_e32 v70, 31, v69
	v_add_f32_e32 v71, v12, v13
	s_and_b32 vcc_lo, exec_lo, s1
	v_lshlrev_b64 v[12:13], 2, v[69:70]
	global_store_dword v[66:67], v71, off
	s_cbranch_vccnz .LBB79_34
; %bb.33:
	v_add_co_u32 v66, vcc_lo, v79, v12
	v_add_co_ci_u32_e64 v67, null, v80, v13, vcc_lo
	global_load_dword v66, v[66:67], off
	s_waitcnt vmcnt(0)
	v_mul_f32_e32 v68, s2, v66
.LBB79_34:
	v_add_nc_u32_e32 v67, 32, v78
	v_add_f32_e32 v71, v64, v65
	v_mov_b32_e32 v66, 0
	v_mad_i64_i32 v[69:70], null, v67, s8, 0
	v_add_f32_e32 v71, v71, v68
	v_mov_b32_e32 v68, 0
	v_lshlrev_b64 v[64:65], 2, v[69:70]
	v_add_co_u32 v69, vcc_lo, v76, v12
	v_add_co_ci_u32_e64 v70, null, v77, v13, vcc_lo
	v_add_co_u32 v64, vcc_lo, s12, v64
	v_add_co_ci_u32_e64 v65, null, s13, v65, vcc_lo
	s_and_b32 vcc_lo, exec_lo, s1
	global_store_dword v[69:70], v71, off
	s_cbranch_vccnz .LBB79_36
; %bb.35:
	v_add_co_u32 v68, vcc_lo, v64, v0
	v_add_co_ci_u32_e64 v69, null, v65, v1, vcc_lo
	global_load_dword v68, v[68:69], off
	s_waitcnt vmcnt(0)
	v_mul_f32_e32 v68, s2, v68
.LBB79_36:
	v_mad_i64_i32 v[69:70], null, v67, s3, 0
	v_add_f32_e32 v67, v62, v63
	v_lshlrev_b64 v[69:70], 2, v[69:70]
	v_add_co_u32 v62, vcc_lo, s4, v69
	v_add_co_ci_u32_e64 v63, null, s5, v70, vcc_lo
	v_add_f32_e32 v69, v67, v68
	v_add_co_u32 v67, vcc_lo, v62, v0
	v_add_co_ci_u32_e64 v68, null, v63, v1, vcc_lo
	s_and_b32 vcc_lo, exec_lo, s1
	global_store_dword v[67:68], v69, off
	s_cbranch_vccnz .LBB79_38
; %bb.37:
	v_add_co_u32 v66, vcc_lo, v64, v2
	v_add_co_ci_u32_e64 v67, null, v65, v3, vcc_lo
	global_load_dword v66, v[66:67], off
	s_waitcnt vmcnt(0)
	v_mul_f32_e32 v66, s2, v66
.LBB79_38:
	v_add_f32_e32 v60, v60, v61
	v_add_co_u32 v67, vcc_lo, v62, v2
	v_add_co_ci_u32_e64 v68, null, v63, v3, vcc_lo
	v_add_f32_e32 v66, v60, v66
	v_mov_b32_e32 v60, 0
	v_mov_b32_e32 v61, 0
	s_and_b32 vcc_lo, exec_lo, s1
	global_store_dword v[67:68], v66, off
	s_cbranch_vccnz .LBB79_40
; %bb.39:
	v_add_co_u32 v66, vcc_lo, v64, v4
	v_add_co_ci_u32_e64 v67, null, v65, v5, vcc_lo
	global_load_dword v61, v[66:67], off
	s_waitcnt vmcnt(0)
	v_mul_f32_e32 v61, s2, v61
.LBB79_40:
	v_add_f32_e32 v58, v58, v59
	v_add_f32_e32 v61, v58, v61
	v_add_co_u32 v58, vcc_lo, v62, v4
	v_add_co_ci_u32_e64 v59, null, v63, v5, vcc_lo
	s_and_b32 vcc_lo, exec_lo, s1
	global_store_dword v[58:59], v61, off
	s_cbranch_vccnz .LBB79_42
; %bb.41:
	v_add_co_u32 v58, vcc_lo, v64, v6
	v_add_co_ci_u32_e64 v59, null, v65, v7, vcc_lo
	global_load_dword v58, v[58:59], off
	s_waitcnt vmcnt(0)
	v_mul_f32_e32 v60, s2, v58
.LBB79_42:
	v_add_f32_e32 v56, v56, v57
	v_add_co_u32 v58, vcc_lo, v62, v6
	v_add_co_ci_u32_e64 v59, null, v63, v7, vcc_lo
	v_add_f32_e32 v60, v56, v60
	v_mov_b32_e32 v56, 0
	v_mov_b32_e32 v57, 0
	s_and_b32 vcc_lo, exec_lo, s1
	global_store_dword v[58:59], v60, off
	s_cbranch_vccnz .LBB79_44
; %bb.43:
	v_add_co_u32 v57, vcc_lo, v64, v10
	v_add_co_ci_u32_e64 v58, null, v65, v11, vcc_lo
	global_load_dword v57, v[57:58], off
	s_waitcnt vmcnt(0)
	v_mul_f32_e32 v57, s2, v57
.LBB79_44:
	v_add_f32_e32 v54, v54, v55
	;; [unrolled: 30-line block ×3, first 2 shown]
	v_add_f32_e32 v53, v50, v53
	v_add_co_u32 v50, vcc_lo, v62, v8
	v_add_co_ci_u32_e64 v51, null, v63, v9, vcc_lo
	s_and_b32 vcc_lo, exec_lo, s1
	global_store_dword v[50:51], v53, off
	s_cbranch_vccnz .LBB79_50
; %bb.49:
	v_add_co_u32 v50, vcc_lo, v64, v12
	v_add_co_ci_u32_e64 v51, null, v65, v13, vcc_lo
	global_load_dword v50, v[50:51], off
	s_waitcnt vmcnt(0)
	v_mul_f32_e32 v52, s2, v50
.LBB79_50:
	v_add_nc_u32_e32 v51, 64, v78
	v_add_f32_e32 v55, v48, v49
	v_mov_b32_e32 v50, 0
	v_mad_i64_i32 v[53:54], null, v51, s8, 0
	v_add_f32_e32 v55, v55, v52
	v_mov_b32_e32 v52, 0
	v_lshlrev_b64 v[48:49], 2, v[53:54]
	v_add_co_u32 v53, vcc_lo, v62, v12
	v_add_co_ci_u32_e64 v54, null, v63, v13, vcc_lo
	v_add_co_u32 v48, vcc_lo, s12, v48
	v_add_co_ci_u32_e64 v49, null, s13, v49, vcc_lo
	s_and_b32 vcc_lo, exec_lo, s1
	global_store_dword v[53:54], v55, off
	s_cbranch_vccnz .LBB79_52
; %bb.51:
	v_add_co_u32 v52, vcc_lo, v48, v0
	v_add_co_ci_u32_e64 v53, null, v49, v1, vcc_lo
	global_load_dword v52, v[52:53], off
	s_waitcnt vmcnt(0)
	v_mul_f32_e32 v52, s2, v52
.LBB79_52:
	v_mad_i64_i32 v[53:54], null, v51, s3, 0
	v_add_f32_e32 v51, v46, v47
	v_lshlrev_b64 v[53:54], 2, v[53:54]
	v_add_co_u32 v46, vcc_lo, s4, v53
	v_add_co_ci_u32_e64 v47, null, s5, v54, vcc_lo
	v_add_f32_e32 v53, v51, v52
	v_add_co_u32 v51, vcc_lo, v46, v0
	v_add_co_ci_u32_e64 v52, null, v47, v1, vcc_lo
	s_and_b32 vcc_lo, exec_lo, s1
	global_store_dword v[51:52], v53, off
	s_cbranch_vccnz .LBB79_54
; %bb.53:
	v_add_co_u32 v50, vcc_lo, v48, v2
	v_add_co_ci_u32_e64 v51, null, v49, v3, vcc_lo
	global_load_dword v50, v[50:51], off
	s_waitcnt vmcnt(0)
	v_mul_f32_e32 v50, s2, v50
.LBB79_54:
	v_add_f32_e32 v44, v44, v45
	v_add_co_u32 v51, vcc_lo, v46, v2
	v_add_co_ci_u32_e64 v52, null, v47, v3, vcc_lo
	v_add_f32_e32 v50, v44, v50
	v_mov_b32_e32 v44, 0
	v_mov_b32_e32 v45, 0
	s_and_b32 vcc_lo, exec_lo, s1
	global_store_dword v[51:52], v50, off
	s_cbranch_vccnz .LBB79_56
; %bb.55:
	v_add_co_u32 v50, vcc_lo, v48, v4
	v_add_co_ci_u32_e64 v51, null, v49, v5, vcc_lo
	global_load_dword v45, v[50:51], off
	s_waitcnt vmcnt(0)
	v_mul_f32_e32 v45, s2, v45
.LBB79_56:
	v_add_f32_e32 v42, v42, v43
	v_add_f32_e32 v45, v42, v45
	v_add_co_u32 v42, vcc_lo, v46, v4
	v_add_co_ci_u32_e64 v43, null, v47, v5, vcc_lo
	s_and_b32 vcc_lo, exec_lo, s1
	global_store_dword v[42:43], v45, off
	s_cbranch_vccnz .LBB79_58
; %bb.57:
	v_add_co_u32 v42, vcc_lo, v48, v6
	v_add_co_ci_u32_e64 v43, null, v49, v7, vcc_lo
	global_load_dword v42, v[42:43], off
	s_waitcnt vmcnt(0)
	v_mul_f32_e32 v44, s2, v42
.LBB79_58:
	v_add_f32_e32 v40, v40, v41
	v_add_co_u32 v42, vcc_lo, v46, v6
	v_add_co_ci_u32_e64 v43, null, v47, v7, vcc_lo
	v_add_f32_e32 v44, v40, v44
	v_mov_b32_e32 v40, 0
	v_mov_b32_e32 v41, 0
	s_and_b32 vcc_lo, exec_lo, s1
	global_store_dword v[42:43], v44, off
	s_cbranch_vccnz .LBB79_60
; %bb.59:
	v_add_co_u32 v41, vcc_lo, v48, v10
	v_add_co_ci_u32_e64 v42, null, v49, v11, vcc_lo
	global_load_dword v41, v[41:42], off
	s_waitcnt vmcnt(0)
	v_mul_f32_e32 v41, s2, v41
.LBB79_60:
	v_add_f32_e32 v38, v38, v39
	;; [unrolled: 30-line block ×3, first 2 shown]
	v_add_f32_e32 v37, v34, v37
	v_add_co_u32 v34, vcc_lo, v46, v8
	v_add_co_ci_u32_e64 v35, null, v47, v9, vcc_lo
	s_and_b32 vcc_lo, exec_lo, s1
	global_store_dword v[34:35], v37, off
	s_cbranch_vccnz .LBB79_66
; %bb.65:
	v_add_co_u32 v34, vcc_lo, v48, v12
	v_add_co_ci_u32_e64 v35, null, v49, v13, vcc_lo
	global_load_dword v34, v[34:35], off
	s_waitcnt vmcnt(0)
	v_mul_f32_e32 v36, s2, v34
.LBB79_66:
	v_add_nc_u32_e32 v35, 0x60, v78
	v_add_f32_e32 v39, v32, v33
	v_mov_b32_e32 v34, 0
	v_mad_i64_i32 v[37:38], null, v35, s8, 0
	v_add_f32_e32 v39, v39, v36
	v_mov_b32_e32 v36, 0
	v_lshlrev_b64 v[32:33], 2, v[37:38]
	v_add_co_u32 v37, vcc_lo, v46, v12
	v_add_co_ci_u32_e64 v38, null, v47, v13, vcc_lo
	v_add_co_u32 v32, vcc_lo, s12, v32
	v_add_co_ci_u32_e64 v33, null, s13, v33, vcc_lo
	s_and_b32 vcc_lo, exec_lo, s1
	global_store_dword v[37:38], v39, off
	s_cbranch_vccnz .LBB79_68
; %bb.67:
	v_add_co_u32 v36, vcc_lo, v32, v0
	v_add_co_ci_u32_e64 v37, null, v33, v1, vcc_lo
	global_load_dword v36, v[36:37], off
	s_waitcnt vmcnt(0)
	v_mul_f32_e32 v36, s2, v36
.LBB79_68:
	v_mad_i64_i32 v[37:38], null, v35, s3, 0
	v_add_f32_e32 v35, v30, v31
	v_add_f32_e32 v35, v35, v36
	v_lshlrev_b64 v[37:38], 2, v[37:38]
	v_add_co_u32 v30, vcc_lo, s4, v37
	v_add_co_ci_u32_e64 v31, null, s5, v38, vcc_lo
	v_add_co_u32 v0, vcc_lo, v30, v0
	v_add_co_ci_u32_e64 v1, null, v31, v1, vcc_lo
	s_and_b32 vcc_lo, exec_lo, s1
	global_store_dword v[0:1], v35, off
	s_cbranch_vccnz .LBB79_70
; %bb.69:
	v_add_co_u32 v0, vcc_lo, v32, v2
	v_add_co_ci_u32_e64 v1, null, v33, v3, vcc_lo
	global_load_dword v0, v[0:1], off
	s_waitcnt vmcnt(0)
	v_mul_f32_e32 v34, s2, v0
.LBB79_70:
	v_add_f32_e32 v0, v28, v29
	v_add_co_u32 v2, vcc_lo, v30, v2
	v_add_co_ci_u32_e64 v3, null, v31, v3, vcc_lo
	v_add_f32_e32 v28, v0, v34
	v_mov_b32_e32 v0, 0
	v_mov_b32_e32 v1, 0
	s_and_b32 vcc_lo, exec_lo, s1
	global_store_dword v[2:3], v28, off
	s_cbranch_vccnz .LBB79_72
; %bb.71:
	v_add_co_u32 v1, vcc_lo, v32, v4
	v_add_co_ci_u32_e64 v2, null, v33, v5, vcc_lo
	global_load_dword v1, v[1:2], off
	s_waitcnt vmcnt(0)
	v_mul_f32_e32 v1, s2, v1
.LBB79_72:
	v_add_f32_e32 v2, v26, v27
	v_add_f32_e32 v3, v2, v1
	v_add_co_u32 v1, vcc_lo, v30, v4
	v_add_co_ci_u32_e64 v2, null, v31, v5, vcc_lo
	s_and_b32 vcc_lo, exec_lo, s1
	global_store_dword v[1:2], v3, off
	s_cbranch_vccnz .LBB79_74
; %bb.73:
	v_add_co_u32 v0, vcc_lo, v32, v6
	v_add_co_ci_u32_e64 v1, null, v33, v7, vcc_lo
	global_load_dword v0, v[0:1], off
	s_waitcnt vmcnt(0)
	v_mul_f32_e32 v0, s2, v0
.LBB79_74:
	v_add_f32_e32 v1, v24, v25
	v_add_co_u32 v2, vcc_lo, v30, v6
	v_add_co_ci_u32_e64 v3, null, v31, v7, vcc_lo
	v_add_f32_e32 v4, v1, v0
	v_mov_b32_e32 v0, 0
	v_mov_b32_e32 v1, 0
	s_and_b32 vcc_lo, exec_lo, s1
	global_store_dword v[2:3], v4, off
	s_cbranch_vccnz .LBB79_76
; %bb.75:
	v_add_co_u32 v1, vcc_lo, v32, v10
	v_add_co_ci_u32_e64 v2, null, v33, v11, vcc_lo
	global_load_dword v1, v[1:2], off
	s_waitcnt vmcnt(0)
	v_mul_f32_e32 v1, s2, v1
.LBB79_76:
	v_add_f32_e32 v2, v22, v23
	v_add_f32_e32 v3, v2, v1
	v_add_co_u32 v1, vcc_lo, v30, v10
	v_add_co_ci_u32_e64 v2, null, v31, v11, vcc_lo
	s_and_b32 vcc_lo, exec_lo, s1
	global_store_dword v[1:2], v3, off
	s_cbranch_vccnz .LBB79_78
; %bb.77:
	v_add_co_u32 v0, vcc_lo, v32, v14
	v_add_co_ci_u32_e64 v1, null, v33, v15, vcc_lo
	global_load_dword v0, v[0:1], off
	s_waitcnt vmcnt(0)
	v_mul_f32_e32 v0, s2, v0
.LBB79_78:
	v_add_f32_e32 v3, v20, v21
	v_add_co_u32 v1, vcc_lo, v30, v14
	v_add_co_ci_u32_e64 v2, null, v31, v15, vcc_lo
	v_add_f32_e32 v3, v3, v0
	v_add_f32_e32 v0, v18, v19
	s_mov_b32 s1, -1
	s_mov_b32 vcc_lo, s0
	global_store_dword v[1:2], v3, off
	s_cbranch_vccz .LBB79_80
; %bb.79:
	v_add_co_u32 v1, vcc_lo, v30, v8
	v_add_f32_e32 v3, 0, v0
	v_add_co_ci_u32_e64 v2, null, v31, v9, vcc_lo
	s_mov_b32 s1, 0
	global_store_dword v[1:2], v3, off
.LBB79_80:
	v_mov_b32_e32 v1, 0
	s_andn2_b32 vcc_lo, exec_lo, s1
	s_cbranch_vccnz .LBB79_82
; %bb.81:
	v_add_co_u32 v1, vcc_lo, v32, v8
	v_add_co_ci_u32_e64 v2, null, v33, v9, vcc_lo
	global_load_dword v3, v[1:2], off
	v_add_co_u32 v1, vcc_lo, v30, v8
	v_add_co_ci_u32_e64 v2, null, v31, v9, vcc_lo
	s_waitcnt vmcnt(0)
	v_fmac_f32_e32 v0, s2, v3
	v_add_co_u32 v3, vcc_lo, v32, v12
	v_add_co_ci_u32_e64 v4, null, v33, v13, vcc_lo
	global_store_dword v[1:2], v0, off
	global_load_dword v0, v[3:4], off
	s_waitcnt vmcnt(0)
	v_mul_f32_e32 v1, s2, v0
.LBB79_82:
	v_add_f32_e32 v0, v16, v17
	v_add_f32_e32 v2, v0, v1
	v_add_co_u32 v0, vcc_lo, v30, v12
	v_add_co_ci_u32_e64 v1, null, v31, v13, vcc_lo
	global_store_dword v[0:1], v2, off
	s_endpgm
.LBB79_83:
	s_mov_b64 s[18:19], 0
	s_andn2_b32 vcc_lo, exec_lo, s8
	s_mov_b32 s0, -1
	s_cbranch_vccz .LBB79_2
	s_branch .LBB79_3
	.section	.rodata,"a",@progbits
	.p2align	6, 0x0
	.amdhsa_kernel _ZN12_GLOBAL__N_120geam_min_plus_kernelIf15HIP_vector_typeIfLj2EES2_Li8ELi32ELi64ELi128ELi4ELi64ELi4ELi4ELi64ELc78ELc78ELb1ELb0ELb0EfKffEEviiiT16_PT17_ilS6_ilS4_S6_ilPT18_ili26rocblas_geam_ex_operation_
		.amdhsa_group_segment_fixed_size 6144
		.amdhsa_private_segment_fixed_size 0
		.amdhsa_kernarg_size 128
		.amdhsa_user_sgpr_count 6
		.amdhsa_user_sgpr_private_segment_buffer 1
		.amdhsa_user_sgpr_dispatch_ptr 0
		.amdhsa_user_sgpr_queue_ptr 0
		.amdhsa_user_sgpr_kernarg_segment_ptr 1
		.amdhsa_user_sgpr_dispatch_id 0
		.amdhsa_user_sgpr_flat_scratch_init 0
		.amdhsa_user_sgpr_private_segment_size 0
		.amdhsa_wavefront_size32 1
		.amdhsa_uses_dynamic_stack 0
		.amdhsa_system_sgpr_private_segment_wavefront_offset 0
		.amdhsa_system_sgpr_workgroup_id_x 1
		.amdhsa_system_sgpr_workgroup_id_y 0
		.amdhsa_system_sgpr_workgroup_id_z 1
		.amdhsa_system_sgpr_workgroup_info 0
		.amdhsa_system_vgpr_workitem_id 1
		.amdhsa_next_free_vgpr 117
		.amdhsa_next_free_sgpr 24
		.amdhsa_reserve_vcc 1
		.amdhsa_reserve_flat_scratch 0
		.amdhsa_float_round_mode_32 0
		.amdhsa_float_round_mode_16_64 0
		.amdhsa_float_denorm_mode_32 3
		.amdhsa_float_denorm_mode_16_64 3
		.amdhsa_dx10_clamp 1
		.amdhsa_ieee_mode 1
		.amdhsa_fp16_overflow 0
		.amdhsa_workgroup_processor_mode 1
		.amdhsa_memory_ordered 1
		.amdhsa_forward_progress 1
		.amdhsa_shared_vgpr_count 0
		.amdhsa_exception_fp_ieee_invalid_op 0
		.amdhsa_exception_fp_denorm_src 0
		.amdhsa_exception_fp_ieee_div_zero 0
		.amdhsa_exception_fp_ieee_overflow 0
		.amdhsa_exception_fp_ieee_underflow 0
		.amdhsa_exception_fp_ieee_inexact 0
		.amdhsa_exception_int_div_zero 0
	.end_amdhsa_kernel
	.section	.text._ZN12_GLOBAL__N_120geam_min_plus_kernelIf15HIP_vector_typeIfLj2EES2_Li8ELi32ELi64ELi128ELi4ELi64ELi4ELi4ELi64ELc78ELc78ELb1ELb0ELb0EfKffEEviiiT16_PT17_ilS6_ilS4_S6_ilPT18_ili26rocblas_geam_ex_operation_,"axG",@progbits,_ZN12_GLOBAL__N_120geam_min_plus_kernelIf15HIP_vector_typeIfLj2EES2_Li8ELi32ELi64ELi128ELi4ELi64ELi4ELi4ELi64ELc78ELc78ELb1ELb0ELb0EfKffEEviiiT16_PT17_ilS6_ilS4_S6_ilPT18_ili26rocblas_geam_ex_operation_,comdat
.Lfunc_end79:
	.size	_ZN12_GLOBAL__N_120geam_min_plus_kernelIf15HIP_vector_typeIfLj2EES2_Li8ELi32ELi64ELi128ELi4ELi64ELi4ELi4ELi64ELc78ELc78ELb1ELb0ELb0EfKffEEviiiT16_PT17_ilS6_ilS4_S6_ilPT18_ili26rocblas_geam_ex_operation_, .Lfunc_end79-_ZN12_GLOBAL__N_120geam_min_plus_kernelIf15HIP_vector_typeIfLj2EES2_Li8ELi32ELi64ELi128ELi4ELi64ELi4ELi4ELi64ELc78ELc78ELb1ELb0ELb0EfKffEEviiiT16_PT17_ilS6_ilS4_S6_ilPT18_ili26rocblas_geam_ex_operation_
                                        ; -- End function
	.set _ZN12_GLOBAL__N_120geam_min_plus_kernelIf15HIP_vector_typeIfLj2EES2_Li8ELi32ELi64ELi128ELi4ELi64ELi4ELi4ELi64ELc78ELc78ELb1ELb0ELb0EfKffEEviiiT16_PT17_ilS6_ilS4_S6_ilPT18_ili26rocblas_geam_ex_operation_.num_vgpr, 117
	.set _ZN12_GLOBAL__N_120geam_min_plus_kernelIf15HIP_vector_typeIfLj2EES2_Li8ELi32ELi64ELi128ELi4ELi64ELi4ELi4ELi64ELc78ELc78ELb1ELb0ELb0EfKffEEviiiT16_PT17_ilS6_ilS4_S6_ilPT18_ili26rocblas_geam_ex_operation_.num_agpr, 0
	.set _ZN12_GLOBAL__N_120geam_min_plus_kernelIf15HIP_vector_typeIfLj2EES2_Li8ELi32ELi64ELi128ELi4ELi64ELi4ELi4ELi64ELc78ELc78ELb1ELb0ELb0EfKffEEviiiT16_PT17_ilS6_ilS4_S6_ilPT18_ili26rocblas_geam_ex_operation_.numbered_sgpr, 24
	.set _ZN12_GLOBAL__N_120geam_min_plus_kernelIf15HIP_vector_typeIfLj2EES2_Li8ELi32ELi64ELi128ELi4ELi64ELi4ELi4ELi64ELc78ELc78ELb1ELb0ELb0EfKffEEviiiT16_PT17_ilS6_ilS4_S6_ilPT18_ili26rocblas_geam_ex_operation_.num_named_barrier, 0
	.set _ZN12_GLOBAL__N_120geam_min_plus_kernelIf15HIP_vector_typeIfLj2EES2_Li8ELi32ELi64ELi128ELi4ELi64ELi4ELi4ELi64ELc78ELc78ELb1ELb0ELb0EfKffEEviiiT16_PT17_ilS6_ilS4_S6_ilPT18_ili26rocblas_geam_ex_operation_.private_seg_size, 0
	.set _ZN12_GLOBAL__N_120geam_min_plus_kernelIf15HIP_vector_typeIfLj2EES2_Li8ELi32ELi64ELi128ELi4ELi64ELi4ELi4ELi64ELc78ELc78ELb1ELb0ELb0EfKffEEviiiT16_PT17_ilS6_ilS4_S6_ilPT18_ili26rocblas_geam_ex_operation_.uses_vcc, 1
	.set _ZN12_GLOBAL__N_120geam_min_plus_kernelIf15HIP_vector_typeIfLj2EES2_Li8ELi32ELi64ELi128ELi4ELi64ELi4ELi4ELi64ELc78ELc78ELb1ELb0ELb0EfKffEEviiiT16_PT17_ilS6_ilS4_S6_ilPT18_ili26rocblas_geam_ex_operation_.uses_flat_scratch, 0
	.set _ZN12_GLOBAL__N_120geam_min_plus_kernelIf15HIP_vector_typeIfLj2EES2_Li8ELi32ELi64ELi128ELi4ELi64ELi4ELi4ELi64ELc78ELc78ELb1ELb0ELb0EfKffEEviiiT16_PT17_ilS6_ilS4_S6_ilPT18_ili26rocblas_geam_ex_operation_.has_dyn_sized_stack, 0
	.set _ZN12_GLOBAL__N_120geam_min_plus_kernelIf15HIP_vector_typeIfLj2EES2_Li8ELi32ELi64ELi128ELi4ELi64ELi4ELi4ELi64ELc78ELc78ELb1ELb0ELb0EfKffEEviiiT16_PT17_ilS6_ilS4_S6_ilPT18_ili26rocblas_geam_ex_operation_.has_recursion, 0
	.set _ZN12_GLOBAL__N_120geam_min_plus_kernelIf15HIP_vector_typeIfLj2EES2_Li8ELi32ELi64ELi128ELi4ELi64ELi4ELi4ELi64ELc78ELc78ELb1ELb0ELb0EfKffEEviiiT16_PT17_ilS6_ilS4_S6_ilPT18_ili26rocblas_geam_ex_operation_.has_indirect_call, 0
	.section	.AMDGPU.csdata,"",@progbits
; Kernel info:
; codeLenInByte = 7284
; TotalNumSgprs: 26
; NumVgprs: 117
; ScratchSize: 0
; MemoryBound: 0
; FloatMode: 240
; IeeeMode: 1
; LDSByteSize: 6144 bytes/workgroup (compile time only)
; SGPRBlocks: 0
; VGPRBlocks: 14
; NumSGPRsForWavesPerEU: 26
; NumVGPRsForWavesPerEU: 117
; Occupancy: 8
; WaveLimiterHint : 0
; COMPUTE_PGM_RSRC2:SCRATCH_EN: 0
; COMPUTE_PGM_RSRC2:USER_SGPR: 6
; COMPUTE_PGM_RSRC2:TRAP_HANDLER: 0
; COMPUTE_PGM_RSRC2:TGID_X_EN: 1
; COMPUTE_PGM_RSRC2:TGID_Y_EN: 0
; COMPUTE_PGM_RSRC2:TGID_Z_EN: 1
; COMPUTE_PGM_RSRC2:TIDIG_COMP_CNT: 1
	.section	.text._ZN12_GLOBAL__N_120geam_min_plus_kernelIf15HIP_vector_typeIfLj2EES2_Li8ELi32ELi64ELi128ELi4ELi64ELi4ELi4ELi64ELc78ELc78ELb0ELb0ELb0EfKffEEviiiT16_PT17_ilS6_ilS4_S6_ilPT18_ili26rocblas_geam_ex_operation_,"axG",@progbits,_ZN12_GLOBAL__N_120geam_min_plus_kernelIf15HIP_vector_typeIfLj2EES2_Li8ELi32ELi64ELi128ELi4ELi64ELi4ELi4ELi64ELc78ELc78ELb0ELb0ELb0EfKffEEviiiT16_PT17_ilS6_ilS4_S6_ilPT18_ili26rocblas_geam_ex_operation_,comdat
	.globl	_ZN12_GLOBAL__N_120geam_min_plus_kernelIf15HIP_vector_typeIfLj2EES2_Li8ELi32ELi64ELi128ELi4ELi64ELi4ELi4ELi64ELc78ELc78ELb0ELb0ELb0EfKffEEviiiT16_PT17_ilS6_ilS4_S6_ilPT18_ili26rocblas_geam_ex_operation_ ; -- Begin function _ZN12_GLOBAL__N_120geam_min_plus_kernelIf15HIP_vector_typeIfLj2EES2_Li8ELi32ELi64ELi128ELi4ELi64ELi4ELi4ELi64ELc78ELc78ELb0ELb0ELb0EfKffEEviiiT16_PT17_ilS6_ilS4_S6_ilPT18_ili26rocblas_geam_ex_operation_
	.p2align	8
	.type	_ZN12_GLOBAL__N_120geam_min_plus_kernelIf15HIP_vector_typeIfLj2EES2_Li8ELi32ELi64ELi128ELi4ELi64ELi4ELi4ELi64ELc78ELc78ELb0ELb0ELb0EfKffEEviiiT16_PT17_ilS6_ilS4_S6_ilPT18_ili26rocblas_geam_ex_operation_,@function
_ZN12_GLOBAL__N_120geam_min_plus_kernelIf15HIP_vector_typeIfLj2EES2_Li8ELi32ELi64ELi128ELi4ELi64ELi4ELi4ELi64ELc78ELc78ELb0ELb0ELb0EfKffEEviiiT16_PT17_ilS6_ilS4_S6_ilPT18_ili26rocblas_geam_ex_operation_: ; @_ZN12_GLOBAL__N_120geam_min_plus_kernelIf15HIP_vector_typeIfLj2EES2_Li8ELi32ELi64ELi128ELi4ELi64ELi4ELi4ELi64ELc78ELc78ELb0ELb0ELb0EfKffEEviiiT16_PT17_ilS6_ilS4_S6_ilPT18_ili26rocblas_geam_ex_operation_
; %bb.0:
	s_clause 0x1
	s_load_dwordx2 s[14:15], s[4:5], 0x8
	s_load_dwordx4 s[8:11], s[4:5], 0x20
	s_waitcnt lgkmcnt(0)
	v_cmp_eq_f32_e64 s0, s15, 0
	s_and_b32 s1, exec_lo, s0
	s_mov_b32 vcc_lo, s1
	s_cbranch_vccnz .LBB80_95
; %bb.1:
	s_load_dwordx2 s[2:3], s[4:5], 0x10
	s_mul_i32 s9, s9, s7
	s_mul_hi_u32 s12, s8, s7
	s_mul_i32 s8, s8, s7
	s_add_i32 s9, s12, s9
	s_lshl_b64 s[8:9], s[8:9], 2
	s_waitcnt lgkmcnt(0)
	s_add_u32 s18, s2, s8
	s_addc_u32 s19, s3, s9
	s_andn2_b32 vcc_lo, exec_lo, s0
	s_mov_b32 s0, -1
	s_cbranch_vccnz .LBB80_3
.LBB80_2:
	s_mov_b32 s0, 0
.LBB80_3:
	s_mov_b64 s[12:13], 0
	s_andn2_b32 vcc_lo, exec_lo, s0
	s_mov_b64 s[16:17], 0
	s_cbranch_vccnz .LBB80_5
; %bb.4:
	s_load_dwordx2 s[2:3], s[4:5], 0x38
	s_waitcnt lgkmcnt(0)
	s_mul_i32 s0, s3, s7
	s_mul_hi_u32 s3, s2, s7
	s_mul_i32 s2, s2, s7
	s_add_i32 s3, s3, s0
	s_lshl_b64 s[2:3], s[2:3], 2
	s_add_u32 s16, s10, s2
	s_addc_u32 s17, s11, s3
.LBB80_5:
	s_clause 0x1
	s_load_dword s3, s[4:5], 0x40
	s_load_dwordx4 s[8:11], s[4:5], 0x58
	v_cmp_neq_f32_e64 s22, s15, 0
	s_waitcnt lgkmcnt(0)
	v_cmp_eq_f32_e64 s0, s3, 0
	s_and_b32 s0, exec_lo, s0
	s_mov_b32 vcc_lo, s0
	s_cbranch_vccnz .LBB80_7
; %bb.6:
	s_load_dwordx2 s[12:13], s[4:5], 0x48
	s_mul_i32 s2, s9, s7
	s_mul_hi_u32 s9, s8, s7
	s_mul_i32 s8, s8, s7
	s_add_i32 s9, s9, s2
	s_lshl_b64 s[8:9], s[8:9], 2
	s_waitcnt lgkmcnt(0)
	s_add_u32 s12, s12, s8
	s_addc_u32 s13, s13, s9
.LBB80_7:
	s_clause 0x2
	s_load_dword s2, s[4:5], 0x0
	s_load_dword s9, s[4:5], 0x18
	s_load_dword s21, s[4:5], 0x30
	v_lshl_add_u32 v3, v1, 3, v0
	v_and_b32_e32 v12, 3, v0
	v_cndmask_b32_e64 v5, 0, 1, s22
	v_mov_b32_e32 v8, 0
	v_mov_b32_e32 v11, 0
	v_lshrrev_b32_e32 v6, 2, v3
	v_and_b32_e32 v10, 63, v3
	v_mov_b32_e32 v14, 0
	v_lshrrev_b32_e32 v13, 6, v3
	v_lshlrev_b32_e32 v7, 2, v12
	v_mov_b32_e32 v15, 0
	s_waitcnt lgkmcnt(0)
	s_add_i32 s2, s2, -1
	s_ashr_i32 s8, s2, 31
	s_lshr_b32 s8, s8, 26
	s_add_i32 s2, s2, s8
	s_ashr_i32 s2, s2, 6
	s_add_i32 s8, s2, 1
	s_not_b32 s2, s2
	v_cvt_f32_u32_e32 v2, s8
	v_rcp_iflag_f32_e32 v2, v2
	v_mul_f32_e32 v2, 0x4f7ffffe, v2
	v_cvt_u32_f32_e32 v2, v2
	v_readfirstlane_b32 s20, v2
	s_mul_i32 s2, s2, s20
	s_mul_hi_u32 s2, s20, s2
	s_add_i32 s20, s20, s2
	s_mul_hi_u32 s2, s6, s20
	s_ashr_i32 s20, s9, 31
	s_mul_i32 s23, s2, s8
	s_add_i32 s24, s2, 1
	s_sub_i32 s23, s6, s23
	s_sub_i32 s25, s23, s8
	s_cmp_ge_u32 s23, s8
	s_cselect_b32 s2, s24, s2
	s_cselect_b32 s23, s25, s23
	s_add_i32 s24, s2, 1
	s_cmp_ge_u32 s23, s8
	s_cselect_b32 s2, s24, s2
	s_andn2_b32 vcc_lo, exec_lo, s22
	s_mul_i32 s8, s2, s8
	s_sub_i32 s6, s6, s8
	s_lshl_b32 s8, s2, 7
	s_lshl_b32 s6, s6, 6
	v_add_nc_u32_e32 v4, s8, v6
	v_or_b32_e32 v2, s6, v10
	v_cmp_ne_u32_e64 s2, 1, v5
	v_add_nc_u32_e32 v5, 64, v4
	v_ashrrev_i32_e32 v3, 31, v2
	s_cbranch_vccnz .LBB80_9
; %bb.8:
	v_mad_i64_i32 v[14:15], null, s9, v13, 0
	v_mad_i64_i32 v[16:17], null, v4, s21, 0
	v_lshlrev_b64 v[18:19], 2, v[2:3]
	v_mad_i64_i32 v[20:21], null, v5, s21, 0
	v_lshlrev_b64 v[14:15], 2, v[14:15]
	v_add_co_u32 v9, vcc_lo, s18, v14
	v_add_co_ci_u32_e64 v11, null, s19, v15, vcc_lo
	v_lshlrev_b64 v[14:15], 2, v[16:17]
	v_add_co_u32 v16, vcc_lo, v9, v18
	v_add_co_u32 v9, s22, s16, v7
	v_add_co_ci_u32_e64 v17, null, v11, v19, vcc_lo
	v_lshlrev_b64 v[18:19], 2, v[20:21]
	v_add_co_ci_u32_e64 v11, null, s17, 0, s22
	v_add_co_u32 v14, vcc_lo, v9, v14
	v_add_co_ci_u32_e64 v15, null, v11, v15, vcc_lo
	v_add_co_u32 v18, vcc_lo, v9, v18
	v_add_co_ci_u32_e64 v19, null, v11, v19, vcc_lo
	global_load_dword v9, v[14:15], off
	global_load_dword v11, v[16:17], off
	;; [unrolled: 1-line block ×3, first 2 shown]
	s_waitcnt vmcnt(2)
	v_mul_f32_e32 v15, s15, v9
	s_waitcnt vmcnt(1)
	v_mul_f32_e32 v11, s15, v11
	;; [unrolled: 2-line block ×3, first 2 shown]
.LBB80_9:
	v_add_nc_u32_e32 v76, 4, v13
	v_mov_b32_e32 v83, 0
	v_mov_b32_e32 v9, 0
	s_and_b32 vcc_lo, exec_lo, s2
	s_cbranch_vccnz .LBB80_11
; %bb.10:
	v_mad_i64_i32 v[8:9], null, s9, v76, 0
	v_mad_i64_i32 v[16:17], null, v4, s21, 0
	v_lshlrev_b64 v[18:19], 2, v[2:3]
	v_mad_i64_i32 v[20:21], null, v5, s21, 0
	v_lshlrev_b64 v[8:9], 2, v[8:9]
	v_add_co_u32 v22, vcc_lo, s18, v8
	v_add_co_ci_u32_e64 v23, null, s19, v9, vcc_lo
	v_lshlrev_b64 v[8:9], 2, v[16:17]
	v_add_co_u32 v16, vcc_lo, v22, v18
	v_add_co_u32 v22, s2, s16, v7
	v_add_co_ci_u32_e64 v17, null, v23, v19, vcc_lo
	v_lshlrev_b64 v[18:19], 2, v[20:21]
	v_add_co_ci_u32_e64 v23, null, s17, 0, s2
	v_add_co_u32 v8, vcc_lo, v22, v8
	v_add_co_ci_u32_e64 v9, null, v23, v9, vcc_lo
	v_add_co_u32 v18, vcc_lo, v22, v18
	v_add_co_ci_u32_e64 v19, null, v23, v19, vcc_lo
	global_load_dword v8, v[8:9], off offset:16
	global_load_dword v16, v[16:17], off
	global_load_dword v17, v[18:19], off offset:16
	s_waitcnt vmcnt(2)
	v_mul_f32_e32 v9, s15, v8
	s_waitcnt vmcnt(1)
	v_mul_f32_e32 v8, s15, v16
	;; [unrolled: 2-line block ×3, first 2 shown]
.LBB80_11:
	v_lshlrev_b32_e32 v10, 4, v10
	v_lshlrev_b32_e32 v16, 4, v6
	v_mov_b32_e32 v74, 0
	v_cmp_neq_f32_e64 s2, s3, 0
	v_lshl_or_b32 v80, v0, 4, 0x1000
	v_lshl_add_u32 v84, v13, 2, v10
	v_lshl_or_b32 v79, v12, 2, v16
	v_lshlrev_b32_e32 v82, 4, v1
	v_mov_b32_e32 v75, v74
	v_mov_b32_e32 v72, v74
	v_or_b32_e32 v81, 0x1000, v84
	ds_write_b32 v84, v11 offset:4096
	ds_write2st64_b32 v79, v15, v14 offset1:4
	v_mov_b32_e32 v73, v74
	v_mov_b32_e32 v70, v74
	;; [unrolled: 1-line block ×61, first 2 shown]
	s_mov_b32 s23, 0
	s_mov_b32 s22, -1
	s_waitcnt lgkmcnt(0)
	s_barrier
	buffer_gl0_inv
.LBB80_12:                              ; =>This Inner Loop Header: Depth=1
	s_lshl_b32 s23, s23, 2
	s_andn2_b32 vcc_lo, exec_lo, s22
	v_add_nc_u32_e32 v77, s23, v80
	s_mov_b32 s22, 0
	ds_read2_b64 v[85:88], v77 offset1:16
	ds_read2_b64 v[89:92], v77 offset0:32 offset1:48
	ds_read2_b64 v[93:96], v77 offset0:64 offset1:80
	;; [unrolled: 1-line block ×3, first 2 shown]
	v_add_nc_u32_e32 v77, s23, v82
	s_mov_b32 s23, 2
	ds_read2st64_b64 v[101:104], v77 offset1:1
	ds_read2st64_b64 v[105:108], v77 offset0:2 offset1:3
	s_waitcnt lgkmcnt(5)
	v_max_f32_e32 v78, v85, v85
	v_max_f32_e32 v86, v86, v86
	v_max_f32_e32 v88, v88, v88
	s_waitcnt lgkmcnt(4)
	v_max_f32_e32 v90, v90, v90
	v_max_f32_e32 v92, v92, v92
	s_waitcnt lgkmcnt(3)
	v_max_f32_e32 v94, v94, v94
	v_max_f32_e32 v96, v96, v96
	s_waitcnt lgkmcnt(2)
	v_max_f32_e32 v98, v98, v98
	s_waitcnt lgkmcnt(1)
	v_max_f32_e32 v77, v101, v101
	v_max_f32_e32 v101, v102, v102
	v_min_f32_e32 v85, v78, v77
	v_min_f32_e32 v102, v86, v101
	v_add_f32_e32 v74, v85, v74
	v_max_f32_e32 v85, v87, v87
	v_add_f32_e32 v75, v102, v75
	v_min_f32_e32 v102, v88, v101
	v_min_f32_e32 v87, v85, v77
	v_add_f32_e32 v73, v102, v73
	v_min_f32_e32 v102, v90, v101
	v_add_f32_e32 v72, v87, v72
	v_max_f32_e32 v87, v89, v89
	v_add_f32_e32 v71, v102, v71
	v_min_f32_e32 v102, v92, v101
	v_min_f32_e32 v89, v87, v77
	v_add_f32_e32 v11, v102, v11
	v_min_f32_e32 v102, v94, v101
	v_add_f32_e32 v70, v89, v70
	v_max_f32_e32 v89, v91, v91
	v_add_f32_e32 v15, v102, v15
	v_min_f32_e32 v102, v96, v101
	v_min_f32_e32 v91, v89, v77
	v_add_f32_e32 v69, v102, v69
	v_add_f32_e32 v10, v91, v10
	v_max_f32_e32 v91, v93, v93
	v_min_f32_e32 v102, v98, v101
	v_min_f32_e32 v93, v91, v77
	v_add_f32_e32 v67, v102, v67
	v_add_f32_e32 v14, v93, v14
	v_max_f32_e32 v93, v95, v95
	v_min_f32_e32 v95, v93, v77
	v_add_f32_e32 v68, v95, v68
	v_max_f32_e32 v95, v97, v97
	v_min_f32_e32 v97, v95, v77
	v_add_f32_e32 v66, v97, v66
	v_max_f32_e32 v97, v99, v99
	v_max_f32_e32 v99, v100, v100
	v_min_f32_e32 v77, v97, v77
	v_min_f32_e32 v100, v99, v101
	v_max_f32_e32 v101, v104, v104
	v_add_f32_e32 v64, v77, v64
	v_max_f32_e32 v77, v103, v103
	v_add_f32_e32 v65, v100, v65
	v_min_f32_e32 v102, v86, v101
	v_min_f32_e32 v100, v78, v77
	v_add_f32_e32 v63, v102, v63
	v_min_f32_e32 v102, v88, v101
	v_add_f32_e32 v62, v100, v62
	;; [unrolled: 2-line block ×12, first 2 shown]
	v_min_f32_e32 v100, v95, v77
	v_min_f32_e32 v77, v97, v77
	v_add_f32_e32 v51, v102, v51
	v_add_f32_e32 v50, v100, v50
	v_min_f32_e32 v100, v99, v101
	v_add_f32_e32 v48, v77, v48
	s_waitcnt lgkmcnt(0)
	v_max_f32_e32 v77, v105, v105
	v_max_f32_e32 v101, v106, v106
	v_add_f32_e32 v49, v100, v49
	v_min_f32_e32 v100, v78, v77
	v_min_f32_e32 v102, v86, v101
	v_add_f32_e32 v46, v100, v46
	v_min_f32_e32 v100, v85, v77
	v_add_f32_e32 v47, v102, v47
	;; [unrolled: 2-line block ×11, first 2 shown]
	v_min_f32_e32 v100, v95, v77
	v_min_f32_e32 v77, v97, v77
	v_add_f32_e32 v37, v102, v37
	v_min_f32_e32 v102, v98, v101
	v_add_f32_e32 v34, v100, v34
	v_add_f32_e32 v32, v77, v32
	v_max_f32_e32 v77, v107, v107
	v_min_f32_e32 v100, v99, v101
	v_add_f32_e32 v35, v102, v35
	v_min_f32_e32 v78, v78, v77
	v_add_f32_e32 v33, v100, v33
	v_max_f32_e32 v100, v108, v108
	v_add_f32_e32 v30, v78, v30
	v_min_f32_e32 v78, v85, v77
	v_min_f32_e32 v85, v88, v100
	;; [unrolled: 1-line block ×3, first 2 shown]
	v_add_f32_e32 v28, v78, v28
	v_min_f32_e32 v78, v87, v77
	v_add_f32_e32 v29, v85, v29
	v_min_f32_e32 v85, v90, v100
	v_add_f32_e32 v31, v86, v31
	v_add_f32_e32 v26, v78, v26
	v_min_f32_e32 v78, v89, v77
	v_add_f32_e32 v27, v85, v27
	v_min_f32_e32 v85, v92, v100
	;; [unrolled: 2-line block ×8, first 2 shown]
	v_min_f32_e32 v77, v97, v77
	v_add_f32_e32 v18, v78, v18
	v_min_f32_e32 v78, v99, v100
	v_add_f32_e32 v19, v85, v19
	v_add_f32_e32 v16, v77, v16
	;; [unrolled: 1-line block ×3, first 2 shown]
	s_cbranch_vccz .LBB80_12
; %bb.13:
	v_lshl_or_b32 v6, v6, 4, v7
	v_lshl_add_u32 v77, v0, 4, 0x1400
	v_lshl_add_u32 v78, v1, 4, 0x800
	s_cmp_lt_i32 s14, 9
	ds_write_b32 v84, v8 offset:5120
	ds_write2st64_b32 v6, v9, v83 offset0:8 offset1:12
	s_waitcnt lgkmcnt(0)
	s_barrier
	buffer_gl0_inv
	s_cbranch_scc1 .LBB80_28
; %bb.14:
	v_lshlrev_b64 v[2:3], 2, v[2:3]
	v_mad_i64_i32 v[7:8], null, v4, s21, 0
	v_mad_i64_i32 v[4:5], null, v5, s21, 0
	v_add_nc_u32_e32 v83, 0x1400, v84
	v_add_co_u32 v85, vcc_lo, s18, v2
	v_add_co_ci_u32_e64 v86, null, s19, v3, vcc_lo
	v_lshlrev_b64 v[2:3], 2, v[7:8]
	v_lshlrev_b64 v[4:5], 2, v[4:5]
	v_add_nc_u32_e32 v84, 0x800, v6
	v_mov_b32_e32 v7, 0
	s_add_i32 s14, s14, -8
	s_mov_b32 s18, 8
	s_mov_b32 s19, 0
.LBB80_15:                              ; =>This Loop Header: Depth=1
                                        ;     Child Loop BB80_20 Depth 2
                                        ;     Child Loop BB80_26 Depth 2
	s_mov_b32 s21, -1
	s_mov_b32 vcc_lo, s1
                                        ; implicit-def: $vgpr8_vgpr9
	s_cbranch_vccz .LBB80_17
; %bb.16:                               ;   in Loop: Header=BB80_15 Depth=1
	v_mov_b32_e32 v8, v7
	s_mov_b32 s21, 0
.LBB80_17:                              ;   in Loop: Header=BB80_15 Depth=1
	v_mov_b32_e32 v6, 0
	v_mov_b32_e32 v9, 0
	s_andn2_b32 vcc_lo, exec_lo, s21
	s_cbranch_vccnz .LBB80_19
; %bb.18:                               ;   in Loop: Header=BB80_15 Depth=1
	v_add_nc_u32_e32 v87, s18, v13
	v_or_b32_e32 v6, s18, v12
	v_mad_u64_u32 v[8:9], null, v87, s9, 0
	v_mad_u64_u32 v[87:88], null, v87, s20, v[9:10]
	v_lshlrev_b64 v[88:89], 2, v[6:7]
	v_add_co_u32 v6, vcc_lo, s16, v88
	v_mov_b32_e32 v9, v87
	v_add_co_ci_u32_e64 v90, null, s17, v89, vcc_lo
	v_add_co_u32 v87, vcc_lo, v6, v2
	v_lshlrev_b64 v[8:9], 2, v[8:9]
	v_add_co_ci_u32_e64 v88, null, v90, v3, vcc_lo
	v_add_co_u32 v8, vcc_lo, v85, v8
	v_add_co_ci_u32_e64 v9, null, v86, v9, vcc_lo
	v_add_co_u32 v89, vcc_lo, v6, v4
	v_add_co_ci_u32_e64 v90, null, v90, v5, vcc_lo
	global_load_dword v6, v[87:88], off
	global_load_dword v9, v[8:9], off
	;; [unrolled: 1-line block ×3, first 2 shown]
	s_waitcnt vmcnt(2)
	v_mul_f32_e32 v8, s15, v6
	s_waitcnt vmcnt(1)
	v_mul_f32_e32 v6, s15, v9
	;; [unrolled: 2-line block ×3, first 2 shown]
.LBB80_19:                              ;   in Loop: Header=BB80_15 Depth=1
	s_mov_b32 s22, 0
	s_mov_b32 s21, -1
.LBB80_20:                              ;   Parent Loop BB80_15 Depth=1
                                        ; =>  This Inner Loop Header: Depth=2
	s_lshl_b32 s22, s22, 2
	s_andn2_b32 vcc_lo, exec_lo, s21
	v_add_nc_u32_e32 v99, s22, v77
	v_add_nc_u32_e32 v107, s22, v78
	s_mov_b32 s21, 0
	s_mov_b32 s22, 2
	ds_read2_b64 v[87:90], v99 offset1:16
	ds_read2_b64 v[91:94], v99 offset0:32 offset1:48
	ds_read2_b64 v[95:98], v99 offset0:64 offset1:80
	;; [unrolled: 1-line block ×3, first 2 shown]
	ds_read2st64_b64 v[103:106], v107 offset1:1
	ds_read2st64_b64 v[107:110], v107 offset0:2 offset1:3
	s_waitcnt lgkmcnt(5)
	v_max_f32_e32 v112, v88, v88
	v_max_f32_e32 v111, v87, v87
	s_waitcnt lgkmcnt(1)
	v_max_f32_e32 v104, v104, v104
	v_max_f32_e32 v103, v103, v103
	v_min_f32_e32 v88, v112, v104
	v_min_f32_e32 v87, v111, v103
	v_add_f32_e32 v75, v88, v75
	v_max_f32_e32 v88, v89, v89
	v_max_f32_e32 v89, v90, v90
	v_add_f32_e32 v74, v87, v74
	v_min_f32_e32 v87, v88, v103
	v_min_f32_e32 v90, v89, v104
	v_add_f32_e32 v72, v87, v72
	v_add_f32_e32 v73, v90, v73
	v_max_f32_e32 v90, v91, v91
	v_max_f32_e32 v91, v92, v92
	v_min_f32_e32 v87, v90, v103
	v_min_f32_e32 v92, v91, v104
	v_add_f32_e32 v70, v87, v70
	v_add_f32_e32 v71, v92, v71
	v_max_f32_e32 v92, v93, v93
	v_max_f32_e32 v93, v94, v94
	;; [unrolled: 6-line block ×6, first 2 shown]
	v_min_f32_e32 v101, v100, v103
	v_min_f32_e32 v102, v87, v104
	v_max_f32_e32 v103, v106, v106
	v_add_f32_e32 v64, v101, v64
	v_max_f32_e32 v101, v105, v105
	v_add_f32_e32 v65, v102, v65
	v_min_f32_e32 v104, v112, v103
	v_min_f32_e32 v102, v111, v101
	v_add_f32_e32 v63, v104, v63
	v_min_f32_e32 v104, v89, v103
	v_add_f32_e32 v62, v102, v62
	;; [unrolled: 2-line block ×12, first 2 shown]
	v_min_f32_e32 v102, v98, v101
	v_min_f32_e32 v101, v100, v101
	v_add_f32_e32 v51, v104, v51
	v_add_f32_e32 v50, v102, v50
	v_min_f32_e32 v102, v87, v103
	v_add_f32_e32 v48, v101, v48
	s_waitcnt lgkmcnt(0)
	v_max_f32_e32 v101, v107, v107
	v_max_f32_e32 v103, v108, v108
	v_add_f32_e32 v49, v102, v49
	v_min_f32_e32 v102, v111, v101
	v_min_f32_e32 v104, v112, v103
	v_add_f32_e32 v46, v102, v46
	v_min_f32_e32 v102, v88, v101
	v_add_f32_e32 v47, v104, v47
	;; [unrolled: 2-line block ×11, first 2 shown]
	v_min_f32_e32 v102, v98, v101
	v_min_f32_e32 v101, v100, v101
	v_add_f32_e32 v37, v104, v37
	v_min_f32_e32 v104, v99, v103
	v_add_f32_e32 v34, v102, v34
	v_add_f32_e32 v32, v101, v32
	v_max_f32_e32 v101, v109, v109
	v_min_f32_e32 v102, v87, v103
	v_max_f32_e32 v103, v110, v110
	v_add_f32_e32 v35, v104, v35
	v_min_f32_e32 v88, v88, v101
	v_add_f32_e32 v33, v102, v33
	v_min_f32_e32 v89, v89, v103
	v_min_f32_e32 v102, v111, v101
	;; [unrolled: 1-line block ×3, first 2 shown]
	v_add_f32_e32 v28, v88, v28
	v_min_f32_e32 v88, v90, v101
	v_add_f32_e32 v29, v89, v29
	v_min_f32_e32 v89, v91, v103
	v_min_f32_e32 v87, v87, v103
	v_add_f32_e32 v31, v104, v31
	v_add_f32_e32 v26, v88, v26
	v_min_f32_e32 v88, v92, v101
	v_add_f32_e32 v27, v89, v27
	v_min_f32_e32 v89, v93, v103
	v_add_f32_e32 v30, v102, v30
	v_add_f32_e32 v17, v87, v17
	;; [unrolled: 1-line block ×3, first 2 shown]
	v_min_f32_e32 v88, v94, v101
	v_add_f32_e32 v25, v89, v25
	v_min_f32_e32 v89, v95, v103
	v_add_f32_e32 v22, v88, v22
	;; [unrolled: 2-line block ×7, first 2 shown]
	v_add_f32_e32 v16, v88, v16
	s_cbranch_vccz .LBB80_20
; %bb.21:                               ;   in Loop: Header=BB80_15 Depth=1
	s_mov_b32 s21, -1
	s_mov_b32 vcc_lo, s1
	ds_write_b32 v81, v6
	ds_write2st64_b32 v79, v8, v9 offset1:4
	s_waitcnt lgkmcnt(0)
	s_barrier
	buffer_gl0_inv
                                        ; implicit-def: $vgpr8_vgpr9
	s_cbranch_vccz .LBB80_23
; %bb.22:                               ;   in Loop: Header=BB80_15 Depth=1
	v_mov_b32_e32 v8, v7
	s_mov_b32 s21, 0
.LBB80_23:                              ;   in Loop: Header=BB80_15 Depth=1
	v_mov_b32_e32 v6, 0
	v_mov_b32_e32 v9, 0
	s_andn2_b32 vcc_lo, exec_lo, s21
	s_cbranch_vccnz .LBB80_25
; %bb.24:                               ;   in Loop: Header=BB80_15 Depth=1
	v_add_nc_u32_e32 v87, s18, v76
	v_or_b32_e32 v6, s18, v12
	v_mad_u64_u32 v[8:9], null, v87, s9, 0
	v_mad_u64_u32 v[87:88], null, v87, s20, v[9:10]
	v_lshlrev_b64 v[88:89], 2, v[6:7]
	v_add_co_u32 v6, vcc_lo, s16, v88
	v_mov_b32_e32 v9, v87
	v_add_co_ci_u32_e64 v90, null, s17, v89, vcc_lo
	v_add_co_u32 v87, vcc_lo, v6, v2
	v_lshlrev_b64 v[8:9], 2, v[8:9]
	v_add_co_ci_u32_e64 v88, null, v90, v3, vcc_lo
	v_add_co_u32 v8, vcc_lo, v85, v8
	v_add_co_ci_u32_e64 v9, null, v86, v9, vcc_lo
	v_add_co_u32 v89, vcc_lo, v6, v4
	v_add_co_ci_u32_e64 v90, null, v90, v5, vcc_lo
	global_load_dword v6, v[87:88], off offset:16
	global_load_dword v9, v[8:9], off
	global_load_dword v87, v[89:90], off offset:16
	s_waitcnt vmcnt(2)
	v_mul_f32_e32 v8, s15, v6
	s_waitcnt vmcnt(1)
	v_mul_f32_e32 v6, s15, v9
	;; [unrolled: 2-line block ×3, first 2 shown]
.LBB80_25:                              ;   in Loop: Header=BB80_15 Depth=1
	s_mov_b32 s22, 0
	s_mov_b32 s21, -1
.LBB80_26:                              ;   Parent Loop BB80_15 Depth=1
                                        ; =>  This Inner Loop Header: Depth=2
	s_lshl_b32 s22, s22, 2
	s_andn2_b32 vcc_lo, exec_lo, s21
	v_add_nc_u32_e32 v99, s22, v80
	v_add_nc_u32_e32 v107, s22, v82
	s_mov_b32 s21, 0
	s_mov_b32 s22, 2
	ds_read2_b64 v[87:90], v99 offset1:16
	ds_read2_b64 v[91:94], v99 offset0:32 offset1:48
	ds_read2_b64 v[95:98], v99 offset0:64 offset1:80
	;; [unrolled: 1-line block ×3, first 2 shown]
	ds_read2st64_b64 v[103:106], v107 offset1:1
	ds_read2st64_b64 v[107:110], v107 offset0:2 offset1:3
	s_waitcnt lgkmcnt(5)
	v_max_f32_e32 v87, v87, v87
	v_max_f32_e32 v88, v88, v88
	;; [unrolled: 1-line block ×3, first 2 shown]
	s_waitcnt lgkmcnt(1)
	v_max_f32_e32 v103, v103, v103
	v_max_f32_e32 v104, v104, v104
	;; [unrolled: 1-line block ×5, first 2 shown]
	v_min_f32_e32 v111, v87, v103
	v_min_f32_e32 v112, v88, v104
	v_max_f32_e32 v93, v93, v93
	v_max_f32_e32 v94, v94, v94
	;; [unrolled: 1-line block ×3, first 2 shown]
	v_add_f32_e32 v74, v111, v74
	v_min_f32_e32 v111, v89, v103
	v_add_f32_e32 v75, v112, v75
	v_min_f32_e32 v112, v90, v104
	v_max_f32_e32 v96, v96, v96
	v_max_f32_e32 v97, v97, v97
	v_add_f32_e32 v72, v111, v72
	v_min_f32_e32 v111, v91, v103
	v_add_f32_e32 v73, v112, v73
	v_min_f32_e32 v112, v92, v104
	v_max_f32_e32 v98, v98, v98
	v_max_f32_e32 v99, v99, v99
	;; [unrolled: 6-line block ×3, first 2 shown]
	v_add_f32_e32 v10, v111, v10
	v_min_f32_e32 v111, v95, v103
	v_add_f32_e32 v11, v112, v11
	v_min_f32_e32 v112, v96, v104
	v_max_f32_e32 v102, v102, v102
	v_add_f32_e32 v14, v111, v14
	v_min_f32_e32 v111, v97, v103
	v_add_f32_e32 v15, v112, v15
	v_min_f32_e32 v112, v98, v104
	;; [unrolled: 2-line block ×3, first 2 shown]
	v_min_f32_e32 v103, v101, v103
	v_add_f32_e32 v69, v112, v69
	v_min_f32_e32 v112, v100, v104
	v_min_f32_e32 v104, v102, v104
	v_add_f32_e32 v66, v111, v66
	v_add_f32_e32 v64, v103, v64
	v_max_f32_e32 v103, v105, v105
	v_max_f32_e32 v105, v106, v106
	v_add_f32_e32 v65, v104, v65
	v_add_f32_e32 v67, v112, v67
	v_min_f32_e32 v104, v87, v103
	v_min_f32_e32 v106, v88, v105
	v_add_f32_e32 v62, v104, v62
	v_min_f32_e32 v104, v89, v103
	v_add_f32_e32 v63, v106, v63
	;; [unrolled: 2-line block ×11, first 2 shown]
	v_min_f32_e32 v104, v99, v103
	v_min_f32_e32 v103, v101, v103
	v_add_f32_e32 v53, v106, v53
	v_min_f32_e32 v106, v100, v105
	v_add_f32_e32 v50, v104, v50
	;; [unrolled: 2-line block ×3, first 2 shown]
	s_waitcnt lgkmcnt(0)
	v_max_f32_e32 v103, v107, v107
	v_max_f32_e32 v105, v108, v108
	v_add_f32_e32 v51, v106, v51
	v_add_f32_e32 v49, v104, v49
	v_min_f32_e32 v104, v87, v103
	v_min_f32_e32 v106, v88, v105
	v_add_f32_e32 v46, v104, v46
	v_min_f32_e32 v104, v89, v103
	v_add_f32_e32 v47, v106, v47
	;; [unrolled: 2-line block ×11, first 2 shown]
	v_min_f32_e32 v104, v99, v103
	v_min_f32_e32 v103, v101, v103
	v_add_f32_e32 v37, v106, v37
	v_min_f32_e32 v106, v100, v105
	v_add_f32_e32 v34, v104, v34
	;; [unrolled: 2-line block ×3, first 2 shown]
	v_max_f32_e32 v103, v109, v109
	v_add_f32_e32 v35, v106, v35
	v_add_f32_e32 v33, v104, v33
	v_max_f32_e32 v104, v110, v110
	v_min_f32_e32 v87, v87, v103
	v_min_f32_e32 v88, v88, v104
	v_add_f32_e32 v30, v87, v30
	v_min_f32_e32 v87, v89, v103
	v_add_f32_e32 v31, v88, v31
	;; [unrolled: 2-line block ×15, first 2 shown]
	v_add_f32_e32 v17, v88, v17
	s_cbranch_vccz .LBB80_26
; %bb.27:                               ;   in Loop: Header=BB80_15 Depth=1
	s_add_i32 s19, s19, 8
	s_add_i32 s18, s18, 8
	s_cmp_ge_i32 s19, s14
	ds_write_b32 v83, v6
	ds_write2st64_b32 v84, v8, v9 offset1:4
	s_waitcnt lgkmcnt(0)
	s_barrier
	buffer_gl0_inv
	s_cbranch_scc0 .LBB80_15
.LBB80_28:
	s_mov_b32 s9, 0
	s_mov_b32 s1, -1
.LBB80_29:                              ; =>This Inner Loop Header: Depth=1
	s_lshl_b32 s9, s9, 2
	s_andn2_b32 vcc_lo, exec_lo, s1
	v_add_nc_u32_e32 v12, s9, v77
	s_mov_b32 s1, 0
	ds_read2_b64 v[2:5], v12 offset1:16
	ds_read2_b64 v[6:9], v12 offset0:32 offset1:48
	ds_read2_b64 v[79:82], v12 offset0:64 offset1:80
	;; [unrolled: 1-line block ×3, first 2 shown]
	v_add_nc_u32_e32 v12, s9, v78
	s_mov_b32 s9, 2
	ds_read2st64_b64 v[87:90], v12 offset1:1
	ds_read2st64_b64 v[91:94], v12 offset0:2 offset1:3
	s_waitcnt lgkmcnt(5)
	v_max_f32_e32 v2, v2, v2
	v_max_f32_e32 v4, v4, v4
	s_waitcnt lgkmcnt(4)
	v_max_f32_e32 v6, v6, v6
	v_max_f32_e32 v8, v8, v8
	;; [unrolled: 1-line block ×6, first 2 shown]
	s_waitcnt lgkmcnt(1)
	v_max_f32_e32 v12, v87, v87
	v_max_f32_e32 v76, v88, v88
	;; [unrolled: 1-line block ×5, first 2 shown]
	v_min_f32_e32 v13, v2, v12
	v_min_f32_e32 v87, v3, v76
	v_add_f32_e32 v74, v13, v74
	v_min_f32_e32 v13, v4, v12
	v_add_f32_e32 v75, v87, v75
	;; [unrolled: 2-line block ×7, first 2 shown]
	v_max_f32_e32 v13, v79, v79
	v_add_f32_e32 v11, v87, v11
	v_min_f32_e32 v87, v80, v76
	v_min_f32_e32 v79, v13, v12
	v_add_f32_e32 v15, v87, v15
	v_min_f32_e32 v87, v82, v76
	v_add_f32_e32 v14, v79, v14
	v_max_f32_e32 v79, v81, v81
	v_add_f32_e32 v69, v87, v69
	v_min_f32_e32 v87, v84, v76
	v_min_f32_e32 v81, v79, v12
	v_add_f32_e32 v67, v87, v67
	v_add_f32_e32 v68, v81, v68
	v_max_f32_e32 v81, v83, v83
	v_min_f32_e32 v83, v81, v12
	v_add_f32_e32 v66, v83, v66
	v_max_f32_e32 v83, v85, v85
	v_max_f32_e32 v85, v86, v86
	;; [unrolled: 1-line block ×3, first 2 shown]
	v_min_f32_e32 v12, v83, v12
	v_min_f32_e32 v76, v85, v76
	;; [unrolled: 1-line block ×3, first 2 shown]
	v_add_f32_e32 v64, v12, v64
	v_max_f32_e32 v12, v89, v89
	v_add_f32_e32 v65, v76, v65
	v_add_f32_e32 v63, v87, v63
	v_min_f32_e32 v87, v5, v86
	v_min_f32_e32 v76, v2, v12
	v_add_f32_e32 v61, v87, v61
	v_min_f32_e32 v87, v7, v86
	v_add_f32_e32 v62, v76, v62
	;; [unrolled: 2-line block ×11, first 2 shown]
	v_add_f32_e32 v52, v76, v52
	v_min_f32_e32 v76, v81, v12
	v_min_f32_e32 v12, v83, v12
	v_add_f32_e32 v50, v76, v50
	v_min_f32_e32 v76, v85, v86
	v_add_f32_e32 v48, v12, v48
	s_waitcnt lgkmcnt(0)
	v_max_f32_e32 v12, v91, v91
	v_max_f32_e32 v86, v92, v92
	v_add_f32_e32 v49, v76, v49
	v_min_f32_e32 v76, v2, v12
	v_min_f32_e32 v87, v3, v86
	v_add_f32_e32 v46, v76, v46
	v_min_f32_e32 v76, v4, v12
	v_add_f32_e32 v47, v87, v47
	;; [unrolled: 2-line block ×11, first 2 shown]
	v_min_f32_e32 v76, v81, v12
	v_min_f32_e32 v12, v83, v12
	v_add_f32_e32 v37, v87, v37
	v_min_f32_e32 v87, v84, v86
	v_add_f32_e32 v34, v76, v34
	;; [unrolled: 2-line block ×3, first 2 shown]
	v_max_f32_e32 v12, v93, v93
	v_add_f32_e32 v35, v87, v35
	v_add_f32_e32 v33, v76, v33
	v_max_f32_e32 v76, v94, v94
	v_min_f32_e32 v2, v2, v12
	v_min_f32_e32 v3, v3, v76
	v_add_f32_e32 v30, v2, v30
	v_min_f32_e32 v2, v4, v12
	v_add_f32_e32 v31, v3, v31
	;; [unrolled: 2-line block ×15, first 2 shown]
	v_add_f32_e32 v17, v3, v17
	s_cbranch_vccz .LBB80_29
; %bb.30:
	s_load_dword s9, s[4:5], 0x50
	v_add_nc_u32_e32 v76, s8, v1
	v_add_nc_u32_e32 v12, s6, v0
	v_cndmask_b32_e64 v0, 0, 1, s2
	v_mov_b32_e32 v4, 0
	v_ashrrev_i32_e32 v13, 31, v12
	v_cmp_ne_u32_e64 s1, 1, v0
	s_waitcnt lgkmcnt(0)
	v_mad_i64_i32 v[1:2], null, v76, s9, 0
	v_lshlrev_b64 v[2:3], 2, v[1:2]
	v_lshlrev_b64 v[0:1], 2, v[12:13]
	v_add_co_u32 v77, vcc_lo, s12, v2
	v_add_co_ci_u32_e64 v78, null, s13, v3, vcc_lo
	v_mov_b32_e32 v2, 0
	s_andn2_b32 vcc_lo, exec_lo, s2
	s_cbranch_vccnz .LBB80_32
; %bb.31:
	v_add_co_u32 v2, vcc_lo, v77, v0
	v_add_co_ci_u32_e64 v3, null, v78, v1, vcc_lo
	global_load_dword v2, v[2:3], off
	s_waitcnt vmcnt(0)
	v_mul_f32_e32 v2, s3, v2
.LBB80_32:
	s_clause 0x1
	s_load_dword s2, s[4:5], 0x68
	s_load_dwordx2 s[4:5], s[4:5], 0x70
	v_add_nc_u32_e32 v7, 8, v12
	v_add_f32_e32 v3, v74, v75
	v_ashrrev_i32_e32 v8, 31, v7
	v_add_f32_e32 v9, v3, v2
	v_lshlrev_b64 v[2:3], 2, v[7:8]
	s_waitcnt lgkmcnt(0)
	v_mad_i64_i32 v[5:6], null, v76, s2, 0
	s_mul_i32 s5, s5, s7
	s_mul_hi_u32 s6, s4, s7
	s_mul_i32 s4, s4, s7
	s_add_i32 s5, s6, s5
	s_lshl_b64 s[4:5], s[4:5], 2
	v_lshlrev_b64 v[5:6], 2, v[5:6]
	s_add_u32 s4, s10, s4
	s_addc_u32 s5, s11, s5
	v_add_co_u32 v74, vcc_lo, s4, v5
	v_add_co_ci_u32_e64 v75, null, s5, v6, vcc_lo
	v_add_co_u32 v5, vcc_lo, v74, v0
	v_add_co_ci_u32_e64 v6, null, v75, v1, vcc_lo
	s_and_b32 vcc_lo, exec_lo, s1
	global_store_dword v[5:6], v9, off
	s_cbranch_vccnz .LBB80_34
; %bb.33:
	v_add_co_u32 v4, vcc_lo, v77, v2
	v_add_co_ci_u32_e64 v5, null, v78, v3, vcc_lo
	global_load_dword v4, v[4:5], off
	s_waitcnt vmcnt(0)
	v_mul_f32_e32 v4, s3, v4
.LBB80_34:
	v_add_nc_u32_e32 v5, 16, v12
	v_add_f32_e32 v7, v72, v73
	v_add_co_u32 v72, vcc_lo, v74, v2
	v_add_co_ci_u32_e64 v73, null, v75, v3, vcc_lo
	v_ashrrev_i32_e32 v6, 31, v5
	v_add_f32_e32 v7, v7, v4
	v_mov_b32_e32 v8, 0
	s_and_b32 vcc_lo, exec_lo, s1
	v_lshlrev_b64 v[4:5], 2, v[5:6]
	v_mov_b32_e32 v6, 0
	global_store_dword v[72:73], v7, off
	s_cbranch_vccnz .LBB80_36
; %bb.35:
	v_add_co_u32 v6, vcc_lo, v77, v4
	v_add_co_ci_u32_e64 v7, null, v78, v5, vcc_lo
	global_load_dword v6, v[6:7], off
	s_waitcnt vmcnt(0)
	v_mul_f32_e32 v6, s3, v6
.LBB80_36:
	v_add_nc_u32_e32 v72, 24, v12
	v_add_f32_e32 v7, v70, v71
	v_add_co_u32 v70, vcc_lo, v74, v4
	v_add_co_ci_u32_e64 v71, null, v75, v5, vcc_lo
	v_ashrrev_i32_e32 v73, 31, v72
	v_add_f32_e32 v9, v7, v6
	s_and_b32 vcc_lo, exec_lo, s1
	v_lshlrev_b64 v[6:7], 2, v[72:73]
	global_store_dword v[70:71], v9, off
	s_cbranch_vccnz .LBB80_38
; %bb.37:
	v_add_co_u32 v8, vcc_lo, v77, v6
	v_add_co_ci_u32_e64 v9, null, v78, v7, vcc_lo
	global_load_dword v8, v[8:9], off
	s_waitcnt vmcnt(0)
	v_mul_f32_e32 v8, s3, v8
.LBB80_38:
	v_add_nc_u32_e32 v9, 32, v12
	v_add_f32_e32 v11, v10, v11
	v_add_co_u32 v70, vcc_lo, v74, v6
	v_add_co_ci_u32_e64 v71, null, v75, v7, vcc_lo
	v_ashrrev_i32_e32 v10, 31, v9
	v_add_f32_e32 v13, v11, v8
	v_mov_b32_e32 v8, 0
	s_and_b32 vcc_lo, exec_lo, s1
	v_lshlrev_b64 v[10:11], 2, v[9:10]
	v_mov_b32_e32 v9, 0
	global_store_dword v[70:71], v13, off
	s_cbranch_vccnz .LBB80_40
; %bb.39:
	v_add_co_u32 v70, vcc_lo, v77, v10
	v_add_co_ci_u32_e64 v71, null, v78, v11, vcc_lo
	global_load_dword v9, v[70:71], off
	s_waitcnt vmcnt(0)
	v_mul_f32_e32 v9, s3, v9
.LBB80_40:
	v_add_nc_u32_e32 v13, 40, v12
	v_add_f32_e32 v15, v14, v15
	v_add_co_u32 v70, vcc_lo, v74, v10
	v_add_co_ci_u32_e64 v71, null, v75, v11, vcc_lo
	v_ashrrev_i32_e32 v14, 31, v13
	v_add_f32_e32 v9, v15, v9
	s_and_b32 vcc_lo, exec_lo, s1
	v_lshlrev_b64 v[14:15], 2, v[13:14]
	global_store_dword v[70:71], v9, off
	s_cbranch_vccnz .LBB80_42
; %bb.41:
	v_add_co_u32 v8, vcc_lo, v77, v14
	v_add_co_ci_u32_e64 v9, null, v78, v15, vcc_lo
	global_load_dword v8, v[8:9], off
	s_waitcnt vmcnt(0)
	v_mul_f32_e32 v8, s3, v8
.LBB80_42:
	v_add_nc_u32_e32 v70, 48, v12
	v_add_f32_e32 v9, v68, v69
	v_add_co_u32 v72, vcc_lo, v74, v14
	v_add_co_ci_u32_e64 v73, null, v75, v15, vcc_lo
	v_ashrrev_i32_e32 v71, 31, v70
	v_add_f32_e32 v69, v9, v8
	v_mov_b32_e32 v68, 0
	v_mov_b32_e32 v13, 0
	s_and_b32 vcc_lo, exec_lo, s1
	v_lshlrev_b64 v[8:9], 2, v[70:71]
	global_store_dword v[72:73], v69, off
	s_cbranch_vccnz .LBB80_44
; %bb.43:
	v_add_co_u32 v69, vcc_lo, v77, v8
	v_add_co_ci_u32_e64 v70, null, v78, v9, vcc_lo
	global_load_dword v13, v[69:70], off
	s_waitcnt vmcnt(0)
	v_mul_f32_e32 v13, s3, v13
.LBB80_44:
	v_add_nc_u32_e32 v69, 56, v12
	v_add_f32_e32 v12, v66, v67
	v_add_co_u32 v66, vcc_lo, v74, v8
	v_add_co_ci_u32_e64 v67, null, v75, v9, vcc_lo
	v_ashrrev_i32_e32 v70, 31, v69
	v_add_f32_e32 v71, v12, v13
	s_and_b32 vcc_lo, exec_lo, s1
	v_lshlrev_b64 v[12:13], 2, v[69:70]
	global_store_dword v[66:67], v71, off
	s_cbranch_vccnz .LBB80_46
; %bb.45:
	v_add_co_u32 v66, vcc_lo, v77, v12
	v_add_co_ci_u32_e64 v67, null, v78, v13, vcc_lo
	global_load_dword v66, v[66:67], off
	s_waitcnt vmcnt(0)
	v_mul_f32_e32 v68, s3, v66
.LBB80_46:
	v_add_nc_u32_e32 v67, 32, v76
	v_add_f32_e32 v71, v64, v65
	v_mov_b32_e32 v66, 0
	v_mad_i64_i32 v[69:70], null, v67, s9, 0
	v_add_f32_e32 v71, v71, v68
	v_mov_b32_e32 v68, 0
	v_lshlrev_b64 v[64:65], 2, v[69:70]
	v_add_co_u32 v69, vcc_lo, v74, v12
	v_add_co_ci_u32_e64 v70, null, v75, v13, vcc_lo
	v_add_co_u32 v64, vcc_lo, s12, v64
	v_add_co_ci_u32_e64 v65, null, s13, v65, vcc_lo
	s_and_b32 vcc_lo, exec_lo, s1
	global_store_dword v[69:70], v71, off
	s_cbranch_vccnz .LBB80_48
; %bb.47:
	v_add_co_u32 v68, vcc_lo, v64, v0
	v_add_co_ci_u32_e64 v69, null, v65, v1, vcc_lo
	global_load_dword v68, v[68:69], off
	s_waitcnt vmcnt(0)
	v_mul_f32_e32 v68, s3, v68
.LBB80_48:
	v_mad_i64_i32 v[69:70], null, v67, s2, 0
	v_add_f32_e32 v67, v62, v63
	v_lshlrev_b64 v[69:70], 2, v[69:70]
	v_add_co_u32 v62, vcc_lo, s4, v69
	v_add_co_ci_u32_e64 v63, null, s5, v70, vcc_lo
	v_add_f32_e32 v69, v67, v68
	v_add_co_u32 v67, vcc_lo, v62, v0
	v_add_co_ci_u32_e64 v68, null, v63, v1, vcc_lo
	s_and_b32 vcc_lo, exec_lo, s1
	global_store_dword v[67:68], v69, off
	s_cbranch_vccnz .LBB80_50
; %bb.49:
	v_add_co_u32 v66, vcc_lo, v64, v2
	v_add_co_ci_u32_e64 v67, null, v65, v3, vcc_lo
	global_load_dword v66, v[66:67], off
	s_waitcnt vmcnt(0)
	v_mul_f32_e32 v66, s3, v66
.LBB80_50:
	v_add_f32_e32 v60, v60, v61
	v_add_co_u32 v67, vcc_lo, v62, v2
	v_add_co_ci_u32_e64 v68, null, v63, v3, vcc_lo
	v_add_f32_e32 v66, v60, v66
	v_mov_b32_e32 v60, 0
	v_mov_b32_e32 v61, 0
	s_and_b32 vcc_lo, exec_lo, s1
	global_store_dword v[67:68], v66, off
	s_cbranch_vccnz .LBB80_52
; %bb.51:
	v_add_co_u32 v66, vcc_lo, v64, v4
	v_add_co_ci_u32_e64 v67, null, v65, v5, vcc_lo
	global_load_dword v61, v[66:67], off
	s_waitcnt vmcnt(0)
	v_mul_f32_e32 v61, s3, v61
.LBB80_52:
	v_add_f32_e32 v58, v58, v59
	v_add_f32_e32 v61, v58, v61
	v_add_co_u32 v58, vcc_lo, v62, v4
	v_add_co_ci_u32_e64 v59, null, v63, v5, vcc_lo
	s_and_b32 vcc_lo, exec_lo, s1
	global_store_dword v[58:59], v61, off
	s_cbranch_vccnz .LBB80_54
; %bb.53:
	v_add_co_u32 v58, vcc_lo, v64, v6
	v_add_co_ci_u32_e64 v59, null, v65, v7, vcc_lo
	global_load_dword v58, v[58:59], off
	s_waitcnt vmcnt(0)
	v_mul_f32_e32 v60, s3, v58
.LBB80_54:
	v_add_f32_e32 v56, v56, v57
	v_add_co_u32 v58, vcc_lo, v62, v6
	v_add_co_ci_u32_e64 v59, null, v63, v7, vcc_lo
	v_add_f32_e32 v60, v56, v60
	v_mov_b32_e32 v56, 0
	v_mov_b32_e32 v57, 0
	s_and_b32 vcc_lo, exec_lo, s1
	global_store_dword v[58:59], v60, off
	s_cbranch_vccnz .LBB80_56
; %bb.55:
	v_add_co_u32 v57, vcc_lo, v64, v10
	v_add_co_ci_u32_e64 v58, null, v65, v11, vcc_lo
	global_load_dword v57, v[57:58], off
	s_waitcnt vmcnt(0)
	v_mul_f32_e32 v57, s3, v57
.LBB80_56:
	v_add_f32_e32 v54, v54, v55
	;; [unrolled: 30-line block ×3, first 2 shown]
	v_add_f32_e32 v53, v50, v53
	v_add_co_u32 v50, vcc_lo, v62, v8
	v_add_co_ci_u32_e64 v51, null, v63, v9, vcc_lo
	s_and_b32 vcc_lo, exec_lo, s1
	global_store_dword v[50:51], v53, off
	s_cbranch_vccnz .LBB80_62
; %bb.61:
	v_add_co_u32 v50, vcc_lo, v64, v12
	v_add_co_ci_u32_e64 v51, null, v65, v13, vcc_lo
	global_load_dword v50, v[50:51], off
	s_waitcnt vmcnt(0)
	v_mul_f32_e32 v52, s3, v50
.LBB80_62:
	v_add_nc_u32_e32 v51, 64, v76
	v_add_f32_e32 v55, v48, v49
	v_mov_b32_e32 v50, 0
	v_mad_i64_i32 v[53:54], null, v51, s9, 0
	v_add_f32_e32 v55, v55, v52
	v_mov_b32_e32 v52, 0
	v_lshlrev_b64 v[48:49], 2, v[53:54]
	v_add_co_u32 v53, vcc_lo, v62, v12
	v_add_co_ci_u32_e64 v54, null, v63, v13, vcc_lo
	v_add_co_u32 v48, vcc_lo, s12, v48
	v_add_co_ci_u32_e64 v49, null, s13, v49, vcc_lo
	s_and_b32 vcc_lo, exec_lo, s1
	global_store_dword v[53:54], v55, off
	s_cbranch_vccnz .LBB80_64
; %bb.63:
	v_add_co_u32 v52, vcc_lo, v48, v0
	v_add_co_ci_u32_e64 v53, null, v49, v1, vcc_lo
	global_load_dword v52, v[52:53], off
	s_waitcnt vmcnt(0)
	v_mul_f32_e32 v52, s3, v52
.LBB80_64:
	v_mad_i64_i32 v[53:54], null, v51, s2, 0
	v_add_f32_e32 v51, v46, v47
	v_lshlrev_b64 v[53:54], 2, v[53:54]
	v_add_co_u32 v46, vcc_lo, s4, v53
	v_add_co_ci_u32_e64 v47, null, s5, v54, vcc_lo
	v_add_f32_e32 v53, v51, v52
	v_add_co_u32 v51, vcc_lo, v46, v0
	v_add_co_ci_u32_e64 v52, null, v47, v1, vcc_lo
	s_and_b32 vcc_lo, exec_lo, s1
	global_store_dword v[51:52], v53, off
	s_cbranch_vccnz .LBB80_66
; %bb.65:
	v_add_co_u32 v50, vcc_lo, v48, v2
	v_add_co_ci_u32_e64 v51, null, v49, v3, vcc_lo
	global_load_dword v50, v[50:51], off
	s_waitcnt vmcnt(0)
	v_mul_f32_e32 v50, s3, v50
.LBB80_66:
	v_add_f32_e32 v44, v44, v45
	v_add_co_u32 v51, vcc_lo, v46, v2
	v_add_co_ci_u32_e64 v52, null, v47, v3, vcc_lo
	v_add_f32_e32 v50, v44, v50
	v_mov_b32_e32 v44, 0
	v_mov_b32_e32 v45, 0
	s_and_b32 vcc_lo, exec_lo, s1
	global_store_dword v[51:52], v50, off
	s_cbranch_vccnz .LBB80_68
; %bb.67:
	v_add_co_u32 v50, vcc_lo, v48, v4
	v_add_co_ci_u32_e64 v51, null, v49, v5, vcc_lo
	global_load_dword v45, v[50:51], off
	s_waitcnt vmcnt(0)
	v_mul_f32_e32 v45, s3, v45
.LBB80_68:
	v_add_f32_e32 v42, v42, v43
	v_add_f32_e32 v45, v42, v45
	v_add_co_u32 v42, vcc_lo, v46, v4
	v_add_co_ci_u32_e64 v43, null, v47, v5, vcc_lo
	s_and_b32 vcc_lo, exec_lo, s1
	global_store_dword v[42:43], v45, off
	s_cbranch_vccnz .LBB80_70
; %bb.69:
	v_add_co_u32 v42, vcc_lo, v48, v6
	v_add_co_ci_u32_e64 v43, null, v49, v7, vcc_lo
	global_load_dword v42, v[42:43], off
	s_waitcnt vmcnt(0)
	v_mul_f32_e32 v44, s3, v42
.LBB80_70:
	v_add_f32_e32 v40, v40, v41
	v_add_co_u32 v42, vcc_lo, v46, v6
	v_add_co_ci_u32_e64 v43, null, v47, v7, vcc_lo
	v_add_f32_e32 v44, v40, v44
	v_mov_b32_e32 v40, 0
	v_mov_b32_e32 v41, 0
	s_and_b32 vcc_lo, exec_lo, s1
	global_store_dword v[42:43], v44, off
	s_cbranch_vccnz .LBB80_72
; %bb.71:
	v_add_co_u32 v41, vcc_lo, v48, v10
	v_add_co_ci_u32_e64 v42, null, v49, v11, vcc_lo
	global_load_dword v41, v[41:42], off
	s_waitcnt vmcnt(0)
	v_mul_f32_e32 v41, s3, v41
.LBB80_72:
	v_add_f32_e32 v38, v38, v39
	;; [unrolled: 30-line block ×3, first 2 shown]
	v_add_f32_e32 v37, v34, v37
	v_add_co_u32 v34, vcc_lo, v46, v8
	v_add_co_ci_u32_e64 v35, null, v47, v9, vcc_lo
	s_and_b32 vcc_lo, exec_lo, s1
	global_store_dword v[34:35], v37, off
	s_cbranch_vccnz .LBB80_78
; %bb.77:
	v_add_co_u32 v34, vcc_lo, v48, v12
	v_add_co_ci_u32_e64 v35, null, v49, v13, vcc_lo
	global_load_dword v34, v[34:35], off
	s_waitcnt vmcnt(0)
	v_mul_f32_e32 v36, s3, v34
.LBB80_78:
	v_add_nc_u32_e32 v35, 0x60, v76
	v_add_f32_e32 v39, v32, v33
	v_mov_b32_e32 v34, 0
	v_mad_i64_i32 v[37:38], null, v35, s9, 0
	v_add_f32_e32 v39, v39, v36
	v_mov_b32_e32 v36, 0
	v_lshlrev_b64 v[32:33], 2, v[37:38]
	v_add_co_u32 v37, vcc_lo, v46, v12
	v_add_co_ci_u32_e64 v38, null, v47, v13, vcc_lo
	v_add_co_u32 v32, vcc_lo, s12, v32
	v_add_co_ci_u32_e64 v33, null, s13, v33, vcc_lo
	s_and_b32 vcc_lo, exec_lo, s1
	global_store_dword v[37:38], v39, off
	s_cbranch_vccnz .LBB80_80
; %bb.79:
	v_add_co_u32 v36, vcc_lo, v32, v0
	v_add_co_ci_u32_e64 v37, null, v33, v1, vcc_lo
	global_load_dword v36, v[36:37], off
	s_waitcnt vmcnt(0)
	v_mul_f32_e32 v36, s3, v36
.LBB80_80:
	v_mad_i64_i32 v[37:38], null, v35, s2, 0
	v_add_f32_e32 v35, v30, v31
	v_add_f32_e32 v35, v35, v36
	v_lshlrev_b64 v[37:38], 2, v[37:38]
	v_add_co_u32 v30, vcc_lo, s4, v37
	v_add_co_ci_u32_e64 v31, null, s5, v38, vcc_lo
	v_add_co_u32 v0, vcc_lo, v30, v0
	v_add_co_ci_u32_e64 v1, null, v31, v1, vcc_lo
	s_and_b32 vcc_lo, exec_lo, s1
	global_store_dword v[0:1], v35, off
	s_cbranch_vccnz .LBB80_82
; %bb.81:
	v_add_co_u32 v0, vcc_lo, v32, v2
	v_add_co_ci_u32_e64 v1, null, v33, v3, vcc_lo
	global_load_dword v0, v[0:1], off
	s_waitcnt vmcnt(0)
	v_mul_f32_e32 v34, s3, v0
.LBB80_82:
	v_add_f32_e32 v0, v28, v29
	v_add_co_u32 v2, vcc_lo, v30, v2
	v_add_co_ci_u32_e64 v3, null, v31, v3, vcc_lo
	v_add_f32_e32 v28, v0, v34
	v_mov_b32_e32 v0, 0
	v_mov_b32_e32 v1, 0
	s_and_b32 vcc_lo, exec_lo, s1
	global_store_dword v[2:3], v28, off
	s_cbranch_vccnz .LBB80_84
; %bb.83:
	v_add_co_u32 v1, vcc_lo, v32, v4
	v_add_co_ci_u32_e64 v2, null, v33, v5, vcc_lo
	global_load_dword v1, v[1:2], off
	s_waitcnt vmcnt(0)
	v_mul_f32_e32 v1, s3, v1
.LBB80_84:
	v_add_f32_e32 v2, v26, v27
	v_add_f32_e32 v3, v2, v1
	v_add_co_u32 v1, vcc_lo, v30, v4
	v_add_co_ci_u32_e64 v2, null, v31, v5, vcc_lo
	s_and_b32 vcc_lo, exec_lo, s1
	global_store_dword v[1:2], v3, off
	s_cbranch_vccnz .LBB80_86
; %bb.85:
	v_add_co_u32 v0, vcc_lo, v32, v6
	v_add_co_ci_u32_e64 v1, null, v33, v7, vcc_lo
	global_load_dword v0, v[0:1], off
	s_waitcnt vmcnt(0)
	v_mul_f32_e32 v0, s3, v0
.LBB80_86:
	v_add_f32_e32 v1, v24, v25
	v_add_co_u32 v2, vcc_lo, v30, v6
	v_add_co_ci_u32_e64 v3, null, v31, v7, vcc_lo
	v_add_f32_e32 v4, v1, v0
	v_mov_b32_e32 v0, 0
	v_mov_b32_e32 v1, 0
	s_and_b32 vcc_lo, exec_lo, s1
	global_store_dword v[2:3], v4, off
	s_cbranch_vccnz .LBB80_88
; %bb.87:
	v_add_co_u32 v1, vcc_lo, v32, v10
	v_add_co_ci_u32_e64 v2, null, v33, v11, vcc_lo
	global_load_dword v1, v[1:2], off
	s_waitcnt vmcnt(0)
	v_mul_f32_e32 v1, s3, v1
.LBB80_88:
	v_add_f32_e32 v2, v22, v23
	v_add_f32_e32 v3, v2, v1
	v_add_co_u32 v1, vcc_lo, v30, v10
	v_add_co_ci_u32_e64 v2, null, v31, v11, vcc_lo
	s_and_b32 vcc_lo, exec_lo, s1
	global_store_dword v[1:2], v3, off
	s_cbranch_vccnz .LBB80_90
; %bb.89:
	v_add_co_u32 v0, vcc_lo, v32, v14
	v_add_co_ci_u32_e64 v1, null, v33, v15, vcc_lo
	global_load_dword v0, v[0:1], off
	s_waitcnt vmcnt(0)
	v_mul_f32_e32 v0, s3, v0
.LBB80_90:
	v_add_f32_e32 v3, v20, v21
	v_add_co_u32 v1, vcc_lo, v30, v14
	v_add_co_ci_u32_e64 v2, null, v31, v15, vcc_lo
	v_add_f32_e32 v3, v3, v0
	v_add_f32_e32 v0, v18, v19
	s_mov_b32 s1, -1
	s_mov_b32 vcc_lo, s0
	global_store_dword v[1:2], v3, off
	s_cbranch_vccz .LBB80_92
; %bb.91:
	v_add_co_u32 v1, vcc_lo, v30, v8
	v_add_f32_e32 v3, 0, v0
	v_add_co_ci_u32_e64 v2, null, v31, v9, vcc_lo
	s_mov_b32 s1, 0
	global_store_dword v[1:2], v3, off
.LBB80_92:
	v_mov_b32_e32 v1, 0
	s_andn2_b32 vcc_lo, exec_lo, s1
	s_cbranch_vccnz .LBB80_94
; %bb.93:
	v_add_co_u32 v1, vcc_lo, v32, v8
	v_add_co_ci_u32_e64 v2, null, v33, v9, vcc_lo
	global_load_dword v3, v[1:2], off
	v_add_co_u32 v1, vcc_lo, v30, v8
	v_add_co_ci_u32_e64 v2, null, v31, v9, vcc_lo
	s_waitcnt vmcnt(0)
	v_fmac_f32_e32 v0, s3, v3
	v_add_co_u32 v3, vcc_lo, v32, v12
	v_add_co_ci_u32_e64 v4, null, v33, v13, vcc_lo
	global_store_dword v[1:2], v0, off
	global_load_dword v0, v[3:4], off
	s_waitcnt vmcnt(0)
	v_mul_f32_e32 v1, s3, v0
.LBB80_94:
	v_add_f32_e32 v0, v16, v17
	v_add_f32_e32 v2, v0, v1
	v_add_co_u32 v0, vcc_lo, v30, v12
	v_add_co_ci_u32_e64 v1, null, v31, v13, vcc_lo
	global_store_dword v[0:1], v2, off
	s_endpgm
.LBB80_95:
	s_mov_b64 s[18:19], 0
	s_andn2_b32 vcc_lo, exec_lo, s0
	s_mov_b32 s0, -1
	s_cbranch_vccz .LBB80_2
	s_branch .LBB80_3
	.section	.rodata,"a",@progbits
	.p2align	6, 0x0
	.amdhsa_kernel _ZN12_GLOBAL__N_120geam_min_plus_kernelIf15HIP_vector_typeIfLj2EES2_Li8ELi32ELi64ELi128ELi4ELi64ELi4ELi4ELi64ELc78ELc78ELb0ELb0ELb0EfKffEEviiiT16_PT17_ilS6_ilS4_S6_ilPT18_ili26rocblas_geam_ex_operation_
		.amdhsa_group_segment_fixed_size 6144
		.amdhsa_private_segment_fixed_size 0
		.amdhsa_kernarg_size 128
		.amdhsa_user_sgpr_count 6
		.amdhsa_user_sgpr_private_segment_buffer 1
		.amdhsa_user_sgpr_dispatch_ptr 0
		.amdhsa_user_sgpr_queue_ptr 0
		.amdhsa_user_sgpr_kernarg_segment_ptr 1
		.amdhsa_user_sgpr_dispatch_id 0
		.amdhsa_user_sgpr_flat_scratch_init 0
		.amdhsa_user_sgpr_private_segment_size 0
		.amdhsa_wavefront_size32 1
		.amdhsa_uses_dynamic_stack 0
		.amdhsa_system_sgpr_private_segment_wavefront_offset 0
		.amdhsa_system_sgpr_workgroup_id_x 1
		.amdhsa_system_sgpr_workgroup_id_y 0
		.amdhsa_system_sgpr_workgroup_id_z 1
		.amdhsa_system_sgpr_workgroup_info 0
		.amdhsa_system_vgpr_workitem_id 1
		.amdhsa_next_free_vgpr 113
		.amdhsa_next_free_sgpr 26
		.amdhsa_reserve_vcc 1
		.amdhsa_reserve_flat_scratch 0
		.amdhsa_float_round_mode_32 0
		.amdhsa_float_round_mode_16_64 0
		.amdhsa_float_denorm_mode_32 3
		.amdhsa_float_denorm_mode_16_64 3
		.amdhsa_dx10_clamp 1
		.amdhsa_ieee_mode 1
		.amdhsa_fp16_overflow 0
		.amdhsa_workgroup_processor_mode 1
		.amdhsa_memory_ordered 1
		.amdhsa_forward_progress 1
		.amdhsa_shared_vgpr_count 0
		.amdhsa_exception_fp_ieee_invalid_op 0
		.amdhsa_exception_fp_denorm_src 0
		.amdhsa_exception_fp_ieee_div_zero 0
		.amdhsa_exception_fp_ieee_overflow 0
		.amdhsa_exception_fp_ieee_underflow 0
		.amdhsa_exception_fp_ieee_inexact 0
		.amdhsa_exception_int_div_zero 0
	.end_amdhsa_kernel
	.section	.text._ZN12_GLOBAL__N_120geam_min_plus_kernelIf15HIP_vector_typeIfLj2EES2_Li8ELi32ELi64ELi128ELi4ELi64ELi4ELi4ELi64ELc78ELc78ELb0ELb0ELb0EfKffEEviiiT16_PT17_ilS6_ilS4_S6_ilPT18_ili26rocblas_geam_ex_operation_,"axG",@progbits,_ZN12_GLOBAL__N_120geam_min_plus_kernelIf15HIP_vector_typeIfLj2EES2_Li8ELi32ELi64ELi128ELi4ELi64ELi4ELi4ELi64ELc78ELc78ELb0ELb0ELb0EfKffEEviiiT16_PT17_ilS6_ilS4_S6_ilPT18_ili26rocblas_geam_ex_operation_,comdat
.Lfunc_end80:
	.size	_ZN12_GLOBAL__N_120geam_min_plus_kernelIf15HIP_vector_typeIfLj2EES2_Li8ELi32ELi64ELi128ELi4ELi64ELi4ELi4ELi64ELc78ELc78ELb0ELb0ELb0EfKffEEviiiT16_PT17_ilS6_ilS4_S6_ilPT18_ili26rocblas_geam_ex_operation_, .Lfunc_end80-_ZN12_GLOBAL__N_120geam_min_plus_kernelIf15HIP_vector_typeIfLj2EES2_Li8ELi32ELi64ELi128ELi4ELi64ELi4ELi4ELi64ELc78ELc78ELb0ELb0ELb0EfKffEEviiiT16_PT17_ilS6_ilS4_S6_ilPT18_ili26rocblas_geam_ex_operation_
                                        ; -- End function
	.set _ZN12_GLOBAL__N_120geam_min_plus_kernelIf15HIP_vector_typeIfLj2EES2_Li8ELi32ELi64ELi128ELi4ELi64ELi4ELi4ELi64ELc78ELc78ELb0ELb0ELb0EfKffEEviiiT16_PT17_ilS6_ilS4_S6_ilPT18_ili26rocblas_geam_ex_operation_.num_vgpr, 113
	.set _ZN12_GLOBAL__N_120geam_min_plus_kernelIf15HIP_vector_typeIfLj2EES2_Li8ELi32ELi64ELi128ELi4ELi64ELi4ELi4ELi64ELc78ELc78ELb0ELb0ELb0EfKffEEviiiT16_PT17_ilS6_ilS4_S6_ilPT18_ili26rocblas_geam_ex_operation_.num_agpr, 0
	.set _ZN12_GLOBAL__N_120geam_min_plus_kernelIf15HIP_vector_typeIfLj2EES2_Li8ELi32ELi64ELi128ELi4ELi64ELi4ELi4ELi64ELc78ELc78ELb0ELb0ELb0EfKffEEviiiT16_PT17_ilS6_ilS4_S6_ilPT18_ili26rocblas_geam_ex_operation_.numbered_sgpr, 26
	.set _ZN12_GLOBAL__N_120geam_min_plus_kernelIf15HIP_vector_typeIfLj2EES2_Li8ELi32ELi64ELi128ELi4ELi64ELi4ELi4ELi64ELc78ELc78ELb0ELb0ELb0EfKffEEviiiT16_PT17_ilS6_ilS4_S6_ilPT18_ili26rocblas_geam_ex_operation_.num_named_barrier, 0
	.set _ZN12_GLOBAL__N_120geam_min_plus_kernelIf15HIP_vector_typeIfLj2EES2_Li8ELi32ELi64ELi128ELi4ELi64ELi4ELi4ELi64ELc78ELc78ELb0ELb0ELb0EfKffEEviiiT16_PT17_ilS6_ilS4_S6_ilPT18_ili26rocblas_geam_ex_operation_.private_seg_size, 0
	.set _ZN12_GLOBAL__N_120geam_min_plus_kernelIf15HIP_vector_typeIfLj2EES2_Li8ELi32ELi64ELi128ELi4ELi64ELi4ELi4ELi64ELc78ELc78ELb0ELb0ELb0EfKffEEviiiT16_PT17_ilS6_ilS4_S6_ilPT18_ili26rocblas_geam_ex_operation_.uses_vcc, 1
	.set _ZN12_GLOBAL__N_120geam_min_plus_kernelIf15HIP_vector_typeIfLj2EES2_Li8ELi32ELi64ELi128ELi4ELi64ELi4ELi4ELi64ELc78ELc78ELb0ELb0ELb0EfKffEEviiiT16_PT17_ilS6_ilS4_S6_ilPT18_ili26rocblas_geam_ex_operation_.uses_flat_scratch, 0
	.set _ZN12_GLOBAL__N_120geam_min_plus_kernelIf15HIP_vector_typeIfLj2EES2_Li8ELi32ELi64ELi128ELi4ELi64ELi4ELi4ELi64ELc78ELc78ELb0ELb0ELb0EfKffEEviiiT16_PT17_ilS6_ilS4_S6_ilPT18_ili26rocblas_geam_ex_operation_.has_dyn_sized_stack, 0
	.set _ZN12_GLOBAL__N_120geam_min_plus_kernelIf15HIP_vector_typeIfLj2EES2_Li8ELi32ELi64ELi128ELi4ELi64ELi4ELi4ELi64ELc78ELc78ELb0ELb0ELb0EfKffEEviiiT16_PT17_ilS6_ilS4_S6_ilPT18_ili26rocblas_geam_ex_operation_.has_recursion, 0
	.set _ZN12_GLOBAL__N_120geam_min_plus_kernelIf15HIP_vector_typeIfLj2EES2_Li8ELi32ELi64ELi128ELi4ELi64ELi4ELi4ELi64ELc78ELc78ELb0ELb0ELb0EfKffEEviiiT16_PT17_ilS6_ilS4_S6_ilPT18_ili26rocblas_geam_ex_operation_.has_indirect_call, 0
	.section	.AMDGPU.csdata,"",@progbits
; Kernel info:
; codeLenInByte = 7648
; TotalNumSgprs: 28
; NumVgprs: 113
; ScratchSize: 0
; MemoryBound: 0
; FloatMode: 240
; IeeeMode: 1
; LDSByteSize: 6144 bytes/workgroup (compile time only)
; SGPRBlocks: 0
; VGPRBlocks: 14
; NumSGPRsForWavesPerEU: 28
; NumVGPRsForWavesPerEU: 113
; Occupancy: 8
; WaveLimiterHint : 0
; COMPUTE_PGM_RSRC2:SCRATCH_EN: 0
; COMPUTE_PGM_RSRC2:USER_SGPR: 6
; COMPUTE_PGM_RSRC2:TRAP_HANDLER: 0
; COMPUTE_PGM_RSRC2:TGID_X_EN: 1
; COMPUTE_PGM_RSRC2:TGID_Y_EN: 0
; COMPUTE_PGM_RSRC2:TGID_Z_EN: 1
; COMPUTE_PGM_RSRC2:TIDIG_COMP_CNT: 1
	.section	.text._ZN12_GLOBAL__N_120geam_min_plus_kernelIf15HIP_vector_typeIfLj2EES2_Li8ELi32ELi64ELi128ELi4ELi64ELi4ELi4ELi64ELc78ELc78ELb0ELb1ELb0EPKfS3_fEEviiiT16_PT17_ilS7_ilS5_S7_ilPT18_ili26rocblas_geam_ex_operation_,"axG",@progbits,_ZN12_GLOBAL__N_120geam_min_plus_kernelIf15HIP_vector_typeIfLj2EES2_Li8ELi32ELi64ELi128ELi4ELi64ELi4ELi4ELi64ELc78ELc78ELb0ELb1ELb0EPKfS3_fEEviiiT16_PT17_ilS7_ilS5_S7_ilPT18_ili26rocblas_geam_ex_operation_,comdat
	.globl	_ZN12_GLOBAL__N_120geam_min_plus_kernelIf15HIP_vector_typeIfLj2EES2_Li8ELi32ELi64ELi128ELi4ELi64ELi4ELi4ELi64ELc78ELc78ELb0ELb1ELb0EPKfS3_fEEviiiT16_PT17_ilS7_ilS5_S7_ilPT18_ili26rocblas_geam_ex_operation_ ; -- Begin function _ZN12_GLOBAL__N_120geam_min_plus_kernelIf15HIP_vector_typeIfLj2EES2_Li8ELi32ELi64ELi128ELi4ELi64ELi4ELi4ELi64ELc78ELc78ELb0ELb1ELb0EPKfS3_fEEviiiT16_PT17_ilS7_ilS5_S7_ilPT18_ili26rocblas_geam_ex_operation_
	.p2align	8
	.type	_ZN12_GLOBAL__N_120geam_min_plus_kernelIf15HIP_vector_typeIfLj2EES2_Li8ELi32ELi64ELi128ELi4ELi64ELi4ELi4ELi64ELc78ELc78ELb0ELb1ELb0EPKfS3_fEEviiiT16_PT17_ilS7_ilS5_S7_ilPT18_ili26rocblas_geam_ex_operation_,@function
_ZN12_GLOBAL__N_120geam_min_plus_kernelIf15HIP_vector_typeIfLj2EES2_Li8ELi32ELi64ELi128ELi4ELi64ELi4ELi4ELi64ELc78ELc78ELb0ELb1ELb0EPKfS3_fEEviiiT16_PT17_ilS7_ilS5_S7_ilPT18_ili26rocblas_geam_ex_operation_: ; @_ZN12_GLOBAL__N_120geam_min_plus_kernelIf15HIP_vector_typeIfLj2EES2_Li8ELi32ELi64ELi128ELi4ELi64ELi4ELi4ELi64ELc78ELc78ELb0ELb1ELb0EPKfS3_fEEviiiT16_PT17_ilS7_ilS5_S7_ilPT18_ili26rocblas_geam_ex_operation_
; %bb.0:
	s_clause 0x1
	s_load_dwordx4 s[12:15], s[4:5], 0x10
	s_load_dwordx4 s[0:3], s[4:5], 0x28
	s_mov_b32 s18, s7
	s_mov_b32 s19, 0
	s_mov_b64 s[20:21], 0
	s_lshl_b64 s[16:17], s[18:19], 2
	s_mov_b64 s[22:23], 0
	s_waitcnt lgkmcnt(0)
	s_add_u32 s8, s12, s16
	s_addc_u32 s9, s13, s17
	s_load_dword s24, s[8:9], 0x0
	s_clause 0x1
	s_load_dwordx4 s[8:11], s[4:5], 0x40
	s_load_dwordx2 s[12:13], s[4:5], 0x50
	s_waitcnt lgkmcnt(0)
	v_cmp_eq_f32_e64 s7, s24, 0
	v_cmp_neq_f32_e64 s25, s24, 0
	s_add_u32 s10, s10, s16
	s_addc_u32 s11, s11, s17
	s_and_b32 vcc_lo, exec_lo, s7
	s_cbranch_vccnz .LBB81_2
; %bb.1:
	s_mul_i32 s1, s1, s18
	s_mul_hi_u32 s7, s0, s18
	s_mul_i32 s0, s0, s18
	s_add_i32 s1, s7, s1
	s_lshl_b64 s[0:1], s[0:1], 2
	s_add_u32 s22, s14, s0
	s_addc_u32 s23, s15, s1
.LBB81_2:
	s_load_dword s19, s[10:11], 0x0
	s_andn2_b32 vcc_lo, exec_lo, s25
	s_cbranch_vccnz .LBB81_4
; %bb.3:
	s_mul_i32 s0, s9, s18
	s_mul_hi_u32 s1, s8, s18
	s_add_i32 s1, s1, s0
	s_mul_i32 s0, s8, s18
	s_lshl_b64 s[0:1], s[0:1], 2
	s_add_u32 s20, s2, s0
	s_addc_u32 s21, s3, s1
.LBB81_4:
	s_load_dwordx4 s[8:11], s[4:5], 0x60
	s_waitcnt lgkmcnt(0)
	v_cmp_eq_f32_e64 s0, s19, 0
	v_cmp_neq_f32_e64 s3, s19, 0
	s_and_b32 vcc_lo, exec_lo, s0
	s_cbranch_vccnz .LBB81_6
; %bb.5:
	s_mul_i32 s0, s9, s18
	s_mul_hi_u32 s1, s8, s18
	s_add_i32 s1, s1, s0
	s_mul_i32 s0, s8, s18
	s_lshl_b64 s[0:1], s[0:1], 2
	s_add_u32 s16, s12, s0
	s_addc_u32 s17, s13, s1
	s_branch .LBB81_7
.LBB81_6:
	s_mov_b64 s[16:17], 0
.LBB81_7:
	s_clause 0x1
	s_load_dwordx4 s[12:15], s[4:5], 0x0
	s_load_dword s8, s[4:5], 0x20
	v_lshl_add_u32 v4, v1, 3, v0
	v_mov_b32_e32 v6, 0
	v_mov_b32_e32 v8, 0
	v_and_b32_e32 v7, 63, v4
	v_lshrrev_b32_e32 v70, 6, v4
	s_waitcnt lgkmcnt(0)
	s_add_i32 s0, s12, -1
	s_ashr_i32 s9, s8, 31
	s_ashr_i32 s1, s0, 31
	v_cmp_gt_i32_e32 vcc_lo, s14, v70
	s_lshr_b32 s1, s1, 26
	s_add_i32 s0, s0, s1
	s_ashr_i32 s0, s0, 6
	s_add_i32 s2, s0, 1
	s_not_b32 s0, s0
	v_cvt_f32_u32_e32 v2, s2
	v_rcp_iflag_f32_e32 v2, v2
	v_mul_f32_e32 v2, 0x4f7ffffe, v2
	v_cvt_u32_f32_e32 v2, v2
	v_readfirstlane_b32 s1, v2
	s_mul_i32 s0, s0, s1
	s_mul_hi_u32 s0, s1, s0
	s_add_i32 s1, s1, s0
	s_mul_hi_u32 s0, s6, s1
	s_mul_i32 s1, s0, s2
	s_add_i32 s7, s0, 1
	s_sub_i32 s1, s6, s1
	s_sub_i32 s15, s1, s2
	s_cmp_ge_u32 s1, s2
	s_cselect_b32 s0, s7, s0
	s_cselect_b32 s1, s15, s1
	s_add_i32 s7, s0, 1
	s_cmp_ge_u32 s1, s2
	s_cselect_b32 s1, s7, s0
	s_mul_i32 s0, s1, s2
	s_sub_i32 s0, s6, s0
	s_lshl_b32 s6, s0, 6
	v_or_b32_e32 v2, s6, v7
	v_cmp_gt_i32_e64 s0, s12, v2
	v_ashrrev_i32_e32 v3, 31, v2
	s_and_b32 s2, vcc_lo, s0
	s_and_b32 s7, s25, s2
	s_and_saveexec_b32 s2, s7
	s_cbranch_execz .LBB81_9
; %bb.8:
	v_mad_i64_i32 v[8:9], null, s8, v70, 0
	v_lshlrev_b64 v[10:11], 2, v[2:3]
	v_lshlrev_b64 v[8:9], 2, v[8:9]
	v_add_co_u32 v5, vcc_lo, s22, v8
	v_add_co_ci_u32_e64 v9, null, s23, v9, vcc_lo
	v_add_co_u32 v8, vcc_lo, v5, v10
	v_add_co_ci_u32_e64 v9, null, v9, v11, vcc_lo
	global_load_dword v5, v[8:9], off
	s_waitcnt vmcnt(0)
	v_mul_f32_e32 v8, s24, v5
.LBB81_9:
	s_or_b32 exec_lo, exec_lo, s2
	v_and_b32_e32 v71, 3, v0
	s_add_i32 s15, s14, -1
	s_load_dword s27, s[4:5], 0x38
	v_lshrrev_b32_e32 v5, 2, v4
	s_lshl_b32 s7, s1, 7
	v_min_i32_e32 v9, s15, v71
	v_cmp_le_i32_e32 vcc_lo, s14, v71
	s_xor_b32 s26, s25, -1
	v_add_nc_u32_e32 v4, s7, v5
	v_ashrrev_i32_e32 v10, 31, v9
	v_cmp_le_i32_e64 s1, s13, v4
	v_lshlrev_b64 v[10:11], 2, v[9:10]
	v_add_co_u32 v10, s2, s20, v10
	v_add_co_ci_u32_e64 v11, null, s21, v11, s2
	s_or_b32 s2, s1, s26
	s_nor_b32 s1, vcc_lo, s2
	s_and_saveexec_b32 s28, s1
	s_cbranch_execz .LBB81_11
; %bb.10:
	s_waitcnt lgkmcnt(0)
	v_mad_i64_i32 v[12:13], null, v4, s27, 0
	v_lshlrev_b64 v[12:13], 2, v[12:13]
	v_add_co_u32 v12, s1, v10, v12
	v_add_co_ci_u32_e64 v13, null, v11, v13, s1
	global_load_dword v6, v[12:13], off
	s_waitcnt vmcnt(0)
	v_mul_f32_e32 v6, s24, v6
.LBB81_11:
	s_or_b32 exec_lo, exec_lo, s28
	v_add_nc_u32_e32 v78, 64, v4
	v_mov_b32_e32 v76, 0
	v_mov_b32_e32 v9, 0
	v_cmp_le_i32_e64 s1, s13, v78
	s_or_b32 s26, s1, s26
	s_nor_b32 s28, vcc_lo, s26
	s_and_saveexec_b32 s1, s28
	s_cbranch_execz .LBB81_13
; %bb.12:
	s_waitcnt lgkmcnt(0)
	v_mad_i64_i32 v[12:13], null, v78, s27, 0
	v_lshlrev_b64 v[12:13], 2, v[12:13]
	v_add_co_u32 v9, vcc_lo, v10, v12
	v_add_co_ci_u32_e64 v10, null, v11, v13, vcc_lo
	global_load_dword v9, v[9:10], off
	s_waitcnt vmcnt(0)
	v_mul_f32_e32 v9, s24, v9
.LBB81_13:
	s_or_b32 exec_lo, exec_lo, s1
	v_add_nc_u32_e32 v10, 4, v70
	v_cmp_gt_i32_e32 vcc_lo, s14, v10
	s_and_b32 s1, s0, vcc_lo
	s_and_b32 s28, s25, s1
	s_and_saveexec_b32 s1, s28
	s_cbranch_execz .LBB81_15
; %bb.14:
	v_mad_u64_u32 v[11:12], null, s8, v10, 0
	v_mad_u64_u32 v[12:13], null, s9, v10, v[12:13]
	v_lshlrev_b64 v[10:11], 2, v[11:12]
	v_lshlrev_b64 v[12:13], 2, v[2:3]
	v_add_co_u32 v10, vcc_lo, s22, v10
	v_add_co_ci_u32_e64 v11, null, s23, v11, vcc_lo
	v_add_co_u32 v10, vcc_lo, v10, v12
	v_add_co_ci_u32_e64 v11, null, v11, v13, vcc_lo
	global_load_dword v10, v[10:11], off
	s_waitcnt vmcnt(0)
	v_mul_f32_e32 v76, s24, v10
.LBB81_15:
	s_or_b32 exec_lo, exec_lo, s1
	v_or_b32_e32 v12, 4, v71
	v_mov_b32_e32 v79, 0
	v_mov_b32_e32 v80, 0
	v_min_i32_e32 v10, s15, v12
	v_cmp_le_i32_e32 vcc_lo, s14, v12
	v_ashrrev_i32_e32 v11, 31, v10
	v_lshlrev_b64 v[10:11], 2, v[10:11]
	v_add_co_u32 v10, s1, s20, v10
	v_add_co_ci_u32_e64 v11, null, s21, v11, s1
	s_nor_b32 s1, vcc_lo, s2
	s_and_saveexec_b32 s28, s1
	s_cbranch_execz .LBB81_17
; %bb.16:
	s_waitcnt lgkmcnt(0)
	v_mad_i64_i32 v[12:13], null, v4, s27, 0
	v_lshlrev_b64 v[12:13], 2, v[12:13]
	v_add_co_u32 v12, s1, v10, v12
	v_add_co_ci_u32_e64 v13, null, v11, v13, s1
	global_load_dword v12, v[12:13], off
	s_waitcnt vmcnt(0)
	v_mul_f32_e32 v80, s24, v12
.LBB81_17:
	s_or_b32 exec_lo, exec_lo, s28
	s_nor_b32 s28, vcc_lo, s26
	s_and_saveexec_b32 s1, s28
	s_cbranch_execz .LBB81_19
; %bb.18:
	s_waitcnt lgkmcnt(0)
	v_mad_i64_i32 v[12:13], null, v78, s27, 0
	v_lshlrev_b64 v[12:13], 2, v[12:13]
	v_add_co_u32 v10, vcc_lo, v10, v12
	v_add_co_ci_u32_e64 v11, null, v11, v13, vcc_lo
	global_load_dword v10, v[10:11], off
	s_waitcnt vmcnt(0)
	v_mul_f32_e32 v79, s24, v10
.LBB81_19:
	s_or_b32 exec_lo, exec_lo, s1
	v_lshlrev_b32_e32 v7, 4, v7
	v_lshlrev_b32_e32 v10, 4, v5
	v_mov_b32_e32 v68, 0
	v_lshl_or_b32 v73, v0, 4, 0x1000
	v_lshlrev_b32_e32 v74, 4, v1
	v_lshl_add_u32 v81, v70, 2, v7
	v_lshl_or_b32 v72, v71, 2, v10
	v_mov_b32_e32 v69, v68
	v_mov_b32_e32 v7, v68
	;; [unrolled: 1-line block ×3, first 2 shown]
	v_or_b32_e32 v75, 0x1000, v81
	ds_write_b32 v81, v8 offset:4096
	ds_write2st64_b32 v72, v6, v9 offset1:4
	v_mov_b32_e32 v6, v68
	v_mov_b32_e32 v8, v68
	;; [unrolled: 1-line block ×60, first 2 shown]
	s_mov_b32 s28, 0
	s_mov_b32 s1, -1
	s_waitcnt lgkmcnt(0)
	s_barrier
	buffer_gl0_inv
.LBB81_20:                              ; =>This Inner Loop Header: Depth=1
	s_lshl_b32 s28, s28, 2
	s_andn2_b32 vcc_lo, exec_lo, s1
	v_add_nc_u32_e32 v77, s28, v73
	s_mov_b32 s1, 0
	ds_read2_b64 v[82:85], v77 offset1:16
	ds_read2_b64 v[86:89], v77 offset0:32 offset1:48
	ds_read2_b64 v[90:93], v77 offset0:64 offset1:80
	;; [unrolled: 1-line block ×3, first 2 shown]
	v_add_nc_u32_e32 v77, s28, v74
	s_mov_b32 s28, 2
	ds_read2st64_b64 v[98:101], v77 offset1:1
	ds_read2st64_b64 v[102:105], v77 offset0:2 offset1:3
	s_waitcnt lgkmcnt(5)
	v_max_f32_e32 v82, v82, v82
	v_max_f32_e32 v84, v84, v84
	s_waitcnt lgkmcnt(4)
	v_max_f32_e32 v86, v86, v86
	v_max_f32_e32 v88, v88, v88
	;; [unrolled: 3-line block ×5, first 2 shown]
	v_max_f32_e32 v83, v83, v83
	v_max_f32_e32 v85, v85, v85
	;; [unrolled: 1-line block ×3, first 2 shown]
	v_min_f32_e32 v98, v82, v77
	v_max_f32_e32 v89, v89, v89
	v_min_f32_e32 v106, v83, v99
	v_max_f32_e32 v91, v91, v91
	v_max_f32_e32 v93, v93, v93
	v_add_f32_e32 v68, v68, v98
	v_min_f32_e32 v98, v84, v77
	v_add_f32_e32 v69, v69, v106
	v_min_f32_e32 v106, v85, v99
	v_max_f32_e32 v95, v95, v95
	v_add_f32_e32 v6, v6, v98
	v_min_f32_e32 v98, v86, v77
	v_add_f32_e32 v7, v7, v106
	v_min_f32_e32 v106, v87, v99
	;; [unrolled: 2-line block ×11, first 2 shown]
	v_max_f32_e32 v77, v97, v97
	v_add_f32_e32 v17, v17, v106
	v_add_f32_e32 v66, v66, v98
	v_min_f32_e32 v97, v77, v99
	v_max_f32_e32 v99, v101, v101
	v_add_f32_e32 v67, v67, v97
	v_max_f32_e32 v97, v100, v100
	v_min_f32_e32 v100, v83, v99
	v_min_f32_e32 v98, v82, v97
	v_add_f32_e32 v65, v65, v100
	v_min_f32_e32 v100, v85, v99
	v_add_f32_e32 v64, v64, v98
	;; [unrolled: 2-line block ×12, first 2 shown]
	v_min_f32_e32 v98, v94, v97
	v_min_f32_e32 v97, v96, v97
	v_add_f32_e32 v53, v53, v100
	v_add_f32_e32 v52, v52, v98
	v_min_f32_e32 v98, v77, v99
	v_add_f32_e32 v50, v50, v97
	s_waitcnt lgkmcnt(0)
	v_max_f32_e32 v97, v102, v102
	v_max_f32_e32 v99, v103, v103
	v_add_f32_e32 v51, v51, v98
	v_min_f32_e32 v98, v82, v97
	v_min_f32_e32 v100, v83, v99
	v_add_f32_e32 v48, v48, v98
	v_min_f32_e32 v98, v84, v97
	v_add_f32_e32 v49, v49, v100
	;; [unrolled: 2-line block ×11, first 2 shown]
	v_min_f32_e32 v98, v94, v97
	v_min_f32_e32 v97, v96, v97
	v_add_f32_e32 v39, v39, v100
	v_min_f32_e32 v100, v95, v99
	v_add_f32_e32 v36, v36, v98
	;; [unrolled: 2-line block ×3, first 2 shown]
	v_max_f32_e32 v97, v104, v104
	v_add_f32_e32 v37, v37, v100
	v_add_f32_e32 v35, v35, v98
	v_max_f32_e32 v98, v105, v105
	v_min_f32_e32 v82, v82, v97
	v_min_f32_e32 v83, v83, v98
	v_add_f32_e32 v32, v32, v82
	v_min_f32_e32 v82, v84, v97
	v_min_f32_e32 v77, v77, v98
	v_add_f32_e32 v33, v33, v83
	v_min_f32_e32 v83, v85, v98
	v_add_f32_e32 v30, v30, v82
	;; [unrolled: 2-line block ×3, first 2 shown]
	v_add_f32_e32 v31, v31, v83
	v_min_f32_e32 v83, v87, v98
	v_add_f32_e32 v28, v28, v82
	v_min_f32_e32 v82, v88, v97
	;; [unrolled: 2-line block ×10, first 2 shown]
	v_add_f32_e32 v21, v21, v83
	v_add_f32_e32 v18, v18, v82
	s_cbranch_vccz .LBB81_20
; %bb.21:
	v_lshlrev_b32_e32 v77, 2, v71
	ds_write_b32 v81, v76 offset:5120
	v_lshl_add_u32 v76, v0, 4, 0x1400
	s_cmp_lt_i32 s14, 9
	v_lshl_or_b32 v5, v5, 4, v77
	v_lshl_add_u32 v77, v1, 4, 0x800
	ds_write2st64_b32 v5, v80, v79 offset0:8 offset1:12
	s_waitcnt lgkmcnt(0)
	s_barrier
	buffer_gl0_inv
	s_cbranch_scc1 .LBB81_40
; %bb.22:
	v_mad_i64_i32 v[82:83], null, v4, s27, 0
	v_mad_i64_i32 v[84:85], null, v78, s27, 0
	v_lshlrev_b64 v[86:87], 2, v[2:3]
	v_add_nc_u32_e32 v79, 0x800, v5
	v_add_nc_u32_e32 v78, 0x1400, v81
	s_mov_b32 s27, 0
	v_lshlrev_b64 v[2:3], 2, v[82:83]
	v_add_co_u32 v80, vcc_lo, s22, v86
	v_lshlrev_b64 v[4:5], 2, v[84:85]
	v_add_co_ci_u32_e64 v81, null, s23, v87, vcc_lo
	s_add_i32 s22, s14, -8
	s_mov_b32 s23, 8
.LBB81_23:                              ; =>This Loop Header: Depth=1
                                        ;     Child Loop BB81_30 Depth 2
                                        ;     Child Loop BB81_38 Depth 2
	v_add_nc_u32_e32 v82, s23, v70
	v_mov_b32_e32 v83, 0
	v_mov_b32_e32 v84, 0
	v_cmp_gt_i32_e32 vcc_lo, s14, v82
	s_and_b32 s1, s0, vcc_lo
	s_and_b32 s28, s25, s1
	s_and_saveexec_b32 s1, s28
	s_cbranch_execz .LBB81_25
; %bb.24:                               ;   in Loop: Header=BB81_23 Depth=1
	v_mad_u64_u32 v[84:85], null, v82, s8, 0
	v_mad_u64_u32 v[85:86], null, v82, s9, v[85:86]
	v_lshlrev_b64 v[84:85], 2, v[84:85]
	v_add_co_u32 v84, vcc_lo, v80, v84
	v_add_co_ci_u32_e64 v85, null, v81, v85, vcc_lo
	global_load_dword v82, v[84:85], off
	s_waitcnt vmcnt(0)
	v_mul_f32_e32 v84, s24, v82
.LBB81_25:                              ;   in Loop: Header=BB81_23 Depth=1
	s_or_b32 exec_lo, exec_lo, s1
	v_or_b32_e32 v82, s23, v71
	v_min_i32_e32 v85, s15, v82
	v_cmp_le_i32_e32 vcc_lo, s14, v82
	v_ashrrev_i32_e32 v86, 31, v85
	v_lshlrev_b64 v[86:87], 2, v[85:86]
	v_add_co_u32 v86, s1, s20, v86
	v_add_co_ci_u32_e64 v87, null, s21, v87, s1
	s_nor_b32 s1, s2, vcc_lo
	s_and_saveexec_b32 s28, s1
	s_cbranch_execz .LBB81_27
; %bb.26:                               ;   in Loop: Header=BB81_23 Depth=1
	v_add_co_u32 v88, s1, v86, v2
	v_add_co_ci_u32_e64 v89, null, v87, v3, s1
	global_load_dword v83, v[88:89], off
	s_waitcnt vmcnt(0)
	v_mul_f32_e32 v83, s24, v83
.LBB81_27:                              ;   in Loop: Header=BB81_23 Depth=1
	s_or_b32 exec_lo, exec_lo, s28
	v_mov_b32_e32 v85, 0
	s_nor_b32 s28, s26, vcc_lo
	s_and_saveexec_b32 s1, s28
	s_cbranch_execz .LBB81_29
; %bb.28:                               ;   in Loop: Header=BB81_23 Depth=1
	v_add_co_u32 v85, vcc_lo, v86, v4
	v_add_co_ci_u32_e64 v86, null, v87, v5, vcc_lo
	global_load_dword v85, v[85:86], off
	s_waitcnt vmcnt(0)
	v_mul_f32_e32 v85, s24, v85
.LBB81_29:                              ;   in Loop: Header=BB81_23 Depth=1
	s_or_b32 exec_lo, exec_lo, s1
	s_mov_b32 s28, 0
	s_mov_b32 s1, -1
.LBB81_30:                              ;   Parent Loop BB81_23 Depth=1
                                        ; =>  This Inner Loop Header: Depth=2
	s_lshl_b32 s28, s28, 2
	s_andn2_b32 vcc_lo, exec_lo, s1
	v_add_nc_u32_e32 v98, s28, v76
	v_add_nc_u32_e32 v106, s28, v77
	s_mov_b32 s1, 0
	s_mov_b32 s28, 2
	ds_read2_b64 v[86:89], v98 offset1:16
	ds_read2_b64 v[90:93], v98 offset0:32 offset1:48
	ds_read2_b64 v[94:97], v98 offset0:64 offset1:80
	;; [unrolled: 1-line block ×3, first 2 shown]
	ds_read2st64_b64 v[102:105], v106 offset1:1
	ds_read2st64_b64 v[106:109], v106 offset0:2 offset1:3
	s_waitcnt lgkmcnt(5)
	v_max_f32_e32 v86, v86, v86
	v_max_f32_e32 v87, v87, v87
	;; [unrolled: 1-line block ×3, first 2 shown]
	s_waitcnt lgkmcnt(1)
	v_max_f32_e32 v102, v102, v102
	v_max_f32_e32 v103, v103, v103
	;; [unrolled: 1-line block ×5, first 2 shown]
	v_min_f32_e32 v110, v86, v102
	v_min_f32_e32 v111, v87, v103
	v_max_f32_e32 v92, v92, v92
	v_max_f32_e32 v93, v93, v93
	;; [unrolled: 1-line block ×3, first 2 shown]
	v_add_f32_e32 v68, v68, v110
	v_min_f32_e32 v110, v88, v102
	v_add_f32_e32 v69, v69, v111
	v_min_f32_e32 v111, v89, v103
	v_max_f32_e32 v95, v95, v95
	v_max_f32_e32 v96, v96, v96
	v_add_f32_e32 v6, v6, v110
	v_min_f32_e32 v110, v90, v102
	v_add_f32_e32 v7, v7, v111
	v_min_f32_e32 v111, v91, v103
	v_max_f32_e32 v97, v97, v97
	v_max_f32_e32 v98, v98, v98
	;; [unrolled: 6-line block ×3, first 2 shown]
	v_add_f32_e32 v10, v10, v110
	v_min_f32_e32 v110, v94, v102
	v_add_f32_e32 v11, v11, v111
	v_min_f32_e32 v111, v95, v103
	v_max_f32_e32 v101, v101, v101
	v_add_f32_e32 v12, v12, v110
	v_min_f32_e32 v110, v96, v102
	v_add_f32_e32 v13, v13, v111
	v_min_f32_e32 v111, v97, v103
	;; [unrolled: 2-line block ×3, first 2 shown]
	v_min_f32_e32 v102, v100, v102
	v_add_f32_e32 v15, v15, v111
	v_min_f32_e32 v111, v99, v103
	v_min_f32_e32 v103, v101, v103
	v_add_f32_e32 v16, v16, v110
	v_add_f32_e32 v66, v66, v102
	v_max_f32_e32 v102, v104, v104
	v_max_f32_e32 v104, v105, v105
	v_add_f32_e32 v67, v67, v103
	v_add_f32_e32 v17, v17, v111
	v_min_f32_e32 v103, v86, v102
	v_min_f32_e32 v105, v87, v104
	v_add_f32_e32 v64, v64, v103
	v_min_f32_e32 v103, v88, v102
	v_add_f32_e32 v65, v65, v105
	;; [unrolled: 2-line block ×11, first 2 shown]
	v_min_f32_e32 v103, v98, v102
	v_min_f32_e32 v102, v100, v102
	v_add_f32_e32 v55, v55, v105
	v_min_f32_e32 v105, v99, v104
	v_add_f32_e32 v52, v52, v103
	;; [unrolled: 2-line block ×3, first 2 shown]
	s_waitcnt lgkmcnt(0)
	v_max_f32_e32 v102, v106, v106
	v_max_f32_e32 v104, v107, v107
	v_add_f32_e32 v53, v53, v105
	v_add_f32_e32 v51, v51, v103
	v_min_f32_e32 v103, v86, v102
	v_min_f32_e32 v105, v87, v104
	v_add_f32_e32 v48, v48, v103
	v_min_f32_e32 v103, v88, v102
	v_add_f32_e32 v49, v49, v105
	;; [unrolled: 2-line block ×11, first 2 shown]
	v_min_f32_e32 v103, v98, v102
	v_min_f32_e32 v102, v100, v102
	v_add_f32_e32 v39, v39, v105
	v_min_f32_e32 v105, v99, v104
	v_add_f32_e32 v36, v36, v103
	;; [unrolled: 2-line block ×3, first 2 shown]
	v_max_f32_e32 v102, v108, v108
	v_add_f32_e32 v37, v37, v105
	v_add_f32_e32 v35, v35, v103
	v_max_f32_e32 v103, v109, v109
	v_min_f32_e32 v86, v86, v102
	v_min_f32_e32 v87, v87, v103
	v_add_f32_e32 v32, v32, v86
	v_min_f32_e32 v86, v88, v102
	v_add_f32_e32 v33, v33, v87
	;; [unrolled: 2-line block ×15, first 2 shown]
	v_add_f32_e32 v19, v19, v87
	s_cbranch_vccz .LBB81_30
; %bb.31:                               ;   in Loop: Header=BB81_23 Depth=1
	v_add3_u32 v86, v70, s23, 4
	ds_write_b32 v75, v84
	ds_write2st64_b32 v72, v83, v85 offset1:4
	v_mov_b32_e32 v83, 0
	v_mov_b32_e32 v84, 0
	v_cmp_gt_i32_e32 vcc_lo, s14, v86
	s_waitcnt lgkmcnt(0)
	s_barrier
	buffer_gl0_inv
	s_and_b32 s1, s0, vcc_lo
	s_and_b32 s28, s25, s1
	s_and_saveexec_b32 s1, s28
	s_cbranch_execz .LBB81_33
; %bb.32:                               ;   in Loop: Header=BB81_23 Depth=1
	v_mad_u64_u32 v[84:85], null, v86, s8, 0
	v_mad_u64_u32 v[85:86], null, v86, s9, v[85:86]
	v_lshlrev_b64 v[84:85], 2, v[84:85]
	v_add_co_u32 v84, vcc_lo, v80, v84
	v_add_co_ci_u32_e64 v85, null, v81, v85, vcc_lo
	global_load_dword v84, v[84:85], off
	s_waitcnt vmcnt(0)
	v_mul_f32_e32 v84, s24, v84
.LBB81_33:                              ;   in Loop: Header=BB81_23 Depth=1
	s_or_b32 exec_lo, exec_lo, s1
	v_or_b32_e32 v82, 4, v82
	v_min_i32_e32 v85, s15, v82
	v_cmp_le_i32_e32 vcc_lo, s14, v82
	v_ashrrev_i32_e32 v86, 31, v85
	v_lshlrev_b64 v[85:86], 2, v[85:86]
	v_add_co_u32 v85, s1, s20, v85
	v_add_co_ci_u32_e64 v86, null, s21, v86, s1
	s_nor_b32 s1, s2, vcc_lo
	s_and_saveexec_b32 s28, s1
	s_cbranch_execz .LBB81_35
; %bb.34:                               ;   in Loop: Header=BB81_23 Depth=1
	v_add_co_u32 v82, s1, v85, v2
	v_add_co_ci_u32_e64 v83, null, v86, v3, s1
	global_load_dword v82, v[82:83], off
	s_waitcnt vmcnt(0)
	v_mul_f32_e32 v83, s24, v82
.LBB81_35:                              ;   in Loop: Header=BB81_23 Depth=1
	s_or_b32 exec_lo, exec_lo, s28
	v_mov_b32_e32 v82, 0
	s_nor_b32 s28, s26, vcc_lo
	s_and_saveexec_b32 s1, s28
	s_cbranch_execz .LBB81_37
; %bb.36:                               ;   in Loop: Header=BB81_23 Depth=1
	v_add_co_u32 v85, vcc_lo, v85, v4
	v_add_co_ci_u32_e64 v86, null, v86, v5, vcc_lo
	global_load_dword v82, v[85:86], off
	s_waitcnt vmcnt(0)
	v_mul_f32_e32 v82, s24, v82
.LBB81_37:                              ;   in Loop: Header=BB81_23 Depth=1
	s_or_b32 exec_lo, exec_lo, s1
	s_mov_b32 s28, 0
	s_mov_b32 s1, -1
.LBB81_38:                              ;   Parent Loop BB81_23 Depth=1
                                        ; =>  This Inner Loop Header: Depth=2
	s_lshl_b32 s28, s28, 2
	s_andn2_b32 vcc_lo, exec_lo, s1
	v_add_nc_u32_e32 v97, s28, v73
	v_add_nc_u32_e32 v105, s28, v74
	s_mov_b32 s1, 0
	s_mov_b32 s28, 2
	ds_read2_b64 v[85:88], v97 offset1:16
	ds_read2_b64 v[89:92], v97 offset0:32 offset1:48
	ds_read2_b64 v[93:96], v97 offset0:64 offset1:80
	;; [unrolled: 1-line block ×3, first 2 shown]
	ds_read2st64_b64 v[101:104], v105 offset1:1
	ds_read2st64_b64 v[105:108], v105 offset0:2 offset1:3
	s_waitcnt lgkmcnt(5)
	v_max_f32_e32 v85, v85, v85
	v_max_f32_e32 v86, v86, v86
	;; [unrolled: 1-line block ×3, first 2 shown]
	s_waitcnt lgkmcnt(1)
	v_max_f32_e32 v101, v101, v101
	v_max_f32_e32 v102, v102, v102
	;; [unrolled: 1-line block ×5, first 2 shown]
	v_min_f32_e32 v109, v85, v101
	v_min_f32_e32 v110, v86, v102
	v_max_f32_e32 v91, v91, v91
	v_max_f32_e32 v92, v92, v92
	;; [unrolled: 1-line block ×3, first 2 shown]
	v_add_f32_e32 v68, v68, v109
	v_min_f32_e32 v109, v87, v101
	v_add_f32_e32 v69, v69, v110
	v_min_f32_e32 v110, v88, v102
	v_max_f32_e32 v94, v94, v94
	v_max_f32_e32 v95, v95, v95
	v_add_f32_e32 v6, v6, v109
	v_min_f32_e32 v109, v89, v101
	v_add_f32_e32 v7, v7, v110
	v_min_f32_e32 v110, v90, v102
	v_max_f32_e32 v96, v96, v96
	v_max_f32_e32 v97, v97, v97
	;; [unrolled: 6-line block ×3, first 2 shown]
	v_add_f32_e32 v10, v10, v109
	v_min_f32_e32 v109, v93, v101
	v_add_f32_e32 v11, v11, v110
	v_min_f32_e32 v110, v94, v102
	v_max_f32_e32 v100, v100, v100
	v_add_f32_e32 v12, v12, v109
	v_min_f32_e32 v109, v95, v101
	v_add_f32_e32 v13, v13, v110
	v_min_f32_e32 v110, v96, v102
	;; [unrolled: 2-line block ×3, first 2 shown]
	v_min_f32_e32 v101, v99, v101
	v_add_f32_e32 v15, v15, v110
	v_min_f32_e32 v110, v98, v102
	v_min_f32_e32 v102, v100, v102
	v_add_f32_e32 v16, v16, v109
	v_add_f32_e32 v66, v66, v101
	v_max_f32_e32 v101, v103, v103
	v_max_f32_e32 v103, v104, v104
	v_add_f32_e32 v67, v67, v102
	v_add_f32_e32 v17, v17, v110
	v_min_f32_e32 v102, v85, v101
	v_min_f32_e32 v104, v86, v103
	v_add_f32_e32 v64, v64, v102
	v_min_f32_e32 v102, v87, v101
	v_add_f32_e32 v65, v65, v104
	;; [unrolled: 2-line block ×11, first 2 shown]
	v_min_f32_e32 v102, v97, v101
	v_min_f32_e32 v101, v99, v101
	v_add_f32_e32 v55, v55, v104
	v_min_f32_e32 v104, v98, v103
	v_add_f32_e32 v52, v52, v102
	v_min_f32_e32 v102, v100, v103
	v_add_f32_e32 v50, v50, v101
	s_waitcnt lgkmcnt(0)
	v_max_f32_e32 v101, v105, v105
	v_max_f32_e32 v103, v106, v106
	v_add_f32_e32 v53, v53, v104
	v_add_f32_e32 v51, v51, v102
	v_min_f32_e32 v102, v85, v101
	v_min_f32_e32 v104, v86, v103
	v_add_f32_e32 v48, v48, v102
	v_min_f32_e32 v102, v87, v101
	v_add_f32_e32 v49, v49, v104
	v_min_f32_e32 v104, v88, v103
	v_add_f32_e32 v46, v46, v102
	v_min_f32_e32 v102, v89, v101
	v_add_f32_e32 v47, v47, v104
	v_min_f32_e32 v104, v90, v103
	v_add_f32_e32 v44, v44, v102
	v_min_f32_e32 v102, v91, v101
	v_add_f32_e32 v45, v45, v104
	v_min_f32_e32 v104, v92, v103
	v_add_f32_e32 v42, v42, v102
	v_min_f32_e32 v102, v93, v101
	v_add_f32_e32 v43, v43, v104
	v_min_f32_e32 v104, v94, v103
	v_add_f32_e32 v40, v40, v102
	v_min_f32_e32 v102, v95, v101
	v_add_f32_e32 v41, v41, v104
	v_min_f32_e32 v104, v96, v103
	v_add_f32_e32 v38, v38, v102
	v_min_f32_e32 v102, v97, v101
	v_min_f32_e32 v101, v99, v101
	v_add_f32_e32 v39, v39, v104
	v_min_f32_e32 v104, v98, v103
	v_add_f32_e32 v36, v36, v102
	;; [unrolled: 2-line block ×3, first 2 shown]
	v_max_f32_e32 v101, v107, v107
	v_add_f32_e32 v37, v37, v104
	v_add_f32_e32 v35, v35, v102
	v_max_f32_e32 v102, v108, v108
	v_min_f32_e32 v85, v85, v101
	v_min_f32_e32 v86, v86, v102
	v_add_f32_e32 v32, v32, v85
	v_min_f32_e32 v85, v87, v101
	v_add_f32_e32 v33, v33, v86
	;; [unrolled: 2-line block ×15, first 2 shown]
	v_add_f32_e32 v19, v19, v86
	s_cbranch_vccz .LBB81_38
; %bb.39:                               ;   in Loop: Header=BB81_23 Depth=1
	s_add_i32 s27, s27, 8
	s_add_i32 s23, s23, 8
	s_cmp_ge_i32 s27, s22
	ds_write_b32 v78, v84
	ds_write2st64_b32 v79, v83, v82 offset1:4
	s_waitcnt lgkmcnt(0)
	s_barrier
	buffer_gl0_inv
	s_cbranch_scc0 .LBB81_23
.LBB81_40:
	s_mov_b32 s0, -1
.LBB81_41:                              ; =>This Inner Loop Header: Depth=1
	s_lshl_b32 s1, s1, 2
	s_andn2_b32 vcc_lo, exec_lo, s0
	v_add_nc_u32_e32 v74, s1, v76
	s_mov_b32 s0, 0
	ds_read2_b64 v[2:5], v74 offset1:16
	ds_read2_b64 v[70:73], v74 offset0:32 offset1:48
	ds_read2_b64 v[78:81], v74 offset0:64 offset1:80
	;; [unrolled: 1-line block ×3, first 2 shown]
	v_add_nc_u32_e32 v74, s1, v77
	s_mov_b32 s1, 2
	ds_read2st64_b64 v[86:89], v74 offset1:1
	ds_read2st64_b64 v[90:93], v74 offset0:2 offset1:3
	s_waitcnt lgkmcnt(5)
	v_max_f32_e32 v2, v2, v2
	v_max_f32_e32 v4, v4, v4
	s_waitcnt lgkmcnt(4)
	v_max_f32_e32 v70, v70, v70
	v_max_f32_e32 v72, v72, v72
	;; [unrolled: 1-line block ×6, first 2 shown]
	s_waitcnt lgkmcnt(1)
	v_max_f32_e32 v74, v86, v86
	v_max_f32_e32 v86, v87, v87
	;; [unrolled: 1-line block ×5, first 2 shown]
	v_min_f32_e32 v75, v2, v74
	v_min_f32_e32 v87, v3, v86
	v_add_f32_e32 v68, v68, v75
	v_min_f32_e32 v75, v4, v74
	v_add_f32_e32 v69, v69, v87
	;; [unrolled: 2-line block ×7, first 2 shown]
	v_max_f32_e32 v75, v78, v78
	v_add_f32_e32 v11, v11, v87
	v_min_f32_e32 v87, v79, v86
	v_min_f32_e32 v78, v75, v74
	v_add_f32_e32 v13, v13, v87
	v_min_f32_e32 v87, v81, v86
	v_add_f32_e32 v12, v12, v78
	v_max_f32_e32 v78, v80, v80
	v_add_f32_e32 v15, v15, v87
	v_min_f32_e32 v87, v83, v86
	v_min_f32_e32 v80, v78, v74
	v_add_f32_e32 v17, v17, v87
	v_add_f32_e32 v14, v14, v80
	v_max_f32_e32 v80, v82, v82
	v_min_f32_e32 v82, v80, v74
	v_add_f32_e32 v16, v16, v82
	v_max_f32_e32 v82, v84, v84
	v_max_f32_e32 v84, v85, v85
	v_min_f32_e32 v74, v82, v74
	v_min_f32_e32 v85, v84, v86
	v_max_f32_e32 v86, v89, v89
	v_add_f32_e32 v66, v66, v74
	v_max_f32_e32 v74, v88, v88
	v_add_f32_e32 v67, v67, v85
	v_min_f32_e32 v87, v3, v86
	v_min_f32_e32 v85, v2, v74
	v_add_f32_e32 v65, v65, v87
	v_min_f32_e32 v87, v5, v86
	v_add_f32_e32 v64, v64, v85
	;; [unrolled: 2-line block ×12, first 2 shown]
	v_min_f32_e32 v85, v80, v74
	v_min_f32_e32 v74, v82, v74
	v_add_f32_e32 v53, v53, v87
	v_add_f32_e32 v52, v52, v85
	v_min_f32_e32 v85, v84, v86
	v_add_f32_e32 v50, v50, v74
	s_waitcnt lgkmcnt(0)
	v_max_f32_e32 v74, v90, v90
	v_max_f32_e32 v86, v91, v91
	v_add_f32_e32 v51, v51, v85
	v_min_f32_e32 v85, v2, v74
	v_min_f32_e32 v87, v3, v86
	v_add_f32_e32 v48, v48, v85
	v_min_f32_e32 v85, v4, v74
	v_add_f32_e32 v49, v49, v87
	;; [unrolled: 2-line block ×11, first 2 shown]
	v_min_f32_e32 v85, v80, v74
	v_min_f32_e32 v74, v82, v74
	v_add_f32_e32 v39, v39, v87
	v_min_f32_e32 v87, v83, v86
	v_add_f32_e32 v36, v36, v85
	;; [unrolled: 2-line block ×3, first 2 shown]
	v_max_f32_e32 v74, v92, v92
	v_add_f32_e32 v37, v37, v87
	v_add_f32_e32 v35, v35, v85
	v_max_f32_e32 v85, v93, v93
	v_min_f32_e32 v2, v2, v74
	v_min_f32_e32 v3, v3, v85
	v_add_f32_e32 v32, v32, v2
	v_min_f32_e32 v2, v4, v74
	v_add_f32_e32 v33, v33, v3
	;; [unrolled: 2-line block ×15, first 2 shown]
	v_add_f32_e32 v19, v19, v3
	s_cbranch_vccz .LBB81_41
; %bb.42:
	s_clause 0x2
	s_load_dwordx2 s[0:1], s[4:5], 0x78
	s_load_dword s14, s[4:5], 0x58
	s_load_dword s9, s[4:5], 0x70
	v_add_nc_u32_e32 v71, s7, v1
	v_add_nc_u32_e32 v0, s6, v0
	v_cndmask_b32_e64 v70, 0, 1, s3
	v_cmp_gt_i32_e64 s8, s13, v71
	s_waitcnt lgkmcnt(0)
	s_mul_i32 s1, s1, s18
	v_mad_i64_i32 v[1:2], null, v71, s14, 0
	v_mad_i64_i32 v[3:4], null, v71, s9, 0
	s_mul_hi_u32 s2, s0, s18
	s_mul_i32 s4, s0, s18
	s_add_i32 s5, s2, s1
	v_cmp_gt_i32_e64 s0, s12, v0
	v_lshlrev_b64 v[72:73], 2, v[1:2]
	s_lshl_b64 s[4:5], s[4:5], 2
	v_lshlrev_b64 v[2:3], 2, v[3:4]
	s_add_u32 s10, s10, s4
	s_addc_u32 s11, s11, s5
	v_ashrrev_i32_e32 v1, 31, v0
	v_add_co_u32 v74, vcc_lo, s16, v72
	v_add_co_ci_u32_e64 v75, null, s17, v73, vcc_lo
	v_add_co_u32 v72, vcc_lo, s10, v2
	v_add_co_ci_u32_e64 v73, null, s11, v3, vcc_lo
	s_and_b32 s2, s0, s8
	s_and_saveexec_b32 s1, s2
	s_cbranch_execz .LBB81_47
; %bb.43:
	v_lshlrev_b64 v[2:3], 2, v[0:1]
	s_andn2_b32 vcc_lo, exec_lo, s3
	s_cbranch_vccnz .LBB81_45
; %bb.44:
	v_add_co_u32 v4, vcc_lo, v74, v2
	v_add_co_ci_u32_e64 v5, null, v75, v3, vcc_lo
	global_load_dword v4, v[4:5], off
	s_waitcnt vmcnt(0)
	v_mul_f32_e32 v4, s19, v4
	s_branch .LBB81_46
.LBB81_45:
	v_mov_b32_e32 v4, 0
.LBB81_46:
	v_add_f32_e32 v5, v68, v69
	v_add_co_u32 v2, vcc_lo, v72, v2
	v_add_co_ci_u32_e64 v3, null, v73, v3, vcc_lo
	v_add_f32_e32 v4, v5, v4
	global_store_dword v[2:3], v4, off
.LBB81_47:
	s_or_b32 exec_lo, exec_lo, s1
	v_add_nc_u32_e32 v2, 8, v0
	v_cmp_gt_i32_e64 s1, s12, v2
	v_ashrrev_i32_e32 v3, 31, v2
	s_and_b32 s3, s1, s8
	s_and_saveexec_b32 s2, s3
	s_cbranch_execz .LBB81_52
; %bb.48:
	v_cmp_ne_u32_e32 vcc_lo, 1, v70
	v_lshlrev_b64 v[4:5], 2, v[2:3]
	s_cbranch_vccnz .LBB81_50
; %bb.49:
	v_add_co_u32 v68, vcc_lo, v74, v4
	v_add_co_ci_u32_e64 v69, null, v75, v5, vcc_lo
	global_load_dword v68, v[68:69], off
	s_waitcnt vmcnt(0)
	v_mul_f32_e32 v68, s19, v68
	s_branch .LBB81_51
.LBB81_50:
	v_mov_b32_e32 v68, 0
.LBB81_51:
	v_add_f32_e32 v6, v6, v7
	v_add_co_u32 v4, vcc_lo, v72, v4
	v_add_co_ci_u32_e64 v5, null, v73, v5, vcc_lo
	v_add_f32_e32 v6, v6, v68
	global_store_dword v[4:5], v6, off
.LBB81_52:
	s_or_b32 exec_lo, exec_lo, s2
	v_add_nc_u32_e32 v4, 16, v0
	v_cmp_gt_i32_e64 s2, s12, v4
	v_ashrrev_i32_e32 v5, 31, v4
	s_and_b32 s4, s2, s8
	s_and_saveexec_b32 s3, s4
	s_cbranch_execz .LBB81_57
; %bb.53:
	v_cmp_ne_u32_e32 vcc_lo, 1, v70
	v_lshlrev_b64 v[6:7], 2, v[4:5]
	s_cbranch_vccnz .LBB81_55
; %bb.54:
	v_add_co_u32 v68, vcc_lo, v74, v6
	v_add_co_ci_u32_e64 v69, null, v75, v7, vcc_lo
	global_load_dword v68, v[68:69], off
	s_waitcnt vmcnt(0)
	v_mul_f32_e32 v68, s19, v68
	s_branch .LBB81_56
.LBB81_55:
	v_mov_b32_e32 v68, 0
.LBB81_56:
	v_add_f32_e32 v8, v8, v9
	v_add_co_u32 v6, vcc_lo, v72, v6
	v_add_co_ci_u32_e64 v7, null, v73, v7, vcc_lo
	v_add_f32_e32 v8, v8, v68
	global_store_dword v[6:7], v8, off
.LBB81_57:
	s_or_b32 exec_lo, exec_lo, s3
	v_add_nc_u32_e32 v6, 24, v0
	v_cmp_gt_i32_e64 s3, s12, v6
	v_ashrrev_i32_e32 v7, 31, v6
	s_and_b32 s5, s3, s8
	s_and_saveexec_b32 s4, s5
	s_cbranch_execz .LBB81_62
; %bb.58:
	v_cmp_ne_u32_e32 vcc_lo, 1, v70
	v_lshlrev_b64 v[8:9], 2, v[6:7]
	s_cbranch_vccnz .LBB81_60
; %bb.59:
	v_add_co_u32 v68, vcc_lo, v74, v8
	v_add_co_ci_u32_e64 v69, null, v75, v9, vcc_lo
	global_load_dword v68, v[68:69], off
	s_waitcnt vmcnt(0)
	v_mul_f32_e32 v68, s19, v68
	s_branch .LBB81_61
.LBB81_60:
	v_mov_b32_e32 v68, 0
.LBB81_61:
	v_add_f32_e32 v10, v10, v11
	v_add_co_u32 v8, vcc_lo, v72, v8
	v_add_co_ci_u32_e64 v9, null, v73, v9, vcc_lo
	v_add_f32_e32 v10, v10, v68
	global_store_dword v[8:9], v10, off
.LBB81_62:
	s_or_b32 exec_lo, exec_lo, s4
	v_add_nc_u32_e32 v8, 32, v0
	v_cmp_gt_i32_e64 s4, s12, v8
	v_ashrrev_i32_e32 v9, 31, v8
	s_and_b32 s6, s4, s8
	s_and_saveexec_b32 s5, s6
	s_cbranch_execz .LBB81_67
; %bb.63:
	v_cmp_ne_u32_e32 vcc_lo, 1, v70
	v_lshlrev_b64 v[10:11], 2, v[8:9]
	s_cbranch_vccnz .LBB81_65
; %bb.64:
	v_add_co_u32 v68, vcc_lo, v74, v10
	v_add_co_ci_u32_e64 v69, null, v75, v11, vcc_lo
	global_load_dword v68, v[68:69], off
	s_waitcnt vmcnt(0)
	v_mul_f32_e32 v68, s19, v68
	s_branch .LBB81_66
.LBB81_65:
	v_mov_b32_e32 v68, 0
.LBB81_66:
	v_add_f32_e32 v12, v12, v13
	v_add_co_u32 v10, vcc_lo, v72, v10
	v_add_co_ci_u32_e64 v11, null, v73, v11, vcc_lo
	v_add_f32_e32 v12, v12, v68
	global_store_dword v[10:11], v12, off
.LBB81_67:
	s_or_b32 exec_lo, exec_lo, s5
	v_add_nc_u32_e32 v10, 40, v0
	v_cmp_gt_i32_e64 s5, s12, v10
	v_ashrrev_i32_e32 v11, 31, v10
	s_and_b32 s7, s5, s8
	s_and_saveexec_b32 s6, s7
	s_cbranch_execz .LBB81_72
; %bb.68:
	v_cmp_ne_u32_e32 vcc_lo, 1, v70
	v_lshlrev_b64 v[12:13], 2, v[10:11]
	s_cbranch_vccnz .LBB81_70
; %bb.69:
	v_add_co_u32 v68, vcc_lo, v74, v12
	v_add_co_ci_u32_e64 v69, null, v75, v13, vcc_lo
	global_load_dword v68, v[68:69], off
	s_waitcnt vmcnt(0)
	v_mul_f32_e32 v68, s19, v68
	s_branch .LBB81_71
.LBB81_70:
	v_mov_b32_e32 v68, 0
.LBB81_71:
	v_add_f32_e32 v14, v14, v15
	v_add_co_u32 v12, vcc_lo, v72, v12
	v_add_co_ci_u32_e64 v13, null, v73, v13, vcc_lo
	v_add_f32_e32 v14, v14, v68
	global_store_dword v[12:13], v14, off
.LBB81_72:
	s_or_b32 exec_lo, exec_lo, s6
	v_add_nc_u32_e32 v12, 48, v0
	v_cmp_gt_i32_e64 s6, s12, v12
	v_ashrrev_i32_e32 v13, 31, v12
	s_and_b32 s15, s6, s8
	s_and_saveexec_b32 s7, s15
	s_cbranch_execz .LBB81_77
; %bb.73:
	v_cmp_ne_u32_e32 vcc_lo, 1, v70
	v_lshlrev_b64 v[14:15], 2, v[12:13]
	s_cbranch_vccnz .LBB81_75
; %bb.74:
	v_add_co_u32 v68, vcc_lo, v74, v14
	v_add_co_ci_u32_e64 v69, null, v75, v15, vcc_lo
	global_load_dword v68, v[68:69], off
	s_waitcnt vmcnt(0)
	v_mul_f32_e32 v68, s19, v68
	s_branch .LBB81_76
.LBB81_75:
	v_mov_b32_e32 v68, 0
.LBB81_76:
	v_add_f32_e32 v16, v16, v17
	v_add_co_u32 v14, vcc_lo, v72, v14
	v_add_co_ci_u32_e64 v15, null, v73, v15, vcc_lo
	v_add_f32_e32 v16, v16, v68
	global_store_dword v[14:15], v16, off
.LBB81_77:
	s_or_b32 exec_lo, exec_lo, s7
	v_add_nc_u32_e32 v14, 56, v0
	v_cmp_gt_i32_e64 s7, s12, v14
	v_ashrrev_i32_e32 v15, 31, v14
	s_and_b32 s12, s7, s8
	s_and_saveexec_b32 s8, s12
	s_cbranch_execz .LBB81_82
; %bb.78:
	v_cmp_ne_u32_e32 vcc_lo, 1, v70
	v_lshlrev_b64 v[16:17], 2, v[14:15]
	s_cbranch_vccnz .LBB81_80
; %bb.79:
	v_add_co_u32 v68, vcc_lo, v74, v16
	v_add_co_ci_u32_e64 v69, null, v75, v17, vcc_lo
	global_load_dword v68, v[68:69], off
	s_waitcnt vmcnt(0)
	v_mul_f32_e32 v68, s19, v68
	s_branch .LBB81_81
.LBB81_80:
	v_mov_b32_e32 v68, 0
.LBB81_81:
	v_add_f32_e32 v66, v66, v67
	v_add_co_u32 v16, vcc_lo, v72, v16
	v_add_co_ci_u32_e64 v17, null, v73, v17, vcc_lo
	v_add_f32_e32 v66, v66, v68
	global_store_dword v[16:17], v66, off
.LBB81_82:
	s_or_b32 exec_lo, exec_lo, s8
	v_add_nc_u32_e32 v68, 32, v71
	v_mad_i64_i32 v[16:17], null, v68, s14, 0
	v_mad_i64_i32 v[66:67], null, v68, s9, 0
	v_cmp_gt_i32_e64 s8, s13, v68
	v_lshlrev_b64 v[16:17], 2, v[16:17]
	s_and_b32 s15, s0, s8
	v_lshlrev_b64 v[66:67], 2, v[66:67]
	v_add_co_u32 v68, vcc_lo, s16, v16
	v_add_co_ci_u32_e64 v69, null, s17, v17, vcc_lo
	v_add_co_u32 v66, vcc_lo, s10, v66
	v_add_co_ci_u32_e64 v67, null, s11, v67, vcc_lo
	s_and_saveexec_b32 s12, s15
	s_cbranch_execnz .LBB81_90
; %bb.83:
	s_or_b32 exec_lo, exec_lo, s12
	s_and_b32 s15, s1, s8
	s_and_saveexec_b32 s12, s15
	s_cbranch_execnz .LBB81_94
.LBB81_84:
	s_or_b32 exec_lo, exec_lo, s12
	s_and_b32 s15, s2, s8
	s_and_saveexec_b32 s12, s15
	s_cbranch_execnz .LBB81_98
.LBB81_85:
	s_or_b32 exec_lo, exec_lo, s12
	s_and_b32 s15, s3, s8
	s_and_saveexec_b32 s12, s15
	s_cbranch_execnz .LBB81_102
.LBB81_86:
	s_or_b32 exec_lo, exec_lo, s12
	s_and_b32 s15, s4, s8
	s_and_saveexec_b32 s12, s15
	s_cbranch_execnz .LBB81_106
.LBB81_87:
	s_or_b32 exec_lo, exec_lo, s12
	s_and_b32 s15, s5, s8
	s_and_saveexec_b32 s12, s15
	s_cbranch_execnz .LBB81_110
.LBB81_88:
	s_or_b32 exec_lo, exec_lo, s12
	s_and_b32 s15, s6, s8
	s_and_saveexec_b32 s12, s15
	s_cbranch_execnz .LBB81_114
.LBB81_89:
	s_or_b32 exec_lo, exec_lo, s12
	s_and_b32 s12, s7, s8
	s_and_saveexec_b32 s8, s12
	s_cbranch_execnz .LBB81_118
	s_branch .LBB81_122
.LBB81_90:
	v_cmp_ne_u32_e32 vcc_lo, 1, v70
	v_lshlrev_b64 v[16:17], 2, v[0:1]
	s_cbranch_vccnz .LBB81_92
; %bb.91:
	v_add_co_u32 v72, vcc_lo, v68, v16
	v_add_co_ci_u32_e64 v73, null, v69, v17, vcc_lo
	global_load_dword v72, v[72:73], off
	s_waitcnt vmcnt(0)
	v_mul_f32_e32 v72, s19, v72
	s_branch .LBB81_93
.LBB81_92:
	v_mov_b32_e32 v72, 0
.LBB81_93:
	v_add_f32_e32 v64, v64, v65
	v_add_co_u32 v16, vcc_lo, v66, v16
	v_add_co_ci_u32_e64 v17, null, v67, v17, vcc_lo
	v_add_f32_e32 v64, v64, v72
	global_store_dword v[16:17], v64, off
	s_or_b32 exec_lo, exec_lo, s12
	s_and_b32 s15, s1, s8
	s_and_saveexec_b32 s12, s15
	s_cbranch_execz .LBB81_84
.LBB81_94:
	v_cmp_ne_u32_e32 vcc_lo, 1, v70
	v_lshlrev_b64 v[16:17], 2, v[2:3]
	s_cbranch_vccnz .LBB81_96
; %bb.95:
	v_add_co_u32 v64, vcc_lo, v68, v16
	v_add_co_ci_u32_e64 v65, null, v69, v17, vcc_lo
	global_load_dword v64, v[64:65], off
	s_waitcnt vmcnt(0)
	v_mul_f32_e32 v64, s19, v64
	s_branch .LBB81_97
.LBB81_96:
	v_mov_b32_e32 v64, 0
.LBB81_97:
	v_add_f32_e32 v62, v62, v63
	v_add_co_u32 v16, vcc_lo, v66, v16
	v_add_co_ci_u32_e64 v17, null, v67, v17, vcc_lo
	v_add_f32_e32 v62, v62, v64
	global_store_dword v[16:17], v62, off
	s_or_b32 exec_lo, exec_lo, s12
	s_and_b32 s15, s2, s8
	s_and_saveexec_b32 s12, s15
	s_cbranch_execz .LBB81_85
.LBB81_98:
	v_cmp_ne_u32_e32 vcc_lo, 1, v70
	v_lshlrev_b64 v[16:17], 2, v[4:5]
	s_cbranch_vccnz .LBB81_100
; %bb.99:
	v_add_co_u32 v62, vcc_lo, v68, v16
	v_add_co_ci_u32_e64 v63, null, v69, v17, vcc_lo
	global_load_dword v62, v[62:63], off
	s_waitcnt vmcnt(0)
	v_mul_f32_e32 v62, s19, v62
	s_branch .LBB81_101
.LBB81_100:
	v_mov_b32_e32 v62, 0
.LBB81_101:
	v_add_f32_e32 v60, v60, v61
	v_add_co_u32 v16, vcc_lo, v66, v16
	v_add_co_ci_u32_e64 v17, null, v67, v17, vcc_lo
	v_add_f32_e32 v60, v60, v62
	global_store_dword v[16:17], v60, off
	s_or_b32 exec_lo, exec_lo, s12
	s_and_b32 s15, s3, s8
	s_and_saveexec_b32 s12, s15
	s_cbranch_execz .LBB81_86
.LBB81_102:
	v_cmp_ne_u32_e32 vcc_lo, 1, v70
	v_lshlrev_b64 v[16:17], 2, v[6:7]
	s_cbranch_vccnz .LBB81_104
; %bb.103:
	v_add_co_u32 v60, vcc_lo, v68, v16
	v_add_co_ci_u32_e64 v61, null, v69, v17, vcc_lo
	global_load_dword v60, v[60:61], off
	s_waitcnt vmcnt(0)
	v_mul_f32_e32 v60, s19, v60
	s_branch .LBB81_105
.LBB81_104:
	v_mov_b32_e32 v60, 0
.LBB81_105:
	v_add_f32_e32 v58, v58, v59
	v_add_co_u32 v16, vcc_lo, v66, v16
	v_add_co_ci_u32_e64 v17, null, v67, v17, vcc_lo
	v_add_f32_e32 v58, v58, v60
	global_store_dword v[16:17], v58, off
	s_or_b32 exec_lo, exec_lo, s12
	s_and_b32 s15, s4, s8
	s_and_saveexec_b32 s12, s15
	s_cbranch_execz .LBB81_87
.LBB81_106:
	v_cmp_ne_u32_e32 vcc_lo, 1, v70
	v_lshlrev_b64 v[16:17], 2, v[8:9]
	s_cbranch_vccnz .LBB81_108
; %bb.107:
	v_add_co_u32 v58, vcc_lo, v68, v16
	v_add_co_ci_u32_e64 v59, null, v69, v17, vcc_lo
	global_load_dword v58, v[58:59], off
	s_waitcnt vmcnt(0)
	v_mul_f32_e32 v58, s19, v58
	s_branch .LBB81_109
.LBB81_108:
	v_mov_b32_e32 v58, 0
.LBB81_109:
	v_add_f32_e32 v56, v56, v57
	v_add_co_u32 v16, vcc_lo, v66, v16
	v_add_co_ci_u32_e64 v17, null, v67, v17, vcc_lo
	v_add_f32_e32 v56, v56, v58
	global_store_dword v[16:17], v56, off
	s_or_b32 exec_lo, exec_lo, s12
	s_and_b32 s15, s5, s8
	s_and_saveexec_b32 s12, s15
	s_cbranch_execz .LBB81_88
.LBB81_110:
	v_cmp_ne_u32_e32 vcc_lo, 1, v70
	v_lshlrev_b64 v[16:17], 2, v[10:11]
	s_cbranch_vccnz .LBB81_112
; %bb.111:
	v_add_co_u32 v56, vcc_lo, v68, v16
	v_add_co_ci_u32_e64 v57, null, v69, v17, vcc_lo
	global_load_dword v56, v[56:57], off
	s_waitcnt vmcnt(0)
	v_mul_f32_e32 v56, s19, v56
	s_branch .LBB81_113
.LBB81_112:
	v_mov_b32_e32 v56, 0
.LBB81_113:
	v_add_f32_e32 v54, v54, v55
	v_add_co_u32 v16, vcc_lo, v66, v16
	v_add_co_ci_u32_e64 v17, null, v67, v17, vcc_lo
	v_add_f32_e32 v54, v54, v56
	global_store_dword v[16:17], v54, off
	s_or_b32 exec_lo, exec_lo, s12
	s_and_b32 s15, s6, s8
	s_and_saveexec_b32 s12, s15
	s_cbranch_execz .LBB81_89
.LBB81_114:
	v_cmp_ne_u32_e32 vcc_lo, 1, v70
	v_lshlrev_b64 v[16:17], 2, v[12:13]
	s_cbranch_vccnz .LBB81_116
; %bb.115:
	v_add_co_u32 v54, vcc_lo, v68, v16
	v_add_co_ci_u32_e64 v55, null, v69, v17, vcc_lo
	global_load_dword v54, v[54:55], off
	s_waitcnt vmcnt(0)
	v_mul_f32_e32 v54, s19, v54
	s_branch .LBB81_117
.LBB81_116:
	v_mov_b32_e32 v54, 0
.LBB81_117:
	v_add_f32_e32 v52, v52, v53
	v_add_co_u32 v16, vcc_lo, v66, v16
	v_add_co_ci_u32_e64 v17, null, v67, v17, vcc_lo
	v_add_f32_e32 v52, v52, v54
	global_store_dword v[16:17], v52, off
	s_or_b32 exec_lo, exec_lo, s12
	s_and_b32 s12, s7, s8
	s_and_saveexec_b32 s8, s12
	s_cbranch_execz .LBB81_122
.LBB81_118:
	v_cmp_ne_u32_e32 vcc_lo, 1, v70
	v_lshlrev_b64 v[16:17], 2, v[14:15]
	s_cbranch_vccnz .LBB81_120
; %bb.119:
	v_add_co_u32 v52, vcc_lo, v68, v16
	v_add_co_ci_u32_e64 v53, null, v69, v17, vcc_lo
	global_load_dword v52, v[52:53], off
	s_waitcnt vmcnt(0)
	v_mul_f32_e32 v52, s19, v52
	s_branch .LBB81_121
.LBB81_120:
	v_mov_b32_e32 v52, 0
.LBB81_121:
	v_add_f32_e32 v50, v50, v51
	v_add_co_u32 v16, vcc_lo, v66, v16
	v_add_co_ci_u32_e64 v17, null, v67, v17, vcc_lo
	v_add_f32_e32 v50, v50, v52
	global_store_dword v[16:17], v50, off
.LBB81_122:
	s_or_b32 exec_lo, exec_lo, s8
	v_add_nc_u32_e32 v52, 64, v71
	v_mad_i64_i32 v[16:17], null, v52, s14, 0
	v_mad_i64_i32 v[50:51], null, v52, s9, 0
	v_cmp_gt_i32_e64 s8, s13, v52
	v_lshlrev_b64 v[16:17], 2, v[16:17]
	s_and_b32 s15, s0, s8
	v_lshlrev_b64 v[50:51], 2, v[50:51]
	v_add_co_u32 v52, vcc_lo, s16, v16
	v_add_co_ci_u32_e64 v53, null, s17, v17, vcc_lo
	v_add_co_u32 v50, vcc_lo, s10, v50
	v_add_co_ci_u32_e64 v51, null, s11, v51, vcc_lo
	s_and_saveexec_b32 s12, s15
	s_cbranch_execnz .LBB81_130
; %bb.123:
	s_or_b32 exec_lo, exec_lo, s12
	s_and_b32 s15, s1, s8
	s_and_saveexec_b32 s12, s15
	s_cbranch_execnz .LBB81_134
.LBB81_124:
	s_or_b32 exec_lo, exec_lo, s12
	s_and_b32 s15, s2, s8
	s_and_saveexec_b32 s12, s15
	s_cbranch_execnz .LBB81_138
.LBB81_125:
	s_or_b32 exec_lo, exec_lo, s12
	s_and_b32 s15, s3, s8
	s_and_saveexec_b32 s12, s15
	s_cbranch_execnz .LBB81_142
.LBB81_126:
	s_or_b32 exec_lo, exec_lo, s12
	s_and_b32 s15, s4, s8
	s_and_saveexec_b32 s12, s15
	s_cbranch_execnz .LBB81_146
.LBB81_127:
	s_or_b32 exec_lo, exec_lo, s12
	s_and_b32 s15, s5, s8
	s_and_saveexec_b32 s12, s15
	s_cbranch_execnz .LBB81_150
.LBB81_128:
	s_or_b32 exec_lo, exec_lo, s12
	s_and_b32 s15, s6, s8
	s_and_saveexec_b32 s12, s15
	s_cbranch_execnz .LBB81_154
.LBB81_129:
	s_or_b32 exec_lo, exec_lo, s12
	s_and_b32 s12, s7, s8
	s_and_saveexec_b32 s8, s12
	s_cbranch_execnz .LBB81_158
	s_branch .LBB81_162
.LBB81_130:
	v_cmp_ne_u32_e32 vcc_lo, 1, v70
	v_lshlrev_b64 v[16:17], 2, v[0:1]
	s_cbranch_vccnz .LBB81_132
; %bb.131:
	v_add_co_u32 v54, vcc_lo, v52, v16
	v_add_co_ci_u32_e64 v55, null, v53, v17, vcc_lo
	global_load_dword v54, v[54:55], off
	s_waitcnt vmcnt(0)
	v_mul_f32_e32 v54, s19, v54
	s_branch .LBB81_133
.LBB81_132:
	v_mov_b32_e32 v54, 0
.LBB81_133:
	v_add_f32_e32 v48, v48, v49
	v_add_co_u32 v16, vcc_lo, v50, v16
	v_add_co_ci_u32_e64 v17, null, v51, v17, vcc_lo
	v_add_f32_e32 v48, v48, v54
	global_store_dword v[16:17], v48, off
	s_or_b32 exec_lo, exec_lo, s12
	s_and_b32 s15, s1, s8
	s_and_saveexec_b32 s12, s15
	s_cbranch_execz .LBB81_124
.LBB81_134:
	v_cmp_ne_u32_e32 vcc_lo, 1, v70
	v_lshlrev_b64 v[16:17], 2, v[2:3]
	s_cbranch_vccnz .LBB81_136
; %bb.135:
	v_add_co_u32 v48, vcc_lo, v52, v16
	v_add_co_ci_u32_e64 v49, null, v53, v17, vcc_lo
	global_load_dword v48, v[48:49], off
	s_waitcnt vmcnt(0)
	v_mul_f32_e32 v48, s19, v48
	s_branch .LBB81_137
.LBB81_136:
	v_mov_b32_e32 v48, 0
.LBB81_137:
	v_add_f32_e32 v46, v46, v47
	v_add_co_u32 v16, vcc_lo, v50, v16
	v_add_co_ci_u32_e64 v17, null, v51, v17, vcc_lo
	v_add_f32_e32 v46, v46, v48
	global_store_dword v[16:17], v46, off
	s_or_b32 exec_lo, exec_lo, s12
	s_and_b32 s15, s2, s8
	s_and_saveexec_b32 s12, s15
	s_cbranch_execz .LBB81_125
.LBB81_138:
	v_cmp_ne_u32_e32 vcc_lo, 1, v70
	v_lshlrev_b64 v[16:17], 2, v[4:5]
	s_cbranch_vccnz .LBB81_140
; %bb.139:
	v_add_co_u32 v46, vcc_lo, v52, v16
	v_add_co_ci_u32_e64 v47, null, v53, v17, vcc_lo
	global_load_dword v46, v[46:47], off
	s_waitcnt vmcnt(0)
	v_mul_f32_e32 v46, s19, v46
	s_branch .LBB81_141
.LBB81_140:
	v_mov_b32_e32 v46, 0
.LBB81_141:
	v_add_f32_e32 v44, v44, v45
	v_add_co_u32 v16, vcc_lo, v50, v16
	v_add_co_ci_u32_e64 v17, null, v51, v17, vcc_lo
	v_add_f32_e32 v44, v44, v46
	global_store_dword v[16:17], v44, off
	s_or_b32 exec_lo, exec_lo, s12
	s_and_b32 s15, s3, s8
	s_and_saveexec_b32 s12, s15
	s_cbranch_execz .LBB81_126
.LBB81_142:
	v_cmp_ne_u32_e32 vcc_lo, 1, v70
	v_lshlrev_b64 v[16:17], 2, v[6:7]
	s_cbranch_vccnz .LBB81_144
; %bb.143:
	v_add_co_u32 v44, vcc_lo, v52, v16
	v_add_co_ci_u32_e64 v45, null, v53, v17, vcc_lo
	global_load_dword v44, v[44:45], off
	s_waitcnt vmcnt(0)
	v_mul_f32_e32 v44, s19, v44
	s_branch .LBB81_145
.LBB81_144:
	v_mov_b32_e32 v44, 0
.LBB81_145:
	v_add_f32_e32 v42, v42, v43
	v_add_co_u32 v16, vcc_lo, v50, v16
	v_add_co_ci_u32_e64 v17, null, v51, v17, vcc_lo
	v_add_f32_e32 v42, v42, v44
	global_store_dword v[16:17], v42, off
	s_or_b32 exec_lo, exec_lo, s12
	s_and_b32 s15, s4, s8
	s_and_saveexec_b32 s12, s15
	s_cbranch_execz .LBB81_127
.LBB81_146:
	v_cmp_ne_u32_e32 vcc_lo, 1, v70
	v_lshlrev_b64 v[16:17], 2, v[8:9]
	s_cbranch_vccnz .LBB81_148
; %bb.147:
	v_add_co_u32 v42, vcc_lo, v52, v16
	v_add_co_ci_u32_e64 v43, null, v53, v17, vcc_lo
	global_load_dword v42, v[42:43], off
	s_waitcnt vmcnt(0)
	v_mul_f32_e32 v42, s19, v42
	s_branch .LBB81_149
.LBB81_148:
	v_mov_b32_e32 v42, 0
.LBB81_149:
	v_add_f32_e32 v40, v40, v41
	v_add_co_u32 v16, vcc_lo, v50, v16
	v_add_co_ci_u32_e64 v17, null, v51, v17, vcc_lo
	v_add_f32_e32 v40, v40, v42
	global_store_dword v[16:17], v40, off
	s_or_b32 exec_lo, exec_lo, s12
	s_and_b32 s15, s5, s8
	s_and_saveexec_b32 s12, s15
	s_cbranch_execz .LBB81_128
.LBB81_150:
	v_cmp_ne_u32_e32 vcc_lo, 1, v70
	v_lshlrev_b64 v[16:17], 2, v[10:11]
	s_cbranch_vccnz .LBB81_152
; %bb.151:
	v_add_co_u32 v40, vcc_lo, v52, v16
	v_add_co_ci_u32_e64 v41, null, v53, v17, vcc_lo
	global_load_dword v40, v[40:41], off
	s_waitcnt vmcnt(0)
	v_mul_f32_e32 v40, s19, v40
	s_branch .LBB81_153
.LBB81_152:
	v_mov_b32_e32 v40, 0
.LBB81_153:
	v_add_f32_e32 v38, v38, v39
	v_add_co_u32 v16, vcc_lo, v50, v16
	v_add_co_ci_u32_e64 v17, null, v51, v17, vcc_lo
	v_add_f32_e32 v38, v38, v40
	global_store_dword v[16:17], v38, off
	s_or_b32 exec_lo, exec_lo, s12
	s_and_b32 s15, s6, s8
	s_and_saveexec_b32 s12, s15
	s_cbranch_execz .LBB81_129
.LBB81_154:
	v_cmp_ne_u32_e32 vcc_lo, 1, v70
	v_lshlrev_b64 v[16:17], 2, v[12:13]
	s_cbranch_vccnz .LBB81_156
; %bb.155:
	v_add_co_u32 v38, vcc_lo, v52, v16
	v_add_co_ci_u32_e64 v39, null, v53, v17, vcc_lo
	global_load_dword v38, v[38:39], off
	s_waitcnt vmcnt(0)
	v_mul_f32_e32 v38, s19, v38
	s_branch .LBB81_157
.LBB81_156:
	v_mov_b32_e32 v38, 0
.LBB81_157:
	v_add_f32_e32 v36, v36, v37
	v_add_co_u32 v16, vcc_lo, v50, v16
	v_add_co_ci_u32_e64 v17, null, v51, v17, vcc_lo
	v_add_f32_e32 v36, v36, v38
	global_store_dword v[16:17], v36, off
	s_or_b32 exec_lo, exec_lo, s12
	s_and_b32 s12, s7, s8
	s_and_saveexec_b32 s8, s12
	s_cbranch_execz .LBB81_162
.LBB81_158:
	v_cmp_ne_u32_e32 vcc_lo, 1, v70
	v_lshlrev_b64 v[16:17], 2, v[14:15]
	s_cbranch_vccnz .LBB81_160
; %bb.159:
	v_add_co_u32 v36, vcc_lo, v52, v16
	v_add_co_ci_u32_e64 v37, null, v53, v17, vcc_lo
	global_load_dword v36, v[36:37], off
	s_waitcnt vmcnt(0)
	v_mul_f32_e32 v36, s19, v36
	s_branch .LBB81_161
.LBB81_160:
	v_mov_b32_e32 v36, 0
.LBB81_161:
	v_add_f32_e32 v34, v34, v35
	v_add_co_u32 v16, vcc_lo, v50, v16
	v_add_co_ci_u32_e64 v17, null, v51, v17, vcc_lo
	v_add_f32_e32 v34, v34, v36
	global_store_dword v[16:17], v34, off
.LBB81_162:
	s_or_b32 exec_lo, exec_lo, s8
	v_add_nc_u32_e32 v36, 0x60, v71
	v_mad_i64_i32 v[16:17], null, v36, s14, 0
	v_mad_i64_i32 v[34:35], null, v36, s9, 0
	v_cmp_gt_i32_e64 s8, s13, v36
	v_lshlrev_b64 v[16:17], 2, v[16:17]
	s_and_b32 s9, s0, s8
	v_lshlrev_b64 v[36:37], 2, v[34:35]
	v_add_co_u32 v34, vcc_lo, s16, v16
	v_add_co_ci_u32_e64 v35, null, s17, v17, vcc_lo
	v_add_co_u32 v16, vcc_lo, s10, v36
	v_add_co_ci_u32_e64 v17, null, s11, v37, vcc_lo
	s_and_saveexec_b32 s0, s9
	s_cbranch_execnz .LBB81_171
; %bb.163:
	s_or_b32 exec_lo, exec_lo, s0
	s_and_b32 s1, s1, s8
	s_and_saveexec_b32 s0, s1
	s_cbranch_execnz .LBB81_175
.LBB81_164:
	s_or_b32 exec_lo, exec_lo, s0
	s_and_b32 s1, s2, s8
	s_and_saveexec_b32 s0, s1
	s_cbranch_execnz .LBB81_179
.LBB81_165:
	s_or_b32 exec_lo, exec_lo, s0
	s_and_b32 s1, s3, s8
	s_and_saveexec_b32 s0, s1
	s_cbranch_execnz .LBB81_183
.LBB81_166:
	s_or_b32 exec_lo, exec_lo, s0
	s_and_b32 s1, s4, s8
	s_and_saveexec_b32 s0, s1
	s_cbranch_execnz .LBB81_187
.LBB81_167:
	s_or_b32 exec_lo, exec_lo, s0
	s_and_b32 s1, s5, s8
	s_and_saveexec_b32 s0, s1
	s_cbranch_execnz .LBB81_191
.LBB81_168:
	s_or_b32 exec_lo, exec_lo, s0
	s_and_b32 s1, s6, s8
	s_and_saveexec_b32 s0, s1
	s_cbranch_execnz .LBB81_195
.LBB81_169:
	s_or_b32 exec_lo, exec_lo, s0
	s_and_b32 s0, s7, s8
	s_and_saveexec_b32 s1, s0
	s_cbranch_execnz .LBB81_199
.LBB81_170:
	s_endpgm
.LBB81_171:
	v_cmp_ne_u32_e32 vcc_lo, 1, v70
	v_lshlrev_b64 v[0:1], 2, v[0:1]
	s_cbranch_vccnz .LBB81_173
; %bb.172:
	v_add_co_u32 v36, vcc_lo, v34, v0
	v_add_co_ci_u32_e64 v37, null, v35, v1, vcc_lo
	global_load_dword v36, v[36:37], off
	s_waitcnt vmcnt(0)
	v_mul_f32_e32 v36, s19, v36
	s_branch .LBB81_174
.LBB81_173:
	v_mov_b32_e32 v36, 0
.LBB81_174:
	v_add_f32_e32 v32, v32, v33
	v_add_co_u32 v0, vcc_lo, v16, v0
	v_add_co_ci_u32_e64 v1, null, v17, v1, vcc_lo
	v_add_f32_e32 v32, v32, v36
	global_store_dword v[0:1], v32, off
	s_or_b32 exec_lo, exec_lo, s0
	s_and_b32 s1, s1, s8
	s_and_saveexec_b32 s0, s1
	s_cbranch_execz .LBB81_164
.LBB81_175:
	v_cmp_ne_u32_e32 vcc_lo, 1, v70
	v_lshlrev_b64 v[0:1], 2, v[2:3]
	s_cbranch_vccnz .LBB81_177
; %bb.176:
	v_add_co_u32 v2, vcc_lo, v34, v0
	v_add_co_ci_u32_e64 v3, null, v35, v1, vcc_lo
	global_load_dword v2, v[2:3], off
	s_waitcnt vmcnt(0)
	v_mul_f32_e32 v2, s19, v2
	s_branch .LBB81_178
.LBB81_177:
	v_mov_b32_e32 v2, 0
.LBB81_178:
	v_add_f32_e32 v3, v30, v31
	v_add_co_u32 v0, vcc_lo, v16, v0
	v_add_co_ci_u32_e64 v1, null, v17, v1, vcc_lo
	v_add_f32_e32 v2, v3, v2
	global_store_dword v[0:1], v2, off
	s_or_b32 exec_lo, exec_lo, s0
	s_and_b32 s1, s2, s8
	s_and_saveexec_b32 s0, s1
	s_cbranch_execz .LBB81_165
.LBB81_179:
	v_cmp_ne_u32_e32 vcc_lo, 1, v70
	v_lshlrev_b64 v[0:1], 2, v[4:5]
	s_cbranch_vccnz .LBB81_181
; %bb.180:
	v_add_co_u32 v2, vcc_lo, v34, v0
	v_add_co_ci_u32_e64 v3, null, v35, v1, vcc_lo
	global_load_dword v2, v[2:3], off
	s_waitcnt vmcnt(0)
	v_mul_f32_e32 v2, s19, v2
	s_branch .LBB81_182
.LBB81_181:
	v_mov_b32_e32 v2, 0
.LBB81_182:
	v_add_f32_e32 v3, v28, v29
	v_add_co_u32 v0, vcc_lo, v16, v0
	v_add_co_ci_u32_e64 v1, null, v17, v1, vcc_lo
	v_add_f32_e32 v2, v3, v2
	global_store_dword v[0:1], v2, off
	s_or_b32 exec_lo, exec_lo, s0
	s_and_b32 s1, s3, s8
	s_and_saveexec_b32 s0, s1
	s_cbranch_execz .LBB81_166
.LBB81_183:
	v_cmp_ne_u32_e32 vcc_lo, 1, v70
	v_lshlrev_b64 v[0:1], 2, v[6:7]
	s_cbranch_vccnz .LBB81_185
; %bb.184:
	v_add_co_u32 v2, vcc_lo, v34, v0
	v_add_co_ci_u32_e64 v3, null, v35, v1, vcc_lo
	global_load_dword v2, v[2:3], off
	s_waitcnt vmcnt(0)
	v_mul_f32_e32 v2, s19, v2
	s_branch .LBB81_186
.LBB81_185:
	v_mov_b32_e32 v2, 0
.LBB81_186:
	v_add_f32_e32 v3, v26, v27
	v_add_co_u32 v0, vcc_lo, v16, v0
	v_add_co_ci_u32_e64 v1, null, v17, v1, vcc_lo
	v_add_f32_e32 v2, v3, v2
	global_store_dword v[0:1], v2, off
	s_or_b32 exec_lo, exec_lo, s0
	s_and_b32 s1, s4, s8
	s_and_saveexec_b32 s0, s1
	s_cbranch_execz .LBB81_167
.LBB81_187:
	v_cmp_ne_u32_e32 vcc_lo, 1, v70
	v_lshlrev_b64 v[0:1], 2, v[8:9]
	s_cbranch_vccnz .LBB81_189
; %bb.188:
	v_add_co_u32 v2, vcc_lo, v34, v0
	v_add_co_ci_u32_e64 v3, null, v35, v1, vcc_lo
	global_load_dword v2, v[2:3], off
	s_waitcnt vmcnt(0)
	v_mul_f32_e32 v2, s19, v2
	s_branch .LBB81_190
.LBB81_189:
	v_mov_b32_e32 v2, 0
.LBB81_190:
	v_add_f32_e32 v3, v24, v25
	v_add_co_u32 v0, vcc_lo, v16, v0
	v_add_co_ci_u32_e64 v1, null, v17, v1, vcc_lo
	v_add_f32_e32 v2, v3, v2
	global_store_dword v[0:1], v2, off
	s_or_b32 exec_lo, exec_lo, s0
	s_and_b32 s1, s5, s8
	s_and_saveexec_b32 s0, s1
	s_cbranch_execz .LBB81_168
.LBB81_191:
	v_cmp_ne_u32_e32 vcc_lo, 1, v70
	v_lshlrev_b64 v[0:1], 2, v[10:11]
	s_cbranch_vccnz .LBB81_193
; %bb.192:
	v_add_co_u32 v2, vcc_lo, v34, v0
	v_add_co_ci_u32_e64 v3, null, v35, v1, vcc_lo
	global_load_dword v2, v[2:3], off
	s_waitcnt vmcnt(0)
	v_mul_f32_e32 v2, s19, v2
	s_branch .LBB81_194
.LBB81_193:
	v_mov_b32_e32 v2, 0
.LBB81_194:
	v_add_f32_e32 v3, v22, v23
	v_add_co_u32 v0, vcc_lo, v16, v0
	v_add_co_ci_u32_e64 v1, null, v17, v1, vcc_lo
	v_add_f32_e32 v2, v3, v2
	global_store_dword v[0:1], v2, off
	s_or_b32 exec_lo, exec_lo, s0
	s_and_b32 s1, s6, s8
	s_and_saveexec_b32 s0, s1
	s_cbranch_execz .LBB81_169
.LBB81_195:
	v_cmp_ne_u32_e32 vcc_lo, 1, v70
	v_lshlrev_b64 v[0:1], 2, v[12:13]
	s_cbranch_vccnz .LBB81_197
; %bb.196:
	v_add_co_u32 v2, vcc_lo, v34, v0
	v_add_co_ci_u32_e64 v3, null, v35, v1, vcc_lo
	global_load_dword v2, v[2:3], off
	s_waitcnt vmcnt(0)
	v_mul_f32_e32 v2, s19, v2
	s_branch .LBB81_198
.LBB81_197:
	v_mov_b32_e32 v2, 0
.LBB81_198:
	v_add_f32_e32 v3, v20, v21
	v_add_co_u32 v0, vcc_lo, v16, v0
	v_add_co_ci_u32_e64 v1, null, v17, v1, vcc_lo
	v_add_f32_e32 v2, v3, v2
	global_store_dword v[0:1], v2, off
	s_or_b32 exec_lo, exec_lo, s0
	s_and_b32 s0, s7, s8
	s_and_saveexec_b32 s1, s0
	s_cbranch_execz .LBB81_170
.LBB81_199:
	v_cmp_ne_u32_e32 vcc_lo, 1, v70
	v_lshlrev_b64 v[0:1], 2, v[14:15]
	s_cbranch_vccnz .LBB81_201
; %bb.200:
	v_add_co_u32 v2, vcc_lo, v34, v0
	v_add_co_ci_u32_e64 v3, null, v35, v1, vcc_lo
	global_load_dword v2, v[2:3], off
	s_waitcnt vmcnt(0)
	v_mul_f32_e32 v2, s19, v2
	s_branch .LBB81_202
.LBB81_201:
	v_mov_b32_e32 v2, 0
.LBB81_202:
	v_add_f32_e32 v3, v18, v19
	v_add_co_u32 v0, vcc_lo, v16, v0
	v_add_co_ci_u32_e64 v1, null, v17, v1, vcc_lo
	v_add_f32_e32 v2, v3, v2
	global_store_dword v[0:1], v2, off
	s_endpgm
	.section	.rodata,"a",@progbits
	.p2align	6, 0x0
	.amdhsa_kernel _ZN12_GLOBAL__N_120geam_min_plus_kernelIf15HIP_vector_typeIfLj2EES2_Li8ELi32ELi64ELi128ELi4ELi64ELi4ELi4ELi64ELc78ELc78ELb0ELb1ELb0EPKfS3_fEEviiiT16_PT17_ilS7_ilS5_S7_ilPT18_ili26rocblas_geam_ex_operation_
		.amdhsa_group_segment_fixed_size 6144
		.amdhsa_private_segment_fixed_size 0
		.amdhsa_kernarg_size 136
		.amdhsa_user_sgpr_count 6
		.amdhsa_user_sgpr_private_segment_buffer 1
		.amdhsa_user_sgpr_dispatch_ptr 0
		.amdhsa_user_sgpr_queue_ptr 0
		.amdhsa_user_sgpr_kernarg_segment_ptr 1
		.amdhsa_user_sgpr_dispatch_id 0
		.amdhsa_user_sgpr_flat_scratch_init 0
		.amdhsa_user_sgpr_private_segment_size 0
		.amdhsa_wavefront_size32 1
		.amdhsa_uses_dynamic_stack 0
		.amdhsa_system_sgpr_private_segment_wavefront_offset 0
		.amdhsa_system_sgpr_workgroup_id_x 1
		.amdhsa_system_sgpr_workgroup_id_y 0
		.amdhsa_system_sgpr_workgroup_id_z 1
		.amdhsa_system_sgpr_workgroup_info 0
		.amdhsa_system_vgpr_workitem_id 1
		.amdhsa_next_free_vgpr 112
		.amdhsa_next_free_sgpr 29
		.amdhsa_reserve_vcc 1
		.amdhsa_reserve_flat_scratch 0
		.amdhsa_float_round_mode_32 0
		.amdhsa_float_round_mode_16_64 0
		.amdhsa_float_denorm_mode_32 3
		.amdhsa_float_denorm_mode_16_64 3
		.amdhsa_dx10_clamp 1
		.amdhsa_ieee_mode 1
		.amdhsa_fp16_overflow 0
		.amdhsa_workgroup_processor_mode 1
		.amdhsa_memory_ordered 1
		.amdhsa_forward_progress 1
		.amdhsa_shared_vgpr_count 0
		.amdhsa_exception_fp_ieee_invalid_op 0
		.amdhsa_exception_fp_denorm_src 0
		.amdhsa_exception_fp_ieee_div_zero 0
		.amdhsa_exception_fp_ieee_overflow 0
		.amdhsa_exception_fp_ieee_underflow 0
		.amdhsa_exception_fp_ieee_inexact 0
		.amdhsa_exception_int_div_zero 0
	.end_amdhsa_kernel
	.section	.text._ZN12_GLOBAL__N_120geam_min_plus_kernelIf15HIP_vector_typeIfLj2EES2_Li8ELi32ELi64ELi128ELi4ELi64ELi4ELi4ELi64ELc78ELc78ELb0ELb1ELb0EPKfS3_fEEviiiT16_PT17_ilS7_ilS5_S7_ilPT18_ili26rocblas_geam_ex_operation_,"axG",@progbits,_ZN12_GLOBAL__N_120geam_min_plus_kernelIf15HIP_vector_typeIfLj2EES2_Li8ELi32ELi64ELi128ELi4ELi64ELi4ELi4ELi64ELc78ELc78ELb0ELb1ELb0EPKfS3_fEEviiiT16_PT17_ilS7_ilS5_S7_ilPT18_ili26rocblas_geam_ex_operation_,comdat
.Lfunc_end81:
	.size	_ZN12_GLOBAL__N_120geam_min_plus_kernelIf15HIP_vector_typeIfLj2EES2_Li8ELi32ELi64ELi128ELi4ELi64ELi4ELi4ELi64ELc78ELc78ELb0ELb1ELb0EPKfS3_fEEviiiT16_PT17_ilS7_ilS5_S7_ilPT18_ili26rocblas_geam_ex_operation_, .Lfunc_end81-_ZN12_GLOBAL__N_120geam_min_plus_kernelIf15HIP_vector_typeIfLj2EES2_Li8ELi32ELi64ELi128ELi4ELi64ELi4ELi4ELi64ELc78ELc78ELb0ELb1ELb0EPKfS3_fEEviiiT16_PT17_ilS7_ilS5_S7_ilPT18_ili26rocblas_geam_ex_operation_
                                        ; -- End function
	.set _ZN12_GLOBAL__N_120geam_min_plus_kernelIf15HIP_vector_typeIfLj2EES2_Li8ELi32ELi64ELi128ELi4ELi64ELi4ELi4ELi64ELc78ELc78ELb0ELb1ELb0EPKfS3_fEEviiiT16_PT17_ilS7_ilS5_S7_ilPT18_ili26rocblas_geam_ex_operation_.num_vgpr, 112
	.set _ZN12_GLOBAL__N_120geam_min_plus_kernelIf15HIP_vector_typeIfLj2EES2_Li8ELi32ELi64ELi128ELi4ELi64ELi4ELi4ELi64ELc78ELc78ELb0ELb1ELb0EPKfS3_fEEviiiT16_PT17_ilS7_ilS5_S7_ilPT18_ili26rocblas_geam_ex_operation_.num_agpr, 0
	.set _ZN12_GLOBAL__N_120geam_min_plus_kernelIf15HIP_vector_typeIfLj2EES2_Li8ELi32ELi64ELi128ELi4ELi64ELi4ELi4ELi64ELc78ELc78ELb0ELb1ELb0EPKfS3_fEEviiiT16_PT17_ilS7_ilS5_S7_ilPT18_ili26rocblas_geam_ex_operation_.numbered_sgpr, 29
	.set _ZN12_GLOBAL__N_120geam_min_plus_kernelIf15HIP_vector_typeIfLj2EES2_Li8ELi32ELi64ELi128ELi4ELi64ELi4ELi4ELi64ELc78ELc78ELb0ELb1ELb0EPKfS3_fEEviiiT16_PT17_ilS7_ilS5_S7_ilPT18_ili26rocblas_geam_ex_operation_.num_named_barrier, 0
	.set _ZN12_GLOBAL__N_120geam_min_plus_kernelIf15HIP_vector_typeIfLj2EES2_Li8ELi32ELi64ELi128ELi4ELi64ELi4ELi4ELi64ELc78ELc78ELb0ELb1ELb0EPKfS3_fEEviiiT16_PT17_ilS7_ilS5_S7_ilPT18_ili26rocblas_geam_ex_operation_.private_seg_size, 0
	.set _ZN12_GLOBAL__N_120geam_min_plus_kernelIf15HIP_vector_typeIfLj2EES2_Li8ELi32ELi64ELi128ELi4ELi64ELi4ELi4ELi64ELc78ELc78ELb0ELb1ELb0EPKfS3_fEEviiiT16_PT17_ilS7_ilS5_S7_ilPT18_ili26rocblas_geam_ex_operation_.uses_vcc, 1
	.set _ZN12_GLOBAL__N_120geam_min_plus_kernelIf15HIP_vector_typeIfLj2EES2_Li8ELi32ELi64ELi128ELi4ELi64ELi4ELi4ELi64ELc78ELc78ELb0ELb1ELb0EPKfS3_fEEviiiT16_PT17_ilS7_ilS5_S7_ilPT18_ili26rocblas_geam_ex_operation_.uses_flat_scratch, 0
	.set _ZN12_GLOBAL__N_120geam_min_plus_kernelIf15HIP_vector_typeIfLj2EES2_Li8ELi32ELi64ELi128ELi4ELi64ELi4ELi4ELi64ELc78ELc78ELb0ELb1ELb0EPKfS3_fEEviiiT16_PT17_ilS7_ilS5_S7_ilPT18_ili26rocblas_geam_ex_operation_.has_dyn_sized_stack, 0
	.set _ZN12_GLOBAL__N_120geam_min_plus_kernelIf15HIP_vector_typeIfLj2EES2_Li8ELi32ELi64ELi128ELi4ELi64ELi4ELi4ELi64ELc78ELc78ELb0ELb1ELb0EPKfS3_fEEviiiT16_PT17_ilS7_ilS5_S7_ilPT18_ili26rocblas_geam_ex_operation_.has_recursion, 0
	.set _ZN12_GLOBAL__N_120geam_min_plus_kernelIf15HIP_vector_typeIfLj2EES2_Li8ELi32ELi64ELi128ELi4ELi64ELi4ELi4ELi64ELc78ELc78ELb0ELb1ELb0EPKfS3_fEEviiiT16_PT17_ilS7_ilS5_S7_ilPT18_ili26rocblas_geam_ex_operation_.has_indirect_call, 0
	.section	.AMDGPU.csdata,"",@progbits
; Kernel info:
; codeLenInByte = 9128
; TotalNumSgprs: 31
; NumVgprs: 112
; ScratchSize: 0
; MemoryBound: 0
; FloatMode: 240
; IeeeMode: 1
; LDSByteSize: 6144 bytes/workgroup (compile time only)
; SGPRBlocks: 0
; VGPRBlocks: 13
; NumSGPRsForWavesPerEU: 31
; NumVGPRsForWavesPerEU: 112
; Occupancy: 9
; WaveLimiterHint : 0
; COMPUTE_PGM_RSRC2:SCRATCH_EN: 0
; COMPUTE_PGM_RSRC2:USER_SGPR: 6
; COMPUTE_PGM_RSRC2:TRAP_HANDLER: 0
; COMPUTE_PGM_RSRC2:TGID_X_EN: 1
; COMPUTE_PGM_RSRC2:TGID_Y_EN: 0
; COMPUTE_PGM_RSRC2:TGID_Z_EN: 1
; COMPUTE_PGM_RSRC2:TIDIG_COMP_CNT: 1
	.section	.text._ZN12_GLOBAL__N_120geam_min_plus_kernelIf15HIP_vector_typeIfLj2EES2_Li8ELi32ELi64ELi128ELi4ELi64ELi4ELi4ELi64ELc78ELc78ELb1ELb1ELb0EfKffEEviiiT16_PT17_ilS6_ilS4_S6_ilPT18_ili26rocblas_geam_ex_operation_,"axG",@progbits,_ZN12_GLOBAL__N_120geam_min_plus_kernelIf15HIP_vector_typeIfLj2EES2_Li8ELi32ELi64ELi128ELi4ELi64ELi4ELi4ELi64ELc78ELc78ELb1ELb1ELb0EfKffEEviiiT16_PT17_ilS6_ilS4_S6_ilPT18_ili26rocblas_geam_ex_operation_,comdat
	.globl	_ZN12_GLOBAL__N_120geam_min_plus_kernelIf15HIP_vector_typeIfLj2EES2_Li8ELi32ELi64ELi128ELi4ELi64ELi4ELi4ELi64ELc78ELc78ELb1ELb1ELb0EfKffEEviiiT16_PT17_ilS6_ilS4_S6_ilPT18_ili26rocblas_geam_ex_operation_ ; -- Begin function _ZN12_GLOBAL__N_120geam_min_plus_kernelIf15HIP_vector_typeIfLj2EES2_Li8ELi32ELi64ELi128ELi4ELi64ELi4ELi4ELi64ELc78ELc78ELb1ELb1ELb0EfKffEEviiiT16_PT17_ilS6_ilS4_S6_ilPT18_ili26rocblas_geam_ex_operation_
	.p2align	8
	.type	_ZN12_GLOBAL__N_120geam_min_plus_kernelIf15HIP_vector_typeIfLj2EES2_Li8ELi32ELi64ELi128ELi4ELi64ELi4ELi4ELi64ELc78ELc78ELb1ELb1ELb0EfKffEEviiiT16_PT17_ilS6_ilS4_S6_ilPT18_ili26rocblas_geam_ex_operation_,@function
_ZN12_GLOBAL__N_120geam_min_plus_kernelIf15HIP_vector_typeIfLj2EES2_Li8ELi32ELi64ELi128ELi4ELi64ELi4ELi4ELi64ELc78ELc78ELb1ELb1ELb0EfKffEEviiiT16_PT17_ilS6_ilS4_S6_ilPT18_ili26rocblas_geam_ex_operation_: ; @_ZN12_GLOBAL__N_120geam_min_plus_kernelIf15HIP_vector_typeIfLj2EES2_Li8ELi32ELi64ELi128ELi4ELi64ELi4ELi4ELi64ELc78ELc78ELb1ELb1ELb0EfKffEEviiiT16_PT17_ilS6_ilS4_S6_ilPT18_ili26rocblas_geam_ex_operation_
; %bb.0:
	s_clause 0x1
	s_load_dwordx4 s[12:15], s[4:5], 0x0
	s_load_dwordx4 s[0:3], s[4:5], 0x20
	s_waitcnt lgkmcnt(0)
	v_cmp_eq_f32_e64 s8, s15, 0
	s_and_b32 vcc_lo, exec_lo, s8
	s_cbranch_vccnz .LBB82_45
; %bb.1:
	s_load_dwordx2 s[10:11], s[4:5], 0x10
	s_mul_i32 s1, s1, s7
	s_mul_hi_u32 s9, s0, s7
	s_mul_i32 s0, s0, s7
	s_add_i32 s1, s9, s1
	s_lshl_b64 s[0:1], s[0:1], 2
	s_waitcnt lgkmcnt(0)
	s_add_u32 s20, s10, s0
	s_addc_u32 s21, s11, s1
	s_andn2_b32 vcc_lo, exec_lo, s8
	s_mov_b32 s0, -1
	s_cbranch_vccnz .LBB82_3
.LBB82_2:
	s_mov_b32 s0, 0
.LBB82_3:
	s_mov_b64 s[16:17], 0
	s_andn2_b32 vcc_lo, exec_lo, s0
	s_mov_b64 s[18:19], 0
	s_cbranch_vccnz .LBB82_5
; %bb.4:
	s_load_dwordx2 s[0:1], s[4:5], 0x38
	s_waitcnt lgkmcnt(0)
	s_mul_i32 s1, s1, s7
	s_mul_hi_u32 s8, s0, s7
	s_mul_i32 s0, s0, s7
	s_add_i32 s1, s8, s1
	s_lshl_b64 s[0:1], s[0:1], 2
	s_add_u32 s18, s2, s0
	s_addc_u32 s19, s3, s1
.LBB82_5:
	s_clause 0x1
	s_load_dword s15, s[4:5], 0x40
	s_load_dwordx4 s[8:11], s[4:5], 0x58
	s_waitcnt lgkmcnt(0)
	v_cmp_eq_f32_e64 s0, s15, 0
	v_cmp_neq_f32_e64 s3, s15, 0
	s_and_b32 vcc_lo, exec_lo, s0
	s_cbranch_vccnz .LBB82_7
; %bb.6:
	s_load_dwordx2 s[0:1], s[4:5], 0x48
	s_mul_i32 s2, s9, s7
	s_mul_hi_u32 s9, s8, s7
	s_mul_i32 s8, s8, s7
	s_add_i32 s9, s9, s2
	s_lshl_b64 s[8:9], s[8:9], 2
	s_waitcnt lgkmcnt(0)
	s_add_u32 s16, s0, s8
	s_addc_u32 s17, s1, s9
.LBB82_7:
	s_add_i32 s0, s12, -1
	s_load_dword s9, s[4:5], 0x18
	s_ashr_i32 s1, s0, 31
	v_lshl_add_u32 v4, v1, 3, v0
	s_lshr_b32 s1, s1, 26
	v_mov_b32_e32 v8, 0
	s_add_i32 s0, s0, s1
	v_mov_b32_e32 v10, 0
	s_ashr_i32 s0, s0, 6
	v_and_b32_e32 v9, 63, v4
	s_add_i32 s1, s0, 1
	s_not_b32 s0, s0
	v_cvt_f32_u32_e32 v2, s1
	v_lshrrev_b32_e32 v72, 6, v4
	v_rcp_iflag_f32_e32 v2, v2
	s_waitcnt lgkmcnt(0)
	s_ashr_i32 s22, s9, 31
	v_mul_f32_e32 v2, 0x4f7ffffe, v2
	v_cvt_u32_f32_e32 v2, v2
	v_readfirstlane_b32 s2, v2
	s_mul_i32 s0, s0, s2
	s_mul_hi_u32 s0, s2, s0
	s_add_i32 s2, s2, s0
	s_mul_hi_u32 s0, s6, s2
	s_mul_i32 s2, s0, s1
	s_add_i32 s8, s0, 1
	s_sub_i32 s2, s6, s2
	s_sub_i32 s23, s2, s1
	s_cmp_ge_u32 s2, s1
	s_cselect_b32 s0, s8, s0
	s_cselect_b32 s2, s23, s2
	s_add_i32 s8, s0, 1
	s_cmp_ge_u32 s2, s1
	s_cselect_b32 s2, s8, s0
	s_mul_i32 s0, s2, s1
	s_sub_i32 s0, s6, s0
	s_lshl_b32 s6, s0, 6
	v_cmp_gt_i32_e64 s0, s14, v72
	v_or_b32_e32 v2, s6, v9
	v_cmp_gt_i32_e64 s1, s12, v2
	v_ashrrev_i32_e32 v3, 31, v2
	v_cmp_le_i32_e32 vcc_lo, s12, v2
	s_and_b32 s0, s0, s1
	s_and_saveexec_b32 s1, s0
	s_cbranch_execz .LBB82_9
; %bb.8:
	v_mad_i64_i32 v[5:6], null, s9, v72, 0
	v_lshlrev_b64 v[10:11], 2, v[2:3]
	v_lshlrev_b64 v[5:6], 2, v[5:6]
	v_add_co_u32 v5, s0, s20, v5
	v_add_co_ci_u32_e64 v6, null, s21, v6, s0
	v_add_co_u32 v5, s0, v5, v10
	v_add_co_ci_u32_e64 v6, null, v6, v11, s0
	global_load_dword v10, v[5:6], off
.LBB82_9:
	s_or_b32 exec_lo, exec_lo, s1
	s_load_dword s24, s[4:5], 0x30
	v_lshrrev_b32_e32 v5, 2, v4
	v_and_b32_e32 v73, 3, v0
	s_lshl_b32 s8, s2, 7
	v_add_nc_u32_e32 v4, s8, v5
	v_lshlrev_b32_e32 v6, 2, v73
	v_cmp_le_i32_e64 s2, s14, v73
	v_cmp_le_i32_e64 s0, s13, v4
	v_add_co_u32 v11, s1, s18, v6
	v_add_co_ci_u32_e64 v12, null, s19, 0, s1
	s_nor_b32 s1, s2, s0
	s_and_saveexec_b32 s23, s1
	s_cbranch_execz .LBB82_11
; %bb.10:
	s_waitcnt lgkmcnt(0)
	v_mad_i64_i32 v[7:8], null, v4, s24, 0
	v_lshlrev_b64 v[7:8], 2, v[7:8]
	v_add_co_u32 v7, s1, v11, v7
	v_add_co_ci_u32_e64 v8, null, v12, v8, s1
	global_load_dword v8, v[7:8], off
.LBB82_11:
	s_or_b32 exec_lo, exec_lo, s23
	v_add_nc_u32_e32 v7, 64, v4
	v_mov_b32_e32 v74, 0
	v_mov_b32_e32 v13, 0
	v_cmp_le_i32_e64 s1, s13, v7
	s_nor_b32 s2, s2, s1
	s_and_saveexec_b32 s23, s2
	s_cbranch_execz .LBB82_13
; %bb.12:
	s_waitcnt lgkmcnt(0)
	v_mad_i64_i32 v[13:14], null, v7, s24, 0
	v_lshlrev_b64 v[13:14], 2, v[13:14]
	v_add_co_u32 v13, s2, v11, v13
	v_add_co_ci_u32_e64 v14, null, v12, v14, s2
	global_load_dword v13, v[13:14], off
.LBB82_13:
	s_or_b32 exec_lo, exec_lo, s23
	v_add_nc_u32_e32 v14, 4, v72
	s_xor_b32 s23, vcc_lo, -1
	v_cmp_gt_i32_e64 s2, s14, v14
	s_and_b32 s25, s23, s2
	s_and_saveexec_b32 s2, s25
	s_cbranch_execz .LBB82_15
; %bb.14:
	v_mad_u64_u32 v[15:16], null, s9, v14, 0
	v_mad_u64_u32 v[16:17], null, s22, v14, v[16:17]
	v_lshlrev_b64 v[14:15], 2, v[15:16]
	v_lshlrev_b64 v[16:17], 2, v[2:3]
	v_add_co_u32 v14, vcc_lo, s20, v14
	v_add_co_ci_u32_e64 v15, null, s21, v15, vcc_lo
	v_add_co_u32 v14, vcc_lo, v14, v16
	v_add_co_ci_u32_e64 v15, null, v15, v17, vcc_lo
	global_load_dword v74, v[14:15], off
.LBB82_15:
	s_or_b32 exec_lo, exec_lo, s2
	v_or_b32_e32 v14, 4, v73
	v_mov_b32_e32 v80, 0
	v_mov_b32_e32 v81, 0
	v_cmp_le_i32_e32 vcc_lo, s14, v14
	s_nor_b32 s2, vcc_lo, s0
	s_and_saveexec_b32 s25, s2
	s_cbranch_execz .LBB82_17
; %bb.16:
	s_waitcnt lgkmcnt(0)
	v_mad_i64_i32 v[14:15], null, v4, s24, 0
	v_lshlrev_b64 v[14:15], 2, v[14:15]
	v_add_co_u32 v14, s2, v11, v14
	v_add_co_ci_u32_e64 v15, null, v12, v15, s2
	global_load_dword v81, v[14:15], off offset:16
.LBB82_17:
	s_or_b32 exec_lo, exec_lo, s25
	s_nor_b32 s25, vcc_lo, s1
	s_and_saveexec_b32 s2, s25
	s_cbranch_execz .LBB82_19
; %bb.18:
	s_waitcnt lgkmcnt(0)
	v_mad_i64_i32 v[14:15], null, v7, s24, 0
	v_lshlrev_b64 v[14:15], 2, v[14:15]
	v_add_co_u32 v11, vcc_lo, v11, v14
	v_add_co_ci_u32_e64 v12, null, v12, v15, vcc_lo
	global_load_dword v80, v[11:12], off offset:16
.LBB82_19:
	s_or_b32 exec_lo, exec_lo, s2
	v_lshlrev_b32_e32 v9, 4, v9
	v_lshlrev_b32_e32 v11, 4, v5
	v_mov_b32_e32 v70, 0
	v_lshl_or_b32 v77, v0, 4, 0x1000
	v_lshlrev_b32_e32 v78, 4, v1
	v_lshl_add_u32 v82, v72, 2, v9
	v_lshl_or_b32 v76, v73, 2, v11
	v_mov_b32_e32 v71, v70
	v_mov_b32_e32 v68, v70
	;; [unrolled: 1-line block ×3, first 2 shown]
	v_or_b32_e32 v79, 0x1000, v82
	s_waitcnt vmcnt(0)
	ds_write_b32 v82, v10 offset:4096
	ds_write2st64_b32 v76, v8, v13 offset1:4
	v_mov_b32_e32 v8, v70
	v_mov_b32_e32 v9, v70
	v_mov_b32_e32 v10, v70
	v_mov_b32_e32 v11, v70
	v_mov_b32_e32 v12, v70
	v_mov_b32_e32 v13, v70
	v_mov_b32_e32 v14, v70
	v_mov_b32_e32 v15, v70
	v_mov_b32_e32 v16, v70
	v_mov_b32_e32 v17, v70
	v_mov_b32_e32 v66, v70
	v_mov_b32_e32 v67, v70
	v_mov_b32_e32 v64, v70
	v_mov_b32_e32 v65, v70
	v_mov_b32_e32 v62, v70
	v_mov_b32_e32 v63, v70
	v_mov_b32_e32 v60, v70
	v_mov_b32_e32 v61, v70
	v_mov_b32_e32 v58, v70
	v_mov_b32_e32 v59, v70
	v_mov_b32_e32 v56, v70
	v_mov_b32_e32 v57, v70
	v_mov_b32_e32 v54, v70
	v_mov_b32_e32 v55, v70
	v_mov_b32_e32 v52, v70
	v_mov_b32_e32 v53, v70
	v_mov_b32_e32 v50, v70
	v_mov_b32_e32 v51, v70
	v_mov_b32_e32 v48, v70
	v_mov_b32_e32 v49, v70
	v_mov_b32_e32 v46, v70
	v_mov_b32_e32 v47, v70
	v_mov_b32_e32 v44, v70
	v_mov_b32_e32 v45, v70
	v_mov_b32_e32 v42, v70
	v_mov_b32_e32 v43, v70
	v_mov_b32_e32 v40, v70
	v_mov_b32_e32 v41, v70
	v_mov_b32_e32 v38, v70
	v_mov_b32_e32 v39, v70
	v_mov_b32_e32 v36, v70
	v_mov_b32_e32 v37, v70
	v_mov_b32_e32 v34, v70
	v_mov_b32_e32 v35, v70
	v_mov_b32_e32 v32, v70
	v_mov_b32_e32 v33, v70
	v_mov_b32_e32 v30, v70
	v_mov_b32_e32 v31, v70
	v_mov_b32_e32 v28, v70
	v_mov_b32_e32 v29, v70
	v_mov_b32_e32 v26, v70
	v_mov_b32_e32 v27, v70
	v_mov_b32_e32 v24, v70
	v_mov_b32_e32 v25, v70
	v_mov_b32_e32 v22, v70
	v_mov_b32_e32 v23, v70
	v_mov_b32_e32 v20, v70
	v_mov_b32_e32 v21, v70
	v_mov_b32_e32 v18, v70
	v_mov_b32_e32 v19, v70
	s_mov_b32 s25, 0
	s_mov_b32 s2, -1
	s_waitcnt lgkmcnt(0)
	s_barrier
	buffer_gl0_inv
.LBB82_20:                              ; =>This Inner Loop Header: Depth=1
	s_lshl_b32 s25, s25, 2
	s_andn2_b32 vcc_lo, exec_lo, s2
	v_add_nc_u32_e32 v75, s25, v77
	s_mov_b32 s2, 0
	ds_read2_b64 v[83:86], v75 offset1:16
	ds_read2_b64 v[87:90], v75 offset0:32 offset1:48
	ds_read2_b64 v[91:94], v75 offset0:64 offset1:80
	;; [unrolled: 1-line block ×3, first 2 shown]
	v_add_nc_u32_e32 v75, s25, v78
	s_mov_b32 s25, 2
	ds_read2st64_b64 v[99:102], v75 offset1:1
	ds_read2st64_b64 v[103:106], v75 offset0:2 offset1:3
	s_waitcnt lgkmcnt(5)
	v_max_f32_e32 v83, v83, v83
	v_max_f32_e32 v85, v85, v85
	s_waitcnt lgkmcnt(4)
	v_max_f32_e32 v87, v87, v87
	v_max_f32_e32 v89, v89, v89
	;; [unrolled: 3-line block ×5, first 2 shown]
	v_max_f32_e32 v98, v98, v98
	v_max_f32_e32 v84, v84, v84
	;; [unrolled: 1-line block ×3, first 2 shown]
	v_min_f32_e32 v99, v83, v75
	v_max_f32_e32 v88, v88, v88
	v_max_f32_e32 v90, v90, v90
	v_min_f32_e32 v107, v84, v100
	v_max_f32_e32 v92, v92, v92
	v_add_f32_e32 v70, v70, v99
	v_min_f32_e32 v99, v85, v75
	v_max_f32_e32 v94, v94, v94
	v_add_f32_e32 v71, v71, v107
	;; [unrolled: 3-line block ×3, first 2 shown]
	v_min_f32_e32 v99, v87, v75
	v_add_f32_e32 v69, v69, v107
	v_min_f32_e32 v107, v88, v100
	v_add_f32_e32 v8, v8, v99
	v_min_f32_e32 v99, v89, v75
	v_add_f32_e32 v9, v9, v107
	v_min_f32_e32 v107, v90, v100
	v_add_f32_e32 v10, v10, v99
	v_min_f32_e32 v99, v91, v75
	v_add_f32_e32 v11, v11, v107
	v_min_f32_e32 v107, v92, v100
	v_add_f32_e32 v12, v12, v99
	v_min_f32_e32 v99, v93, v75
	v_add_f32_e32 v13, v13, v107
	v_min_f32_e32 v107, v94, v100
	v_add_f32_e32 v14, v14, v99
	v_min_f32_e32 v99, v95, v75
	v_min_f32_e32 v75, v97, v75
	v_add_f32_e32 v15, v15, v107
	v_min_f32_e32 v107, v96, v100
	v_add_f32_e32 v16, v16, v99
	;; [unrolled: 2-line block ×3, first 2 shown]
	v_max_f32_e32 v75, v101, v101
	v_max_f32_e32 v100, v102, v102
	v_add_f32_e32 v17, v17, v107
	v_add_f32_e32 v67, v67, v99
	v_min_f32_e32 v99, v83, v75
	v_min_f32_e32 v101, v84, v100
	v_add_f32_e32 v64, v64, v99
	v_min_f32_e32 v99, v85, v75
	v_add_f32_e32 v65, v65, v101
	;; [unrolled: 2-line block ×11, first 2 shown]
	v_min_f32_e32 v99, v95, v75
	v_min_f32_e32 v75, v97, v75
	v_add_f32_e32 v55, v55, v101
	v_min_f32_e32 v101, v96, v100
	v_add_f32_e32 v52, v52, v99
	;; [unrolled: 2-line block ×3, first 2 shown]
	s_waitcnt lgkmcnt(0)
	v_max_f32_e32 v75, v103, v103
	v_max_f32_e32 v100, v104, v104
	v_add_f32_e32 v53, v53, v101
	v_add_f32_e32 v51, v51, v99
	v_min_f32_e32 v99, v83, v75
	v_min_f32_e32 v101, v84, v100
	v_add_f32_e32 v48, v48, v99
	v_min_f32_e32 v99, v85, v75
	v_add_f32_e32 v49, v49, v101
	;; [unrolled: 2-line block ×11, first 2 shown]
	v_min_f32_e32 v99, v95, v75
	v_min_f32_e32 v75, v97, v75
	v_add_f32_e32 v39, v39, v101
	v_min_f32_e32 v101, v96, v100
	v_add_f32_e32 v36, v36, v99
	;; [unrolled: 2-line block ×3, first 2 shown]
	v_max_f32_e32 v75, v105, v105
	v_add_f32_e32 v37, v37, v101
	v_add_f32_e32 v35, v35, v99
	v_max_f32_e32 v99, v106, v106
	v_min_f32_e32 v83, v83, v75
	v_min_f32_e32 v84, v84, v99
	v_add_f32_e32 v32, v32, v83
	v_min_f32_e32 v83, v85, v75
	v_add_f32_e32 v33, v33, v84
	;; [unrolled: 2-line block ×11, first 2 shown]
	v_min_f32_e32 v83, v95, v75
	v_min_f32_e32 v75, v97, v75
	v_add_f32_e32 v23, v23, v84
	v_min_f32_e32 v84, v96, v99
	v_add_f32_e32 v20, v20, v83
	;; [unrolled: 2-line block ×3, first 2 shown]
	v_add_f32_e32 v21, v21, v84
	v_add_f32_e32 v19, v19, v83
	s_cbranch_vccz .LBB82_20
; %bb.21:
	v_lshl_or_b32 v5, v5, 4, v6
	ds_write_b32 v82, v74 offset:5120
	v_lshl_add_u32 v74, v0, 4, 0x1400
	v_lshl_add_u32 v75, v1, 4, 0x800
	s_cmp_lt_i32 s14, 9
	ds_write2st64_b32 v5, v81, v80 offset0:8 offset1:12
	s_waitcnt lgkmcnt(0)
	s_barrier
	buffer_gl0_inv
	s_cbranch_scc1 .LBB82_40
; %bb.22:
	v_lshlrev_b64 v[2:3], 2, v[2:3]
	v_mad_i64_i32 v[84:85], null, v4, s24, 0
	v_mad_i64_i32 v[6:7], null, v7, s24, 0
	v_add_nc_u32_e32 v80, 0x1400, v82
	v_add_co_u32 v82, vcc_lo, s20, v2
	v_add_nc_u32_e32 v81, 0x800, v5
	v_add_co_ci_u32_e64 v83, null, s21, v3, vcc_lo
	v_lshlrev_b64 v[2:3], 2, v[84:85]
	v_lshlrev_b64 v[4:5], 2, v[6:7]
	v_mov_b32_e32 v7, 0
	s_add_i32 s20, s14, -8
	s_mov_b32 s21, 8
	s_mov_b32 s24, 0
.LBB82_23:                              ; =>This Loop Header: Depth=1
                                        ;     Child Loop BB82_30 Depth 2
                                        ;     Child Loop BB82_38 Depth 2
	v_add_nc_u32_e32 v6, s21, v72
	v_mov_b32_e32 v86, 0
	v_cmp_gt_i32_e32 vcc_lo, s14, v6
	s_and_b32 s25, s23, vcc_lo
	s_and_saveexec_b32 s2, s25
	s_cbranch_execz .LBB82_25
; %bb.24:                               ;   in Loop: Header=BB82_23 Depth=1
	v_mad_u64_u32 v[84:85], null, v6, s9, 0
	v_mad_u64_u32 v[85:86], null, v6, s22, v[85:86]
	v_lshlrev_b64 v[84:85], 2, v[84:85]
	v_add_co_u32 v84, vcc_lo, v82, v84
	v_add_co_ci_u32_e64 v85, null, v83, v85, vcc_lo
	global_load_dword v86, v[84:85], off
.LBB82_25:                              ;   in Loop: Header=BB82_23 Depth=1
	s_or_b32 exec_lo, exec_lo, s2
	v_or_b32_e32 v6, s21, v73
	v_mov_b32_e32 v87, 0
	v_mov_b32_e32 v88, 0
	v_lshlrev_b64 v[84:85], 2, v[6:7]
	v_cmp_le_i32_e32 vcc_lo, s14, v6
	v_add_co_u32 v84, s2, s18, v84
	v_add_co_ci_u32_e64 v85, null, s19, v85, s2
	s_nor_b32 s2, s0, vcc_lo
	s_and_saveexec_b32 s25, s2
	s_cbranch_execz .LBB82_27
; %bb.26:                               ;   in Loop: Header=BB82_23 Depth=1
	v_add_co_u32 v88, s2, v84, v2
	v_add_co_ci_u32_e64 v89, null, v85, v3, s2
	global_load_dword v88, v[88:89], off
.LBB82_27:                              ;   in Loop: Header=BB82_23 Depth=1
	s_or_b32 exec_lo, exec_lo, s25
	s_nor_b32 s25, s1, vcc_lo
	s_and_saveexec_b32 s2, s25
	s_cbranch_execz .LBB82_29
; %bb.28:                               ;   in Loop: Header=BB82_23 Depth=1
	v_add_co_u32 v89, vcc_lo, v84, v4
	v_add_co_ci_u32_e64 v90, null, v85, v5, vcc_lo
	global_load_dword v87, v[89:90], off
.LBB82_29:                              ;   in Loop: Header=BB82_23 Depth=1
	s_or_b32 exec_lo, exec_lo, s2
	s_mov_b32 s25, 0
	s_mov_b32 s2, -1
.LBB82_30:                              ;   Parent Loop BB82_23 Depth=1
                                        ; =>  This Inner Loop Header: Depth=2
	s_lshl_b32 s25, s25, 2
	s_andn2_b32 vcc_lo, exec_lo, s2
	v_add_nc_u32_e32 v101, s25, v74
	v_add_nc_u32_e32 v109, s25, v75
	s_mov_b32 s2, 0
	s_mov_b32 s25, 2
	ds_read2_b64 v[89:92], v101 offset1:16
	ds_read2_b64 v[93:96], v101 offset0:32 offset1:48
	ds_read2_b64 v[97:100], v101 offset0:64 offset1:80
	;; [unrolled: 1-line block ×3, first 2 shown]
	ds_read2st64_b64 v[105:108], v109 offset1:1
	ds_read2st64_b64 v[109:112], v109 offset0:2 offset1:3
	s_waitcnt lgkmcnt(5)
	v_max_f32_e32 v114, v90, v90
	v_max_f32_e32 v113, v89, v89
	s_waitcnt lgkmcnt(1)
	v_max_f32_e32 v106, v106, v106
	v_max_f32_e32 v105, v105, v105
	v_min_f32_e32 v90, v114, v106
	v_min_f32_e32 v89, v113, v105
	v_add_f32_e32 v71, v71, v90
	v_max_f32_e32 v90, v91, v91
	v_max_f32_e32 v91, v92, v92
	v_add_f32_e32 v70, v70, v89
	v_min_f32_e32 v89, v90, v105
	v_min_f32_e32 v92, v91, v106
	v_add_f32_e32 v68, v68, v89
	v_add_f32_e32 v69, v69, v92
	v_max_f32_e32 v92, v93, v93
	v_max_f32_e32 v93, v94, v94
	v_min_f32_e32 v89, v92, v105
	v_min_f32_e32 v94, v93, v106
	v_add_f32_e32 v8, v8, v89
	v_add_f32_e32 v9, v9, v94
	v_max_f32_e32 v94, v95, v95
	v_max_f32_e32 v95, v96, v96
	;; [unrolled: 6-line block ×6, first 2 shown]
	v_min_f32_e32 v103, v102, v105
	v_min_f32_e32 v104, v89, v106
	v_max_f32_e32 v105, v108, v108
	v_add_f32_e32 v66, v66, v103
	v_max_f32_e32 v103, v107, v107
	v_add_f32_e32 v67, v67, v104
	v_min_f32_e32 v106, v114, v105
	v_min_f32_e32 v104, v113, v103
	v_add_f32_e32 v65, v65, v106
	v_min_f32_e32 v106, v91, v105
	v_add_f32_e32 v64, v64, v104
	;; [unrolled: 2-line block ×12, first 2 shown]
	v_min_f32_e32 v104, v100, v103
	v_min_f32_e32 v103, v102, v103
	v_add_f32_e32 v53, v53, v106
	v_add_f32_e32 v52, v52, v104
	v_min_f32_e32 v104, v89, v105
	v_add_f32_e32 v50, v50, v103
	s_waitcnt lgkmcnt(0)
	v_max_f32_e32 v103, v109, v109
	v_max_f32_e32 v105, v110, v110
	v_add_f32_e32 v51, v51, v104
	v_min_f32_e32 v104, v113, v103
	v_min_f32_e32 v106, v114, v105
	v_add_f32_e32 v48, v48, v104
	v_min_f32_e32 v104, v90, v103
	v_add_f32_e32 v49, v49, v106
	;; [unrolled: 2-line block ×11, first 2 shown]
	v_min_f32_e32 v104, v100, v103
	v_min_f32_e32 v103, v102, v103
	v_add_f32_e32 v39, v39, v106
	v_min_f32_e32 v106, v101, v105
	v_add_f32_e32 v36, v36, v104
	v_add_f32_e32 v34, v34, v103
	v_max_f32_e32 v103, v111, v111
	v_min_f32_e32 v104, v89, v105
	v_max_f32_e32 v105, v112, v112
	v_add_f32_e32 v37, v37, v106
	v_min_f32_e32 v90, v90, v103
	v_add_f32_e32 v35, v35, v104
	v_min_f32_e32 v91, v91, v105
	v_min_f32_e32 v104, v113, v103
	;; [unrolled: 1-line block ×3, first 2 shown]
	v_add_f32_e32 v30, v30, v90
	v_min_f32_e32 v90, v92, v103
	v_add_f32_e32 v31, v31, v91
	v_min_f32_e32 v91, v93, v105
	v_min_f32_e32 v89, v89, v105
	v_add_f32_e32 v33, v33, v106
	v_add_f32_e32 v28, v28, v90
	v_min_f32_e32 v90, v94, v103
	v_add_f32_e32 v29, v29, v91
	v_min_f32_e32 v91, v95, v105
	v_add_f32_e32 v32, v32, v104
	v_add_f32_e32 v19, v19, v89
	;; [unrolled: 1-line block ×3, first 2 shown]
	v_min_f32_e32 v90, v96, v103
	v_add_f32_e32 v27, v27, v91
	v_min_f32_e32 v91, v97, v105
	v_add_f32_e32 v24, v24, v90
	;; [unrolled: 2-line block ×7, first 2 shown]
	v_add_f32_e32 v18, v18, v90
	s_cbranch_vccz .LBB82_30
; %bb.31:                               ;   in Loop: Header=BB82_23 Depth=1
	v_add3_u32 v89, v72, s21, 4
	s_waitcnt vmcnt(0)
	ds_write_b32 v79, v86
	ds_write2st64_b32 v76, v88, v87 offset1:4
	v_mov_b32_e32 v86, 0
	v_mov_b32_e32 v87, 0
	s_waitcnt lgkmcnt(0)
	v_cmp_gt_i32_e32 vcc_lo, s14, v89
	s_barrier
	buffer_gl0_inv
	s_and_b32 s25, s23, vcc_lo
	s_and_saveexec_b32 s2, s25
	s_cbranch_execz .LBB82_33
; %bb.32:                               ;   in Loop: Header=BB82_23 Depth=1
	v_mad_u64_u32 v[87:88], null, v89, s9, 0
	v_mad_u64_u32 v[88:89], null, v89, s22, v[88:89]
	v_lshlrev_b64 v[87:88], 2, v[87:88]
	v_add_co_u32 v87, vcc_lo, v82, v87
	v_add_co_ci_u32_e64 v88, null, v83, v88, vcc_lo
	global_load_dword v87, v[87:88], off
.LBB82_33:                              ;   in Loop: Header=BB82_23 Depth=1
	s_or_b32 exec_lo, exec_lo, s2
	v_or_b32_e32 v6, 4, v6
	v_cmp_le_i32_e32 vcc_lo, s14, v6
	s_nor_b32 s2, s0, vcc_lo
	s_and_saveexec_b32 s25, s2
	s_cbranch_execz .LBB82_35
; %bb.34:                               ;   in Loop: Header=BB82_23 Depth=1
	v_add_co_u32 v88, s2, v84, v2
	v_add_co_ci_u32_e64 v89, null, v85, v3, s2
	global_load_dword v86, v[88:89], off offset:16
.LBB82_35:                              ;   in Loop: Header=BB82_23 Depth=1
	s_or_b32 exec_lo, exec_lo, s25
	v_mov_b32_e32 v6, 0
	s_nor_b32 s25, s1, vcc_lo
	s_and_saveexec_b32 s2, s25
	s_cbranch_execz .LBB82_37
; %bb.36:                               ;   in Loop: Header=BB82_23 Depth=1
	v_add_co_u32 v84, vcc_lo, v84, v4
	v_add_co_ci_u32_e64 v85, null, v85, v5, vcc_lo
	global_load_dword v6, v[84:85], off offset:16
.LBB82_37:                              ;   in Loop: Header=BB82_23 Depth=1
	s_or_b32 exec_lo, exec_lo, s2
	s_mov_b32 s25, 0
	s_mov_b32 s2, -1
.LBB82_38:                              ;   Parent Loop BB82_23 Depth=1
                                        ; =>  This Inner Loop Header: Depth=2
	s_lshl_b32 s25, s25, 2
	s_andn2_b32 vcc_lo, exec_lo, s2
	v_add_nc_u32_e32 v84, s25, v77
	s_mov_b32 s2, 0
	ds_read2_b64 v[88:91], v84 offset1:16
	ds_read2_b64 v[92:95], v84 offset0:32 offset1:48
	ds_read2_b64 v[96:99], v84 offset0:64 offset1:80
	;; [unrolled: 1-line block ×3, first 2 shown]
	v_add_nc_u32_e32 v84, s25, v78
	s_mov_b32 s25, 2
	ds_read2st64_b64 v[104:107], v84 offset1:1
	ds_read2st64_b64 v[108:111], v84 offset0:2 offset1:3
	s_waitcnt lgkmcnt(5)
	v_max_f32_e32 v85, v88, v88
	v_max_f32_e32 v89, v89, v89
	v_max_f32_e32 v91, v91, v91
	s_waitcnt lgkmcnt(4)
	v_max_f32_e32 v93, v93, v93
	v_max_f32_e32 v95, v95, v95
	s_waitcnt lgkmcnt(3)
	v_max_f32_e32 v97, v97, v97
	v_max_f32_e32 v99, v99, v99
	s_waitcnt lgkmcnt(2)
	v_max_f32_e32 v101, v101, v101
	s_waitcnt lgkmcnt(1)
	v_max_f32_e32 v84, v104, v104
	v_max_f32_e32 v104, v105, v105
	v_min_f32_e32 v88, v85, v84
	v_min_f32_e32 v105, v89, v104
	v_add_f32_e32 v70, v70, v88
	v_max_f32_e32 v88, v90, v90
	v_add_f32_e32 v71, v71, v105
	v_min_f32_e32 v105, v91, v104
	v_min_f32_e32 v90, v88, v84
	v_add_f32_e32 v69, v69, v105
	v_min_f32_e32 v105, v93, v104
	v_add_f32_e32 v68, v68, v90
	v_max_f32_e32 v90, v92, v92
	v_add_f32_e32 v9, v9, v105
	v_min_f32_e32 v105, v95, v104
	v_min_f32_e32 v92, v90, v84
	v_add_f32_e32 v11, v11, v105
	;; [unrolled: 7-line block ×3, first 2 shown]
	v_add_f32_e32 v10, v10, v94
	v_max_f32_e32 v94, v96, v96
	v_min_f32_e32 v105, v101, v104
	v_min_f32_e32 v96, v94, v84
	v_add_f32_e32 v17, v17, v105
	v_add_f32_e32 v12, v12, v96
	v_max_f32_e32 v96, v98, v98
	v_min_f32_e32 v98, v96, v84
	v_add_f32_e32 v14, v14, v98
	v_max_f32_e32 v98, v100, v100
	v_min_f32_e32 v100, v98, v84
	v_add_f32_e32 v16, v16, v100
	v_max_f32_e32 v100, v102, v102
	v_max_f32_e32 v102, v103, v103
	v_min_f32_e32 v84, v100, v84
	v_min_f32_e32 v103, v102, v104
	v_max_f32_e32 v104, v107, v107
	v_add_f32_e32 v66, v66, v84
	v_max_f32_e32 v84, v106, v106
	v_add_f32_e32 v67, v67, v103
	v_min_f32_e32 v105, v89, v104
	v_min_f32_e32 v103, v85, v84
	v_add_f32_e32 v65, v65, v105
	v_min_f32_e32 v105, v91, v104
	v_add_f32_e32 v64, v64, v103
	;; [unrolled: 2-line block ×12, first 2 shown]
	v_min_f32_e32 v103, v98, v84
	v_min_f32_e32 v84, v100, v84
	v_add_f32_e32 v53, v53, v105
	v_add_f32_e32 v52, v52, v103
	v_min_f32_e32 v103, v102, v104
	v_add_f32_e32 v50, v50, v84
	s_waitcnt lgkmcnt(0)
	v_max_f32_e32 v84, v108, v108
	v_max_f32_e32 v104, v109, v109
	v_add_f32_e32 v51, v51, v103
	v_min_f32_e32 v103, v85, v84
	v_min_f32_e32 v105, v89, v104
	v_add_f32_e32 v48, v48, v103
	v_min_f32_e32 v103, v88, v84
	v_add_f32_e32 v49, v49, v105
	;; [unrolled: 2-line block ×11, first 2 shown]
	v_min_f32_e32 v103, v98, v84
	v_min_f32_e32 v84, v100, v84
	v_add_f32_e32 v39, v39, v105
	v_min_f32_e32 v105, v101, v104
	v_add_f32_e32 v36, v36, v103
	v_add_f32_e32 v34, v34, v84
	v_max_f32_e32 v84, v110, v110
	v_min_f32_e32 v103, v102, v104
	v_add_f32_e32 v37, v37, v105
	v_min_f32_e32 v85, v85, v84
	v_add_f32_e32 v35, v35, v103
	v_max_f32_e32 v103, v111, v111
	v_add_f32_e32 v32, v32, v85
	v_min_f32_e32 v85, v88, v84
	v_min_f32_e32 v88, v91, v103
	;; [unrolled: 1-line block ×3, first 2 shown]
	v_add_f32_e32 v30, v30, v85
	v_min_f32_e32 v85, v90, v84
	v_add_f32_e32 v31, v31, v88
	v_min_f32_e32 v88, v93, v103
	v_add_f32_e32 v33, v33, v89
	v_add_f32_e32 v28, v28, v85
	v_min_f32_e32 v85, v92, v84
	v_add_f32_e32 v29, v29, v88
	v_min_f32_e32 v88, v95, v103
	v_add_f32_e32 v26, v26, v85
	v_min_f32_e32 v85, v94, v84
	v_add_f32_e32 v27, v27, v88
	v_min_f32_e32 v88, v97, v103
	v_add_f32_e32 v24, v24, v85
	v_min_f32_e32 v85, v96, v84
	v_add_f32_e32 v25, v25, v88
	v_min_f32_e32 v88, v99, v103
	v_add_f32_e32 v22, v22, v85
	v_min_f32_e32 v85, v98, v84
	v_add_f32_e32 v23, v23, v88
	v_min_f32_e32 v88, v101, v103
	v_min_f32_e32 v84, v100, v84
	v_add_f32_e32 v20, v20, v85
	v_min_f32_e32 v85, v102, v103
	v_add_f32_e32 v21, v21, v88
	v_add_f32_e32 v18, v18, v84
	;; [unrolled: 1-line block ×3, first 2 shown]
	s_cbranch_vccz .LBB82_38
; %bb.39:                               ;   in Loop: Header=BB82_23 Depth=1
	s_add_i32 s24, s24, 8
	s_add_i32 s21, s21, 8
	s_cmp_ge_i32 s24, s20
	s_waitcnt vmcnt(0)
	ds_write_b32 v80, v87
	ds_write2st64_b32 v81, v86, v6 offset1:4
	s_waitcnt lgkmcnt(0)
	s_barrier
	buffer_gl0_inv
	s_cbranch_scc0 .LBB82_23
.LBB82_40:
	s_mov_b32 s1, 0
	s_mov_b32 s0, -1
.LBB82_41:                              ; =>This Inner Loop Header: Depth=1
	s_lshl_b32 s1, s1, 2
	s_andn2_b32 vcc_lo, exec_lo, s0
	v_add_nc_u32_e32 v6, s1, v74
	s_mov_b32 s0, 0
	ds_read2_b64 v[2:5], v6 offset1:16
	ds_read2_b64 v[76:79], v6 offset0:32 offset1:48
	ds_read2_b64 v[80:83], v6 offset0:64 offset1:80
	;; [unrolled: 1-line block ×3, first 2 shown]
	v_add_nc_u32_e32 v6, s1, v75
	s_mov_b32 s1, 2
	ds_read2st64_b64 v[88:91], v6 offset1:1
	ds_read2st64_b64 v[92:95], v6 offset0:2 offset1:3
	s_waitcnt lgkmcnt(5)
	v_max_f32_e32 v2, v2, v2
	v_max_f32_e32 v3, v3, v3
	;; [unrolled: 1-line block ×4, first 2 shown]
	s_waitcnt lgkmcnt(1)
	v_max_f32_e32 v6, v88, v88
	v_max_f32_e32 v72, v89, v89
	v_min_f32_e32 v7, v2, v6
	v_min_f32_e32 v73, v3, v72
	v_add_f32_e32 v70, v70, v7
	v_min_f32_e32 v7, v4, v6
	v_add_f32_e32 v71, v71, v73
	v_min_f32_e32 v73, v5, v72
	v_add_f32_e32 v68, v68, v7
	v_max_f32_e32 v7, v76, v76
	v_add_f32_e32 v69, v69, v73
	v_max_f32_e32 v76, v77, v77
	v_min_f32_e32 v73, v7, v6
	v_min_f32_e32 v77, v76, v72
	v_add_f32_e32 v8, v8, v73
	v_max_f32_e32 v73, v78, v78
	v_add_f32_e32 v9, v9, v77
	v_max_f32_e32 v78, v79, v79
	v_min_f32_e32 v77, v73, v6
	v_min_f32_e32 v79, v78, v72
	v_add_f32_e32 v10, v10, v77
	;; [unrolled: 6-line block ×5, first 2 shown]
	v_max_f32_e32 v83, v86, v86
	v_add_f32_e32 v17, v17, v85
	v_max_f32_e32 v85, v87, v87
	v_max_f32_e32 v86, v91, v91
	v_min_f32_e32 v6, v83, v6
	v_min_f32_e32 v72, v85, v72
	;; [unrolled: 1-line block ×3, first 2 shown]
	v_add_f32_e32 v66, v66, v6
	v_max_f32_e32 v6, v90, v90
	v_add_f32_e32 v67, v67, v72
	v_add_f32_e32 v65, v65, v87
	v_min_f32_e32 v87, v5, v86
	v_min_f32_e32 v72, v2, v6
	v_add_f32_e32 v63, v63, v87
	v_min_f32_e32 v87, v76, v86
	v_add_f32_e32 v64, v64, v72
	;; [unrolled: 2-line block ×11, first 2 shown]
	v_add_f32_e32 v54, v54, v72
	v_min_f32_e32 v72, v81, v6
	v_min_f32_e32 v6, v83, v6
	v_add_f32_e32 v52, v52, v72
	v_min_f32_e32 v72, v85, v86
	v_add_f32_e32 v50, v50, v6
	s_waitcnt lgkmcnt(0)
	v_max_f32_e32 v6, v92, v92
	v_max_f32_e32 v86, v93, v93
	v_add_f32_e32 v51, v51, v72
	v_min_f32_e32 v72, v2, v6
	v_min_f32_e32 v87, v3, v86
	v_add_f32_e32 v48, v48, v72
	v_min_f32_e32 v72, v4, v6
	v_add_f32_e32 v49, v49, v87
	v_min_f32_e32 v87, v5, v86
	v_add_f32_e32 v46, v46, v72
	v_min_f32_e32 v72, v7, v6
	v_add_f32_e32 v47, v47, v87
	v_min_f32_e32 v87, v76, v86
	v_add_f32_e32 v44, v44, v72
	v_min_f32_e32 v72, v73, v6
	v_add_f32_e32 v45, v45, v87
	v_min_f32_e32 v87, v78, v86
	v_add_f32_e32 v42, v42, v72
	v_min_f32_e32 v72, v77, v6
	v_add_f32_e32 v43, v43, v87
	v_min_f32_e32 v87, v80, v86
	v_add_f32_e32 v40, v40, v72
	v_min_f32_e32 v72, v79, v6
	v_add_f32_e32 v41, v41, v87
	v_min_f32_e32 v87, v82, v86
	v_add_f32_e32 v38, v38, v72
	v_min_f32_e32 v72, v81, v6
	v_min_f32_e32 v6, v83, v6
	v_add_f32_e32 v39, v39, v87
	v_min_f32_e32 v87, v84, v86
	v_add_f32_e32 v36, v36, v72
	;; [unrolled: 2-line block ×3, first 2 shown]
	v_max_f32_e32 v6, v94, v94
	v_add_f32_e32 v37, v37, v87
	v_add_f32_e32 v35, v35, v72
	v_max_f32_e32 v72, v95, v95
	v_min_f32_e32 v2, v2, v6
	v_min_f32_e32 v3, v3, v72
	v_add_f32_e32 v32, v32, v2
	v_min_f32_e32 v2, v4, v6
	v_add_f32_e32 v33, v33, v3
	;; [unrolled: 2-line block ×15, first 2 shown]
	v_add_f32_e32 v19, v19, v3
	s_cbranch_vccz .LBB82_41
; %bb.42:
	s_clause 0x2
	s_load_dwordx2 s[0:1], s[4:5], 0x70
	s_load_dword s14, s[4:5], 0x50
	s_load_dword s9, s[4:5], 0x68
	v_add_nc_u32_e32 v73, s8, v1
	v_add_nc_u32_e32 v0, s6, v0
	v_cndmask_b32_e64 v72, 0, 1, s3
	v_cmp_gt_i32_e64 s8, s13, v73
	s_waitcnt lgkmcnt(0)
	s_mul_i32 s1, s1, s7
	v_mad_i64_i32 v[1:2], null, v73, s14, 0
	v_mad_i64_i32 v[3:4], null, v73, s9, 0
	s_mul_hi_u32 s2, s0, s7
	s_mul_i32 s4, s0, s7
	s_add_i32 s5, s2, s1
	v_cmp_gt_i32_e64 s0, s12, v0
	v_lshlrev_b64 v[5:6], 2, v[1:2]
	s_lshl_b64 s[4:5], s[4:5], 2
	v_lshlrev_b64 v[2:3], 2, v[3:4]
	s_add_u32 s10, s10, s4
	s_addc_u32 s11, s11, s5
	v_ashrrev_i32_e32 v1, 31, v0
	v_add_co_u32 v76, vcc_lo, s16, v5
	v_add_co_ci_u32_e64 v77, null, s17, v6, vcc_lo
	v_add_co_u32 v74, vcc_lo, s10, v2
	v_add_co_ci_u32_e64 v75, null, s11, v3, vcc_lo
	s_and_b32 s2, s0, s8
	s_and_saveexec_b32 s1, s2
	s_cbranch_execz .LBB82_48
; %bb.43:
	v_lshlrev_b64 v[2:3], 2, v[0:1]
	s_andn2_b32 vcc_lo, exec_lo, s3
	s_cbranch_vccnz .LBB82_46
; %bb.44:
	v_add_co_u32 v4, vcc_lo, v76, v2
	v_add_co_ci_u32_e64 v5, null, v77, v3, vcc_lo
	global_load_dword v4, v[4:5], off
	s_waitcnt vmcnt(0)
	v_mul_f32_e32 v4, s15, v4
	s_branch .LBB82_47
.LBB82_45:
	s_mov_b64 s[20:21], 0
	s_andn2_b32 vcc_lo, exec_lo, s8
	s_mov_b32 s0, -1
	s_cbranch_vccz .LBB82_2
	s_branch .LBB82_3
.LBB82_46:
	v_mov_b32_e32 v4, 0
.LBB82_47:
	v_add_f32_e32 v5, v70, v71
	v_add_co_u32 v2, vcc_lo, v74, v2
	v_add_co_ci_u32_e64 v3, null, v75, v3, vcc_lo
	v_add_f32_e32 v4, v5, v4
	global_store_dword v[2:3], v4, off
.LBB82_48:
	s_or_b32 exec_lo, exec_lo, s1
	v_add_nc_u32_e32 v2, 8, v0
	v_cmp_gt_i32_e64 s1, s12, v2
	v_ashrrev_i32_e32 v3, 31, v2
	s_and_b32 s3, s1, s8
	s_and_saveexec_b32 s2, s3
	s_cbranch_execz .LBB82_53
; %bb.49:
	v_cmp_ne_u32_e32 vcc_lo, 1, v72
	v_lshlrev_b64 v[4:5], 2, v[2:3]
	s_cbranch_vccnz .LBB82_51
; %bb.50:
	v_add_co_u32 v6, vcc_lo, v76, v4
	v_add_co_ci_u32_e64 v7, null, v77, v5, vcc_lo
	global_load_dword v6, v[6:7], off
	s_waitcnt vmcnt(0)
	v_mul_f32_e32 v6, s15, v6
	s_branch .LBB82_52
.LBB82_51:
	v_mov_b32_e32 v6, 0
.LBB82_52:
	v_add_f32_e32 v7, v68, v69
	v_add_co_u32 v4, vcc_lo, v74, v4
	v_add_co_ci_u32_e64 v5, null, v75, v5, vcc_lo
	v_add_f32_e32 v6, v7, v6
	global_store_dword v[4:5], v6, off
.LBB82_53:
	s_or_b32 exec_lo, exec_lo, s2
	v_add_nc_u32_e32 v4, 16, v0
	v_cmp_gt_i32_e64 s2, s12, v4
	v_ashrrev_i32_e32 v5, 31, v4
	s_and_b32 s4, s2, s8
	s_and_saveexec_b32 s3, s4
	s_cbranch_execz .LBB82_58
; %bb.54:
	v_cmp_ne_u32_e32 vcc_lo, 1, v72
	v_lshlrev_b64 v[6:7], 2, v[4:5]
	s_cbranch_vccnz .LBB82_56
; %bb.55:
	v_add_co_u32 v68, vcc_lo, v76, v6
	v_add_co_ci_u32_e64 v69, null, v77, v7, vcc_lo
	global_load_dword v68, v[68:69], off
	s_waitcnt vmcnt(0)
	v_mul_f32_e32 v68, s15, v68
	s_branch .LBB82_57
.LBB82_56:
	v_mov_b32_e32 v68, 0
.LBB82_57:
	v_add_f32_e32 v8, v8, v9
	v_add_co_u32 v6, vcc_lo, v74, v6
	v_add_co_ci_u32_e64 v7, null, v75, v7, vcc_lo
	v_add_f32_e32 v8, v8, v68
	global_store_dword v[6:7], v8, off
.LBB82_58:
	;; [unrolled: 27-line block ×7, first 2 shown]
	s_or_b32 exec_lo, exec_lo, s8
	v_add_nc_u32_e32 v68, 32, v73
	v_mad_i64_i32 v[16:17], null, v68, s14, 0
	v_mad_i64_i32 v[66:67], null, v68, s9, 0
	v_cmp_gt_i32_e64 s8, s13, v68
	v_lshlrev_b64 v[16:17], 2, v[16:17]
	s_and_b32 s18, s0, s8
	v_lshlrev_b64 v[66:67], 2, v[66:67]
	v_add_co_u32 v68, vcc_lo, s16, v16
	v_add_co_ci_u32_e64 v69, null, s17, v17, vcc_lo
	v_add_co_u32 v66, vcc_lo, s10, v66
	v_add_co_ci_u32_e64 v67, null, s11, v67, vcc_lo
	s_and_saveexec_b32 s12, s18
	s_cbranch_execnz .LBB82_91
; %bb.84:
	s_or_b32 exec_lo, exec_lo, s12
	s_and_b32 s18, s1, s8
	s_and_saveexec_b32 s12, s18
	s_cbranch_execnz .LBB82_95
.LBB82_85:
	s_or_b32 exec_lo, exec_lo, s12
	s_and_b32 s18, s2, s8
	s_and_saveexec_b32 s12, s18
	s_cbranch_execnz .LBB82_99
.LBB82_86:
	s_or_b32 exec_lo, exec_lo, s12
	s_and_b32 s18, s3, s8
	s_and_saveexec_b32 s12, s18
	s_cbranch_execnz .LBB82_103
.LBB82_87:
	s_or_b32 exec_lo, exec_lo, s12
	s_and_b32 s18, s4, s8
	s_and_saveexec_b32 s12, s18
	s_cbranch_execnz .LBB82_107
.LBB82_88:
	s_or_b32 exec_lo, exec_lo, s12
	s_and_b32 s18, s5, s8
	s_and_saveexec_b32 s12, s18
	s_cbranch_execnz .LBB82_111
.LBB82_89:
	s_or_b32 exec_lo, exec_lo, s12
	s_and_b32 s18, s6, s8
	s_and_saveexec_b32 s12, s18
	s_cbranch_execnz .LBB82_115
.LBB82_90:
	s_or_b32 exec_lo, exec_lo, s12
	s_and_b32 s12, s7, s8
	s_and_saveexec_b32 s8, s12
	s_cbranch_execnz .LBB82_119
	s_branch .LBB82_123
.LBB82_91:
	v_cmp_ne_u32_e32 vcc_lo, 1, v72
	v_lshlrev_b64 v[16:17], 2, v[0:1]
	s_cbranch_vccnz .LBB82_93
; %bb.92:
	v_add_co_u32 v70, vcc_lo, v68, v16
	v_add_co_ci_u32_e64 v71, null, v69, v17, vcc_lo
	global_load_dword v70, v[70:71], off
	s_waitcnt vmcnt(0)
	v_mul_f32_e32 v70, s15, v70
	s_branch .LBB82_94
.LBB82_93:
	v_mov_b32_e32 v70, 0
.LBB82_94:
	v_add_f32_e32 v64, v64, v65
	v_add_co_u32 v16, vcc_lo, v66, v16
	v_add_co_ci_u32_e64 v17, null, v67, v17, vcc_lo
	v_add_f32_e32 v64, v64, v70
	global_store_dword v[16:17], v64, off
	s_or_b32 exec_lo, exec_lo, s12
	s_and_b32 s18, s1, s8
	s_and_saveexec_b32 s12, s18
	s_cbranch_execz .LBB82_85
.LBB82_95:
	v_cmp_ne_u32_e32 vcc_lo, 1, v72
	v_lshlrev_b64 v[16:17], 2, v[2:3]
	s_cbranch_vccnz .LBB82_97
; %bb.96:
	v_add_co_u32 v64, vcc_lo, v68, v16
	v_add_co_ci_u32_e64 v65, null, v69, v17, vcc_lo
	global_load_dword v64, v[64:65], off
	s_waitcnt vmcnt(0)
	v_mul_f32_e32 v64, s15, v64
	s_branch .LBB82_98
.LBB82_97:
	v_mov_b32_e32 v64, 0
.LBB82_98:
	v_add_f32_e32 v62, v62, v63
	v_add_co_u32 v16, vcc_lo, v66, v16
	v_add_co_ci_u32_e64 v17, null, v67, v17, vcc_lo
	v_add_f32_e32 v62, v62, v64
	global_store_dword v[16:17], v62, off
	s_or_b32 exec_lo, exec_lo, s12
	s_and_b32 s18, s2, s8
	s_and_saveexec_b32 s12, s18
	s_cbranch_execz .LBB82_86
.LBB82_99:
	v_cmp_ne_u32_e32 vcc_lo, 1, v72
	v_lshlrev_b64 v[16:17], 2, v[4:5]
	s_cbranch_vccnz .LBB82_101
; %bb.100:
	v_add_co_u32 v62, vcc_lo, v68, v16
	v_add_co_ci_u32_e64 v63, null, v69, v17, vcc_lo
	global_load_dword v62, v[62:63], off
	s_waitcnt vmcnt(0)
	v_mul_f32_e32 v62, s15, v62
	s_branch .LBB82_102
.LBB82_101:
	v_mov_b32_e32 v62, 0
.LBB82_102:
	v_add_f32_e32 v60, v60, v61
	v_add_co_u32 v16, vcc_lo, v66, v16
	v_add_co_ci_u32_e64 v17, null, v67, v17, vcc_lo
	v_add_f32_e32 v60, v60, v62
	global_store_dword v[16:17], v60, off
	s_or_b32 exec_lo, exec_lo, s12
	s_and_b32 s18, s3, s8
	s_and_saveexec_b32 s12, s18
	s_cbranch_execz .LBB82_87
.LBB82_103:
	v_cmp_ne_u32_e32 vcc_lo, 1, v72
	v_lshlrev_b64 v[16:17], 2, v[6:7]
	s_cbranch_vccnz .LBB82_105
; %bb.104:
	v_add_co_u32 v60, vcc_lo, v68, v16
	v_add_co_ci_u32_e64 v61, null, v69, v17, vcc_lo
	global_load_dword v60, v[60:61], off
	s_waitcnt vmcnt(0)
	v_mul_f32_e32 v60, s15, v60
	s_branch .LBB82_106
.LBB82_105:
	v_mov_b32_e32 v60, 0
.LBB82_106:
	v_add_f32_e32 v58, v58, v59
	v_add_co_u32 v16, vcc_lo, v66, v16
	v_add_co_ci_u32_e64 v17, null, v67, v17, vcc_lo
	v_add_f32_e32 v58, v58, v60
	global_store_dword v[16:17], v58, off
	s_or_b32 exec_lo, exec_lo, s12
	s_and_b32 s18, s4, s8
	s_and_saveexec_b32 s12, s18
	s_cbranch_execz .LBB82_88
.LBB82_107:
	v_cmp_ne_u32_e32 vcc_lo, 1, v72
	v_lshlrev_b64 v[16:17], 2, v[8:9]
	s_cbranch_vccnz .LBB82_109
; %bb.108:
	v_add_co_u32 v58, vcc_lo, v68, v16
	v_add_co_ci_u32_e64 v59, null, v69, v17, vcc_lo
	global_load_dword v58, v[58:59], off
	s_waitcnt vmcnt(0)
	v_mul_f32_e32 v58, s15, v58
	s_branch .LBB82_110
.LBB82_109:
	v_mov_b32_e32 v58, 0
.LBB82_110:
	v_add_f32_e32 v56, v56, v57
	v_add_co_u32 v16, vcc_lo, v66, v16
	v_add_co_ci_u32_e64 v17, null, v67, v17, vcc_lo
	v_add_f32_e32 v56, v56, v58
	global_store_dword v[16:17], v56, off
	s_or_b32 exec_lo, exec_lo, s12
	s_and_b32 s18, s5, s8
	s_and_saveexec_b32 s12, s18
	s_cbranch_execz .LBB82_89
.LBB82_111:
	v_cmp_ne_u32_e32 vcc_lo, 1, v72
	v_lshlrev_b64 v[16:17], 2, v[10:11]
	s_cbranch_vccnz .LBB82_113
; %bb.112:
	v_add_co_u32 v56, vcc_lo, v68, v16
	v_add_co_ci_u32_e64 v57, null, v69, v17, vcc_lo
	global_load_dword v56, v[56:57], off
	s_waitcnt vmcnt(0)
	v_mul_f32_e32 v56, s15, v56
	s_branch .LBB82_114
.LBB82_113:
	v_mov_b32_e32 v56, 0
.LBB82_114:
	v_add_f32_e32 v54, v54, v55
	v_add_co_u32 v16, vcc_lo, v66, v16
	v_add_co_ci_u32_e64 v17, null, v67, v17, vcc_lo
	v_add_f32_e32 v54, v54, v56
	global_store_dword v[16:17], v54, off
	s_or_b32 exec_lo, exec_lo, s12
	s_and_b32 s18, s6, s8
	s_and_saveexec_b32 s12, s18
	s_cbranch_execz .LBB82_90
.LBB82_115:
	v_cmp_ne_u32_e32 vcc_lo, 1, v72
	v_lshlrev_b64 v[16:17], 2, v[12:13]
	s_cbranch_vccnz .LBB82_117
; %bb.116:
	v_add_co_u32 v54, vcc_lo, v68, v16
	v_add_co_ci_u32_e64 v55, null, v69, v17, vcc_lo
	global_load_dword v54, v[54:55], off
	s_waitcnt vmcnt(0)
	v_mul_f32_e32 v54, s15, v54
	s_branch .LBB82_118
.LBB82_117:
	v_mov_b32_e32 v54, 0
.LBB82_118:
	v_add_f32_e32 v52, v52, v53
	v_add_co_u32 v16, vcc_lo, v66, v16
	v_add_co_ci_u32_e64 v17, null, v67, v17, vcc_lo
	v_add_f32_e32 v52, v52, v54
	global_store_dword v[16:17], v52, off
	s_or_b32 exec_lo, exec_lo, s12
	s_and_b32 s12, s7, s8
	s_and_saveexec_b32 s8, s12
	s_cbranch_execz .LBB82_123
.LBB82_119:
	v_cmp_ne_u32_e32 vcc_lo, 1, v72
	v_lshlrev_b64 v[16:17], 2, v[14:15]
	s_cbranch_vccnz .LBB82_121
; %bb.120:
	v_add_co_u32 v52, vcc_lo, v68, v16
	v_add_co_ci_u32_e64 v53, null, v69, v17, vcc_lo
	global_load_dword v52, v[52:53], off
	s_waitcnt vmcnt(0)
	v_mul_f32_e32 v52, s15, v52
	s_branch .LBB82_122
.LBB82_121:
	v_mov_b32_e32 v52, 0
.LBB82_122:
	v_add_f32_e32 v50, v50, v51
	v_add_co_u32 v16, vcc_lo, v66, v16
	v_add_co_ci_u32_e64 v17, null, v67, v17, vcc_lo
	v_add_f32_e32 v50, v50, v52
	global_store_dword v[16:17], v50, off
.LBB82_123:
	s_or_b32 exec_lo, exec_lo, s8
	v_add_nc_u32_e32 v52, 64, v73
	v_mad_i64_i32 v[16:17], null, v52, s14, 0
	v_mad_i64_i32 v[50:51], null, v52, s9, 0
	v_cmp_gt_i32_e64 s8, s13, v52
	v_lshlrev_b64 v[16:17], 2, v[16:17]
	s_and_b32 s18, s0, s8
	v_lshlrev_b64 v[50:51], 2, v[50:51]
	v_add_co_u32 v52, vcc_lo, s16, v16
	v_add_co_ci_u32_e64 v53, null, s17, v17, vcc_lo
	v_add_co_u32 v50, vcc_lo, s10, v50
	v_add_co_ci_u32_e64 v51, null, s11, v51, vcc_lo
	s_and_saveexec_b32 s12, s18
	s_cbranch_execnz .LBB82_131
; %bb.124:
	s_or_b32 exec_lo, exec_lo, s12
	s_and_b32 s18, s1, s8
	s_and_saveexec_b32 s12, s18
	s_cbranch_execnz .LBB82_135
.LBB82_125:
	s_or_b32 exec_lo, exec_lo, s12
	s_and_b32 s18, s2, s8
	s_and_saveexec_b32 s12, s18
	s_cbranch_execnz .LBB82_139
.LBB82_126:
	s_or_b32 exec_lo, exec_lo, s12
	s_and_b32 s18, s3, s8
	s_and_saveexec_b32 s12, s18
	s_cbranch_execnz .LBB82_143
.LBB82_127:
	s_or_b32 exec_lo, exec_lo, s12
	s_and_b32 s18, s4, s8
	s_and_saveexec_b32 s12, s18
	s_cbranch_execnz .LBB82_147
.LBB82_128:
	s_or_b32 exec_lo, exec_lo, s12
	s_and_b32 s18, s5, s8
	s_and_saveexec_b32 s12, s18
	s_cbranch_execnz .LBB82_151
.LBB82_129:
	s_or_b32 exec_lo, exec_lo, s12
	s_and_b32 s18, s6, s8
	s_and_saveexec_b32 s12, s18
	s_cbranch_execnz .LBB82_155
.LBB82_130:
	s_or_b32 exec_lo, exec_lo, s12
	s_and_b32 s12, s7, s8
	s_and_saveexec_b32 s8, s12
	s_cbranch_execnz .LBB82_159
	s_branch .LBB82_163
.LBB82_131:
	v_cmp_ne_u32_e32 vcc_lo, 1, v72
	v_lshlrev_b64 v[16:17], 2, v[0:1]
	s_cbranch_vccnz .LBB82_133
; %bb.132:
	v_add_co_u32 v54, vcc_lo, v52, v16
	v_add_co_ci_u32_e64 v55, null, v53, v17, vcc_lo
	global_load_dword v54, v[54:55], off
	s_waitcnt vmcnt(0)
	v_mul_f32_e32 v54, s15, v54
	s_branch .LBB82_134
.LBB82_133:
	v_mov_b32_e32 v54, 0
.LBB82_134:
	v_add_f32_e32 v48, v48, v49
	v_add_co_u32 v16, vcc_lo, v50, v16
	v_add_co_ci_u32_e64 v17, null, v51, v17, vcc_lo
	v_add_f32_e32 v48, v48, v54
	global_store_dword v[16:17], v48, off
	s_or_b32 exec_lo, exec_lo, s12
	s_and_b32 s18, s1, s8
	s_and_saveexec_b32 s12, s18
	s_cbranch_execz .LBB82_125
.LBB82_135:
	v_cmp_ne_u32_e32 vcc_lo, 1, v72
	v_lshlrev_b64 v[16:17], 2, v[2:3]
	s_cbranch_vccnz .LBB82_137
; %bb.136:
	v_add_co_u32 v48, vcc_lo, v52, v16
	v_add_co_ci_u32_e64 v49, null, v53, v17, vcc_lo
	global_load_dword v48, v[48:49], off
	s_waitcnt vmcnt(0)
	v_mul_f32_e32 v48, s15, v48
	s_branch .LBB82_138
.LBB82_137:
	v_mov_b32_e32 v48, 0
.LBB82_138:
	v_add_f32_e32 v46, v46, v47
	v_add_co_u32 v16, vcc_lo, v50, v16
	v_add_co_ci_u32_e64 v17, null, v51, v17, vcc_lo
	v_add_f32_e32 v46, v46, v48
	global_store_dword v[16:17], v46, off
	s_or_b32 exec_lo, exec_lo, s12
	s_and_b32 s18, s2, s8
	s_and_saveexec_b32 s12, s18
	s_cbranch_execz .LBB82_126
.LBB82_139:
	v_cmp_ne_u32_e32 vcc_lo, 1, v72
	v_lshlrev_b64 v[16:17], 2, v[4:5]
	s_cbranch_vccnz .LBB82_141
; %bb.140:
	v_add_co_u32 v46, vcc_lo, v52, v16
	v_add_co_ci_u32_e64 v47, null, v53, v17, vcc_lo
	global_load_dword v46, v[46:47], off
	s_waitcnt vmcnt(0)
	v_mul_f32_e32 v46, s15, v46
	s_branch .LBB82_142
.LBB82_141:
	v_mov_b32_e32 v46, 0
.LBB82_142:
	v_add_f32_e32 v44, v44, v45
	v_add_co_u32 v16, vcc_lo, v50, v16
	v_add_co_ci_u32_e64 v17, null, v51, v17, vcc_lo
	v_add_f32_e32 v44, v44, v46
	global_store_dword v[16:17], v44, off
	s_or_b32 exec_lo, exec_lo, s12
	s_and_b32 s18, s3, s8
	s_and_saveexec_b32 s12, s18
	s_cbranch_execz .LBB82_127
.LBB82_143:
	v_cmp_ne_u32_e32 vcc_lo, 1, v72
	v_lshlrev_b64 v[16:17], 2, v[6:7]
	s_cbranch_vccnz .LBB82_145
; %bb.144:
	v_add_co_u32 v44, vcc_lo, v52, v16
	v_add_co_ci_u32_e64 v45, null, v53, v17, vcc_lo
	global_load_dword v44, v[44:45], off
	s_waitcnt vmcnt(0)
	v_mul_f32_e32 v44, s15, v44
	s_branch .LBB82_146
.LBB82_145:
	v_mov_b32_e32 v44, 0
.LBB82_146:
	v_add_f32_e32 v42, v42, v43
	v_add_co_u32 v16, vcc_lo, v50, v16
	v_add_co_ci_u32_e64 v17, null, v51, v17, vcc_lo
	v_add_f32_e32 v42, v42, v44
	global_store_dword v[16:17], v42, off
	s_or_b32 exec_lo, exec_lo, s12
	s_and_b32 s18, s4, s8
	s_and_saveexec_b32 s12, s18
	s_cbranch_execz .LBB82_128
.LBB82_147:
	v_cmp_ne_u32_e32 vcc_lo, 1, v72
	v_lshlrev_b64 v[16:17], 2, v[8:9]
	s_cbranch_vccnz .LBB82_149
; %bb.148:
	v_add_co_u32 v42, vcc_lo, v52, v16
	v_add_co_ci_u32_e64 v43, null, v53, v17, vcc_lo
	global_load_dword v42, v[42:43], off
	s_waitcnt vmcnt(0)
	v_mul_f32_e32 v42, s15, v42
	s_branch .LBB82_150
.LBB82_149:
	v_mov_b32_e32 v42, 0
.LBB82_150:
	v_add_f32_e32 v40, v40, v41
	v_add_co_u32 v16, vcc_lo, v50, v16
	v_add_co_ci_u32_e64 v17, null, v51, v17, vcc_lo
	v_add_f32_e32 v40, v40, v42
	global_store_dword v[16:17], v40, off
	s_or_b32 exec_lo, exec_lo, s12
	s_and_b32 s18, s5, s8
	s_and_saveexec_b32 s12, s18
	s_cbranch_execz .LBB82_129
.LBB82_151:
	v_cmp_ne_u32_e32 vcc_lo, 1, v72
	v_lshlrev_b64 v[16:17], 2, v[10:11]
	s_cbranch_vccnz .LBB82_153
; %bb.152:
	v_add_co_u32 v40, vcc_lo, v52, v16
	v_add_co_ci_u32_e64 v41, null, v53, v17, vcc_lo
	global_load_dword v40, v[40:41], off
	s_waitcnt vmcnt(0)
	v_mul_f32_e32 v40, s15, v40
	s_branch .LBB82_154
.LBB82_153:
	v_mov_b32_e32 v40, 0
.LBB82_154:
	v_add_f32_e32 v38, v38, v39
	v_add_co_u32 v16, vcc_lo, v50, v16
	v_add_co_ci_u32_e64 v17, null, v51, v17, vcc_lo
	v_add_f32_e32 v38, v38, v40
	global_store_dword v[16:17], v38, off
	s_or_b32 exec_lo, exec_lo, s12
	s_and_b32 s18, s6, s8
	s_and_saveexec_b32 s12, s18
	s_cbranch_execz .LBB82_130
.LBB82_155:
	v_cmp_ne_u32_e32 vcc_lo, 1, v72
	v_lshlrev_b64 v[16:17], 2, v[12:13]
	s_cbranch_vccnz .LBB82_157
; %bb.156:
	v_add_co_u32 v38, vcc_lo, v52, v16
	v_add_co_ci_u32_e64 v39, null, v53, v17, vcc_lo
	global_load_dword v38, v[38:39], off
	s_waitcnt vmcnt(0)
	v_mul_f32_e32 v38, s15, v38
	s_branch .LBB82_158
.LBB82_157:
	v_mov_b32_e32 v38, 0
.LBB82_158:
	v_add_f32_e32 v36, v36, v37
	v_add_co_u32 v16, vcc_lo, v50, v16
	v_add_co_ci_u32_e64 v17, null, v51, v17, vcc_lo
	v_add_f32_e32 v36, v36, v38
	global_store_dword v[16:17], v36, off
	s_or_b32 exec_lo, exec_lo, s12
	s_and_b32 s12, s7, s8
	s_and_saveexec_b32 s8, s12
	s_cbranch_execz .LBB82_163
.LBB82_159:
	v_cmp_ne_u32_e32 vcc_lo, 1, v72
	v_lshlrev_b64 v[16:17], 2, v[14:15]
	s_cbranch_vccnz .LBB82_161
; %bb.160:
	v_add_co_u32 v36, vcc_lo, v52, v16
	v_add_co_ci_u32_e64 v37, null, v53, v17, vcc_lo
	global_load_dword v36, v[36:37], off
	s_waitcnt vmcnt(0)
	v_mul_f32_e32 v36, s15, v36
	s_branch .LBB82_162
.LBB82_161:
	v_mov_b32_e32 v36, 0
.LBB82_162:
	v_add_f32_e32 v34, v34, v35
	v_add_co_u32 v16, vcc_lo, v50, v16
	v_add_co_ci_u32_e64 v17, null, v51, v17, vcc_lo
	v_add_f32_e32 v34, v34, v36
	global_store_dword v[16:17], v34, off
.LBB82_163:
	s_or_b32 exec_lo, exec_lo, s8
	v_add_nc_u32_e32 v36, 0x60, v73
	v_mad_i64_i32 v[16:17], null, v36, s14, 0
	v_mad_i64_i32 v[34:35], null, v36, s9, 0
	v_cmp_gt_i32_e64 s8, s13, v36
	v_lshlrev_b64 v[16:17], 2, v[16:17]
	s_and_b32 s9, s0, s8
	v_lshlrev_b64 v[36:37], 2, v[34:35]
	v_add_co_u32 v34, vcc_lo, s16, v16
	v_add_co_ci_u32_e64 v35, null, s17, v17, vcc_lo
	v_add_co_u32 v16, vcc_lo, s10, v36
	v_add_co_ci_u32_e64 v17, null, s11, v37, vcc_lo
	s_and_saveexec_b32 s0, s9
	s_cbranch_execnz .LBB82_172
; %bb.164:
	s_or_b32 exec_lo, exec_lo, s0
	s_and_b32 s1, s1, s8
	s_and_saveexec_b32 s0, s1
	s_cbranch_execnz .LBB82_176
.LBB82_165:
	s_or_b32 exec_lo, exec_lo, s0
	s_and_b32 s1, s2, s8
	s_and_saveexec_b32 s0, s1
	s_cbranch_execnz .LBB82_180
.LBB82_166:
	s_or_b32 exec_lo, exec_lo, s0
	s_and_b32 s1, s3, s8
	s_and_saveexec_b32 s0, s1
	s_cbranch_execnz .LBB82_184
.LBB82_167:
	s_or_b32 exec_lo, exec_lo, s0
	s_and_b32 s1, s4, s8
	s_and_saveexec_b32 s0, s1
	s_cbranch_execnz .LBB82_188
.LBB82_168:
	s_or_b32 exec_lo, exec_lo, s0
	s_and_b32 s1, s5, s8
	s_and_saveexec_b32 s0, s1
	s_cbranch_execnz .LBB82_192
.LBB82_169:
	s_or_b32 exec_lo, exec_lo, s0
	s_and_b32 s1, s6, s8
	s_and_saveexec_b32 s0, s1
	s_cbranch_execnz .LBB82_196
.LBB82_170:
	s_or_b32 exec_lo, exec_lo, s0
	s_and_b32 s0, s7, s8
	s_and_saveexec_b32 s1, s0
	s_cbranch_execnz .LBB82_200
.LBB82_171:
	s_endpgm
.LBB82_172:
	v_cmp_ne_u32_e32 vcc_lo, 1, v72
	v_lshlrev_b64 v[0:1], 2, v[0:1]
	s_cbranch_vccnz .LBB82_174
; %bb.173:
	v_add_co_u32 v36, vcc_lo, v34, v0
	v_add_co_ci_u32_e64 v37, null, v35, v1, vcc_lo
	global_load_dword v36, v[36:37], off
	s_waitcnt vmcnt(0)
	v_mul_f32_e32 v36, s15, v36
	s_branch .LBB82_175
.LBB82_174:
	v_mov_b32_e32 v36, 0
.LBB82_175:
	v_add_f32_e32 v32, v32, v33
	v_add_co_u32 v0, vcc_lo, v16, v0
	v_add_co_ci_u32_e64 v1, null, v17, v1, vcc_lo
	v_add_f32_e32 v32, v32, v36
	global_store_dword v[0:1], v32, off
	s_or_b32 exec_lo, exec_lo, s0
	s_and_b32 s1, s1, s8
	s_and_saveexec_b32 s0, s1
	s_cbranch_execz .LBB82_165
.LBB82_176:
	v_cmp_ne_u32_e32 vcc_lo, 1, v72
	v_lshlrev_b64 v[0:1], 2, v[2:3]
	s_cbranch_vccnz .LBB82_178
; %bb.177:
	v_add_co_u32 v2, vcc_lo, v34, v0
	v_add_co_ci_u32_e64 v3, null, v35, v1, vcc_lo
	global_load_dword v2, v[2:3], off
	s_waitcnt vmcnt(0)
	v_mul_f32_e32 v2, s15, v2
	s_branch .LBB82_179
.LBB82_178:
	v_mov_b32_e32 v2, 0
.LBB82_179:
	v_add_f32_e32 v3, v30, v31
	v_add_co_u32 v0, vcc_lo, v16, v0
	v_add_co_ci_u32_e64 v1, null, v17, v1, vcc_lo
	v_add_f32_e32 v2, v3, v2
	global_store_dword v[0:1], v2, off
	s_or_b32 exec_lo, exec_lo, s0
	s_and_b32 s1, s2, s8
	s_and_saveexec_b32 s0, s1
	s_cbranch_execz .LBB82_166
.LBB82_180:
	v_cmp_ne_u32_e32 vcc_lo, 1, v72
	v_lshlrev_b64 v[0:1], 2, v[4:5]
	s_cbranch_vccnz .LBB82_182
; %bb.181:
	v_add_co_u32 v2, vcc_lo, v34, v0
	v_add_co_ci_u32_e64 v3, null, v35, v1, vcc_lo
	global_load_dword v2, v[2:3], off
	s_waitcnt vmcnt(0)
	v_mul_f32_e32 v2, s15, v2
	s_branch .LBB82_183
.LBB82_182:
	v_mov_b32_e32 v2, 0
.LBB82_183:
	v_add_f32_e32 v3, v28, v29
	v_add_co_u32 v0, vcc_lo, v16, v0
	v_add_co_ci_u32_e64 v1, null, v17, v1, vcc_lo
	v_add_f32_e32 v2, v3, v2
	global_store_dword v[0:1], v2, off
	s_or_b32 exec_lo, exec_lo, s0
	s_and_b32 s1, s3, s8
	s_and_saveexec_b32 s0, s1
	s_cbranch_execz .LBB82_167
.LBB82_184:
	v_cmp_ne_u32_e32 vcc_lo, 1, v72
	v_lshlrev_b64 v[0:1], 2, v[6:7]
	s_cbranch_vccnz .LBB82_186
; %bb.185:
	v_add_co_u32 v2, vcc_lo, v34, v0
	v_add_co_ci_u32_e64 v3, null, v35, v1, vcc_lo
	global_load_dword v2, v[2:3], off
	s_waitcnt vmcnt(0)
	v_mul_f32_e32 v2, s15, v2
	s_branch .LBB82_187
.LBB82_186:
	v_mov_b32_e32 v2, 0
.LBB82_187:
	v_add_f32_e32 v3, v26, v27
	v_add_co_u32 v0, vcc_lo, v16, v0
	v_add_co_ci_u32_e64 v1, null, v17, v1, vcc_lo
	v_add_f32_e32 v2, v3, v2
	global_store_dword v[0:1], v2, off
	s_or_b32 exec_lo, exec_lo, s0
	s_and_b32 s1, s4, s8
	s_and_saveexec_b32 s0, s1
	s_cbranch_execz .LBB82_168
.LBB82_188:
	v_cmp_ne_u32_e32 vcc_lo, 1, v72
	v_lshlrev_b64 v[0:1], 2, v[8:9]
	s_cbranch_vccnz .LBB82_190
; %bb.189:
	v_add_co_u32 v2, vcc_lo, v34, v0
	v_add_co_ci_u32_e64 v3, null, v35, v1, vcc_lo
	global_load_dword v2, v[2:3], off
	s_waitcnt vmcnt(0)
	v_mul_f32_e32 v2, s15, v2
	s_branch .LBB82_191
.LBB82_190:
	v_mov_b32_e32 v2, 0
.LBB82_191:
	v_add_f32_e32 v3, v24, v25
	v_add_co_u32 v0, vcc_lo, v16, v0
	v_add_co_ci_u32_e64 v1, null, v17, v1, vcc_lo
	v_add_f32_e32 v2, v3, v2
	global_store_dword v[0:1], v2, off
	s_or_b32 exec_lo, exec_lo, s0
	s_and_b32 s1, s5, s8
	s_and_saveexec_b32 s0, s1
	s_cbranch_execz .LBB82_169
.LBB82_192:
	v_cmp_ne_u32_e32 vcc_lo, 1, v72
	v_lshlrev_b64 v[0:1], 2, v[10:11]
	s_cbranch_vccnz .LBB82_194
; %bb.193:
	v_add_co_u32 v2, vcc_lo, v34, v0
	v_add_co_ci_u32_e64 v3, null, v35, v1, vcc_lo
	global_load_dword v2, v[2:3], off
	s_waitcnt vmcnt(0)
	v_mul_f32_e32 v2, s15, v2
	s_branch .LBB82_195
.LBB82_194:
	v_mov_b32_e32 v2, 0
.LBB82_195:
	v_add_f32_e32 v3, v22, v23
	v_add_co_u32 v0, vcc_lo, v16, v0
	v_add_co_ci_u32_e64 v1, null, v17, v1, vcc_lo
	v_add_f32_e32 v2, v3, v2
	global_store_dword v[0:1], v2, off
	s_or_b32 exec_lo, exec_lo, s0
	s_and_b32 s1, s6, s8
	s_and_saveexec_b32 s0, s1
	s_cbranch_execz .LBB82_170
.LBB82_196:
	v_cmp_ne_u32_e32 vcc_lo, 1, v72
	v_lshlrev_b64 v[0:1], 2, v[12:13]
	s_cbranch_vccnz .LBB82_198
; %bb.197:
	v_add_co_u32 v2, vcc_lo, v34, v0
	v_add_co_ci_u32_e64 v3, null, v35, v1, vcc_lo
	global_load_dword v2, v[2:3], off
	s_waitcnt vmcnt(0)
	v_mul_f32_e32 v2, s15, v2
	s_branch .LBB82_199
.LBB82_198:
	v_mov_b32_e32 v2, 0
.LBB82_199:
	v_add_f32_e32 v3, v20, v21
	v_add_co_u32 v0, vcc_lo, v16, v0
	v_add_co_ci_u32_e64 v1, null, v17, v1, vcc_lo
	v_add_f32_e32 v2, v3, v2
	global_store_dword v[0:1], v2, off
	s_or_b32 exec_lo, exec_lo, s0
	s_and_b32 s0, s7, s8
	s_and_saveexec_b32 s1, s0
	s_cbranch_execz .LBB82_171
.LBB82_200:
	v_cmp_ne_u32_e32 vcc_lo, 1, v72
	v_lshlrev_b64 v[0:1], 2, v[14:15]
	s_cbranch_vccnz .LBB82_202
; %bb.201:
	v_add_co_u32 v2, vcc_lo, v34, v0
	v_add_co_ci_u32_e64 v3, null, v35, v1, vcc_lo
	global_load_dword v2, v[2:3], off
	s_waitcnt vmcnt(0)
	v_mul_f32_e32 v2, s15, v2
	s_branch .LBB82_203
.LBB82_202:
	v_mov_b32_e32 v2, 0
.LBB82_203:
	v_add_f32_e32 v3, v18, v19
	v_add_co_u32 v0, vcc_lo, v16, v0
	v_add_co_ci_u32_e64 v1, null, v17, v1, vcc_lo
	v_add_f32_e32 v2, v3, v2
	global_store_dword v[0:1], v2, off
	s_endpgm
	.section	.rodata,"a",@progbits
	.p2align	6, 0x0
	.amdhsa_kernel _ZN12_GLOBAL__N_120geam_min_plus_kernelIf15HIP_vector_typeIfLj2EES2_Li8ELi32ELi64ELi128ELi4ELi64ELi4ELi4ELi64ELc78ELc78ELb1ELb1ELb0EfKffEEviiiT16_PT17_ilS6_ilS4_S6_ilPT18_ili26rocblas_geam_ex_operation_
		.amdhsa_group_segment_fixed_size 6144
		.amdhsa_private_segment_fixed_size 0
		.amdhsa_kernarg_size 128
		.amdhsa_user_sgpr_count 6
		.amdhsa_user_sgpr_private_segment_buffer 1
		.amdhsa_user_sgpr_dispatch_ptr 0
		.amdhsa_user_sgpr_queue_ptr 0
		.amdhsa_user_sgpr_kernarg_segment_ptr 1
		.amdhsa_user_sgpr_dispatch_id 0
		.amdhsa_user_sgpr_flat_scratch_init 0
		.amdhsa_user_sgpr_private_segment_size 0
		.amdhsa_wavefront_size32 1
		.amdhsa_uses_dynamic_stack 0
		.amdhsa_system_sgpr_private_segment_wavefront_offset 0
		.amdhsa_system_sgpr_workgroup_id_x 1
		.amdhsa_system_sgpr_workgroup_id_y 0
		.amdhsa_system_sgpr_workgroup_id_z 1
		.amdhsa_system_sgpr_workgroup_info 0
		.amdhsa_system_vgpr_workitem_id 1
		.amdhsa_next_free_vgpr 115
		.amdhsa_next_free_sgpr 26
		.amdhsa_reserve_vcc 1
		.amdhsa_reserve_flat_scratch 0
		.amdhsa_float_round_mode_32 0
		.amdhsa_float_round_mode_16_64 0
		.amdhsa_float_denorm_mode_32 3
		.amdhsa_float_denorm_mode_16_64 3
		.amdhsa_dx10_clamp 1
		.amdhsa_ieee_mode 1
		.amdhsa_fp16_overflow 0
		.amdhsa_workgroup_processor_mode 1
		.amdhsa_memory_ordered 1
		.amdhsa_forward_progress 1
		.amdhsa_shared_vgpr_count 0
		.amdhsa_exception_fp_ieee_invalid_op 0
		.amdhsa_exception_fp_denorm_src 0
		.amdhsa_exception_fp_ieee_div_zero 0
		.amdhsa_exception_fp_ieee_overflow 0
		.amdhsa_exception_fp_ieee_underflow 0
		.amdhsa_exception_fp_ieee_inexact 0
		.amdhsa_exception_int_div_zero 0
	.end_amdhsa_kernel
	.section	.text._ZN12_GLOBAL__N_120geam_min_plus_kernelIf15HIP_vector_typeIfLj2EES2_Li8ELi32ELi64ELi128ELi4ELi64ELi4ELi4ELi64ELc78ELc78ELb1ELb1ELb0EfKffEEviiiT16_PT17_ilS6_ilS4_S6_ilPT18_ili26rocblas_geam_ex_operation_,"axG",@progbits,_ZN12_GLOBAL__N_120geam_min_plus_kernelIf15HIP_vector_typeIfLj2EES2_Li8ELi32ELi64ELi128ELi4ELi64ELi4ELi4ELi64ELc78ELc78ELb1ELb1ELb0EfKffEEviiiT16_PT17_ilS6_ilS4_S6_ilPT18_ili26rocblas_geam_ex_operation_,comdat
.Lfunc_end82:
	.size	_ZN12_GLOBAL__N_120geam_min_plus_kernelIf15HIP_vector_typeIfLj2EES2_Li8ELi32ELi64ELi128ELi4ELi64ELi4ELi4ELi64ELc78ELc78ELb1ELb1ELb0EfKffEEviiiT16_PT17_ilS6_ilS4_S6_ilPT18_ili26rocblas_geam_ex_operation_, .Lfunc_end82-_ZN12_GLOBAL__N_120geam_min_plus_kernelIf15HIP_vector_typeIfLj2EES2_Li8ELi32ELi64ELi128ELi4ELi64ELi4ELi4ELi64ELc78ELc78ELb1ELb1ELb0EfKffEEviiiT16_PT17_ilS6_ilS4_S6_ilPT18_ili26rocblas_geam_ex_operation_
                                        ; -- End function
	.set _ZN12_GLOBAL__N_120geam_min_plus_kernelIf15HIP_vector_typeIfLj2EES2_Li8ELi32ELi64ELi128ELi4ELi64ELi4ELi4ELi64ELc78ELc78ELb1ELb1ELb0EfKffEEviiiT16_PT17_ilS6_ilS4_S6_ilPT18_ili26rocblas_geam_ex_operation_.num_vgpr, 115
	.set _ZN12_GLOBAL__N_120geam_min_plus_kernelIf15HIP_vector_typeIfLj2EES2_Li8ELi32ELi64ELi128ELi4ELi64ELi4ELi4ELi64ELc78ELc78ELb1ELb1ELb0EfKffEEviiiT16_PT17_ilS6_ilS4_S6_ilPT18_ili26rocblas_geam_ex_operation_.num_agpr, 0
	.set _ZN12_GLOBAL__N_120geam_min_plus_kernelIf15HIP_vector_typeIfLj2EES2_Li8ELi32ELi64ELi128ELi4ELi64ELi4ELi4ELi64ELc78ELc78ELb1ELb1ELb0EfKffEEviiiT16_PT17_ilS6_ilS4_S6_ilPT18_ili26rocblas_geam_ex_operation_.numbered_sgpr, 26
	.set _ZN12_GLOBAL__N_120geam_min_plus_kernelIf15HIP_vector_typeIfLj2EES2_Li8ELi32ELi64ELi128ELi4ELi64ELi4ELi4ELi64ELc78ELc78ELb1ELb1ELb0EfKffEEviiiT16_PT17_ilS6_ilS4_S6_ilPT18_ili26rocblas_geam_ex_operation_.num_named_barrier, 0
	.set _ZN12_GLOBAL__N_120geam_min_plus_kernelIf15HIP_vector_typeIfLj2EES2_Li8ELi32ELi64ELi128ELi4ELi64ELi4ELi4ELi64ELc78ELc78ELb1ELb1ELb0EfKffEEviiiT16_PT17_ilS6_ilS4_S6_ilPT18_ili26rocblas_geam_ex_operation_.private_seg_size, 0
	.set _ZN12_GLOBAL__N_120geam_min_plus_kernelIf15HIP_vector_typeIfLj2EES2_Li8ELi32ELi64ELi128ELi4ELi64ELi4ELi4ELi64ELc78ELc78ELb1ELb1ELb0EfKffEEviiiT16_PT17_ilS6_ilS4_S6_ilPT18_ili26rocblas_geam_ex_operation_.uses_vcc, 1
	.set _ZN12_GLOBAL__N_120geam_min_plus_kernelIf15HIP_vector_typeIfLj2EES2_Li8ELi32ELi64ELi128ELi4ELi64ELi4ELi4ELi64ELc78ELc78ELb1ELb1ELb0EfKffEEviiiT16_PT17_ilS6_ilS4_S6_ilPT18_ili26rocblas_geam_ex_operation_.uses_flat_scratch, 0
	.set _ZN12_GLOBAL__N_120geam_min_plus_kernelIf15HIP_vector_typeIfLj2EES2_Li8ELi32ELi64ELi128ELi4ELi64ELi4ELi4ELi64ELc78ELc78ELb1ELb1ELb0EfKffEEviiiT16_PT17_ilS6_ilS4_S6_ilPT18_ili26rocblas_geam_ex_operation_.has_dyn_sized_stack, 0
	.set _ZN12_GLOBAL__N_120geam_min_plus_kernelIf15HIP_vector_typeIfLj2EES2_Li8ELi32ELi64ELi128ELi4ELi64ELi4ELi4ELi64ELc78ELc78ELb1ELb1ELb0EfKffEEviiiT16_PT17_ilS6_ilS4_S6_ilPT18_ili26rocblas_geam_ex_operation_.has_recursion, 0
	.set _ZN12_GLOBAL__N_120geam_min_plus_kernelIf15HIP_vector_typeIfLj2EES2_Li8ELi32ELi64ELi128ELi4ELi64ELi4ELi4ELi64ELc78ELc78ELb1ELb1ELb0EfKffEEviiiT16_PT17_ilS6_ilS4_S6_ilPT18_ili26rocblas_geam_ex_operation_.has_indirect_call, 0
	.section	.AMDGPU.csdata,"",@progbits
; Kernel info:
; codeLenInByte = 8948
; TotalNumSgprs: 28
; NumVgprs: 115
; ScratchSize: 0
; MemoryBound: 0
; FloatMode: 240
; IeeeMode: 1
; LDSByteSize: 6144 bytes/workgroup (compile time only)
; SGPRBlocks: 0
; VGPRBlocks: 14
; NumSGPRsForWavesPerEU: 28
; NumVGPRsForWavesPerEU: 115
; Occupancy: 8
; WaveLimiterHint : 0
; COMPUTE_PGM_RSRC2:SCRATCH_EN: 0
; COMPUTE_PGM_RSRC2:USER_SGPR: 6
; COMPUTE_PGM_RSRC2:TRAP_HANDLER: 0
; COMPUTE_PGM_RSRC2:TGID_X_EN: 1
; COMPUTE_PGM_RSRC2:TGID_Y_EN: 0
; COMPUTE_PGM_RSRC2:TGID_Z_EN: 1
; COMPUTE_PGM_RSRC2:TIDIG_COMP_CNT: 1
	.section	.text._ZN12_GLOBAL__N_120geam_min_plus_kernelIf15HIP_vector_typeIfLj2EES2_Li8ELi32ELi64ELi128ELi4ELi64ELi4ELi4ELi64ELc78ELc78ELb0ELb1ELb0EfKffEEviiiT16_PT17_ilS6_ilS4_S6_ilPT18_ili26rocblas_geam_ex_operation_,"axG",@progbits,_ZN12_GLOBAL__N_120geam_min_plus_kernelIf15HIP_vector_typeIfLj2EES2_Li8ELi32ELi64ELi128ELi4ELi64ELi4ELi4ELi64ELc78ELc78ELb0ELb1ELb0EfKffEEviiiT16_PT17_ilS6_ilS4_S6_ilPT18_ili26rocblas_geam_ex_operation_,comdat
	.globl	_ZN12_GLOBAL__N_120geam_min_plus_kernelIf15HIP_vector_typeIfLj2EES2_Li8ELi32ELi64ELi128ELi4ELi64ELi4ELi4ELi64ELc78ELc78ELb0ELb1ELb0EfKffEEviiiT16_PT17_ilS6_ilS4_S6_ilPT18_ili26rocblas_geam_ex_operation_ ; -- Begin function _ZN12_GLOBAL__N_120geam_min_plus_kernelIf15HIP_vector_typeIfLj2EES2_Li8ELi32ELi64ELi128ELi4ELi64ELi4ELi4ELi64ELc78ELc78ELb0ELb1ELb0EfKffEEviiiT16_PT17_ilS6_ilS4_S6_ilPT18_ili26rocblas_geam_ex_operation_
	.p2align	8
	.type	_ZN12_GLOBAL__N_120geam_min_plus_kernelIf15HIP_vector_typeIfLj2EES2_Li8ELi32ELi64ELi128ELi4ELi64ELi4ELi4ELi64ELc78ELc78ELb0ELb1ELb0EfKffEEviiiT16_PT17_ilS6_ilS4_S6_ilPT18_ili26rocblas_geam_ex_operation_,@function
_ZN12_GLOBAL__N_120geam_min_plus_kernelIf15HIP_vector_typeIfLj2EES2_Li8ELi32ELi64ELi128ELi4ELi64ELi4ELi4ELi64ELc78ELc78ELb0ELb1ELb0EfKffEEviiiT16_PT17_ilS6_ilS4_S6_ilPT18_ili26rocblas_geam_ex_operation_: ; @_ZN12_GLOBAL__N_120geam_min_plus_kernelIf15HIP_vector_typeIfLj2EES2_Li8ELi32ELi64ELi128ELi4ELi64ELi4ELi4ELi64ELc78ELc78ELb0ELb1ELb0EfKffEEviiiT16_PT17_ilS6_ilS4_S6_ilPT18_ili26rocblas_geam_ex_operation_
; %bb.0:
	s_clause 0x1
	s_load_dwordx4 s[12:15], s[4:5], 0x0
	s_load_dwordx4 s[0:3], s[4:5], 0x20
	s_waitcnt lgkmcnt(0)
	v_cmp_eq_f32_e64 s8, s15, 0
	v_cmp_neq_f32_e64 s23, s15, 0
	s_and_b32 vcc_lo, exec_lo, s8
	s_cbranch_vccnz .LBB83_45
; %bb.1:
	s_load_dwordx2 s[10:11], s[4:5], 0x10
	s_mul_i32 s1, s1, s7
	s_mul_hi_u32 s9, s0, s7
	s_mul_i32 s0, s0, s7
	s_add_i32 s1, s9, s1
	s_lshl_b64 s[0:1], s[0:1], 2
	s_waitcnt lgkmcnt(0)
	s_add_u32 s20, s10, s0
	s_addc_u32 s21, s11, s1
	s_andn2_b32 vcc_lo, exec_lo, s8
	s_mov_b32 s0, -1
	s_cbranch_vccnz .LBB83_3
.LBB83_2:
	s_mov_b32 s0, 0
.LBB83_3:
	s_mov_b64 s[16:17], 0
	s_andn2_b32 vcc_lo, exec_lo, s0
	s_mov_b64 s[18:19], 0
	s_cbranch_vccnz .LBB83_5
; %bb.4:
	s_load_dwordx2 s[0:1], s[4:5], 0x38
	s_waitcnt lgkmcnt(0)
	s_mul_i32 s1, s1, s7
	s_mul_hi_u32 s8, s0, s7
	s_mul_i32 s0, s0, s7
	s_add_i32 s1, s8, s1
	s_lshl_b64 s[0:1], s[0:1], 2
	s_add_u32 s18, s2, s0
	s_addc_u32 s19, s3, s1
.LBB83_5:
	s_clause 0x1
	s_load_dword s22, s[4:5], 0x40
	s_load_dwordx4 s[8:11], s[4:5], 0x58
	s_waitcnt lgkmcnt(0)
	v_cmp_eq_f32_e64 s0, s22, 0
	v_cmp_neq_f32_e64 s3, s22, 0
	s_and_b32 vcc_lo, exec_lo, s0
	s_cbranch_vccnz .LBB83_7
; %bb.6:
	s_load_dwordx2 s[0:1], s[4:5], 0x48
	s_mul_i32 s2, s9, s7
	s_mul_hi_u32 s9, s8, s7
	s_mul_i32 s8, s8, s7
	s_add_i32 s9, s9, s2
	s_lshl_b64 s[8:9], s[8:9], 2
	s_waitcnt lgkmcnt(0)
	s_add_u32 s16, s0, s8
	s_addc_u32 s17, s1, s9
.LBB83_7:
	s_add_i32 s0, s12, -1
	s_load_dword s9, s[4:5], 0x18
	s_ashr_i32 s1, s0, 31
	v_lshl_add_u32 v4, v1, 3, v0
	s_lshr_b32 s1, s1, 26
	v_mov_b32_e32 v6, 0
	s_add_i32 s0, s0, s1
	v_mov_b32_e32 v8, 0
	s_ashr_i32 s0, s0, 6
	v_and_b32_e32 v7, 63, v4
	s_add_i32 s2, s0, 1
	s_not_b32 s0, s0
	v_cvt_f32_u32_e32 v2, s2
	v_lshrrev_b32_e32 v70, 6, v4
	v_rcp_iflag_f32_e32 v2, v2
	v_cmp_gt_i32_e32 vcc_lo, s14, v70
	s_waitcnt lgkmcnt(0)
	s_ashr_i32 s24, s9, 31
	v_mul_f32_e32 v2, 0x4f7ffffe, v2
	v_cvt_u32_f32_e32 v2, v2
	v_readfirstlane_b32 s1, v2
	s_mul_i32 s0, s0, s1
	s_mul_hi_u32 s0, s1, s0
	s_add_i32 s1, s1, s0
	s_mul_hi_u32 s0, s6, s1
	s_mul_i32 s1, s0, s2
	s_add_i32 s8, s0, 1
	s_sub_i32 s1, s6, s1
	s_sub_i32 s25, s1, s2
	s_cmp_ge_u32 s1, s2
	s_cselect_b32 s0, s8, s0
	s_cselect_b32 s1, s25, s1
	s_add_i32 s8, s0, 1
	s_cmp_ge_u32 s1, s2
	s_cselect_b32 s1, s8, s0
	s_mul_i32 s0, s1, s2
	s_sub_i32 s0, s6, s0
	s_lshl_b32 s6, s0, 6
	v_or_b32_e32 v2, s6, v7
	v_cmp_gt_i32_e64 s0, s12, v2
	v_ashrrev_i32_e32 v3, 31, v2
	s_and_b32 s2, vcc_lo, s0
	s_and_b32 s8, s23, s2
	s_and_saveexec_b32 s2, s8
	s_cbranch_execz .LBB83_9
; %bb.8:
	v_mad_i64_i32 v[8:9], null, s9, v70, 0
	v_lshlrev_b64 v[10:11], 2, v[2:3]
	v_lshlrev_b64 v[8:9], 2, v[8:9]
	v_add_co_u32 v5, vcc_lo, s20, v8
	v_add_co_ci_u32_e64 v9, null, s21, v9, vcc_lo
	v_add_co_u32 v8, vcc_lo, v5, v10
	v_add_co_ci_u32_e64 v9, null, v9, v11, vcc_lo
	global_load_dword v5, v[8:9], off
	s_waitcnt vmcnt(0)
	v_mul_f32_e32 v8, s15, v5
.LBB83_9:
	s_or_b32 exec_lo, exec_lo, s2
	v_and_b32_e32 v71, 3, v0
	s_add_i32 s25, s14, -1
	s_load_dword s27, s[4:5], 0x30
	v_lshrrev_b32_e32 v5, 2, v4
	s_lshl_b32 s8, s1, 7
	v_min_i32_e32 v9, s25, v71
	v_cmp_le_i32_e32 vcc_lo, s14, v71
	s_xor_b32 s26, s23, -1
	v_add_nc_u32_e32 v4, s8, v5
	v_ashrrev_i32_e32 v10, 31, v9
	v_cmp_le_i32_e64 s1, s13, v4
	v_lshlrev_b64 v[10:11], 2, v[9:10]
	v_add_co_u32 v10, s2, s18, v10
	v_add_co_ci_u32_e64 v11, null, s19, v11, s2
	s_or_b32 s2, s1, s26
	s_nor_b32 s1, vcc_lo, s2
	s_and_saveexec_b32 s28, s1
	s_cbranch_execz .LBB83_11
; %bb.10:
	s_waitcnt lgkmcnt(0)
	v_mad_i64_i32 v[12:13], null, v4, s27, 0
	v_lshlrev_b64 v[12:13], 2, v[12:13]
	v_add_co_u32 v12, s1, v10, v12
	v_add_co_ci_u32_e64 v13, null, v11, v13, s1
	global_load_dword v6, v[12:13], off
	s_waitcnt vmcnt(0)
	v_mul_f32_e32 v6, s15, v6
.LBB83_11:
	s_or_b32 exec_lo, exec_lo, s28
	v_add_nc_u32_e32 v78, 64, v4
	v_mov_b32_e32 v76, 0
	v_mov_b32_e32 v9, 0
	v_cmp_le_i32_e64 s1, s13, v78
	s_or_b32 s26, s1, s26
	s_nor_b32 s28, vcc_lo, s26
	s_and_saveexec_b32 s1, s28
	s_cbranch_execz .LBB83_13
; %bb.12:
	s_waitcnt lgkmcnt(0)
	v_mad_i64_i32 v[12:13], null, v78, s27, 0
	v_lshlrev_b64 v[12:13], 2, v[12:13]
	v_add_co_u32 v9, vcc_lo, v10, v12
	v_add_co_ci_u32_e64 v10, null, v11, v13, vcc_lo
	global_load_dword v9, v[9:10], off
	s_waitcnt vmcnt(0)
	v_mul_f32_e32 v9, s15, v9
.LBB83_13:
	s_or_b32 exec_lo, exec_lo, s1
	v_add_nc_u32_e32 v10, 4, v70
	v_cmp_gt_i32_e32 vcc_lo, s14, v10
	s_and_b32 s1, s0, vcc_lo
	s_and_b32 s28, s23, s1
	s_and_saveexec_b32 s1, s28
	s_cbranch_execz .LBB83_15
; %bb.14:
	v_mad_u64_u32 v[11:12], null, s9, v10, 0
	v_mad_u64_u32 v[12:13], null, s24, v10, v[12:13]
	v_lshlrev_b64 v[10:11], 2, v[11:12]
	v_lshlrev_b64 v[12:13], 2, v[2:3]
	v_add_co_u32 v10, vcc_lo, s20, v10
	v_add_co_ci_u32_e64 v11, null, s21, v11, vcc_lo
	v_add_co_u32 v10, vcc_lo, v10, v12
	v_add_co_ci_u32_e64 v11, null, v11, v13, vcc_lo
	global_load_dword v10, v[10:11], off
	s_waitcnt vmcnt(0)
	v_mul_f32_e32 v76, s15, v10
.LBB83_15:
	s_or_b32 exec_lo, exec_lo, s1
	v_or_b32_e32 v12, 4, v71
	v_mov_b32_e32 v79, 0
	v_mov_b32_e32 v80, 0
	v_min_i32_e32 v10, s25, v12
	v_cmp_le_i32_e32 vcc_lo, s14, v12
	v_ashrrev_i32_e32 v11, 31, v10
	v_lshlrev_b64 v[10:11], 2, v[10:11]
	v_add_co_u32 v10, s1, s18, v10
	v_add_co_ci_u32_e64 v11, null, s19, v11, s1
	s_nor_b32 s1, vcc_lo, s2
	s_and_saveexec_b32 s28, s1
	s_cbranch_execz .LBB83_17
; %bb.16:
	s_waitcnt lgkmcnt(0)
	v_mad_i64_i32 v[12:13], null, v4, s27, 0
	v_lshlrev_b64 v[12:13], 2, v[12:13]
	v_add_co_u32 v12, s1, v10, v12
	v_add_co_ci_u32_e64 v13, null, v11, v13, s1
	global_load_dword v12, v[12:13], off
	s_waitcnt vmcnt(0)
	v_mul_f32_e32 v80, s15, v12
.LBB83_17:
	s_or_b32 exec_lo, exec_lo, s28
	s_nor_b32 s28, vcc_lo, s26
	s_and_saveexec_b32 s1, s28
	s_cbranch_execz .LBB83_19
; %bb.18:
	s_waitcnt lgkmcnt(0)
	v_mad_i64_i32 v[12:13], null, v78, s27, 0
	v_lshlrev_b64 v[12:13], 2, v[12:13]
	v_add_co_u32 v10, vcc_lo, v10, v12
	v_add_co_ci_u32_e64 v11, null, v11, v13, vcc_lo
	global_load_dword v10, v[10:11], off
	s_waitcnt vmcnt(0)
	v_mul_f32_e32 v79, s15, v10
.LBB83_19:
	s_or_b32 exec_lo, exec_lo, s1
	v_lshlrev_b32_e32 v7, 4, v7
	v_lshlrev_b32_e32 v10, 4, v5
	v_mov_b32_e32 v68, 0
	v_lshl_or_b32 v73, v0, 4, 0x1000
	v_lshlrev_b32_e32 v74, 4, v1
	v_lshl_add_u32 v81, v70, 2, v7
	v_lshl_or_b32 v72, v71, 2, v10
	v_mov_b32_e32 v69, v68
	v_mov_b32_e32 v7, v68
	;; [unrolled: 1-line block ×3, first 2 shown]
	v_or_b32_e32 v75, 0x1000, v81
	ds_write_b32 v81, v8 offset:4096
	ds_write2st64_b32 v72, v6, v9 offset1:4
	v_mov_b32_e32 v6, v68
	v_mov_b32_e32 v8, v68
	;; [unrolled: 1-line block ×60, first 2 shown]
	s_mov_b32 s28, 0
	s_mov_b32 s1, -1
	s_waitcnt lgkmcnt(0)
	s_barrier
	buffer_gl0_inv
.LBB83_20:                              ; =>This Inner Loop Header: Depth=1
	s_lshl_b32 s28, s28, 2
	s_andn2_b32 vcc_lo, exec_lo, s1
	v_add_nc_u32_e32 v77, s28, v73
	s_mov_b32 s1, 0
	ds_read2_b64 v[82:85], v77 offset1:16
	ds_read2_b64 v[86:89], v77 offset0:32 offset1:48
	ds_read2_b64 v[90:93], v77 offset0:64 offset1:80
	;; [unrolled: 1-line block ×3, first 2 shown]
	v_add_nc_u32_e32 v77, s28, v74
	s_mov_b32 s28, 2
	ds_read2st64_b64 v[98:101], v77 offset1:1
	ds_read2st64_b64 v[102:105], v77 offset0:2 offset1:3
	s_waitcnt lgkmcnt(5)
	v_max_f32_e32 v82, v82, v82
	v_max_f32_e32 v84, v84, v84
	s_waitcnt lgkmcnt(4)
	v_max_f32_e32 v86, v86, v86
	v_max_f32_e32 v88, v88, v88
	;; [unrolled: 3-line block ×5, first 2 shown]
	v_max_f32_e32 v83, v83, v83
	v_max_f32_e32 v85, v85, v85
	;; [unrolled: 1-line block ×3, first 2 shown]
	v_min_f32_e32 v98, v82, v77
	v_max_f32_e32 v89, v89, v89
	v_min_f32_e32 v106, v83, v99
	v_max_f32_e32 v91, v91, v91
	v_max_f32_e32 v93, v93, v93
	v_add_f32_e32 v68, v68, v98
	v_min_f32_e32 v98, v84, v77
	v_add_f32_e32 v69, v69, v106
	v_min_f32_e32 v106, v85, v99
	v_max_f32_e32 v95, v95, v95
	v_add_f32_e32 v6, v6, v98
	v_min_f32_e32 v98, v86, v77
	v_add_f32_e32 v7, v7, v106
	v_min_f32_e32 v106, v87, v99
	;; [unrolled: 2-line block ×11, first 2 shown]
	v_max_f32_e32 v77, v97, v97
	v_add_f32_e32 v17, v17, v106
	v_add_f32_e32 v66, v66, v98
	v_min_f32_e32 v97, v77, v99
	v_max_f32_e32 v99, v101, v101
	v_add_f32_e32 v67, v67, v97
	v_max_f32_e32 v97, v100, v100
	v_min_f32_e32 v100, v83, v99
	v_min_f32_e32 v98, v82, v97
	v_add_f32_e32 v65, v65, v100
	v_min_f32_e32 v100, v85, v99
	v_add_f32_e32 v64, v64, v98
	;; [unrolled: 2-line block ×12, first 2 shown]
	v_min_f32_e32 v98, v94, v97
	v_min_f32_e32 v97, v96, v97
	v_add_f32_e32 v53, v53, v100
	v_add_f32_e32 v52, v52, v98
	v_min_f32_e32 v98, v77, v99
	v_add_f32_e32 v50, v50, v97
	s_waitcnt lgkmcnt(0)
	v_max_f32_e32 v97, v102, v102
	v_max_f32_e32 v99, v103, v103
	v_add_f32_e32 v51, v51, v98
	v_min_f32_e32 v98, v82, v97
	v_min_f32_e32 v100, v83, v99
	v_add_f32_e32 v48, v48, v98
	v_min_f32_e32 v98, v84, v97
	v_add_f32_e32 v49, v49, v100
	;; [unrolled: 2-line block ×11, first 2 shown]
	v_min_f32_e32 v98, v94, v97
	v_min_f32_e32 v97, v96, v97
	v_add_f32_e32 v39, v39, v100
	v_min_f32_e32 v100, v95, v99
	v_add_f32_e32 v36, v36, v98
	;; [unrolled: 2-line block ×3, first 2 shown]
	v_max_f32_e32 v97, v104, v104
	v_add_f32_e32 v37, v37, v100
	v_add_f32_e32 v35, v35, v98
	v_max_f32_e32 v98, v105, v105
	v_min_f32_e32 v82, v82, v97
	v_min_f32_e32 v83, v83, v98
	v_add_f32_e32 v32, v32, v82
	v_min_f32_e32 v82, v84, v97
	v_min_f32_e32 v77, v77, v98
	v_add_f32_e32 v33, v33, v83
	v_min_f32_e32 v83, v85, v98
	v_add_f32_e32 v30, v30, v82
	;; [unrolled: 2-line block ×3, first 2 shown]
	v_add_f32_e32 v31, v31, v83
	v_min_f32_e32 v83, v87, v98
	v_add_f32_e32 v28, v28, v82
	v_min_f32_e32 v82, v88, v97
	;; [unrolled: 2-line block ×10, first 2 shown]
	v_add_f32_e32 v21, v21, v83
	v_add_f32_e32 v18, v18, v82
	s_cbranch_vccz .LBB83_20
; %bb.21:
	v_lshlrev_b32_e32 v77, 2, v71
	ds_write_b32 v81, v76 offset:5120
	v_lshl_add_u32 v76, v0, 4, 0x1400
	s_cmp_lt_i32 s14, 9
	v_lshl_or_b32 v5, v5, 4, v77
	v_lshl_add_u32 v77, v1, 4, 0x800
	ds_write2st64_b32 v5, v80, v79 offset0:8 offset1:12
	s_waitcnt lgkmcnt(0)
	s_barrier
	buffer_gl0_inv
	s_cbranch_scc1 .LBB83_40
; %bb.22:
	v_mad_i64_i32 v[82:83], null, v4, s27, 0
	v_mad_i64_i32 v[84:85], null, v78, s27, 0
	v_lshlrev_b64 v[86:87], 2, v[2:3]
	v_add_nc_u32_e32 v79, 0x800, v5
	v_add_nc_u32_e32 v78, 0x1400, v81
	s_mov_b32 s27, 0
	v_lshlrev_b64 v[2:3], 2, v[82:83]
	v_add_co_u32 v80, vcc_lo, s20, v86
	v_lshlrev_b64 v[4:5], 2, v[84:85]
	v_add_co_ci_u32_e64 v81, null, s21, v87, vcc_lo
	s_add_i32 s20, s14, -8
	s_mov_b32 s21, 8
.LBB83_23:                              ; =>This Loop Header: Depth=1
                                        ;     Child Loop BB83_30 Depth 2
                                        ;     Child Loop BB83_38 Depth 2
	v_add_nc_u32_e32 v82, s21, v70
	v_mov_b32_e32 v83, 0
	v_mov_b32_e32 v84, 0
	v_cmp_gt_i32_e32 vcc_lo, s14, v82
	s_and_b32 s1, s0, vcc_lo
	s_and_b32 s28, s23, s1
	s_and_saveexec_b32 s1, s28
	s_cbranch_execz .LBB83_25
; %bb.24:                               ;   in Loop: Header=BB83_23 Depth=1
	v_mad_u64_u32 v[84:85], null, v82, s9, 0
	v_mad_u64_u32 v[85:86], null, v82, s24, v[85:86]
	v_lshlrev_b64 v[84:85], 2, v[84:85]
	v_add_co_u32 v84, vcc_lo, v80, v84
	v_add_co_ci_u32_e64 v85, null, v81, v85, vcc_lo
	global_load_dword v82, v[84:85], off
	s_waitcnt vmcnt(0)
	v_mul_f32_e32 v84, s15, v82
.LBB83_25:                              ;   in Loop: Header=BB83_23 Depth=1
	s_or_b32 exec_lo, exec_lo, s1
	v_or_b32_e32 v82, s21, v71
	v_min_i32_e32 v85, s25, v82
	v_cmp_le_i32_e32 vcc_lo, s14, v82
	v_ashrrev_i32_e32 v86, 31, v85
	v_lshlrev_b64 v[86:87], 2, v[85:86]
	v_add_co_u32 v86, s1, s18, v86
	v_add_co_ci_u32_e64 v87, null, s19, v87, s1
	s_nor_b32 s1, s2, vcc_lo
	s_and_saveexec_b32 s28, s1
	s_cbranch_execz .LBB83_27
; %bb.26:                               ;   in Loop: Header=BB83_23 Depth=1
	v_add_co_u32 v88, s1, v86, v2
	v_add_co_ci_u32_e64 v89, null, v87, v3, s1
	global_load_dword v83, v[88:89], off
	s_waitcnt vmcnt(0)
	v_mul_f32_e32 v83, s15, v83
.LBB83_27:                              ;   in Loop: Header=BB83_23 Depth=1
	s_or_b32 exec_lo, exec_lo, s28
	v_mov_b32_e32 v85, 0
	s_nor_b32 s28, s26, vcc_lo
	s_and_saveexec_b32 s1, s28
	s_cbranch_execz .LBB83_29
; %bb.28:                               ;   in Loop: Header=BB83_23 Depth=1
	v_add_co_u32 v85, vcc_lo, v86, v4
	v_add_co_ci_u32_e64 v86, null, v87, v5, vcc_lo
	global_load_dword v85, v[85:86], off
	s_waitcnt vmcnt(0)
	v_mul_f32_e32 v85, s15, v85
.LBB83_29:                              ;   in Loop: Header=BB83_23 Depth=1
	s_or_b32 exec_lo, exec_lo, s1
	s_mov_b32 s28, 0
	s_mov_b32 s1, -1
.LBB83_30:                              ;   Parent Loop BB83_23 Depth=1
                                        ; =>  This Inner Loop Header: Depth=2
	s_lshl_b32 s28, s28, 2
	s_andn2_b32 vcc_lo, exec_lo, s1
	v_add_nc_u32_e32 v98, s28, v76
	v_add_nc_u32_e32 v106, s28, v77
	s_mov_b32 s1, 0
	s_mov_b32 s28, 2
	ds_read2_b64 v[86:89], v98 offset1:16
	ds_read2_b64 v[90:93], v98 offset0:32 offset1:48
	ds_read2_b64 v[94:97], v98 offset0:64 offset1:80
	;; [unrolled: 1-line block ×3, first 2 shown]
	ds_read2st64_b64 v[102:105], v106 offset1:1
	ds_read2st64_b64 v[106:109], v106 offset0:2 offset1:3
	s_waitcnt lgkmcnt(5)
	v_max_f32_e32 v86, v86, v86
	v_max_f32_e32 v87, v87, v87
	;; [unrolled: 1-line block ×3, first 2 shown]
	s_waitcnt lgkmcnt(1)
	v_max_f32_e32 v102, v102, v102
	v_max_f32_e32 v103, v103, v103
	;; [unrolled: 1-line block ×5, first 2 shown]
	v_min_f32_e32 v110, v86, v102
	v_min_f32_e32 v111, v87, v103
	v_max_f32_e32 v92, v92, v92
	v_max_f32_e32 v93, v93, v93
	;; [unrolled: 1-line block ×3, first 2 shown]
	v_add_f32_e32 v68, v68, v110
	v_min_f32_e32 v110, v88, v102
	v_add_f32_e32 v69, v69, v111
	v_min_f32_e32 v111, v89, v103
	v_max_f32_e32 v95, v95, v95
	v_max_f32_e32 v96, v96, v96
	v_add_f32_e32 v6, v6, v110
	v_min_f32_e32 v110, v90, v102
	v_add_f32_e32 v7, v7, v111
	v_min_f32_e32 v111, v91, v103
	v_max_f32_e32 v97, v97, v97
	v_max_f32_e32 v98, v98, v98
	;; [unrolled: 6-line block ×3, first 2 shown]
	v_add_f32_e32 v10, v10, v110
	v_min_f32_e32 v110, v94, v102
	v_add_f32_e32 v11, v11, v111
	v_min_f32_e32 v111, v95, v103
	v_max_f32_e32 v101, v101, v101
	v_add_f32_e32 v12, v12, v110
	v_min_f32_e32 v110, v96, v102
	v_add_f32_e32 v13, v13, v111
	v_min_f32_e32 v111, v97, v103
	;; [unrolled: 2-line block ×3, first 2 shown]
	v_min_f32_e32 v102, v100, v102
	v_add_f32_e32 v15, v15, v111
	v_min_f32_e32 v111, v99, v103
	v_min_f32_e32 v103, v101, v103
	v_add_f32_e32 v16, v16, v110
	v_add_f32_e32 v66, v66, v102
	v_max_f32_e32 v102, v104, v104
	v_max_f32_e32 v104, v105, v105
	v_add_f32_e32 v67, v67, v103
	v_add_f32_e32 v17, v17, v111
	v_min_f32_e32 v103, v86, v102
	v_min_f32_e32 v105, v87, v104
	v_add_f32_e32 v64, v64, v103
	v_min_f32_e32 v103, v88, v102
	v_add_f32_e32 v65, v65, v105
	v_min_f32_e32 v105, v89, v104
	v_add_f32_e32 v62, v62, v103
	v_min_f32_e32 v103, v90, v102
	v_add_f32_e32 v63, v63, v105
	v_min_f32_e32 v105, v91, v104
	v_add_f32_e32 v60, v60, v103
	v_min_f32_e32 v103, v92, v102
	v_add_f32_e32 v61, v61, v105
	v_min_f32_e32 v105, v93, v104
	v_add_f32_e32 v58, v58, v103
	v_min_f32_e32 v103, v94, v102
	v_add_f32_e32 v59, v59, v105
	v_min_f32_e32 v105, v95, v104
	v_add_f32_e32 v56, v56, v103
	v_min_f32_e32 v103, v96, v102
	v_add_f32_e32 v57, v57, v105
	v_min_f32_e32 v105, v97, v104
	v_add_f32_e32 v54, v54, v103
	v_min_f32_e32 v103, v98, v102
	v_min_f32_e32 v102, v100, v102
	v_add_f32_e32 v55, v55, v105
	v_min_f32_e32 v105, v99, v104
	v_add_f32_e32 v52, v52, v103
	;; [unrolled: 2-line block ×3, first 2 shown]
	s_waitcnt lgkmcnt(0)
	v_max_f32_e32 v102, v106, v106
	v_max_f32_e32 v104, v107, v107
	v_add_f32_e32 v53, v53, v105
	v_add_f32_e32 v51, v51, v103
	v_min_f32_e32 v103, v86, v102
	v_min_f32_e32 v105, v87, v104
	v_add_f32_e32 v48, v48, v103
	v_min_f32_e32 v103, v88, v102
	v_add_f32_e32 v49, v49, v105
	;; [unrolled: 2-line block ×11, first 2 shown]
	v_min_f32_e32 v103, v98, v102
	v_min_f32_e32 v102, v100, v102
	v_add_f32_e32 v39, v39, v105
	v_min_f32_e32 v105, v99, v104
	v_add_f32_e32 v36, v36, v103
	;; [unrolled: 2-line block ×3, first 2 shown]
	v_max_f32_e32 v102, v108, v108
	v_add_f32_e32 v37, v37, v105
	v_add_f32_e32 v35, v35, v103
	v_max_f32_e32 v103, v109, v109
	v_min_f32_e32 v86, v86, v102
	v_min_f32_e32 v87, v87, v103
	v_add_f32_e32 v32, v32, v86
	v_min_f32_e32 v86, v88, v102
	v_add_f32_e32 v33, v33, v87
	;; [unrolled: 2-line block ×15, first 2 shown]
	v_add_f32_e32 v19, v19, v87
	s_cbranch_vccz .LBB83_30
; %bb.31:                               ;   in Loop: Header=BB83_23 Depth=1
	v_add3_u32 v86, v70, s21, 4
	ds_write_b32 v75, v84
	ds_write2st64_b32 v72, v83, v85 offset1:4
	v_mov_b32_e32 v83, 0
	v_mov_b32_e32 v84, 0
	v_cmp_gt_i32_e32 vcc_lo, s14, v86
	s_waitcnt lgkmcnt(0)
	s_barrier
	buffer_gl0_inv
	s_and_b32 s1, s0, vcc_lo
	s_and_b32 s28, s23, s1
	s_and_saveexec_b32 s1, s28
	s_cbranch_execz .LBB83_33
; %bb.32:                               ;   in Loop: Header=BB83_23 Depth=1
	v_mad_u64_u32 v[84:85], null, v86, s9, 0
	v_mad_u64_u32 v[85:86], null, v86, s24, v[85:86]
	v_lshlrev_b64 v[84:85], 2, v[84:85]
	v_add_co_u32 v84, vcc_lo, v80, v84
	v_add_co_ci_u32_e64 v85, null, v81, v85, vcc_lo
	global_load_dword v84, v[84:85], off
	s_waitcnt vmcnt(0)
	v_mul_f32_e32 v84, s15, v84
.LBB83_33:                              ;   in Loop: Header=BB83_23 Depth=1
	s_or_b32 exec_lo, exec_lo, s1
	v_or_b32_e32 v82, 4, v82
	v_min_i32_e32 v85, s25, v82
	v_cmp_le_i32_e32 vcc_lo, s14, v82
	v_ashrrev_i32_e32 v86, 31, v85
	v_lshlrev_b64 v[85:86], 2, v[85:86]
	v_add_co_u32 v85, s1, s18, v85
	v_add_co_ci_u32_e64 v86, null, s19, v86, s1
	s_nor_b32 s1, s2, vcc_lo
	s_and_saveexec_b32 s28, s1
	s_cbranch_execz .LBB83_35
; %bb.34:                               ;   in Loop: Header=BB83_23 Depth=1
	v_add_co_u32 v82, s1, v85, v2
	v_add_co_ci_u32_e64 v83, null, v86, v3, s1
	global_load_dword v82, v[82:83], off
	s_waitcnt vmcnt(0)
	v_mul_f32_e32 v83, s15, v82
.LBB83_35:                              ;   in Loop: Header=BB83_23 Depth=1
	s_or_b32 exec_lo, exec_lo, s28
	v_mov_b32_e32 v82, 0
	s_nor_b32 s28, s26, vcc_lo
	s_and_saveexec_b32 s1, s28
	s_cbranch_execz .LBB83_37
; %bb.36:                               ;   in Loop: Header=BB83_23 Depth=1
	v_add_co_u32 v85, vcc_lo, v85, v4
	v_add_co_ci_u32_e64 v86, null, v86, v5, vcc_lo
	global_load_dword v82, v[85:86], off
	s_waitcnt vmcnt(0)
	v_mul_f32_e32 v82, s15, v82
.LBB83_37:                              ;   in Loop: Header=BB83_23 Depth=1
	s_or_b32 exec_lo, exec_lo, s1
	s_mov_b32 s28, 0
	s_mov_b32 s1, -1
.LBB83_38:                              ;   Parent Loop BB83_23 Depth=1
                                        ; =>  This Inner Loop Header: Depth=2
	s_lshl_b32 s28, s28, 2
	s_andn2_b32 vcc_lo, exec_lo, s1
	v_add_nc_u32_e32 v97, s28, v73
	v_add_nc_u32_e32 v105, s28, v74
	s_mov_b32 s1, 0
	s_mov_b32 s28, 2
	ds_read2_b64 v[85:88], v97 offset1:16
	ds_read2_b64 v[89:92], v97 offset0:32 offset1:48
	ds_read2_b64 v[93:96], v97 offset0:64 offset1:80
	;; [unrolled: 1-line block ×3, first 2 shown]
	ds_read2st64_b64 v[101:104], v105 offset1:1
	ds_read2st64_b64 v[105:108], v105 offset0:2 offset1:3
	s_waitcnt lgkmcnt(5)
	v_max_f32_e32 v85, v85, v85
	v_max_f32_e32 v86, v86, v86
	;; [unrolled: 1-line block ×3, first 2 shown]
	s_waitcnt lgkmcnt(1)
	v_max_f32_e32 v101, v101, v101
	v_max_f32_e32 v102, v102, v102
	;; [unrolled: 1-line block ×5, first 2 shown]
	v_min_f32_e32 v109, v85, v101
	v_min_f32_e32 v110, v86, v102
	v_max_f32_e32 v91, v91, v91
	v_max_f32_e32 v92, v92, v92
	;; [unrolled: 1-line block ×3, first 2 shown]
	v_add_f32_e32 v68, v68, v109
	v_min_f32_e32 v109, v87, v101
	v_add_f32_e32 v69, v69, v110
	v_min_f32_e32 v110, v88, v102
	v_max_f32_e32 v94, v94, v94
	v_max_f32_e32 v95, v95, v95
	v_add_f32_e32 v6, v6, v109
	v_min_f32_e32 v109, v89, v101
	v_add_f32_e32 v7, v7, v110
	v_min_f32_e32 v110, v90, v102
	v_max_f32_e32 v96, v96, v96
	v_max_f32_e32 v97, v97, v97
	;; [unrolled: 6-line block ×3, first 2 shown]
	v_add_f32_e32 v10, v10, v109
	v_min_f32_e32 v109, v93, v101
	v_add_f32_e32 v11, v11, v110
	v_min_f32_e32 v110, v94, v102
	v_max_f32_e32 v100, v100, v100
	v_add_f32_e32 v12, v12, v109
	v_min_f32_e32 v109, v95, v101
	v_add_f32_e32 v13, v13, v110
	v_min_f32_e32 v110, v96, v102
	;; [unrolled: 2-line block ×3, first 2 shown]
	v_min_f32_e32 v101, v99, v101
	v_add_f32_e32 v15, v15, v110
	v_min_f32_e32 v110, v98, v102
	v_min_f32_e32 v102, v100, v102
	v_add_f32_e32 v16, v16, v109
	v_add_f32_e32 v66, v66, v101
	v_max_f32_e32 v101, v103, v103
	v_max_f32_e32 v103, v104, v104
	v_add_f32_e32 v67, v67, v102
	v_add_f32_e32 v17, v17, v110
	v_min_f32_e32 v102, v85, v101
	v_min_f32_e32 v104, v86, v103
	v_add_f32_e32 v64, v64, v102
	v_min_f32_e32 v102, v87, v101
	v_add_f32_e32 v65, v65, v104
	;; [unrolled: 2-line block ×11, first 2 shown]
	v_min_f32_e32 v102, v97, v101
	v_min_f32_e32 v101, v99, v101
	v_add_f32_e32 v55, v55, v104
	v_min_f32_e32 v104, v98, v103
	v_add_f32_e32 v52, v52, v102
	;; [unrolled: 2-line block ×3, first 2 shown]
	s_waitcnt lgkmcnt(0)
	v_max_f32_e32 v101, v105, v105
	v_max_f32_e32 v103, v106, v106
	v_add_f32_e32 v53, v53, v104
	v_add_f32_e32 v51, v51, v102
	v_min_f32_e32 v102, v85, v101
	v_min_f32_e32 v104, v86, v103
	v_add_f32_e32 v48, v48, v102
	v_min_f32_e32 v102, v87, v101
	v_add_f32_e32 v49, v49, v104
	;; [unrolled: 2-line block ×11, first 2 shown]
	v_min_f32_e32 v102, v97, v101
	v_min_f32_e32 v101, v99, v101
	v_add_f32_e32 v39, v39, v104
	v_min_f32_e32 v104, v98, v103
	v_add_f32_e32 v36, v36, v102
	v_min_f32_e32 v102, v100, v103
	v_add_f32_e32 v34, v34, v101
	v_max_f32_e32 v101, v107, v107
	v_add_f32_e32 v37, v37, v104
	v_add_f32_e32 v35, v35, v102
	v_max_f32_e32 v102, v108, v108
	v_min_f32_e32 v85, v85, v101
	v_min_f32_e32 v86, v86, v102
	v_add_f32_e32 v32, v32, v85
	v_min_f32_e32 v85, v87, v101
	v_add_f32_e32 v33, v33, v86
	;; [unrolled: 2-line block ×15, first 2 shown]
	v_add_f32_e32 v19, v19, v86
	s_cbranch_vccz .LBB83_38
; %bb.39:                               ;   in Loop: Header=BB83_23 Depth=1
	s_add_i32 s27, s27, 8
	s_add_i32 s21, s21, 8
	s_cmp_ge_i32 s27, s20
	ds_write_b32 v78, v84
	ds_write2st64_b32 v79, v83, v82 offset1:4
	s_waitcnt lgkmcnt(0)
	s_barrier
	buffer_gl0_inv
	s_cbranch_scc0 .LBB83_23
.LBB83_40:
	s_mov_b32 s0, -1
.LBB83_41:                              ; =>This Inner Loop Header: Depth=1
	s_lshl_b32 s1, s1, 2
	s_andn2_b32 vcc_lo, exec_lo, s0
	v_add_nc_u32_e32 v74, s1, v76
	s_mov_b32 s0, 0
	ds_read2_b64 v[2:5], v74 offset1:16
	ds_read2_b64 v[70:73], v74 offset0:32 offset1:48
	ds_read2_b64 v[78:81], v74 offset0:64 offset1:80
	;; [unrolled: 1-line block ×3, first 2 shown]
	v_add_nc_u32_e32 v74, s1, v77
	s_mov_b32 s1, 2
	ds_read2st64_b64 v[86:89], v74 offset1:1
	ds_read2st64_b64 v[90:93], v74 offset0:2 offset1:3
	s_waitcnt lgkmcnt(5)
	v_max_f32_e32 v2, v2, v2
	v_max_f32_e32 v4, v4, v4
	s_waitcnt lgkmcnt(4)
	v_max_f32_e32 v70, v70, v70
	v_max_f32_e32 v72, v72, v72
	;; [unrolled: 1-line block ×6, first 2 shown]
	s_waitcnt lgkmcnt(1)
	v_max_f32_e32 v74, v86, v86
	v_max_f32_e32 v86, v87, v87
	;; [unrolled: 1-line block ×5, first 2 shown]
	v_min_f32_e32 v75, v2, v74
	v_min_f32_e32 v87, v3, v86
	v_add_f32_e32 v68, v68, v75
	v_min_f32_e32 v75, v4, v74
	v_add_f32_e32 v69, v69, v87
	;; [unrolled: 2-line block ×7, first 2 shown]
	v_max_f32_e32 v75, v78, v78
	v_add_f32_e32 v11, v11, v87
	v_min_f32_e32 v87, v79, v86
	v_min_f32_e32 v78, v75, v74
	v_add_f32_e32 v13, v13, v87
	v_min_f32_e32 v87, v81, v86
	v_add_f32_e32 v12, v12, v78
	v_max_f32_e32 v78, v80, v80
	v_add_f32_e32 v15, v15, v87
	v_min_f32_e32 v87, v83, v86
	v_min_f32_e32 v80, v78, v74
	v_add_f32_e32 v17, v17, v87
	v_add_f32_e32 v14, v14, v80
	v_max_f32_e32 v80, v82, v82
	v_min_f32_e32 v82, v80, v74
	v_add_f32_e32 v16, v16, v82
	v_max_f32_e32 v82, v84, v84
	v_max_f32_e32 v84, v85, v85
	v_min_f32_e32 v74, v82, v74
	v_min_f32_e32 v85, v84, v86
	v_max_f32_e32 v86, v89, v89
	v_add_f32_e32 v66, v66, v74
	v_max_f32_e32 v74, v88, v88
	v_add_f32_e32 v67, v67, v85
	v_min_f32_e32 v87, v3, v86
	v_min_f32_e32 v85, v2, v74
	v_add_f32_e32 v65, v65, v87
	v_min_f32_e32 v87, v5, v86
	v_add_f32_e32 v64, v64, v85
	;; [unrolled: 2-line block ×12, first 2 shown]
	v_min_f32_e32 v85, v80, v74
	v_min_f32_e32 v74, v82, v74
	v_add_f32_e32 v53, v53, v87
	v_add_f32_e32 v52, v52, v85
	v_min_f32_e32 v85, v84, v86
	v_add_f32_e32 v50, v50, v74
	s_waitcnt lgkmcnt(0)
	v_max_f32_e32 v74, v90, v90
	v_max_f32_e32 v86, v91, v91
	v_add_f32_e32 v51, v51, v85
	v_min_f32_e32 v85, v2, v74
	v_min_f32_e32 v87, v3, v86
	v_add_f32_e32 v48, v48, v85
	v_min_f32_e32 v85, v4, v74
	v_add_f32_e32 v49, v49, v87
	;; [unrolled: 2-line block ×11, first 2 shown]
	v_min_f32_e32 v85, v80, v74
	v_min_f32_e32 v74, v82, v74
	v_add_f32_e32 v39, v39, v87
	v_min_f32_e32 v87, v83, v86
	v_add_f32_e32 v36, v36, v85
	;; [unrolled: 2-line block ×3, first 2 shown]
	v_max_f32_e32 v74, v92, v92
	v_add_f32_e32 v37, v37, v87
	v_add_f32_e32 v35, v35, v85
	v_max_f32_e32 v85, v93, v93
	v_min_f32_e32 v2, v2, v74
	v_min_f32_e32 v3, v3, v85
	v_add_f32_e32 v32, v32, v2
	v_min_f32_e32 v2, v4, v74
	v_add_f32_e32 v33, v33, v3
	;; [unrolled: 2-line block ×15, first 2 shown]
	v_add_f32_e32 v19, v19, v3
	s_cbranch_vccz .LBB83_41
; %bb.42:
	s_clause 0x2
	s_load_dwordx2 s[0:1], s[4:5], 0x70
	s_load_dword s14, s[4:5], 0x50
	s_load_dword s9, s[4:5], 0x68
	v_add_nc_u32_e32 v71, s8, v1
	v_add_nc_u32_e32 v0, s6, v0
	v_cndmask_b32_e64 v70, 0, 1, s3
	v_cmp_gt_i32_e64 s8, s13, v71
	s_waitcnt lgkmcnt(0)
	s_mul_i32 s1, s1, s7
	v_mad_i64_i32 v[1:2], null, v71, s14, 0
	v_mad_i64_i32 v[3:4], null, v71, s9, 0
	s_mul_hi_u32 s2, s0, s7
	s_mul_i32 s4, s0, s7
	s_add_i32 s5, s2, s1
	v_cmp_gt_i32_e64 s0, s12, v0
	v_lshlrev_b64 v[72:73], 2, v[1:2]
	s_lshl_b64 s[4:5], s[4:5], 2
	v_lshlrev_b64 v[2:3], 2, v[3:4]
	s_add_u32 s10, s10, s4
	s_addc_u32 s11, s11, s5
	v_ashrrev_i32_e32 v1, 31, v0
	v_add_co_u32 v74, vcc_lo, s16, v72
	v_add_co_ci_u32_e64 v75, null, s17, v73, vcc_lo
	v_add_co_u32 v72, vcc_lo, s10, v2
	v_add_co_ci_u32_e64 v73, null, s11, v3, vcc_lo
	s_and_b32 s2, s0, s8
	s_and_saveexec_b32 s1, s2
	s_cbranch_execz .LBB83_48
; %bb.43:
	v_lshlrev_b64 v[2:3], 2, v[0:1]
	s_andn2_b32 vcc_lo, exec_lo, s3
	s_cbranch_vccnz .LBB83_46
; %bb.44:
	v_add_co_u32 v4, vcc_lo, v74, v2
	v_add_co_ci_u32_e64 v5, null, v75, v3, vcc_lo
	global_load_dword v4, v[4:5], off
	s_waitcnt vmcnt(0)
	v_mul_f32_e32 v4, s22, v4
	s_branch .LBB83_47
.LBB83_45:
	s_mov_b64 s[20:21], 0
	s_andn2_b32 vcc_lo, exec_lo, s8
	s_mov_b32 s0, -1
	s_cbranch_vccz .LBB83_2
	s_branch .LBB83_3
.LBB83_46:
	v_mov_b32_e32 v4, 0
.LBB83_47:
	v_add_f32_e32 v5, v68, v69
	v_add_co_u32 v2, vcc_lo, v72, v2
	v_add_co_ci_u32_e64 v3, null, v73, v3, vcc_lo
	v_add_f32_e32 v4, v5, v4
	global_store_dword v[2:3], v4, off
.LBB83_48:
	s_or_b32 exec_lo, exec_lo, s1
	v_add_nc_u32_e32 v2, 8, v0
	v_cmp_gt_i32_e64 s1, s12, v2
	v_ashrrev_i32_e32 v3, 31, v2
	s_and_b32 s3, s1, s8
	s_and_saveexec_b32 s2, s3
	s_cbranch_execz .LBB83_53
; %bb.49:
	v_cmp_ne_u32_e32 vcc_lo, 1, v70
	v_lshlrev_b64 v[4:5], 2, v[2:3]
	s_cbranch_vccnz .LBB83_51
; %bb.50:
	v_add_co_u32 v68, vcc_lo, v74, v4
	v_add_co_ci_u32_e64 v69, null, v75, v5, vcc_lo
	global_load_dword v68, v[68:69], off
	s_waitcnt vmcnt(0)
	v_mul_f32_e32 v68, s22, v68
	s_branch .LBB83_52
.LBB83_51:
	v_mov_b32_e32 v68, 0
.LBB83_52:
	v_add_f32_e32 v6, v6, v7
	v_add_co_u32 v4, vcc_lo, v72, v4
	v_add_co_ci_u32_e64 v5, null, v73, v5, vcc_lo
	v_add_f32_e32 v6, v6, v68
	global_store_dword v[4:5], v6, off
.LBB83_53:
	s_or_b32 exec_lo, exec_lo, s2
	v_add_nc_u32_e32 v4, 16, v0
	v_cmp_gt_i32_e64 s2, s12, v4
	v_ashrrev_i32_e32 v5, 31, v4
	s_and_b32 s4, s2, s8
	s_and_saveexec_b32 s3, s4
	s_cbranch_execz .LBB83_58
; %bb.54:
	v_cmp_ne_u32_e32 vcc_lo, 1, v70
	v_lshlrev_b64 v[6:7], 2, v[4:5]
	s_cbranch_vccnz .LBB83_56
; %bb.55:
	v_add_co_u32 v68, vcc_lo, v74, v6
	v_add_co_ci_u32_e64 v69, null, v75, v7, vcc_lo
	global_load_dword v68, v[68:69], off
	s_waitcnt vmcnt(0)
	v_mul_f32_e32 v68, s22, v68
	s_branch .LBB83_57
.LBB83_56:
	v_mov_b32_e32 v68, 0
.LBB83_57:
	v_add_f32_e32 v8, v8, v9
	v_add_co_u32 v6, vcc_lo, v72, v6
	v_add_co_ci_u32_e64 v7, null, v73, v7, vcc_lo
	v_add_f32_e32 v8, v8, v68
	global_store_dword v[6:7], v8, off
.LBB83_58:
	;; [unrolled: 27-line block ×7, first 2 shown]
	s_or_b32 exec_lo, exec_lo, s8
	v_add_nc_u32_e32 v68, 32, v71
	v_mad_i64_i32 v[16:17], null, v68, s14, 0
	v_mad_i64_i32 v[66:67], null, v68, s9, 0
	v_cmp_gt_i32_e64 s8, s13, v68
	v_lshlrev_b64 v[16:17], 2, v[16:17]
	s_and_b32 s15, s0, s8
	v_lshlrev_b64 v[66:67], 2, v[66:67]
	v_add_co_u32 v68, vcc_lo, s16, v16
	v_add_co_ci_u32_e64 v69, null, s17, v17, vcc_lo
	v_add_co_u32 v66, vcc_lo, s10, v66
	v_add_co_ci_u32_e64 v67, null, s11, v67, vcc_lo
	s_and_saveexec_b32 s12, s15
	s_cbranch_execnz .LBB83_91
; %bb.84:
	s_or_b32 exec_lo, exec_lo, s12
	s_and_b32 s15, s1, s8
	s_and_saveexec_b32 s12, s15
	s_cbranch_execnz .LBB83_95
.LBB83_85:
	s_or_b32 exec_lo, exec_lo, s12
	s_and_b32 s15, s2, s8
	s_and_saveexec_b32 s12, s15
	s_cbranch_execnz .LBB83_99
.LBB83_86:
	s_or_b32 exec_lo, exec_lo, s12
	s_and_b32 s15, s3, s8
	s_and_saveexec_b32 s12, s15
	s_cbranch_execnz .LBB83_103
.LBB83_87:
	s_or_b32 exec_lo, exec_lo, s12
	s_and_b32 s15, s4, s8
	s_and_saveexec_b32 s12, s15
	s_cbranch_execnz .LBB83_107
.LBB83_88:
	s_or_b32 exec_lo, exec_lo, s12
	s_and_b32 s15, s5, s8
	s_and_saveexec_b32 s12, s15
	s_cbranch_execnz .LBB83_111
.LBB83_89:
	s_or_b32 exec_lo, exec_lo, s12
	s_and_b32 s15, s6, s8
	s_and_saveexec_b32 s12, s15
	s_cbranch_execnz .LBB83_115
.LBB83_90:
	s_or_b32 exec_lo, exec_lo, s12
	s_and_b32 s12, s7, s8
	s_and_saveexec_b32 s8, s12
	s_cbranch_execnz .LBB83_119
	s_branch .LBB83_123
.LBB83_91:
	v_cmp_ne_u32_e32 vcc_lo, 1, v70
	v_lshlrev_b64 v[16:17], 2, v[0:1]
	s_cbranch_vccnz .LBB83_93
; %bb.92:
	v_add_co_u32 v72, vcc_lo, v68, v16
	v_add_co_ci_u32_e64 v73, null, v69, v17, vcc_lo
	global_load_dword v72, v[72:73], off
	s_waitcnt vmcnt(0)
	v_mul_f32_e32 v72, s22, v72
	s_branch .LBB83_94
.LBB83_93:
	v_mov_b32_e32 v72, 0
.LBB83_94:
	v_add_f32_e32 v64, v64, v65
	v_add_co_u32 v16, vcc_lo, v66, v16
	v_add_co_ci_u32_e64 v17, null, v67, v17, vcc_lo
	v_add_f32_e32 v64, v64, v72
	global_store_dword v[16:17], v64, off
	s_or_b32 exec_lo, exec_lo, s12
	s_and_b32 s15, s1, s8
	s_and_saveexec_b32 s12, s15
	s_cbranch_execz .LBB83_85
.LBB83_95:
	v_cmp_ne_u32_e32 vcc_lo, 1, v70
	v_lshlrev_b64 v[16:17], 2, v[2:3]
	s_cbranch_vccnz .LBB83_97
; %bb.96:
	v_add_co_u32 v64, vcc_lo, v68, v16
	v_add_co_ci_u32_e64 v65, null, v69, v17, vcc_lo
	global_load_dword v64, v[64:65], off
	s_waitcnt vmcnt(0)
	v_mul_f32_e32 v64, s22, v64
	s_branch .LBB83_98
.LBB83_97:
	v_mov_b32_e32 v64, 0
.LBB83_98:
	v_add_f32_e32 v62, v62, v63
	v_add_co_u32 v16, vcc_lo, v66, v16
	v_add_co_ci_u32_e64 v17, null, v67, v17, vcc_lo
	v_add_f32_e32 v62, v62, v64
	global_store_dword v[16:17], v62, off
	s_or_b32 exec_lo, exec_lo, s12
	s_and_b32 s15, s2, s8
	s_and_saveexec_b32 s12, s15
	s_cbranch_execz .LBB83_86
.LBB83_99:
	v_cmp_ne_u32_e32 vcc_lo, 1, v70
	v_lshlrev_b64 v[16:17], 2, v[4:5]
	s_cbranch_vccnz .LBB83_101
; %bb.100:
	v_add_co_u32 v62, vcc_lo, v68, v16
	v_add_co_ci_u32_e64 v63, null, v69, v17, vcc_lo
	global_load_dword v62, v[62:63], off
	s_waitcnt vmcnt(0)
	v_mul_f32_e32 v62, s22, v62
	s_branch .LBB83_102
.LBB83_101:
	v_mov_b32_e32 v62, 0
.LBB83_102:
	v_add_f32_e32 v60, v60, v61
	v_add_co_u32 v16, vcc_lo, v66, v16
	v_add_co_ci_u32_e64 v17, null, v67, v17, vcc_lo
	v_add_f32_e32 v60, v60, v62
	global_store_dword v[16:17], v60, off
	s_or_b32 exec_lo, exec_lo, s12
	s_and_b32 s15, s3, s8
	s_and_saveexec_b32 s12, s15
	s_cbranch_execz .LBB83_87
.LBB83_103:
	v_cmp_ne_u32_e32 vcc_lo, 1, v70
	v_lshlrev_b64 v[16:17], 2, v[6:7]
	s_cbranch_vccnz .LBB83_105
; %bb.104:
	v_add_co_u32 v60, vcc_lo, v68, v16
	v_add_co_ci_u32_e64 v61, null, v69, v17, vcc_lo
	global_load_dword v60, v[60:61], off
	s_waitcnt vmcnt(0)
	v_mul_f32_e32 v60, s22, v60
	s_branch .LBB83_106
.LBB83_105:
	v_mov_b32_e32 v60, 0
.LBB83_106:
	v_add_f32_e32 v58, v58, v59
	v_add_co_u32 v16, vcc_lo, v66, v16
	v_add_co_ci_u32_e64 v17, null, v67, v17, vcc_lo
	v_add_f32_e32 v58, v58, v60
	global_store_dword v[16:17], v58, off
	s_or_b32 exec_lo, exec_lo, s12
	s_and_b32 s15, s4, s8
	s_and_saveexec_b32 s12, s15
	s_cbranch_execz .LBB83_88
.LBB83_107:
	v_cmp_ne_u32_e32 vcc_lo, 1, v70
	v_lshlrev_b64 v[16:17], 2, v[8:9]
	s_cbranch_vccnz .LBB83_109
; %bb.108:
	v_add_co_u32 v58, vcc_lo, v68, v16
	v_add_co_ci_u32_e64 v59, null, v69, v17, vcc_lo
	global_load_dword v58, v[58:59], off
	s_waitcnt vmcnt(0)
	v_mul_f32_e32 v58, s22, v58
	s_branch .LBB83_110
.LBB83_109:
	v_mov_b32_e32 v58, 0
.LBB83_110:
	v_add_f32_e32 v56, v56, v57
	v_add_co_u32 v16, vcc_lo, v66, v16
	v_add_co_ci_u32_e64 v17, null, v67, v17, vcc_lo
	v_add_f32_e32 v56, v56, v58
	global_store_dword v[16:17], v56, off
	s_or_b32 exec_lo, exec_lo, s12
	s_and_b32 s15, s5, s8
	s_and_saveexec_b32 s12, s15
	s_cbranch_execz .LBB83_89
.LBB83_111:
	v_cmp_ne_u32_e32 vcc_lo, 1, v70
	v_lshlrev_b64 v[16:17], 2, v[10:11]
	s_cbranch_vccnz .LBB83_113
; %bb.112:
	v_add_co_u32 v56, vcc_lo, v68, v16
	v_add_co_ci_u32_e64 v57, null, v69, v17, vcc_lo
	global_load_dword v56, v[56:57], off
	s_waitcnt vmcnt(0)
	v_mul_f32_e32 v56, s22, v56
	s_branch .LBB83_114
.LBB83_113:
	v_mov_b32_e32 v56, 0
.LBB83_114:
	v_add_f32_e32 v54, v54, v55
	v_add_co_u32 v16, vcc_lo, v66, v16
	v_add_co_ci_u32_e64 v17, null, v67, v17, vcc_lo
	v_add_f32_e32 v54, v54, v56
	global_store_dword v[16:17], v54, off
	s_or_b32 exec_lo, exec_lo, s12
	s_and_b32 s15, s6, s8
	s_and_saveexec_b32 s12, s15
	s_cbranch_execz .LBB83_90
.LBB83_115:
	v_cmp_ne_u32_e32 vcc_lo, 1, v70
	v_lshlrev_b64 v[16:17], 2, v[12:13]
	s_cbranch_vccnz .LBB83_117
; %bb.116:
	v_add_co_u32 v54, vcc_lo, v68, v16
	v_add_co_ci_u32_e64 v55, null, v69, v17, vcc_lo
	global_load_dword v54, v[54:55], off
	s_waitcnt vmcnt(0)
	v_mul_f32_e32 v54, s22, v54
	s_branch .LBB83_118
.LBB83_117:
	v_mov_b32_e32 v54, 0
.LBB83_118:
	v_add_f32_e32 v52, v52, v53
	v_add_co_u32 v16, vcc_lo, v66, v16
	v_add_co_ci_u32_e64 v17, null, v67, v17, vcc_lo
	v_add_f32_e32 v52, v52, v54
	global_store_dword v[16:17], v52, off
	s_or_b32 exec_lo, exec_lo, s12
	s_and_b32 s12, s7, s8
	s_and_saveexec_b32 s8, s12
	s_cbranch_execz .LBB83_123
.LBB83_119:
	v_cmp_ne_u32_e32 vcc_lo, 1, v70
	v_lshlrev_b64 v[16:17], 2, v[14:15]
	s_cbranch_vccnz .LBB83_121
; %bb.120:
	v_add_co_u32 v52, vcc_lo, v68, v16
	v_add_co_ci_u32_e64 v53, null, v69, v17, vcc_lo
	global_load_dword v52, v[52:53], off
	s_waitcnt vmcnt(0)
	v_mul_f32_e32 v52, s22, v52
	s_branch .LBB83_122
.LBB83_121:
	v_mov_b32_e32 v52, 0
.LBB83_122:
	v_add_f32_e32 v50, v50, v51
	v_add_co_u32 v16, vcc_lo, v66, v16
	v_add_co_ci_u32_e64 v17, null, v67, v17, vcc_lo
	v_add_f32_e32 v50, v50, v52
	global_store_dword v[16:17], v50, off
.LBB83_123:
	s_or_b32 exec_lo, exec_lo, s8
	v_add_nc_u32_e32 v52, 64, v71
	v_mad_i64_i32 v[16:17], null, v52, s14, 0
	v_mad_i64_i32 v[50:51], null, v52, s9, 0
	v_cmp_gt_i32_e64 s8, s13, v52
	v_lshlrev_b64 v[16:17], 2, v[16:17]
	s_and_b32 s15, s0, s8
	v_lshlrev_b64 v[50:51], 2, v[50:51]
	v_add_co_u32 v52, vcc_lo, s16, v16
	v_add_co_ci_u32_e64 v53, null, s17, v17, vcc_lo
	v_add_co_u32 v50, vcc_lo, s10, v50
	v_add_co_ci_u32_e64 v51, null, s11, v51, vcc_lo
	s_and_saveexec_b32 s12, s15
	s_cbranch_execnz .LBB83_131
; %bb.124:
	s_or_b32 exec_lo, exec_lo, s12
	s_and_b32 s15, s1, s8
	s_and_saveexec_b32 s12, s15
	s_cbranch_execnz .LBB83_135
.LBB83_125:
	s_or_b32 exec_lo, exec_lo, s12
	s_and_b32 s15, s2, s8
	s_and_saveexec_b32 s12, s15
	s_cbranch_execnz .LBB83_139
.LBB83_126:
	s_or_b32 exec_lo, exec_lo, s12
	s_and_b32 s15, s3, s8
	s_and_saveexec_b32 s12, s15
	s_cbranch_execnz .LBB83_143
.LBB83_127:
	s_or_b32 exec_lo, exec_lo, s12
	s_and_b32 s15, s4, s8
	s_and_saveexec_b32 s12, s15
	s_cbranch_execnz .LBB83_147
.LBB83_128:
	s_or_b32 exec_lo, exec_lo, s12
	s_and_b32 s15, s5, s8
	s_and_saveexec_b32 s12, s15
	s_cbranch_execnz .LBB83_151
.LBB83_129:
	s_or_b32 exec_lo, exec_lo, s12
	s_and_b32 s15, s6, s8
	s_and_saveexec_b32 s12, s15
	s_cbranch_execnz .LBB83_155
.LBB83_130:
	s_or_b32 exec_lo, exec_lo, s12
	s_and_b32 s12, s7, s8
	s_and_saveexec_b32 s8, s12
	s_cbranch_execnz .LBB83_159
	s_branch .LBB83_163
.LBB83_131:
	v_cmp_ne_u32_e32 vcc_lo, 1, v70
	v_lshlrev_b64 v[16:17], 2, v[0:1]
	s_cbranch_vccnz .LBB83_133
; %bb.132:
	v_add_co_u32 v54, vcc_lo, v52, v16
	v_add_co_ci_u32_e64 v55, null, v53, v17, vcc_lo
	global_load_dword v54, v[54:55], off
	s_waitcnt vmcnt(0)
	v_mul_f32_e32 v54, s22, v54
	s_branch .LBB83_134
.LBB83_133:
	v_mov_b32_e32 v54, 0
.LBB83_134:
	v_add_f32_e32 v48, v48, v49
	v_add_co_u32 v16, vcc_lo, v50, v16
	v_add_co_ci_u32_e64 v17, null, v51, v17, vcc_lo
	v_add_f32_e32 v48, v48, v54
	global_store_dword v[16:17], v48, off
	s_or_b32 exec_lo, exec_lo, s12
	s_and_b32 s15, s1, s8
	s_and_saveexec_b32 s12, s15
	s_cbranch_execz .LBB83_125
.LBB83_135:
	v_cmp_ne_u32_e32 vcc_lo, 1, v70
	v_lshlrev_b64 v[16:17], 2, v[2:3]
	s_cbranch_vccnz .LBB83_137
; %bb.136:
	v_add_co_u32 v48, vcc_lo, v52, v16
	v_add_co_ci_u32_e64 v49, null, v53, v17, vcc_lo
	global_load_dword v48, v[48:49], off
	s_waitcnt vmcnt(0)
	v_mul_f32_e32 v48, s22, v48
	s_branch .LBB83_138
.LBB83_137:
	v_mov_b32_e32 v48, 0
.LBB83_138:
	v_add_f32_e32 v46, v46, v47
	v_add_co_u32 v16, vcc_lo, v50, v16
	v_add_co_ci_u32_e64 v17, null, v51, v17, vcc_lo
	v_add_f32_e32 v46, v46, v48
	global_store_dword v[16:17], v46, off
	s_or_b32 exec_lo, exec_lo, s12
	s_and_b32 s15, s2, s8
	s_and_saveexec_b32 s12, s15
	s_cbranch_execz .LBB83_126
.LBB83_139:
	v_cmp_ne_u32_e32 vcc_lo, 1, v70
	v_lshlrev_b64 v[16:17], 2, v[4:5]
	s_cbranch_vccnz .LBB83_141
; %bb.140:
	v_add_co_u32 v46, vcc_lo, v52, v16
	v_add_co_ci_u32_e64 v47, null, v53, v17, vcc_lo
	global_load_dword v46, v[46:47], off
	s_waitcnt vmcnt(0)
	v_mul_f32_e32 v46, s22, v46
	s_branch .LBB83_142
.LBB83_141:
	v_mov_b32_e32 v46, 0
.LBB83_142:
	v_add_f32_e32 v44, v44, v45
	v_add_co_u32 v16, vcc_lo, v50, v16
	v_add_co_ci_u32_e64 v17, null, v51, v17, vcc_lo
	v_add_f32_e32 v44, v44, v46
	global_store_dword v[16:17], v44, off
	s_or_b32 exec_lo, exec_lo, s12
	s_and_b32 s15, s3, s8
	s_and_saveexec_b32 s12, s15
	s_cbranch_execz .LBB83_127
.LBB83_143:
	v_cmp_ne_u32_e32 vcc_lo, 1, v70
	v_lshlrev_b64 v[16:17], 2, v[6:7]
	s_cbranch_vccnz .LBB83_145
; %bb.144:
	v_add_co_u32 v44, vcc_lo, v52, v16
	v_add_co_ci_u32_e64 v45, null, v53, v17, vcc_lo
	global_load_dword v44, v[44:45], off
	s_waitcnt vmcnt(0)
	v_mul_f32_e32 v44, s22, v44
	s_branch .LBB83_146
.LBB83_145:
	v_mov_b32_e32 v44, 0
.LBB83_146:
	v_add_f32_e32 v42, v42, v43
	v_add_co_u32 v16, vcc_lo, v50, v16
	v_add_co_ci_u32_e64 v17, null, v51, v17, vcc_lo
	v_add_f32_e32 v42, v42, v44
	global_store_dword v[16:17], v42, off
	s_or_b32 exec_lo, exec_lo, s12
	s_and_b32 s15, s4, s8
	s_and_saveexec_b32 s12, s15
	s_cbranch_execz .LBB83_128
.LBB83_147:
	v_cmp_ne_u32_e32 vcc_lo, 1, v70
	v_lshlrev_b64 v[16:17], 2, v[8:9]
	s_cbranch_vccnz .LBB83_149
; %bb.148:
	v_add_co_u32 v42, vcc_lo, v52, v16
	v_add_co_ci_u32_e64 v43, null, v53, v17, vcc_lo
	global_load_dword v42, v[42:43], off
	s_waitcnt vmcnt(0)
	v_mul_f32_e32 v42, s22, v42
	s_branch .LBB83_150
.LBB83_149:
	v_mov_b32_e32 v42, 0
.LBB83_150:
	v_add_f32_e32 v40, v40, v41
	v_add_co_u32 v16, vcc_lo, v50, v16
	v_add_co_ci_u32_e64 v17, null, v51, v17, vcc_lo
	v_add_f32_e32 v40, v40, v42
	global_store_dword v[16:17], v40, off
	s_or_b32 exec_lo, exec_lo, s12
	s_and_b32 s15, s5, s8
	s_and_saveexec_b32 s12, s15
	s_cbranch_execz .LBB83_129
.LBB83_151:
	v_cmp_ne_u32_e32 vcc_lo, 1, v70
	v_lshlrev_b64 v[16:17], 2, v[10:11]
	s_cbranch_vccnz .LBB83_153
; %bb.152:
	v_add_co_u32 v40, vcc_lo, v52, v16
	v_add_co_ci_u32_e64 v41, null, v53, v17, vcc_lo
	global_load_dword v40, v[40:41], off
	s_waitcnt vmcnt(0)
	v_mul_f32_e32 v40, s22, v40
	s_branch .LBB83_154
.LBB83_153:
	v_mov_b32_e32 v40, 0
.LBB83_154:
	v_add_f32_e32 v38, v38, v39
	v_add_co_u32 v16, vcc_lo, v50, v16
	v_add_co_ci_u32_e64 v17, null, v51, v17, vcc_lo
	v_add_f32_e32 v38, v38, v40
	global_store_dword v[16:17], v38, off
	s_or_b32 exec_lo, exec_lo, s12
	s_and_b32 s15, s6, s8
	s_and_saveexec_b32 s12, s15
	s_cbranch_execz .LBB83_130
.LBB83_155:
	v_cmp_ne_u32_e32 vcc_lo, 1, v70
	v_lshlrev_b64 v[16:17], 2, v[12:13]
	s_cbranch_vccnz .LBB83_157
; %bb.156:
	v_add_co_u32 v38, vcc_lo, v52, v16
	v_add_co_ci_u32_e64 v39, null, v53, v17, vcc_lo
	global_load_dword v38, v[38:39], off
	s_waitcnt vmcnt(0)
	v_mul_f32_e32 v38, s22, v38
	s_branch .LBB83_158
.LBB83_157:
	v_mov_b32_e32 v38, 0
.LBB83_158:
	v_add_f32_e32 v36, v36, v37
	v_add_co_u32 v16, vcc_lo, v50, v16
	v_add_co_ci_u32_e64 v17, null, v51, v17, vcc_lo
	v_add_f32_e32 v36, v36, v38
	global_store_dword v[16:17], v36, off
	s_or_b32 exec_lo, exec_lo, s12
	s_and_b32 s12, s7, s8
	s_and_saveexec_b32 s8, s12
	s_cbranch_execz .LBB83_163
.LBB83_159:
	v_cmp_ne_u32_e32 vcc_lo, 1, v70
	v_lshlrev_b64 v[16:17], 2, v[14:15]
	s_cbranch_vccnz .LBB83_161
; %bb.160:
	v_add_co_u32 v36, vcc_lo, v52, v16
	v_add_co_ci_u32_e64 v37, null, v53, v17, vcc_lo
	global_load_dword v36, v[36:37], off
	s_waitcnt vmcnt(0)
	v_mul_f32_e32 v36, s22, v36
	s_branch .LBB83_162
.LBB83_161:
	v_mov_b32_e32 v36, 0
.LBB83_162:
	v_add_f32_e32 v34, v34, v35
	v_add_co_u32 v16, vcc_lo, v50, v16
	v_add_co_ci_u32_e64 v17, null, v51, v17, vcc_lo
	v_add_f32_e32 v34, v34, v36
	global_store_dword v[16:17], v34, off
.LBB83_163:
	s_or_b32 exec_lo, exec_lo, s8
	v_add_nc_u32_e32 v36, 0x60, v71
	v_mad_i64_i32 v[16:17], null, v36, s14, 0
	v_mad_i64_i32 v[34:35], null, v36, s9, 0
	v_cmp_gt_i32_e64 s8, s13, v36
	v_lshlrev_b64 v[16:17], 2, v[16:17]
	s_and_b32 s9, s0, s8
	v_lshlrev_b64 v[36:37], 2, v[34:35]
	v_add_co_u32 v34, vcc_lo, s16, v16
	v_add_co_ci_u32_e64 v35, null, s17, v17, vcc_lo
	v_add_co_u32 v16, vcc_lo, s10, v36
	v_add_co_ci_u32_e64 v17, null, s11, v37, vcc_lo
	s_and_saveexec_b32 s0, s9
	s_cbranch_execnz .LBB83_172
; %bb.164:
	s_or_b32 exec_lo, exec_lo, s0
	s_and_b32 s1, s1, s8
	s_and_saveexec_b32 s0, s1
	s_cbranch_execnz .LBB83_176
.LBB83_165:
	s_or_b32 exec_lo, exec_lo, s0
	s_and_b32 s1, s2, s8
	s_and_saveexec_b32 s0, s1
	s_cbranch_execnz .LBB83_180
.LBB83_166:
	s_or_b32 exec_lo, exec_lo, s0
	s_and_b32 s1, s3, s8
	s_and_saveexec_b32 s0, s1
	s_cbranch_execnz .LBB83_184
.LBB83_167:
	s_or_b32 exec_lo, exec_lo, s0
	s_and_b32 s1, s4, s8
	s_and_saveexec_b32 s0, s1
	s_cbranch_execnz .LBB83_188
.LBB83_168:
	s_or_b32 exec_lo, exec_lo, s0
	s_and_b32 s1, s5, s8
	s_and_saveexec_b32 s0, s1
	s_cbranch_execnz .LBB83_192
.LBB83_169:
	s_or_b32 exec_lo, exec_lo, s0
	s_and_b32 s1, s6, s8
	s_and_saveexec_b32 s0, s1
	s_cbranch_execnz .LBB83_196
.LBB83_170:
	s_or_b32 exec_lo, exec_lo, s0
	s_and_b32 s0, s7, s8
	s_and_saveexec_b32 s1, s0
	s_cbranch_execnz .LBB83_200
.LBB83_171:
	s_endpgm
.LBB83_172:
	v_cmp_ne_u32_e32 vcc_lo, 1, v70
	v_lshlrev_b64 v[0:1], 2, v[0:1]
	s_cbranch_vccnz .LBB83_174
; %bb.173:
	v_add_co_u32 v36, vcc_lo, v34, v0
	v_add_co_ci_u32_e64 v37, null, v35, v1, vcc_lo
	global_load_dword v36, v[36:37], off
	s_waitcnt vmcnt(0)
	v_mul_f32_e32 v36, s22, v36
	s_branch .LBB83_175
.LBB83_174:
	v_mov_b32_e32 v36, 0
.LBB83_175:
	v_add_f32_e32 v32, v32, v33
	v_add_co_u32 v0, vcc_lo, v16, v0
	v_add_co_ci_u32_e64 v1, null, v17, v1, vcc_lo
	v_add_f32_e32 v32, v32, v36
	global_store_dword v[0:1], v32, off
	s_or_b32 exec_lo, exec_lo, s0
	s_and_b32 s1, s1, s8
	s_and_saveexec_b32 s0, s1
	s_cbranch_execz .LBB83_165
.LBB83_176:
	v_cmp_ne_u32_e32 vcc_lo, 1, v70
	v_lshlrev_b64 v[0:1], 2, v[2:3]
	s_cbranch_vccnz .LBB83_178
; %bb.177:
	v_add_co_u32 v2, vcc_lo, v34, v0
	v_add_co_ci_u32_e64 v3, null, v35, v1, vcc_lo
	global_load_dword v2, v[2:3], off
	s_waitcnt vmcnt(0)
	v_mul_f32_e32 v2, s22, v2
	s_branch .LBB83_179
.LBB83_178:
	v_mov_b32_e32 v2, 0
.LBB83_179:
	v_add_f32_e32 v3, v30, v31
	v_add_co_u32 v0, vcc_lo, v16, v0
	v_add_co_ci_u32_e64 v1, null, v17, v1, vcc_lo
	v_add_f32_e32 v2, v3, v2
	global_store_dword v[0:1], v2, off
	s_or_b32 exec_lo, exec_lo, s0
	s_and_b32 s1, s2, s8
	s_and_saveexec_b32 s0, s1
	s_cbranch_execz .LBB83_166
.LBB83_180:
	v_cmp_ne_u32_e32 vcc_lo, 1, v70
	v_lshlrev_b64 v[0:1], 2, v[4:5]
	s_cbranch_vccnz .LBB83_182
; %bb.181:
	v_add_co_u32 v2, vcc_lo, v34, v0
	v_add_co_ci_u32_e64 v3, null, v35, v1, vcc_lo
	global_load_dword v2, v[2:3], off
	s_waitcnt vmcnt(0)
	v_mul_f32_e32 v2, s22, v2
	s_branch .LBB83_183
.LBB83_182:
	v_mov_b32_e32 v2, 0
.LBB83_183:
	v_add_f32_e32 v3, v28, v29
	v_add_co_u32 v0, vcc_lo, v16, v0
	v_add_co_ci_u32_e64 v1, null, v17, v1, vcc_lo
	v_add_f32_e32 v2, v3, v2
	global_store_dword v[0:1], v2, off
	s_or_b32 exec_lo, exec_lo, s0
	s_and_b32 s1, s3, s8
	s_and_saveexec_b32 s0, s1
	s_cbranch_execz .LBB83_167
.LBB83_184:
	v_cmp_ne_u32_e32 vcc_lo, 1, v70
	v_lshlrev_b64 v[0:1], 2, v[6:7]
	s_cbranch_vccnz .LBB83_186
; %bb.185:
	v_add_co_u32 v2, vcc_lo, v34, v0
	v_add_co_ci_u32_e64 v3, null, v35, v1, vcc_lo
	global_load_dword v2, v[2:3], off
	s_waitcnt vmcnt(0)
	v_mul_f32_e32 v2, s22, v2
	s_branch .LBB83_187
.LBB83_186:
	v_mov_b32_e32 v2, 0
.LBB83_187:
	v_add_f32_e32 v3, v26, v27
	v_add_co_u32 v0, vcc_lo, v16, v0
	v_add_co_ci_u32_e64 v1, null, v17, v1, vcc_lo
	v_add_f32_e32 v2, v3, v2
	global_store_dword v[0:1], v2, off
	s_or_b32 exec_lo, exec_lo, s0
	s_and_b32 s1, s4, s8
	s_and_saveexec_b32 s0, s1
	s_cbranch_execz .LBB83_168
.LBB83_188:
	v_cmp_ne_u32_e32 vcc_lo, 1, v70
	v_lshlrev_b64 v[0:1], 2, v[8:9]
	s_cbranch_vccnz .LBB83_190
; %bb.189:
	v_add_co_u32 v2, vcc_lo, v34, v0
	v_add_co_ci_u32_e64 v3, null, v35, v1, vcc_lo
	global_load_dword v2, v[2:3], off
	s_waitcnt vmcnt(0)
	v_mul_f32_e32 v2, s22, v2
	s_branch .LBB83_191
.LBB83_190:
	v_mov_b32_e32 v2, 0
.LBB83_191:
	v_add_f32_e32 v3, v24, v25
	v_add_co_u32 v0, vcc_lo, v16, v0
	v_add_co_ci_u32_e64 v1, null, v17, v1, vcc_lo
	v_add_f32_e32 v2, v3, v2
	global_store_dword v[0:1], v2, off
	s_or_b32 exec_lo, exec_lo, s0
	s_and_b32 s1, s5, s8
	s_and_saveexec_b32 s0, s1
	s_cbranch_execz .LBB83_169
.LBB83_192:
	v_cmp_ne_u32_e32 vcc_lo, 1, v70
	v_lshlrev_b64 v[0:1], 2, v[10:11]
	s_cbranch_vccnz .LBB83_194
; %bb.193:
	v_add_co_u32 v2, vcc_lo, v34, v0
	v_add_co_ci_u32_e64 v3, null, v35, v1, vcc_lo
	global_load_dword v2, v[2:3], off
	s_waitcnt vmcnt(0)
	v_mul_f32_e32 v2, s22, v2
	s_branch .LBB83_195
.LBB83_194:
	v_mov_b32_e32 v2, 0
.LBB83_195:
	v_add_f32_e32 v3, v22, v23
	v_add_co_u32 v0, vcc_lo, v16, v0
	v_add_co_ci_u32_e64 v1, null, v17, v1, vcc_lo
	v_add_f32_e32 v2, v3, v2
	global_store_dword v[0:1], v2, off
	s_or_b32 exec_lo, exec_lo, s0
	s_and_b32 s1, s6, s8
	s_and_saveexec_b32 s0, s1
	s_cbranch_execz .LBB83_170
.LBB83_196:
	v_cmp_ne_u32_e32 vcc_lo, 1, v70
	v_lshlrev_b64 v[0:1], 2, v[12:13]
	s_cbranch_vccnz .LBB83_198
; %bb.197:
	v_add_co_u32 v2, vcc_lo, v34, v0
	v_add_co_ci_u32_e64 v3, null, v35, v1, vcc_lo
	global_load_dword v2, v[2:3], off
	s_waitcnt vmcnt(0)
	v_mul_f32_e32 v2, s22, v2
	s_branch .LBB83_199
.LBB83_198:
	v_mov_b32_e32 v2, 0
.LBB83_199:
	v_add_f32_e32 v3, v20, v21
	v_add_co_u32 v0, vcc_lo, v16, v0
	v_add_co_ci_u32_e64 v1, null, v17, v1, vcc_lo
	v_add_f32_e32 v2, v3, v2
	global_store_dword v[0:1], v2, off
	s_or_b32 exec_lo, exec_lo, s0
	s_and_b32 s0, s7, s8
	s_and_saveexec_b32 s1, s0
	s_cbranch_execz .LBB83_171
.LBB83_200:
	v_cmp_ne_u32_e32 vcc_lo, 1, v70
	v_lshlrev_b64 v[0:1], 2, v[14:15]
	s_cbranch_vccnz .LBB83_202
; %bb.201:
	v_add_co_u32 v2, vcc_lo, v34, v0
	v_add_co_ci_u32_e64 v3, null, v35, v1, vcc_lo
	global_load_dword v2, v[2:3], off
	s_waitcnt vmcnt(0)
	v_mul_f32_e32 v2, s22, v2
	s_branch .LBB83_203
.LBB83_202:
	v_mov_b32_e32 v2, 0
.LBB83_203:
	v_add_f32_e32 v3, v18, v19
	v_add_co_u32 v0, vcc_lo, v16, v0
	v_add_co_ci_u32_e64 v1, null, v17, v1, vcc_lo
	v_add_f32_e32 v2, v3, v2
	global_store_dword v[0:1], v2, off
	s_endpgm
	.section	.rodata,"a",@progbits
	.p2align	6, 0x0
	.amdhsa_kernel _ZN12_GLOBAL__N_120geam_min_plus_kernelIf15HIP_vector_typeIfLj2EES2_Li8ELi32ELi64ELi128ELi4ELi64ELi4ELi4ELi64ELc78ELc78ELb0ELb1ELb0EfKffEEviiiT16_PT17_ilS6_ilS4_S6_ilPT18_ili26rocblas_geam_ex_operation_
		.amdhsa_group_segment_fixed_size 6144
		.amdhsa_private_segment_fixed_size 0
		.amdhsa_kernarg_size 128
		.amdhsa_user_sgpr_count 6
		.amdhsa_user_sgpr_private_segment_buffer 1
		.amdhsa_user_sgpr_dispatch_ptr 0
		.amdhsa_user_sgpr_queue_ptr 0
		.amdhsa_user_sgpr_kernarg_segment_ptr 1
		.amdhsa_user_sgpr_dispatch_id 0
		.amdhsa_user_sgpr_flat_scratch_init 0
		.amdhsa_user_sgpr_private_segment_size 0
		.amdhsa_wavefront_size32 1
		.amdhsa_uses_dynamic_stack 0
		.amdhsa_system_sgpr_private_segment_wavefront_offset 0
		.amdhsa_system_sgpr_workgroup_id_x 1
		.amdhsa_system_sgpr_workgroup_id_y 0
		.amdhsa_system_sgpr_workgroup_id_z 1
		.amdhsa_system_sgpr_workgroup_info 0
		.amdhsa_system_vgpr_workitem_id 1
		.amdhsa_next_free_vgpr 112
		.amdhsa_next_free_sgpr 29
		.amdhsa_reserve_vcc 1
		.amdhsa_reserve_flat_scratch 0
		.amdhsa_float_round_mode_32 0
		.amdhsa_float_round_mode_16_64 0
		.amdhsa_float_denorm_mode_32 3
		.amdhsa_float_denorm_mode_16_64 3
		.amdhsa_dx10_clamp 1
		.amdhsa_ieee_mode 1
		.amdhsa_fp16_overflow 0
		.amdhsa_workgroup_processor_mode 1
		.amdhsa_memory_ordered 1
		.amdhsa_forward_progress 1
		.amdhsa_shared_vgpr_count 0
		.amdhsa_exception_fp_ieee_invalid_op 0
		.amdhsa_exception_fp_denorm_src 0
		.amdhsa_exception_fp_ieee_div_zero 0
		.amdhsa_exception_fp_ieee_overflow 0
		.amdhsa_exception_fp_ieee_underflow 0
		.amdhsa_exception_fp_ieee_inexact 0
		.amdhsa_exception_int_div_zero 0
	.end_amdhsa_kernel
	.section	.text._ZN12_GLOBAL__N_120geam_min_plus_kernelIf15HIP_vector_typeIfLj2EES2_Li8ELi32ELi64ELi128ELi4ELi64ELi4ELi4ELi64ELc78ELc78ELb0ELb1ELb0EfKffEEviiiT16_PT17_ilS6_ilS4_S6_ilPT18_ili26rocblas_geam_ex_operation_,"axG",@progbits,_ZN12_GLOBAL__N_120geam_min_plus_kernelIf15HIP_vector_typeIfLj2EES2_Li8ELi32ELi64ELi128ELi4ELi64ELi4ELi4ELi64ELc78ELc78ELb0ELb1ELb0EfKffEEviiiT16_PT17_ilS6_ilS4_S6_ilPT18_ili26rocblas_geam_ex_operation_,comdat
.Lfunc_end83:
	.size	_ZN12_GLOBAL__N_120geam_min_plus_kernelIf15HIP_vector_typeIfLj2EES2_Li8ELi32ELi64ELi128ELi4ELi64ELi4ELi4ELi64ELc78ELc78ELb0ELb1ELb0EfKffEEviiiT16_PT17_ilS6_ilS4_S6_ilPT18_ili26rocblas_geam_ex_operation_, .Lfunc_end83-_ZN12_GLOBAL__N_120geam_min_plus_kernelIf15HIP_vector_typeIfLj2EES2_Li8ELi32ELi64ELi128ELi4ELi64ELi4ELi4ELi64ELc78ELc78ELb0ELb1ELb0EfKffEEviiiT16_PT17_ilS6_ilS4_S6_ilPT18_ili26rocblas_geam_ex_operation_
                                        ; -- End function
	.set _ZN12_GLOBAL__N_120geam_min_plus_kernelIf15HIP_vector_typeIfLj2EES2_Li8ELi32ELi64ELi128ELi4ELi64ELi4ELi4ELi64ELc78ELc78ELb0ELb1ELb0EfKffEEviiiT16_PT17_ilS6_ilS4_S6_ilPT18_ili26rocblas_geam_ex_operation_.num_vgpr, 112
	.set _ZN12_GLOBAL__N_120geam_min_plus_kernelIf15HIP_vector_typeIfLj2EES2_Li8ELi32ELi64ELi128ELi4ELi64ELi4ELi4ELi64ELc78ELc78ELb0ELb1ELb0EfKffEEviiiT16_PT17_ilS6_ilS4_S6_ilPT18_ili26rocblas_geam_ex_operation_.num_agpr, 0
	.set _ZN12_GLOBAL__N_120geam_min_plus_kernelIf15HIP_vector_typeIfLj2EES2_Li8ELi32ELi64ELi128ELi4ELi64ELi4ELi4ELi64ELc78ELc78ELb0ELb1ELb0EfKffEEviiiT16_PT17_ilS6_ilS4_S6_ilPT18_ili26rocblas_geam_ex_operation_.numbered_sgpr, 29
	.set _ZN12_GLOBAL__N_120geam_min_plus_kernelIf15HIP_vector_typeIfLj2EES2_Li8ELi32ELi64ELi128ELi4ELi64ELi4ELi4ELi64ELc78ELc78ELb0ELb1ELb0EfKffEEviiiT16_PT17_ilS6_ilS4_S6_ilPT18_ili26rocblas_geam_ex_operation_.num_named_barrier, 0
	.set _ZN12_GLOBAL__N_120geam_min_plus_kernelIf15HIP_vector_typeIfLj2EES2_Li8ELi32ELi64ELi128ELi4ELi64ELi4ELi4ELi64ELc78ELc78ELb0ELb1ELb0EfKffEEviiiT16_PT17_ilS6_ilS4_S6_ilPT18_ili26rocblas_geam_ex_operation_.private_seg_size, 0
	.set _ZN12_GLOBAL__N_120geam_min_plus_kernelIf15HIP_vector_typeIfLj2EES2_Li8ELi32ELi64ELi128ELi4ELi64ELi4ELi4ELi64ELc78ELc78ELb0ELb1ELb0EfKffEEviiiT16_PT17_ilS6_ilS4_S6_ilPT18_ili26rocblas_geam_ex_operation_.uses_vcc, 1
	.set _ZN12_GLOBAL__N_120geam_min_plus_kernelIf15HIP_vector_typeIfLj2EES2_Li8ELi32ELi64ELi128ELi4ELi64ELi4ELi4ELi64ELc78ELc78ELb0ELb1ELb0EfKffEEviiiT16_PT17_ilS6_ilS4_S6_ilPT18_ili26rocblas_geam_ex_operation_.uses_flat_scratch, 0
	.set _ZN12_GLOBAL__N_120geam_min_plus_kernelIf15HIP_vector_typeIfLj2EES2_Li8ELi32ELi64ELi128ELi4ELi64ELi4ELi4ELi64ELc78ELc78ELb0ELb1ELb0EfKffEEviiiT16_PT17_ilS6_ilS4_S6_ilPT18_ili26rocblas_geam_ex_operation_.has_dyn_sized_stack, 0
	.set _ZN12_GLOBAL__N_120geam_min_plus_kernelIf15HIP_vector_typeIfLj2EES2_Li8ELi32ELi64ELi128ELi4ELi64ELi4ELi4ELi64ELc78ELc78ELb0ELb1ELb0EfKffEEviiiT16_PT17_ilS6_ilS4_S6_ilPT18_ili26rocblas_geam_ex_operation_.has_recursion, 0
	.set _ZN12_GLOBAL__N_120geam_min_plus_kernelIf15HIP_vector_typeIfLj2EES2_Li8ELi32ELi64ELi128ELi4ELi64ELi4ELi4ELi64ELc78ELc78ELb0ELb1ELb0EfKffEEviiiT16_PT17_ilS6_ilS4_S6_ilPT18_ili26rocblas_geam_ex_operation_.has_indirect_call, 0
	.section	.AMDGPU.csdata,"",@progbits
; Kernel info:
; codeLenInByte = 9124
; TotalNumSgprs: 31
; NumVgprs: 112
; ScratchSize: 0
; MemoryBound: 0
; FloatMode: 240
; IeeeMode: 1
; LDSByteSize: 6144 bytes/workgroup (compile time only)
; SGPRBlocks: 0
; VGPRBlocks: 13
; NumSGPRsForWavesPerEU: 31
; NumVGPRsForWavesPerEU: 112
; Occupancy: 9
; WaveLimiterHint : 0
; COMPUTE_PGM_RSRC2:SCRATCH_EN: 0
; COMPUTE_PGM_RSRC2:USER_SGPR: 6
; COMPUTE_PGM_RSRC2:TRAP_HANDLER: 0
; COMPUTE_PGM_RSRC2:TGID_X_EN: 1
; COMPUTE_PGM_RSRC2:TGID_Y_EN: 0
; COMPUTE_PGM_RSRC2:TGID_Z_EN: 1
; COMPUTE_PGM_RSRC2:TIDIG_COMP_CNT: 1
	.section	.text._ZN12_GLOBAL__N_120geam_min_plus_kernelIf15HIP_vector_typeIfLj2EES2_Li8ELi32ELi64ELi128ELi4ELi4ELi64ELi4ELi64ELc84ELc78ELb0ELb0ELb0EPKfS3_fEEviiiT16_PT17_ilS7_ilS5_S7_ilPT18_ili26rocblas_geam_ex_operation_,"axG",@progbits,_ZN12_GLOBAL__N_120geam_min_plus_kernelIf15HIP_vector_typeIfLj2EES2_Li8ELi32ELi64ELi128ELi4ELi4ELi64ELi4ELi64ELc84ELc78ELb0ELb0ELb0EPKfS3_fEEviiiT16_PT17_ilS7_ilS5_S7_ilPT18_ili26rocblas_geam_ex_operation_,comdat
	.globl	_ZN12_GLOBAL__N_120geam_min_plus_kernelIf15HIP_vector_typeIfLj2EES2_Li8ELi32ELi64ELi128ELi4ELi4ELi64ELi4ELi64ELc84ELc78ELb0ELb0ELb0EPKfS3_fEEviiiT16_PT17_ilS7_ilS5_S7_ilPT18_ili26rocblas_geam_ex_operation_ ; -- Begin function _ZN12_GLOBAL__N_120geam_min_plus_kernelIf15HIP_vector_typeIfLj2EES2_Li8ELi32ELi64ELi128ELi4ELi4ELi64ELi4ELi64ELc84ELc78ELb0ELb0ELb0EPKfS3_fEEviiiT16_PT17_ilS7_ilS5_S7_ilPT18_ili26rocblas_geam_ex_operation_
	.p2align	8
	.type	_ZN12_GLOBAL__N_120geam_min_plus_kernelIf15HIP_vector_typeIfLj2EES2_Li8ELi32ELi64ELi128ELi4ELi4ELi64ELi4ELi64ELc84ELc78ELb0ELb0ELb0EPKfS3_fEEviiiT16_PT17_ilS7_ilS5_S7_ilPT18_ili26rocblas_geam_ex_operation_,@function
_ZN12_GLOBAL__N_120geam_min_plus_kernelIf15HIP_vector_typeIfLj2EES2_Li8ELi32ELi64ELi128ELi4ELi4ELi64ELi4ELi64ELc84ELc78ELb0ELb0ELb0EPKfS3_fEEviiiT16_PT17_ilS7_ilS5_S7_ilPT18_ili26rocblas_geam_ex_operation_: ; @_ZN12_GLOBAL__N_120geam_min_plus_kernelIf15HIP_vector_typeIfLj2EES2_Li8ELi32ELi64ELi128ELi4ELi4ELi64ELi4ELi64ELc84ELc78ELb0ELb0ELb0EPKfS3_fEEviiiT16_PT17_ilS7_ilS5_S7_ilPT18_ili26rocblas_geam_ex_operation_
; %bb.0:
	s_clause 0x1
	s_load_dwordx4 s[0:3], s[4:5], 0x10
	s_load_dwordx4 s[8:11], s[4:5], 0x28
	s_mov_b32 s16, s7
	s_mov_b32 s17, 0
	s_lshl_b64 s[18:19], s[16:17], 2
	s_waitcnt lgkmcnt(0)
	s_add_u32 s0, s0, s18
	s_addc_u32 s1, s1, s19
	s_load_dword s17, s[0:1], 0x0
	s_clause 0x1
	s_load_dwordx4 s[12:15], s[4:5], 0x40
	s_load_dwordx2 s[20:21], s[4:5], 0x50
	s_waitcnt lgkmcnt(0)
	v_cmp_eq_f32_e64 s1, s17, 0
	s_add_u32 s22, s14, s18
	v_cmp_neq_f32_e64 s0, s17, 0
	s_addc_u32 s23, s15, s19
	s_mov_b64 s[14:15], 0
	s_and_b32 s1, exec_lo, s1
	s_mov_b64 s[18:19], 0
	s_mov_b32 vcc_lo, s1
	s_cbranch_vccnz .LBB84_2
; %bb.1:
	s_mul_i32 s7, s9, s16
	s_mul_hi_u32 s9, s8, s16
	s_mul_i32 s8, s8, s16
	s_add_i32 s9, s9, s7
	s_lshl_b64 s[8:9], s[8:9], 2
	s_add_u32 s18, s2, s8
	s_addc_u32 s19, s3, s9
.LBB84_2:
	s_load_dword s3, s[22:23], 0x0
	v_cndmask_b32_e64 v2, 0, 1, s0
	s_andn2_b32 vcc_lo, exec_lo, s0
	v_cmp_ne_u32_e64 s2, 1, v2
	s_cbranch_vccnz .LBB84_4
; %bb.3:
	s_mul_i32 s0, s13, s16
	s_mul_hi_u32 s7, s12, s16
	s_mul_i32 s8, s12, s16
	s_add_i32 s9, s7, s0
	s_lshl_b64 s[8:9], s[8:9], 2
	s_add_u32 s14, s10, s8
	s_addc_u32 s15, s11, s9
.LBB84_4:
	s_load_dwordx4 s[8:11], s[4:5], 0x60
	s_waitcnt lgkmcnt(0)
	v_cmp_eq_f32_e64 s0, s3, 0
	s_and_b32 s0, exec_lo, s0
	s_mov_b32 vcc_lo, s0
	s_cbranch_vccnz .LBB84_6
; %bb.5:
	s_mul_i32 s7, s9, s16
	s_mul_hi_u32 s9, s8, s16
	s_mul_i32 s8, s8, s16
	s_add_i32 s9, s9, s7
	s_lshl_b64 s[8:9], s[8:9], 2
	s_add_u32 s8, s20, s8
	s_addc_u32 s9, s21, s9
	s_branch .LBB84_7
.LBB84_6:
	s_mov_b64 s[8:9], 0
.LBB84_7:
	s_clause 0x2
	s_load_dword s7, s[4:5], 0x0
	s_load_dword s13, s[4:5], 0x20
	s_load_dword s12, s[4:5], 0x38
	v_and_b32_e32 v12, 3, v0
	v_mov_b32_e32 v7, 0
	v_mov_b32_e32 v10, 0
	;; [unrolled: 1-line block ×4, first 2 shown]
	v_lshlrev_b32_e32 v6, 2, v12
	s_waitcnt lgkmcnt(0)
	s_add_i32 s7, s7, -1
	s_ashr_i32 s20, s7, 31
	s_lshr_b32 s20, s20, 26
	s_add_i32 s7, s7, s20
	s_ashr_i32 s7, s7, 6
	s_add_i32 s20, s7, 1
	s_not_b32 s7, s7
	v_cvt_f32_u32_e32 v2, s20
	v_rcp_iflag_f32_e32 v2, v2
	v_mul_f32_e32 v2, 0x4f7ffffe, v2
	v_cvt_u32_f32_e32 v2, v2
	v_readfirstlane_b32 s21, v2
	v_lshl_add_u32 v2, v1, 3, v0
	s_mul_i32 s7, s7, s21
	v_lshrrev_b32_e32 v5, 2, v2
	s_mul_hi_u32 s7, s21, s7
	s_add_i32 s21, s21, s7
	s_mul_hi_u32 s7, s6, s21
	s_mul_i32 s21, s7, s20
	s_add_i32 s22, s7, 1
	s_sub_i32 s21, s6, s21
	s_sub_i32 s23, s21, s20
	s_cmp_ge_u32 s21, s20
	s_cselect_b32 s7, s22, s7
	s_cselect_b32 s21, s23, s21
	s_add_i32 s22, s7, 1
	s_cmp_ge_u32 s21, s20
	s_cselect_b32 s7, s22, s7
	s_and_b32 vcc_lo, exec_lo, s2
	s_mul_i32 s20, s7, s20
	s_lshl_b32 s7, s7, 7
	s_sub_i32 s6, s6, s20
	v_add_nc_u32_e32 v2, s7, v5
	s_lshl_b32 s6, s6, 6
	v_add_nc_u32_e32 v4, s6, v5
	v_add_nc_u32_e32 v3, 64, v2
	s_cbranch_vccnz .LBB84_9
; %bb.8:
	v_mad_i64_i32 v[8:9], null, v4, s13, 0
	v_mad_i64_i32 v[10:11], null, v2, s12, 0
	;; [unrolled: 1-line block ×3, first 2 shown]
	v_add_co_u32 v15, s20, s14, v6
	v_lshlrev_b64 v[8:9], 2, v[8:9]
	v_add_co_ci_u32_e64 v16, null, s15, 0, s20
	v_lshlrev_b64 v[13:14], 2, v[13:14]
	v_add_co_u32 v17, vcc_lo, s18, v8
	v_add_co_ci_u32_e64 v18, null, s19, v9, vcc_lo
	v_lshlrev_b64 v[8:9], 2, v[10:11]
	v_add_co_u32 v10, vcc_lo, v17, v6
	v_add_co_ci_u32_e64 v11, null, 0, v18, vcc_lo
	v_add_co_u32 v8, vcc_lo, v15, v8
	v_add_co_ci_u32_e64 v9, null, v16, v9, vcc_lo
	;; [unrolled: 2-line block ×3, first 2 shown]
	global_load_dword v8, v[8:9], off
	global_load_dword v9, v[10:11], off
	;; [unrolled: 1-line block ×3, first 2 shown]
	s_waitcnt vmcnt(2)
	v_mul_f32_e32 v14, s17, v8
	s_waitcnt vmcnt(1)
	v_mul_f32_e32 v10, s17, v9
	;; [unrolled: 2-line block ×3, first 2 shown]
.LBB84_9:
	v_mov_b32_e32 v9, 0
	v_mov_b32_e32 v8, 0
	s_and_b32 vcc_lo, exec_lo, s2
	s_cbranch_vccnz .LBB84_11
; %bb.10:
	v_mad_i64_i32 v[7:8], null, v4, s13, 0
	v_mad_i64_i32 v[15:16], null, v2, s12, 0
	;; [unrolled: 1-line block ×3, first 2 shown]
	v_add_co_u32 v9, s2, s14, v6
	v_lshlrev_b64 v[7:8], 2, v[7:8]
	v_add_co_ci_u32_e64 v13, null, s15, 0, s2
	v_lshlrev_b64 v[17:18], 2, v[17:18]
	v_add_co_u32 v19, vcc_lo, s18, v7
	v_add_co_ci_u32_e64 v20, null, s19, v8, vcc_lo
	v_lshlrev_b64 v[7:8], 2, v[15:16]
	v_add_co_u32 v15, vcc_lo, v19, v6
	v_add_co_ci_u32_e64 v16, null, 0, v20, vcc_lo
	v_add_co_u32 v7, vcc_lo, v9, v7
	v_add_co_ci_u32_e64 v8, null, v13, v8, vcc_lo
	;; [unrolled: 2-line block ×3, first 2 shown]
	global_load_dword v7, v[7:8], off offset:16
	global_load_dword v9, v[15:16], off offset:16
	;; [unrolled: 1-line block ×3, first 2 shown]
	s_waitcnt vmcnt(2)
	v_mul_f32_e32 v8, s17, v7
	s_waitcnt vmcnt(1)
	v_mul_f32_e32 v7, s17, v9
	;; [unrolled: 2-line block ×3, first 2 shown]
.LBB84_11:
	v_lshlrev_b32_e32 v13, 4, v5
	v_mov_b32_e32 v74, 0
	v_cmp_neq_f32_e64 s2, s3, 0
	v_lshl_or_b32 v76, v0, 4, 0x1000
	v_lshlrev_b32_e32 v77, 4, v1
	v_lshl_or_b32 v13, v12, 2, v13
	v_mov_b32_e32 v75, v74
	v_mov_b32_e32 v72, v74
	;; [unrolled: 1-line block ×4, first 2 shown]
	v_add_nc_u32_e32 v78, 0x1000, v13
	ds_write_b32 v13, v10 offset:4096
	ds_write2st64_b32 v13, v14, v11 offset1:4
	v_mov_b32_e32 v71, v74
	v_mov_b32_e32 v10, v74
	;; [unrolled: 1-line block ×59, first 2 shown]
	s_mov_b32 s21, 0
	s_mov_b32 s20, -1
	s_waitcnt lgkmcnt(0)
	s_barrier
	buffer_gl0_inv
.LBB84_12:                              ; =>This Inner Loop Header: Depth=1
	s_lshl_b32 s21, s21, 2
	s_andn2_b32 vcc_lo, exec_lo, s20
	v_add_nc_u32_e32 v91, s21, v76
	v_add_nc_u32_e32 v99, s21, v77
	s_mov_b32 s20, 0
	s_mov_b32 s21, 2
	ds_read2_b64 v[79:82], v91 offset1:16
	ds_read2_b64 v[83:86], v91 offset0:32 offset1:48
	ds_read2_b64 v[87:90], v91 offset0:64 offset1:80
	;; [unrolled: 1-line block ×3, first 2 shown]
	ds_read2st64_b64 v[95:98], v99 offset1:1
	ds_read2st64_b64 v[99:102], v99 offset0:2 offset1:3
	s_waitcnt lgkmcnt(5)
	v_max_f32_e32 v103, v79, v79
	v_max_f32_e32 v81, v81, v81
	s_waitcnt lgkmcnt(4)
	v_max_f32_e32 v83, v83, v83
	s_waitcnt lgkmcnt(1)
	v_max_f32_e32 v95, v95, v95
	v_max_f32_e32 v85, v85, v85
	;; [unrolled: 1-line block ×5, first 2 shown]
	v_min_f32_e32 v79, v103, v95
	v_max_f32_e32 v89, v89, v89
	v_max_f32_e32 v82, v82, v82
	;; [unrolled: 1-line block ×3, first 2 shown]
	v_min_f32_e32 v104, v80, v96
	v_add_f32_e32 v74, v79, v74
	v_min_f32_e32 v79, v81, v95
	v_max_f32_e32 v84, v84, v84
	v_max_f32_e32 v86, v86, v86
	v_add_f32_e32 v75, v104, v75
	v_min_f32_e32 v104, v82, v96
	v_add_f32_e32 v72, v79, v72
	v_min_f32_e32 v79, v83, v95
	v_max_f32_e32 v88, v88, v88
	v_max_f32_e32 v93, v93, v93
	v_add_f32_e32 v73, v104, v73
	;; [unrolled: 6-line block ×3, first 2 shown]
	v_min_f32_e32 v104, v86, v96
	v_add_f32_e32 v10, v79, v10
	v_min_f32_e32 v79, v87, v95
	v_add_f32_e32 v11, v104, v11
	v_min_f32_e32 v104, v88, v96
	v_add_f32_e32 v14, v79, v14
	v_min_f32_e32 v79, v89, v95
	v_add_f32_e32 v15, v104, v15
	v_min_f32_e32 v104, v90, v96
	v_add_f32_e32 v68, v79, v68
	v_min_f32_e32 v79, v91, v95
	v_min_f32_e32 v95, v93, v95
	v_add_f32_e32 v69, v104, v69
	v_min_f32_e32 v104, v92, v96
	v_add_f32_e32 v66, v79, v66
	v_max_f32_e32 v79, v94, v94
	v_add_f32_e32 v64, v95, v64
	v_add_f32_e32 v67, v104, v67
	v_min_f32_e32 v94, v79, v96
	v_max_f32_e32 v96, v98, v98
	v_add_f32_e32 v65, v94, v65
	v_max_f32_e32 v94, v97, v97
	v_min_f32_e32 v97, v80, v96
	v_min_f32_e32 v95, v103, v94
	v_add_f32_e32 v63, v97, v63
	v_min_f32_e32 v97, v82, v96
	v_add_f32_e32 v62, v95, v62
	;; [unrolled: 2-line block ×12, first 2 shown]
	v_min_f32_e32 v95, v91, v94
	v_min_f32_e32 v94, v93, v94
	v_add_f32_e32 v51, v97, v51
	v_add_f32_e32 v50, v95, v50
	v_min_f32_e32 v95, v79, v96
	v_add_f32_e32 v48, v94, v48
	s_waitcnt lgkmcnt(0)
	v_max_f32_e32 v94, v99, v99
	v_max_f32_e32 v96, v100, v100
	v_add_f32_e32 v49, v95, v49
	v_min_f32_e32 v95, v103, v94
	v_min_f32_e32 v97, v80, v96
	v_add_f32_e32 v46, v95, v46
	v_min_f32_e32 v95, v81, v94
	v_add_f32_e32 v47, v97, v47
	;; [unrolled: 2-line block ×12, first 2 shown]
	v_min_f32_e32 v97, v92, v96
	v_min_f32_e32 v94, v93, v94
	v_add_f32_e32 v34, v95, v34
	v_min_f32_e32 v95, v79, v96
	v_max_f32_e32 v96, v102, v102
	v_add_f32_e32 v32, v94, v32
	v_max_f32_e32 v94, v101, v101
	v_add_f32_e32 v35, v97, v35
	v_add_f32_e32 v33, v95, v33
	v_min_f32_e32 v80, v80, v96
	v_min_f32_e32 v79, v79, v96
	;; [unrolled: 1-line block ×3, first 2 shown]
	v_add_f32_e32 v31, v80, v31
	v_min_f32_e32 v80, v81, v94
	v_min_f32_e32 v81, v82, v96
	v_add_f32_e32 v30, v95, v30
	v_add_f32_e32 v17, v79, v17
	;; [unrolled: 1-line block ×3, first 2 shown]
	v_min_f32_e32 v80, v83, v94
	v_add_f32_e32 v29, v81, v29
	v_min_f32_e32 v81, v84, v96
	v_add_f32_e32 v26, v80, v26
	;; [unrolled: 2-line block ×11, first 2 shown]
	v_add_f32_e32 v16, v80, v16
	s_cbranch_vccz .LBB84_12
; %bb.13:
	s_load_dword s20, s[4:5], 0x8
	v_lshl_or_b32 v5, v5, 4, v6
	v_lshl_add_u32 v79, v0, 4, 0x1400
	v_lshl_add_u32 v80, v1, 4, 0x800
	ds_write_b32 v5, v7 offset:5120
	ds_write2st64_b32 v5, v8, v9 offset0:8 offset1:12
	s_waitcnt lgkmcnt(0)
	s_barrier
	buffer_gl0_inv
	s_cmp_lt_i32 s20, 9
	s_cbranch_scc1 .LBB84_28
; %bb.14:
	v_mad_i64_i32 v[6:7], null, v4, s13, 0
	v_mad_i64_i32 v[83:84], null, v3, s12, 0
	;; [unrolled: 1-line block ×3, first 2 shown]
	v_add_nc_u32_e32 v81, 0x1400, v5
	v_add_nc_u32_e32 v82, 0x800, v5
	v_lshlrev_b64 v[6:7], 2, v[6:7]
	s_add_i32 s12, s20, -8
	v_lshlrev_b64 v[4:5], 2, v[83:84]
	s_mov_b32 s13, 8
	v_lshlrev_b64 v[2:3], 2, v[8:9]
	v_add_co_u32 v83, vcc_lo, s18, v6
	v_add_co_ci_u32_e64 v84, null, s19, v7, vcc_lo
	v_mov_b32_e32 v7, 0
	s_mov_b32 s18, 0
.LBB84_15:                              ; =>This Loop Header: Depth=1
                                        ;     Child Loop BB84_20 Depth 2
                                        ;     Child Loop BB84_26 Depth 2
	s_mov_b32 s19, -1
	s_mov_b32 vcc_lo, s1
                                        ; implicit-def: $vgpr8_vgpr9
	s_cbranch_vccz .LBB84_17
; %bb.16:                               ;   in Loop: Header=BB84_15 Depth=1
	v_mov_b32_e32 v8, v7
	s_mov_b32 s19, 0
.LBB84_17:                              ;   in Loop: Header=BB84_15 Depth=1
	v_mov_b32_e32 v6, 0
	v_mov_b32_e32 v9, 0
	s_andn2_b32 vcc_lo, exec_lo, s19
	s_cbranch_vccnz .LBB84_19
; %bb.18:                               ;   in Loop: Header=BB84_15 Depth=1
	v_or_b32_e32 v6, s13, v12
	v_lshlrev_b64 v[8:9], 2, v[6:7]
	v_add_co_u32 v6, vcc_lo, s14, v8
	v_add_co_ci_u32_e64 v88, null, s15, v9, vcc_lo
	v_add_co_u32 v8, vcc_lo, v83, v8
	v_add_co_ci_u32_e64 v9, null, v84, v9, vcc_lo
	;; [unrolled: 2-line block ×4, first 2 shown]
	global_load_dword v6, v[8:9], off
	s_clause 0x1
	global_load_dword v8, v[85:86], off
	global_load_dword v9, v[87:88], off
	s_waitcnt vmcnt(2)
	v_mul_f32_e32 v6, s17, v6
	s_waitcnt vmcnt(1)
	v_mul_f32_e32 v8, s17, v8
	;; [unrolled: 2-line block ×3, first 2 shown]
.LBB84_19:                              ;   in Loop: Header=BB84_15 Depth=1
	s_mov_b32 s20, 0
	s_mov_b32 s19, -1
.LBB84_20:                              ;   Parent Loop BB84_15 Depth=1
                                        ; =>  This Inner Loop Header: Depth=2
	s_lshl_b32 s20, s20, 2
	s_andn2_b32 vcc_lo, exec_lo, s19
	v_add_nc_u32_e32 v97, s20, v79
	v_add_nc_u32_e32 v105, s20, v80
	s_mov_b32 s19, 0
	s_mov_b32 s20, 2
	ds_read2_b64 v[85:88], v97 offset1:16
	ds_read2_b64 v[89:92], v97 offset0:32 offset1:48
	ds_read2_b64 v[93:96], v97 offset0:64 offset1:80
	;; [unrolled: 1-line block ×3, first 2 shown]
	ds_read2st64_b64 v[101:104], v105 offset1:1
	ds_read2st64_b64 v[105:108], v105 offset0:2 offset1:3
	s_waitcnt lgkmcnt(5)
	v_max_f32_e32 v85, v85, v85
	v_max_f32_e32 v86, v86, v86
	;; [unrolled: 1-line block ×3, first 2 shown]
	s_waitcnt lgkmcnt(1)
	v_max_f32_e32 v101, v101, v101
	v_max_f32_e32 v102, v102, v102
	;; [unrolled: 1-line block ×5, first 2 shown]
	v_min_f32_e32 v109, v85, v101
	v_min_f32_e32 v110, v86, v102
	v_max_f32_e32 v91, v91, v91
	v_max_f32_e32 v92, v92, v92
	;; [unrolled: 1-line block ×3, first 2 shown]
	v_add_f32_e32 v74, v109, v74
	v_min_f32_e32 v109, v87, v101
	v_add_f32_e32 v75, v110, v75
	v_min_f32_e32 v110, v88, v102
	v_max_f32_e32 v94, v94, v94
	v_max_f32_e32 v95, v95, v95
	v_add_f32_e32 v72, v109, v72
	v_min_f32_e32 v109, v89, v101
	v_add_f32_e32 v73, v110, v73
	v_min_f32_e32 v110, v90, v102
	v_max_f32_e32 v96, v96, v96
	v_max_f32_e32 v97, v97, v97
	;; [unrolled: 6-line block ×3, first 2 shown]
	v_add_f32_e32 v10, v109, v10
	v_min_f32_e32 v109, v93, v101
	v_add_f32_e32 v11, v110, v11
	v_min_f32_e32 v110, v94, v102
	v_max_f32_e32 v100, v100, v100
	v_add_f32_e32 v14, v109, v14
	v_min_f32_e32 v109, v95, v101
	v_add_f32_e32 v15, v110, v15
	v_min_f32_e32 v110, v96, v102
	;; [unrolled: 2-line block ×3, first 2 shown]
	v_min_f32_e32 v101, v99, v101
	v_add_f32_e32 v69, v110, v69
	v_min_f32_e32 v110, v98, v102
	v_min_f32_e32 v102, v100, v102
	v_add_f32_e32 v66, v109, v66
	v_add_f32_e32 v64, v101, v64
	v_max_f32_e32 v101, v103, v103
	v_max_f32_e32 v103, v104, v104
	v_add_f32_e32 v65, v102, v65
	v_add_f32_e32 v67, v110, v67
	v_min_f32_e32 v102, v85, v101
	v_min_f32_e32 v104, v86, v103
	v_add_f32_e32 v62, v102, v62
	v_min_f32_e32 v102, v87, v101
	v_add_f32_e32 v63, v104, v63
	;; [unrolled: 2-line block ×11, first 2 shown]
	v_min_f32_e32 v102, v97, v101
	v_min_f32_e32 v101, v99, v101
	v_add_f32_e32 v53, v104, v53
	v_min_f32_e32 v104, v98, v103
	v_add_f32_e32 v50, v102, v50
	;; [unrolled: 2-line block ×3, first 2 shown]
	s_waitcnt lgkmcnt(0)
	v_max_f32_e32 v101, v105, v105
	v_max_f32_e32 v103, v106, v106
	v_add_f32_e32 v51, v104, v51
	v_add_f32_e32 v49, v102, v49
	v_min_f32_e32 v102, v85, v101
	v_min_f32_e32 v104, v86, v103
	v_add_f32_e32 v46, v102, v46
	v_min_f32_e32 v102, v87, v101
	v_add_f32_e32 v47, v104, v47
	v_min_f32_e32 v104, v88, v103
	v_add_f32_e32 v44, v102, v44
	v_min_f32_e32 v102, v89, v101
	v_add_f32_e32 v45, v104, v45
	v_min_f32_e32 v104, v90, v103
	v_add_f32_e32 v42, v102, v42
	v_min_f32_e32 v102, v91, v101
	v_add_f32_e32 v43, v104, v43
	v_min_f32_e32 v104, v92, v103
	v_add_f32_e32 v40, v102, v40
	v_min_f32_e32 v102, v93, v101
	v_add_f32_e32 v41, v104, v41
	v_min_f32_e32 v104, v94, v103
	v_add_f32_e32 v38, v102, v38
	v_min_f32_e32 v102, v95, v101
	v_add_f32_e32 v39, v104, v39
	v_min_f32_e32 v104, v96, v103
	v_add_f32_e32 v36, v102, v36
	v_min_f32_e32 v102, v97, v101
	v_min_f32_e32 v101, v99, v101
	v_add_f32_e32 v37, v104, v37
	v_min_f32_e32 v104, v98, v103
	v_add_f32_e32 v34, v102, v34
	;; [unrolled: 2-line block ×3, first 2 shown]
	v_max_f32_e32 v101, v107, v107
	v_add_f32_e32 v35, v104, v35
	v_add_f32_e32 v33, v102, v33
	v_max_f32_e32 v102, v108, v108
	v_min_f32_e32 v85, v85, v101
	v_min_f32_e32 v86, v86, v102
	v_add_f32_e32 v30, v85, v30
	v_min_f32_e32 v85, v87, v101
	v_add_f32_e32 v31, v86, v31
	;; [unrolled: 2-line block ×15, first 2 shown]
	v_add_f32_e32 v17, v86, v17
	s_cbranch_vccz .LBB84_20
; %bb.21:                               ;   in Loop: Header=BB84_15 Depth=1
	s_mov_b32 s19, -1
	s_mov_b32 vcc_lo, s1
	ds_write_b32 v78, v6
	ds_write2st64_b32 v13, v8, v9 offset1:4
	s_waitcnt lgkmcnt(0)
	s_barrier
	buffer_gl0_inv
                                        ; implicit-def: $vgpr8_vgpr9
	s_cbranch_vccz .LBB84_23
; %bb.22:                               ;   in Loop: Header=BB84_15 Depth=1
	v_mov_b32_e32 v8, v7
	s_mov_b32 s19, 0
.LBB84_23:                              ;   in Loop: Header=BB84_15 Depth=1
	v_mov_b32_e32 v6, 0
	v_mov_b32_e32 v9, 0
	s_andn2_b32 vcc_lo, exec_lo, s19
	s_cbranch_vccnz .LBB84_25
; %bb.24:                               ;   in Loop: Header=BB84_15 Depth=1
	v_or_b32_e32 v6, s13, v12
	v_lshlrev_b64 v[8:9], 2, v[6:7]
	v_add_co_u32 v6, vcc_lo, s14, v8
	v_add_co_ci_u32_e64 v88, null, s15, v9, vcc_lo
	v_add_co_u32 v8, vcc_lo, v83, v8
	v_add_co_ci_u32_e64 v9, null, v84, v9, vcc_lo
	;; [unrolled: 2-line block ×4, first 2 shown]
	global_load_dword v6, v[8:9], off offset:16
	s_clause 0x1
	global_load_dword v8, v[85:86], off offset:16
	global_load_dword v9, v[87:88], off offset:16
	s_waitcnt vmcnt(2)
	v_mul_f32_e32 v6, s17, v6
	s_waitcnt vmcnt(1)
	v_mul_f32_e32 v8, s17, v8
	;; [unrolled: 2-line block ×3, first 2 shown]
.LBB84_25:                              ;   in Loop: Header=BB84_15 Depth=1
	s_mov_b32 s20, 0
	s_mov_b32 s19, -1
.LBB84_26:                              ;   Parent Loop BB84_15 Depth=1
                                        ; =>  This Inner Loop Header: Depth=2
	s_lshl_b32 s20, s20, 2
	s_andn2_b32 vcc_lo, exec_lo, s19
	v_add_nc_u32_e32 v97, s20, v76
	v_add_nc_u32_e32 v105, s20, v77
	s_mov_b32 s19, 0
	s_mov_b32 s20, 2
	ds_read2_b64 v[85:88], v97 offset1:16
	ds_read2_b64 v[89:92], v97 offset0:32 offset1:48
	ds_read2_b64 v[93:96], v97 offset0:64 offset1:80
	;; [unrolled: 1-line block ×3, first 2 shown]
	ds_read2st64_b64 v[101:104], v105 offset1:1
	ds_read2st64_b64 v[105:108], v105 offset0:2 offset1:3
	s_waitcnt lgkmcnt(5)
	v_max_f32_e32 v85, v85, v85
	v_max_f32_e32 v86, v86, v86
	;; [unrolled: 1-line block ×3, first 2 shown]
	s_waitcnt lgkmcnt(1)
	v_max_f32_e32 v101, v101, v101
	v_max_f32_e32 v102, v102, v102
	;; [unrolled: 1-line block ×5, first 2 shown]
	v_min_f32_e32 v109, v85, v101
	v_min_f32_e32 v110, v86, v102
	v_max_f32_e32 v91, v91, v91
	v_max_f32_e32 v92, v92, v92
	;; [unrolled: 1-line block ×3, first 2 shown]
	v_add_f32_e32 v74, v109, v74
	v_min_f32_e32 v109, v87, v101
	v_add_f32_e32 v75, v110, v75
	v_min_f32_e32 v110, v88, v102
	v_max_f32_e32 v94, v94, v94
	v_max_f32_e32 v95, v95, v95
	v_add_f32_e32 v72, v109, v72
	v_min_f32_e32 v109, v89, v101
	v_add_f32_e32 v73, v110, v73
	v_min_f32_e32 v110, v90, v102
	v_max_f32_e32 v96, v96, v96
	v_max_f32_e32 v97, v97, v97
	;; [unrolled: 6-line block ×3, first 2 shown]
	v_add_f32_e32 v10, v109, v10
	v_min_f32_e32 v109, v93, v101
	v_add_f32_e32 v11, v110, v11
	v_min_f32_e32 v110, v94, v102
	v_max_f32_e32 v100, v100, v100
	v_add_f32_e32 v14, v109, v14
	v_min_f32_e32 v109, v95, v101
	v_add_f32_e32 v15, v110, v15
	v_min_f32_e32 v110, v96, v102
	;; [unrolled: 2-line block ×3, first 2 shown]
	v_min_f32_e32 v101, v99, v101
	v_add_f32_e32 v69, v110, v69
	v_min_f32_e32 v110, v98, v102
	v_min_f32_e32 v102, v100, v102
	v_add_f32_e32 v66, v109, v66
	v_add_f32_e32 v64, v101, v64
	v_max_f32_e32 v101, v103, v103
	v_max_f32_e32 v103, v104, v104
	v_add_f32_e32 v65, v102, v65
	v_add_f32_e32 v67, v110, v67
	v_min_f32_e32 v102, v85, v101
	v_min_f32_e32 v104, v86, v103
	v_add_f32_e32 v62, v102, v62
	v_min_f32_e32 v102, v87, v101
	v_add_f32_e32 v63, v104, v63
	;; [unrolled: 2-line block ×11, first 2 shown]
	v_min_f32_e32 v102, v97, v101
	v_min_f32_e32 v101, v99, v101
	v_add_f32_e32 v53, v104, v53
	v_min_f32_e32 v104, v98, v103
	v_add_f32_e32 v50, v102, v50
	;; [unrolled: 2-line block ×3, first 2 shown]
	s_waitcnt lgkmcnt(0)
	v_max_f32_e32 v101, v105, v105
	v_max_f32_e32 v103, v106, v106
	v_add_f32_e32 v51, v104, v51
	v_add_f32_e32 v49, v102, v49
	v_min_f32_e32 v102, v85, v101
	v_min_f32_e32 v104, v86, v103
	v_add_f32_e32 v46, v102, v46
	v_min_f32_e32 v102, v87, v101
	v_add_f32_e32 v47, v104, v47
	;; [unrolled: 2-line block ×11, first 2 shown]
	v_min_f32_e32 v102, v97, v101
	v_min_f32_e32 v101, v99, v101
	v_add_f32_e32 v37, v104, v37
	v_min_f32_e32 v104, v98, v103
	v_add_f32_e32 v34, v102, v34
	;; [unrolled: 2-line block ×3, first 2 shown]
	v_max_f32_e32 v101, v107, v107
	v_add_f32_e32 v35, v104, v35
	v_add_f32_e32 v33, v102, v33
	v_max_f32_e32 v102, v108, v108
	v_min_f32_e32 v85, v85, v101
	v_min_f32_e32 v86, v86, v102
	v_add_f32_e32 v30, v85, v30
	v_min_f32_e32 v85, v87, v101
	v_add_f32_e32 v31, v86, v31
	;; [unrolled: 2-line block ×15, first 2 shown]
	v_add_f32_e32 v17, v86, v17
	s_cbranch_vccz .LBB84_26
; %bb.27:                               ;   in Loop: Header=BB84_15 Depth=1
	s_add_i32 s18, s18, 8
	s_add_i32 s13, s13, 8
	s_cmp_ge_i32 s18, s12
	ds_write_b32 v81, v6
	ds_write2st64_b32 v82, v8, v9 offset1:4
	s_waitcnt lgkmcnt(0)
	s_barrier
	buffer_gl0_inv
	s_cbranch_scc0 .LBB84_15
.LBB84_28:
	s_mov_b32 s12, 0
	s_mov_b32 s1, -1
.LBB84_29:                              ; =>This Inner Loop Header: Depth=1
	s_lshl_b32 s12, s12, 2
	s_andn2_b32 vcc_lo, exec_lo, s1
	v_add_nc_u32_e32 v12, s12, v79
	s_mov_b32 s1, 0
	ds_read2_b64 v[2:5], v12 offset1:16
	ds_read2_b64 v[6:9], v12 offset0:32 offset1:48
	ds_read2_b64 v[81:84], v12 offset0:64 offset1:80
	;; [unrolled: 1-line block ×3, first 2 shown]
	v_add_nc_u32_e32 v12, s12, v80
	s_mov_b32 s12, 2
	ds_read2st64_b64 v[89:92], v12 offset1:1
	ds_read2st64_b64 v[93:96], v12 offset0:2 offset1:3
	s_waitcnt lgkmcnt(5)
	v_max_f32_e32 v2, v2, v2
	v_max_f32_e32 v3, v3, v3
	v_max_f32_e32 v4, v4, v4
	v_max_f32_e32 v5, v5, v5
	s_waitcnt lgkmcnt(4)
	v_max_f32_e32 v6, v6, v6
	v_max_f32_e32 v7, v7, v7
	v_max_f32_e32 v8, v8, v8
	v_max_f32_e32 v9, v9, v9
	;; [unrolled: 5-line block ×3, first 2 shown]
	v_max_f32_e32 v84, v86, v86
	v_min_f32_e32 v13, v2, v12
	v_min_f32_e32 v77, v3, v76
	v_max_f32_e32 v86, v92, v92
	v_add_f32_e32 v74, v13, v74
	v_min_f32_e32 v13, v4, v12
	v_add_f32_e32 v75, v77, v75
	v_min_f32_e32 v77, v5, v76
	;; [unrolled: 2-line block ×6, first 2 shown]
	v_add_f32_e32 v10, v13, v10
	v_max_f32_e32 v13, v81, v81
	v_add_f32_e32 v11, v77, v11
	v_min_f32_e32 v81, v78, v76
	v_min_f32_e32 v77, v13, v12
	v_add_f32_e32 v15, v81, v15
	v_add_f32_e32 v14, v77, v14
	v_max_f32_e32 v77, v83, v83
	v_min_f32_e32 v83, v82, v76
	v_min_f32_e32 v81, v77, v12
	v_add_f32_e32 v69, v83, v69
	v_add_f32_e32 v68, v81, v68
	v_max_f32_e32 v81, v85, v85
	v_min_f32_e32 v85, v84, v76
	v_min_f32_e32 v83, v81, v12
	v_add_f32_e32 v67, v85, v67
	v_max_f32_e32 v85, v88, v88
	v_add_f32_e32 v66, v83, v66
	v_max_f32_e32 v83, v87, v87
	v_min_f32_e32 v76, v85, v76
	v_min_f32_e32 v87, v3, v86
	;; [unrolled: 1-line block ×3, first 2 shown]
	v_add_f32_e32 v65, v76, v65
	v_add_f32_e32 v63, v87, v63
	v_min_f32_e32 v87, v5, v86
	v_add_f32_e32 v64, v12, v64
	v_max_f32_e32 v12, v91, v91
	v_add_f32_e32 v61, v87, v61
	v_min_f32_e32 v87, v7, v86
	v_min_f32_e32 v76, v2, v12
	v_add_f32_e32 v59, v87, v59
	v_min_f32_e32 v87, v9, v86
	v_add_f32_e32 v62, v76, v62
	;; [unrolled: 2-line block ×9, first 2 shown]
	v_add_f32_e32 v54, v76, v54
	v_min_f32_e32 v76, v77, v12
	v_add_f32_e32 v52, v76, v52
	v_min_f32_e32 v76, v81, v12
	v_min_f32_e32 v12, v83, v12
	v_add_f32_e32 v50, v76, v50
	v_min_f32_e32 v76, v85, v86
	v_add_f32_e32 v48, v12, v48
	s_waitcnt lgkmcnt(0)
	v_max_f32_e32 v12, v93, v93
	v_max_f32_e32 v86, v94, v94
	v_add_f32_e32 v49, v76, v49
	v_min_f32_e32 v76, v2, v12
	v_min_f32_e32 v87, v3, v86
	v_add_f32_e32 v46, v76, v46
	v_min_f32_e32 v76, v4, v12
	v_add_f32_e32 v47, v87, v47
	;; [unrolled: 2-line block ×11, first 2 shown]
	v_min_f32_e32 v76, v81, v12
	v_min_f32_e32 v12, v83, v12
	v_add_f32_e32 v37, v87, v37
	v_min_f32_e32 v87, v84, v86
	v_add_f32_e32 v34, v76, v34
	;; [unrolled: 2-line block ×3, first 2 shown]
	v_max_f32_e32 v12, v95, v95
	v_add_f32_e32 v35, v87, v35
	v_add_f32_e32 v33, v76, v33
	v_max_f32_e32 v76, v96, v96
	v_min_f32_e32 v2, v2, v12
	v_min_f32_e32 v3, v3, v76
	v_add_f32_e32 v30, v2, v30
	v_min_f32_e32 v2, v4, v12
	v_add_f32_e32 v31, v3, v31
	;; [unrolled: 2-line block ×15, first 2 shown]
	v_add_f32_e32 v17, v3, v17
	s_cbranch_vccz .LBB84_29
; %bb.30:
	s_load_dword s12, s[4:5], 0x58
	v_add_nc_u32_e32 v76, s7, v1
	v_add_nc_u32_e32 v12, s6, v0
	v_cndmask_b32_e64 v0, 0, 1, s2
	v_mov_b32_e32 v4, 0
	v_ashrrev_i32_e32 v13, 31, v12
	v_cmp_ne_u32_e64 s1, 1, v0
	s_waitcnt lgkmcnt(0)
	v_mad_i64_i32 v[1:2], null, v76, s12, 0
	v_lshlrev_b64 v[2:3], 2, v[1:2]
	v_lshlrev_b64 v[0:1], 2, v[12:13]
	v_add_co_u32 v77, vcc_lo, s8, v2
	v_add_co_ci_u32_e64 v78, null, s9, v3, vcc_lo
	v_mov_b32_e32 v2, 0
	s_andn2_b32 vcc_lo, exec_lo, s2
	s_cbranch_vccnz .LBB84_32
; %bb.31:
	v_add_co_u32 v2, vcc_lo, v77, v0
	v_add_co_ci_u32_e64 v3, null, v78, v1, vcc_lo
	global_load_dword v2, v[2:3], off
	s_waitcnt vmcnt(0)
	v_mul_f32_e32 v2, s3, v2
.LBB84_32:
	s_clause 0x1
	s_load_dword s2, s[4:5], 0x70
	s_load_dwordx2 s[4:5], s[4:5], 0x78
	v_add_nc_u32_e32 v7, 8, v12
	v_add_f32_e32 v3, v74, v75
	v_ashrrev_i32_e32 v8, 31, v7
	v_add_f32_e32 v9, v3, v2
	v_lshlrev_b64 v[2:3], 2, v[7:8]
	s_waitcnt lgkmcnt(0)
	v_mad_i64_i32 v[5:6], null, v76, s2, 0
	s_mul_i32 s5, s5, s16
	s_mul_hi_u32 s6, s4, s16
	s_mul_i32 s4, s4, s16
	s_add_i32 s5, s6, s5
	s_lshl_b64 s[4:5], s[4:5], 2
	v_lshlrev_b64 v[5:6], 2, v[5:6]
	s_add_u32 s4, s10, s4
	s_addc_u32 s5, s11, s5
	v_add_co_u32 v74, vcc_lo, s4, v5
	v_add_co_ci_u32_e64 v75, null, s5, v6, vcc_lo
	v_add_co_u32 v5, vcc_lo, v74, v0
	v_add_co_ci_u32_e64 v6, null, v75, v1, vcc_lo
	s_and_b32 vcc_lo, exec_lo, s1
	global_store_dword v[5:6], v9, off
	s_cbranch_vccnz .LBB84_34
; %bb.33:
	v_add_co_u32 v4, vcc_lo, v77, v2
	v_add_co_ci_u32_e64 v5, null, v78, v3, vcc_lo
	global_load_dword v4, v[4:5], off
	s_waitcnt vmcnt(0)
	v_mul_f32_e32 v4, s3, v4
.LBB84_34:
	v_add_nc_u32_e32 v5, 16, v12
	v_add_f32_e32 v7, v72, v73
	v_add_co_u32 v72, vcc_lo, v74, v2
	v_add_co_ci_u32_e64 v73, null, v75, v3, vcc_lo
	v_ashrrev_i32_e32 v6, 31, v5
	v_add_f32_e32 v7, v7, v4
	v_mov_b32_e32 v8, 0
	s_and_b32 vcc_lo, exec_lo, s1
	v_lshlrev_b64 v[4:5], 2, v[5:6]
	v_mov_b32_e32 v6, 0
	global_store_dword v[72:73], v7, off
	s_cbranch_vccnz .LBB84_36
; %bb.35:
	v_add_co_u32 v6, vcc_lo, v77, v4
	v_add_co_ci_u32_e64 v7, null, v78, v5, vcc_lo
	global_load_dword v6, v[6:7], off
	s_waitcnt vmcnt(0)
	v_mul_f32_e32 v6, s3, v6
.LBB84_36:
	v_add_nc_u32_e32 v72, 24, v12
	v_add_f32_e32 v7, v70, v71
	v_add_co_u32 v70, vcc_lo, v74, v4
	v_add_co_ci_u32_e64 v71, null, v75, v5, vcc_lo
	v_ashrrev_i32_e32 v73, 31, v72
	v_add_f32_e32 v9, v7, v6
	s_and_b32 vcc_lo, exec_lo, s1
	v_lshlrev_b64 v[6:7], 2, v[72:73]
	global_store_dword v[70:71], v9, off
	s_cbranch_vccnz .LBB84_38
; %bb.37:
	v_add_co_u32 v8, vcc_lo, v77, v6
	v_add_co_ci_u32_e64 v9, null, v78, v7, vcc_lo
	global_load_dword v8, v[8:9], off
	s_waitcnt vmcnt(0)
	v_mul_f32_e32 v8, s3, v8
.LBB84_38:
	v_add_nc_u32_e32 v9, 32, v12
	v_add_f32_e32 v11, v10, v11
	v_add_co_u32 v70, vcc_lo, v74, v6
	v_add_co_ci_u32_e64 v71, null, v75, v7, vcc_lo
	v_ashrrev_i32_e32 v10, 31, v9
	v_add_f32_e32 v13, v11, v8
	v_mov_b32_e32 v8, 0
	s_and_b32 vcc_lo, exec_lo, s1
	v_lshlrev_b64 v[10:11], 2, v[9:10]
	v_mov_b32_e32 v9, 0
	global_store_dword v[70:71], v13, off
	s_cbranch_vccnz .LBB84_40
; %bb.39:
	v_add_co_u32 v70, vcc_lo, v77, v10
	v_add_co_ci_u32_e64 v71, null, v78, v11, vcc_lo
	global_load_dword v9, v[70:71], off
	s_waitcnt vmcnt(0)
	v_mul_f32_e32 v9, s3, v9
.LBB84_40:
	v_add_nc_u32_e32 v13, 40, v12
	v_add_f32_e32 v15, v14, v15
	v_add_co_u32 v70, vcc_lo, v74, v10
	v_add_co_ci_u32_e64 v71, null, v75, v11, vcc_lo
	v_ashrrev_i32_e32 v14, 31, v13
	v_add_f32_e32 v9, v15, v9
	s_and_b32 vcc_lo, exec_lo, s1
	v_lshlrev_b64 v[14:15], 2, v[13:14]
	global_store_dword v[70:71], v9, off
	s_cbranch_vccnz .LBB84_42
; %bb.41:
	v_add_co_u32 v8, vcc_lo, v77, v14
	v_add_co_ci_u32_e64 v9, null, v78, v15, vcc_lo
	global_load_dword v8, v[8:9], off
	s_waitcnt vmcnt(0)
	v_mul_f32_e32 v8, s3, v8
.LBB84_42:
	v_add_nc_u32_e32 v70, 48, v12
	v_add_f32_e32 v9, v68, v69
	v_add_co_u32 v72, vcc_lo, v74, v14
	v_add_co_ci_u32_e64 v73, null, v75, v15, vcc_lo
	v_ashrrev_i32_e32 v71, 31, v70
	v_add_f32_e32 v69, v9, v8
	v_mov_b32_e32 v68, 0
	v_mov_b32_e32 v13, 0
	s_and_b32 vcc_lo, exec_lo, s1
	v_lshlrev_b64 v[8:9], 2, v[70:71]
	global_store_dword v[72:73], v69, off
	s_cbranch_vccnz .LBB84_44
; %bb.43:
	v_add_co_u32 v69, vcc_lo, v77, v8
	v_add_co_ci_u32_e64 v70, null, v78, v9, vcc_lo
	global_load_dword v13, v[69:70], off
	s_waitcnt vmcnt(0)
	v_mul_f32_e32 v13, s3, v13
.LBB84_44:
	v_add_nc_u32_e32 v69, 56, v12
	v_add_f32_e32 v12, v66, v67
	v_add_co_u32 v66, vcc_lo, v74, v8
	v_add_co_ci_u32_e64 v67, null, v75, v9, vcc_lo
	v_ashrrev_i32_e32 v70, 31, v69
	v_add_f32_e32 v71, v12, v13
	s_and_b32 vcc_lo, exec_lo, s1
	v_lshlrev_b64 v[12:13], 2, v[69:70]
	global_store_dword v[66:67], v71, off
	s_cbranch_vccnz .LBB84_46
; %bb.45:
	v_add_co_u32 v66, vcc_lo, v77, v12
	v_add_co_ci_u32_e64 v67, null, v78, v13, vcc_lo
	global_load_dword v66, v[66:67], off
	s_waitcnt vmcnt(0)
	v_mul_f32_e32 v68, s3, v66
.LBB84_46:
	v_add_nc_u32_e32 v67, 32, v76
	v_add_f32_e32 v71, v64, v65
	v_mov_b32_e32 v66, 0
	v_mad_i64_i32 v[69:70], null, v67, s12, 0
	v_add_f32_e32 v71, v71, v68
	v_mov_b32_e32 v68, 0
	v_lshlrev_b64 v[64:65], 2, v[69:70]
	v_add_co_u32 v69, vcc_lo, v74, v12
	v_add_co_ci_u32_e64 v70, null, v75, v13, vcc_lo
	v_add_co_u32 v64, vcc_lo, s8, v64
	v_add_co_ci_u32_e64 v65, null, s9, v65, vcc_lo
	s_and_b32 vcc_lo, exec_lo, s1
	global_store_dword v[69:70], v71, off
	s_cbranch_vccnz .LBB84_48
; %bb.47:
	v_add_co_u32 v68, vcc_lo, v64, v0
	v_add_co_ci_u32_e64 v69, null, v65, v1, vcc_lo
	global_load_dword v68, v[68:69], off
	s_waitcnt vmcnt(0)
	v_mul_f32_e32 v68, s3, v68
.LBB84_48:
	v_mad_i64_i32 v[69:70], null, v67, s2, 0
	v_add_f32_e32 v67, v62, v63
	v_lshlrev_b64 v[69:70], 2, v[69:70]
	v_add_co_u32 v62, vcc_lo, s4, v69
	v_add_co_ci_u32_e64 v63, null, s5, v70, vcc_lo
	v_add_f32_e32 v69, v67, v68
	v_add_co_u32 v67, vcc_lo, v62, v0
	v_add_co_ci_u32_e64 v68, null, v63, v1, vcc_lo
	s_and_b32 vcc_lo, exec_lo, s1
	global_store_dword v[67:68], v69, off
	s_cbranch_vccnz .LBB84_50
; %bb.49:
	v_add_co_u32 v66, vcc_lo, v64, v2
	v_add_co_ci_u32_e64 v67, null, v65, v3, vcc_lo
	global_load_dword v66, v[66:67], off
	s_waitcnt vmcnt(0)
	v_mul_f32_e32 v66, s3, v66
.LBB84_50:
	v_add_f32_e32 v60, v60, v61
	v_add_co_u32 v67, vcc_lo, v62, v2
	v_add_co_ci_u32_e64 v68, null, v63, v3, vcc_lo
	v_add_f32_e32 v66, v60, v66
	v_mov_b32_e32 v60, 0
	v_mov_b32_e32 v61, 0
	s_and_b32 vcc_lo, exec_lo, s1
	global_store_dword v[67:68], v66, off
	s_cbranch_vccnz .LBB84_52
; %bb.51:
	v_add_co_u32 v66, vcc_lo, v64, v4
	v_add_co_ci_u32_e64 v67, null, v65, v5, vcc_lo
	global_load_dword v61, v[66:67], off
	s_waitcnt vmcnt(0)
	v_mul_f32_e32 v61, s3, v61
.LBB84_52:
	v_add_f32_e32 v58, v58, v59
	v_add_f32_e32 v61, v58, v61
	v_add_co_u32 v58, vcc_lo, v62, v4
	v_add_co_ci_u32_e64 v59, null, v63, v5, vcc_lo
	s_and_b32 vcc_lo, exec_lo, s1
	global_store_dword v[58:59], v61, off
	s_cbranch_vccnz .LBB84_54
; %bb.53:
	v_add_co_u32 v58, vcc_lo, v64, v6
	v_add_co_ci_u32_e64 v59, null, v65, v7, vcc_lo
	global_load_dword v58, v[58:59], off
	s_waitcnt vmcnt(0)
	v_mul_f32_e32 v60, s3, v58
.LBB84_54:
	v_add_f32_e32 v56, v56, v57
	v_add_co_u32 v58, vcc_lo, v62, v6
	v_add_co_ci_u32_e64 v59, null, v63, v7, vcc_lo
	v_add_f32_e32 v60, v56, v60
	v_mov_b32_e32 v56, 0
	v_mov_b32_e32 v57, 0
	s_and_b32 vcc_lo, exec_lo, s1
	global_store_dword v[58:59], v60, off
	s_cbranch_vccnz .LBB84_56
; %bb.55:
	v_add_co_u32 v57, vcc_lo, v64, v10
	v_add_co_ci_u32_e64 v58, null, v65, v11, vcc_lo
	global_load_dword v57, v[57:58], off
	s_waitcnt vmcnt(0)
	v_mul_f32_e32 v57, s3, v57
.LBB84_56:
	v_add_f32_e32 v54, v54, v55
	;; [unrolled: 30-line block ×3, first 2 shown]
	v_add_f32_e32 v53, v50, v53
	v_add_co_u32 v50, vcc_lo, v62, v8
	v_add_co_ci_u32_e64 v51, null, v63, v9, vcc_lo
	s_and_b32 vcc_lo, exec_lo, s1
	global_store_dword v[50:51], v53, off
	s_cbranch_vccnz .LBB84_62
; %bb.61:
	v_add_co_u32 v50, vcc_lo, v64, v12
	v_add_co_ci_u32_e64 v51, null, v65, v13, vcc_lo
	global_load_dword v50, v[50:51], off
	s_waitcnt vmcnt(0)
	v_mul_f32_e32 v52, s3, v50
.LBB84_62:
	v_add_nc_u32_e32 v51, 64, v76
	v_add_f32_e32 v55, v48, v49
	v_mov_b32_e32 v50, 0
	v_mad_i64_i32 v[53:54], null, v51, s12, 0
	v_add_f32_e32 v55, v55, v52
	v_mov_b32_e32 v52, 0
	v_lshlrev_b64 v[48:49], 2, v[53:54]
	v_add_co_u32 v53, vcc_lo, v62, v12
	v_add_co_ci_u32_e64 v54, null, v63, v13, vcc_lo
	v_add_co_u32 v48, vcc_lo, s8, v48
	v_add_co_ci_u32_e64 v49, null, s9, v49, vcc_lo
	s_and_b32 vcc_lo, exec_lo, s1
	global_store_dword v[53:54], v55, off
	s_cbranch_vccnz .LBB84_64
; %bb.63:
	v_add_co_u32 v52, vcc_lo, v48, v0
	v_add_co_ci_u32_e64 v53, null, v49, v1, vcc_lo
	global_load_dword v52, v[52:53], off
	s_waitcnt vmcnt(0)
	v_mul_f32_e32 v52, s3, v52
.LBB84_64:
	v_mad_i64_i32 v[53:54], null, v51, s2, 0
	v_add_f32_e32 v51, v46, v47
	v_lshlrev_b64 v[53:54], 2, v[53:54]
	v_add_co_u32 v46, vcc_lo, s4, v53
	v_add_co_ci_u32_e64 v47, null, s5, v54, vcc_lo
	v_add_f32_e32 v53, v51, v52
	v_add_co_u32 v51, vcc_lo, v46, v0
	v_add_co_ci_u32_e64 v52, null, v47, v1, vcc_lo
	s_and_b32 vcc_lo, exec_lo, s1
	global_store_dword v[51:52], v53, off
	s_cbranch_vccnz .LBB84_66
; %bb.65:
	v_add_co_u32 v50, vcc_lo, v48, v2
	v_add_co_ci_u32_e64 v51, null, v49, v3, vcc_lo
	global_load_dword v50, v[50:51], off
	s_waitcnt vmcnt(0)
	v_mul_f32_e32 v50, s3, v50
.LBB84_66:
	v_add_f32_e32 v44, v44, v45
	v_add_co_u32 v51, vcc_lo, v46, v2
	v_add_co_ci_u32_e64 v52, null, v47, v3, vcc_lo
	v_add_f32_e32 v50, v44, v50
	v_mov_b32_e32 v44, 0
	v_mov_b32_e32 v45, 0
	s_and_b32 vcc_lo, exec_lo, s1
	global_store_dword v[51:52], v50, off
	s_cbranch_vccnz .LBB84_68
; %bb.67:
	v_add_co_u32 v50, vcc_lo, v48, v4
	v_add_co_ci_u32_e64 v51, null, v49, v5, vcc_lo
	global_load_dword v45, v[50:51], off
	s_waitcnt vmcnt(0)
	v_mul_f32_e32 v45, s3, v45
.LBB84_68:
	v_add_f32_e32 v42, v42, v43
	v_add_f32_e32 v45, v42, v45
	v_add_co_u32 v42, vcc_lo, v46, v4
	v_add_co_ci_u32_e64 v43, null, v47, v5, vcc_lo
	s_and_b32 vcc_lo, exec_lo, s1
	global_store_dword v[42:43], v45, off
	s_cbranch_vccnz .LBB84_70
; %bb.69:
	v_add_co_u32 v42, vcc_lo, v48, v6
	v_add_co_ci_u32_e64 v43, null, v49, v7, vcc_lo
	global_load_dword v42, v[42:43], off
	s_waitcnt vmcnt(0)
	v_mul_f32_e32 v44, s3, v42
.LBB84_70:
	v_add_f32_e32 v40, v40, v41
	v_add_co_u32 v42, vcc_lo, v46, v6
	v_add_co_ci_u32_e64 v43, null, v47, v7, vcc_lo
	v_add_f32_e32 v44, v40, v44
	v_mov_b32_e32 v40, 0
	v_mov_b32_e32 v41, 0
	s_and_b32 vcc_lo, exec_lo, s1
	global_store_dword v[42:43], v44, off
	s_cbranch_vccnz .LBB84_72
; %bb.71:
	v_add_co_u32 v41, vcc_lo, v48, v10
	v_add_co_ci_u32_e64 v42, null, v49, v11, vcc_lo
	global_load_dword v41, v[41:42], off
	s_waitcnt vmcnt(0)
	v_mul_f32_e32 v41, s3, v41
.LBB84_72:
	v_add_f32_e32 v38, v38, v39
	;; [unrolled: 30-line block ×3, first 2 shown]
	v_add_f32_e32 v37, v34, v37
	v_add_co_u32 v34, vcc_lo, v46, v8
	v_add_co_ci_u32_e64 v35, null, v47, v9, vcc_lo
	s_and_b32 vcc_lo, exec_lo, s1
	global_store_dword v[34:35], v37, off
	s_cbranch_vccnz .LBB84_78
; %bb.77:
	v_add_co_u32 v34, vcc_lo, v48, v12
	v_add_co_ci_u32_e64 v35, null, v49, v13, vcc_lo
	global_load_dword v34, v[34:35], off
	s_waitcnt vmcnt(0)
	v_mul_f32_e32 v36, s3, v34
.LBB84_78:
	v_add_nc_u32_e32 v35, 0x60, v76
	v_add_f32_e32 v39, v32, v33
	v_mov_b32_e32 v34, 0
	v_mad_i64_i32 v[37:38], null, v35, s12, 0
	v_add_f32_e32 v39, v39, v36
	v_mov_b32_e32 v36, 0
	v_lshlrev_b64 v[32:33], 2, v[37:38]
	v_add_co_u32 v37, vcc_lo, v46, v12
	v_add_co_ci_u32_e64 v38, null, v47, v13, vcc_lo
	v_add_co_u32 v32, vcc_lo, s8, v32
	v_add_co_ci_u32_e64 v33, null, s9, v33, vcc_lo
	s_and_b32 vcc_lo, exec_lo, s1
	global_store_dword v[37:38], v39, off
	s_cbranch_vccnz .LBB84_80
; %bb.79:
	v_add_co_u32 v36, vcc_lo, v32, v0
	v_add_co_ci_u32_e64 v37, null, v33, v1, vcc_lo
	global_load_dword v36, v[36:37], off
	s_waitcnt vmcnt(0)
	v_mul_f32_e32 v36, s3, v36
.LBB84_80:
	v_mad_i64_i32 v[37:38], null, v35, s2, 0
	v_add_f32_e32 v35, v30, v31
	v_add_f32_e32 v35, v35, v36
	v_lshlrev_b64 v[37:38], 2, v[37:38]
	v_add_co_u32 v30, vcc_lo, s4, v37
	v_add_co_ci_u32_e64 v31, null, s5, v38, vcc_lo
	v_add_co_u32 v0, vcc_lo, v30, v0
	v_add_co_ci_u32_e64 v1, null, v31, v1, vcc_lo
	s_and_b32 vcc_lo, exec_lo, s1
	global_store_dword v[0:1], v35, off
	s_cbranch_vccnz .LBB84_82
; %bb.81:
	v_add_co_u32 v0, vcc_lo, v32, v2
	v_add_co_ci_u32_e64 v1, null, v33, v3, vcc_lo
	global_load_dword v0, v[0:1], off
	s_waitcnt vmcnt(0)
	v_mul_f32_e32 v34, s3, v0
.LBB84_82:
	v_add_f32_e32 v0, v28, v29
	v_add_co_u32 v2, vcc_lo, v30, v2
	v_add_co_ci_u32_e64 v3, null, v31, v3, vcc_lo
	v_add_f32_e32 v28, v0, v34
	v_mov_b32_e32 v0, 0
	v_mov_b32_e32 v1, 0
	s_and_b32 vcc_lo, exec_lo, s1
	global_store_dword v[2:3], v28, off
	s_cbranch_vccnz .LBB84_84
; %bb.83:
	v_add_co_u32 v1, vcc_lo, v32, v4
	v_add_co_ci_u32_e64 v2, null, v33, v5, vcc_lo
	global_load_dword v1, v[1:2], off
	s_waitcnt vmcnt(0)
	v_mul_f32_e32 v1, s3, v1
.LBB84_84:
	v_add_f32_e32 v2, v26, v27
	v_add_f32_e32 v3, v2, v1
	v_add_co_u32 v1, vcc_lo, v30, v4
	v_add_co_ci_u32_e64 v2, null, v31, v5, vcc_lo
	s_and_b32 vcc_lo, exec_lo, s1
	global_store_dword v[1:2], v3, off
	s_cbranch_vccnz .LBB84_86
; %bb.85:
	v_add_co_u32 v0, vcc_lo, v32, v6
	v_add_co_ci_u32_e64 v1, null, v33, v7, vcc_lo
	global_load_dword v0, v[0:1], off
	s_waitcnt vmcnt(0)
	v_mul_f32_e32 v0, s3, v0
.LBB84_86:
	v_add_f32_e32 v1, v24, v25
	v_add_co_u32 v2, vcc_lo, v30, v6
	v_add_co_ci_u32_e64 v3, null, v31, v7, vcc_lo
	v_add_f32_e32 v4, v1, v0
	v_mov_b32_e32 v0, 0
	v_mov_b32_e32 v1, 0
	s_and_b32 vcc_lo, exec_lo, s1
	global_store_dword v[2:3], v4, off
	s_cbranch_vccnz .LBB84_88
; %bb.87:
	v_add_co_u32 v1, vcc_lo, v32, v10
	v_add_co_ci_u32_e64 v2, null, v33, v11, vcc_lo
	global_load_dword v1, v[1:2], off
	s_waitcnt vmcnt(0)
	v_mul_f32_e32 v1, s3, v1
.LBB84_88:
	v_add_f32_e32 v2, v22, v23
	v_add_f32_e32 v3, v2, v1
	v_add_co_u32 v1, vcc_lo, v30, v10
	v_add_co_ci_u32_e64 v2, null, v31, v11, vcc_lo
	s_and_b32 vcc_lo, exec_lo, s1
	global_store_dword v[1:2], v3, off
	s_cbranch_vccnz .LBB84_90
; %bb.89:
	v_add_co_u32 v0, vcc_lo, v32, v14
	v_add_co_ci_u32_e64 v1, null, v33, v15, vcc_lo
	global_load_dword v0, v[0:1], off
	s_waitcnt vmcnt(0)
	v_mul_f32_e32 v0, s3, v0
.LBB84_90:
	v_add_f32_e32 v3, v20, v21
	v_add_co_u32 v1, vcc_lo, v30, v14
	v_add_co_ci_u32_e64 v2, null, v31, v15, vcc_lo
	v_add_f32_e32 v3, v3, v0
	v_add_f32_e32 v0, v18, v19
	s_mov_b32 s1, -1
	s_mov_b32 vcc_lo, s0
	global_store_dword v[1:2], v3, off
	s_cbranch_vccz .LBB84_92
; %bb.91:
	v_add_co_u32 v1, vcc_lo, v30, v8
	v_add_f32_e32 v3, 0, v0
	v_add_co_ci_u32_e64 v2, null, v31, v9, vcc_lo
	s_mov_b32 s1, 0
	global_store_dword v[1:2], v3, off
.LBB84_92:
	v_mov_b32_e32 v1, 0
	s_andn2_b32 vcc_lo, exec_lo, s1
	s_cbranch_vccnz .LBB84_94
; %bb.93:
	v_add_co_u32 v1, vcc_lo, v32, v8
	v_add_co_ci_u32_e64 v2, null, v33, v9, vcc_lo
	global_load_dword v3, v[1:2], off
	v_add_co_u32 v1, vcc_lo, v30, v8
	v_add_co_ci_u32_e64 v2, null, v31, v9, vcc_lo
	s_waitcnt vmcnt(0)
	v_fmac_f32_e32 v0, s3, v3
	v_add_co_u32 v3, vcc_lo, v32, v12
	v_add_co_ci_u32_e64 v4, null, v33, v13, vcc_lo
	global_store_dword v[1:2], v0, off
	global_load_dword v0, v[3:4], off
	s_waitcnt vmcnt(0)
	v_mul_f32_e32 v1, s3, v0
.LBB84_94:
	v_add_f32_e32 v0, v16, v17
	v_add_f32_e32 v2, v0, v1
	v_add_co_u32 v0, vcc_lo, v30, v12
	v_add_co_ci_u32_e64 v1, null, v31, v13, vcc_lo
	global_store_dword v[0:1], v2, off
	s_endpgm
	.section	.rodata,"a",@progbits
	.p2align	6, 0x0
	.amdhsa_kernel _ZN12_GLOBAL__N_120geam_min_plus_kernelIf15HIP_vector_typeIfLj2EES2_Li8ELi32ELi64ELi128ELi4ELi4ELi64ELi4ELi64ELc84ELc78ELb0ELb0ELb0EPKfS3_fEEviiiT16_PT17_ilS7_ilS5_S7_ilPT18_ili26rocblas_geam_ex_operation_
		.amdhsa_group_segment_fixed_size 6144
		.amdhsa_private_segment_fixed_size 0
		.amdhsa_kernarg_size 136
		.amdhsa_user_sgpr_count 6
		.amdhsa_user_sgpr_private_segment_buffer 1
		.amdhsa_user_sgpr_dispatch_ptr 0
		.amdhsa_user_sgpr_queue_ptr 0
		.amdhsa_user_sgpr_kernarg_segment_ptr 1
		.amdhsa_user_sgpr_dispatch_id 0
		.amdhsa_user_sgpr_flat_scratch_init 0
		.amdhsa_user_sgpr_private_segment_size 0
		.amdhsa_wavefront_size32 1
		.amdhsa_uses_dynamic_stack 0
		.amdhsa_system_sgpr_private_segment_wavefront_offset 0
		.amdhsa_system_sgpr_workgroup_id_x 1
		.amdhsa_system_sgpr_workgroup_id_y 0
		.amdhsa_system_sgpr_workgroup_id_z 1
		.amdhsa_system_sgpr_workgroup_info 0
		.amdhsa_system_vgpr_workitem_id 1
		.amdhsa_next_free_vgpr 111
		.amdhsa_next_free_sgpr 24
		.amdhsa_reserve_vcc 1
		.amdhsa_reserve_flat_scratch 0
		.amdhsa_float_round_mode_32 0
		.amdhsa_float_round_mode_16_64 0
		.amdhsa_float_denorm_mode_32 3
		.amdhsa_float_denorm_mode_16_64 3
		.amdhsa_dx10_clamp 1
		.amdhsa_ieee_mode 1
		.amdhsa_fp16_overflow 0
		.amdhsa_workgroup_processor_mode 1
		.amdhsa_memory_ordered 1
		.amdhsa_forward_progress 1
		.amdhsa_shared_vgpr_count 0
		.amdhsa_exception_fp_ieee_invalid_op 0
		.amdhsa_exception_fp_denorm_src 0
		.amdhsa_exception_fp_ieee_div_zero 0
		.amdhsa_exception_fp_ieee_overflow 0
		.amdhsa_exception_fp_ieee_underflow 0
		.amdhsa_exception_fp_ieee_inexact 0
		.amdhsa_exception_int_div_zero 0
	.end_amdhsa_kernel
	.section	.text._ZN12_GLOBAL__N_120geam_min_plus_kernelIf15HIP_vector_typeIfLj2EES2_Li8ELi32ELi64ELi128ELi4ELi4ELi64ELi4ELi64ELc84ELc78ELb0ELb0ELb0EPKfS3_fEEviiiT16_PT17_ilS7_ilS5_S7_ilPT18_ili26rocblas_geam_ex_operation_,"axG",@progbits,_ZN12_GLOBAL__N_120geam_min_plus_kernelIf15HIP_vector_typeIfLj2EES2_Li8ELi32ELi64ELi128ELi4ELi4ELi64ELi4ELi64ELc84ELc78ELb0ELb0ELb0EPKfS3_fEEviiiT16_PT17_ilS7_ilS5_S7_ilPT18_ili26rocblas_geam_ex_operation_,comdat
.Lfunc_end84:
	.size	_ZN12_GLOBAL__N_120geam_min_plus_kernelIf15HIP_vector_typeIfLj2EES2_Li8ELi32ELi64ELi128ELi4ELi4ELi64ELi4ELi64ELc84ELc78ELb0ELb0ELb0EPKfS3_fEEviiiT16_PT17_ilS7_ilS5_S7_ilPT18_ili26rocblas_geam_ex_operation_, .Lfunc_end84-_ZN12_GLOBAL__N_120geam_min_plus_kernelIf15HIP_vector_typeIfLj2EES2_Li8ELi32ELi64ELi128ELi4ELi4ELi64ELi4ELi64ELc84ELc78ELb0ELb0ELb0EPKfS3_fEEviiiT16_PT17_ilS7_ilS5_S7_ilPT18_ili26rocblas_geam_ex_operation_
                                        ; -- End function
	.set _ZN12_GLOBAL__N_120geam_min_plus_kernelIf15HIP_vector_typeIfLj2EES2_Li8ELi32ELi64ELi128ELi4ELi4ELi64ELi4ELi64ELc84ELc78ELb0ELb0ELb0EPKfS3_fEEviiiT16_PT17_ilS7_ilS5_S7_ilPT18_ili26rocblas_geam_ex_operation_.num_vgpr, 111
	.set _ZN12_GLOBAL__N_120geam_min_plus_kernelIf15HIP_vector_typeIfLj2EES2_Li8ELi32ELi64ELi128ELi4ELi4ELi64ELi4ELi64ELc84ELc78ELb0ELb0ELb0EPKfS3_fEEviiiT16_PT17_ilS7_ilS5_S7_ilPT18_ili26rocblas_geam_ex_operation_.num_agpr, 0
	.set _ZN12_GLOBAL__N_120geam_min_plus_kernelIf15HIP_vector_typeIfLj2EES2_Li8ELi32ELi64ELi128ELi4ELi4ELi64ELi4ELi64ELc84ELc78ELb0ELb0ELb0EPKfS3_fEEviiiT16_PT17_ilS7_ilS5_S7_ilPT18_ili26rocblas_geam_ex_operation_.numbered_sgpr, 24
	.set _ZN12_GLOBAL__N_120geam_min_plus_kernelIf15HIP_vector_typeIfLj2EES2_Li8ELi32ELi64ELi128ELi4ELi4ELi64ELi4ELi64ELc84ELc78ELb0ELb0ELb0EPKfS3_fEEviiiT16_PT17_ilS7_ilS5_S7_ilPT18_ili26rocblas_geam_ex_operation_.num_named_barrier, 0
	.set _ZN12_GLOBAL__N_120geam_min_plus_kernelIf15HIP_vector_typeIfLj2EES2_Li8ELi32ELi64ELi128ELi4ELi4ELi64ELi4ELi64ELc84ELc78ELb0ELb0ELb0EPKfS3_fEEviiiT16_PT17_ilS7_ilS5_S7_ilPT18_ili26rocblas_geam_ex_operation_.private_seg_size, 0
	.set _ZN12_GLOBAL__N_120geam_min_plus_kernelIf15HIP_vector_typeIfLj2EES2_Li8ELi32ELi64ELi128ELi4ELi4ELi64ELi4ELi64ELc84ELc78ELb0ELb0ELb0EPKfS3_fEEviiiT16_PT17_ilS7_ilS5_S7_ilPT18_ili26rocblas_geam_ex_operation_.uses_vcc, 1
	.set _ZN12_GLOBAL__N_120geam_min_plus_kernelIf15HIP_vector_typeIfLj2EES2_Li8ELi32ELi64ELi128ELi4ELi4ELi64ELi4ELi64ELc84ELc78ELb0ELb0ELb0EPKfS3_fEEviiiT16_PT17_ilS7_ilS5_S7_ilPT18_ili26rocblas_geam_ex_operation_.uses_flat_scratch, 0
	.set _ZN12_GLOBAL__N_120geam_min_plus_kernelIf15HIP_vector_typeIfLj2EES2_Li8ELi32ELi64ELi128ELi4ELi4ELi64ELi4ELi64ELc84ELc78ELb0ELb0ELb0EPKfS3_fEEviiiT16_PT17_ilS7_ilS5_S7_ilPT18_ili26rocblas_geam_ex_operation_.has_dyn_sized_stack, 0
	.set _ZN12_GLOBAL__N_120geam_min_plus_kernelIf15HIP_vector_typeIfLj2EES2_Li8ELi32ELi64ELi128ELi4ELi4ELi64ELi4ELi64ELc84ELc78ELb0ELb0ELb0EPKfS3_fEEviiiT16_PT17_ilS7_ilS5_S7_ilPT18_ili26rocblas_geam_ex_operation_.has_recursion, 0
	.set _ZN12_GLOBAL__N_120geam_min_plus_kernelIf15HIP_vector_typeIfLj2EES2_Li8ELi32ELi64ELi128ELi4ELi4ELi64ELi4ELi64ELc84ELc78ELb0ELb0ELb0EPKfS3_fEEviiiT16_PT17_ilS7_ilS5_S7_ilPT18_ili26rocblas_geam_ex_operation_.has_indirect_call, 0
	.section	.AMDGPU.csdata,"",@progbits
; Kernel info:
; codeLenInByte = 7544
; TotalNumSgprs: 26
; NumVgprs: 111
; ScratchSize: 0
; MemoryBound: 0
; FloatMode: 240
; IeeeMode: 1
; LDSByteSize: 6144 bytes/workgroup (compile time only)
; SGPRBlocks: 0
; VGPRBlocks: 13
; NumSGPRsForWavesPerEU: 26
; NumVGPRsForWavesPerEU: 111
; Occupancy: 9
; WaveLimiterHint : 0
; COMPUTE_PGM_RSRC2:SCRATCH_EN: 0
; COMPUTE_PGM_RSRC2:USER_SGPR: 6
; COMPUTE_PGM_RSRC2:TRAP_HANDLER: 0
; COMPUTE_PGM_RSRC2:TGID_X_EN: 1
; COMPUTE_PGM_RSRC2:TGID_Y_EN: 0
; COMPUTE_PGM_RSRC2:TGID_Z_EN: 1
; COMPUTE_PGM_RSRC2:TIDIG_COMP_CNT: 1
	.section	.text._ZN12_GLOBAL__N_120geam_min_plus_kernelIf15HIP_vector_typeIfLj2EES2_Li8ELi32ELi64ELi128ELi4ELi4ELi64ELi4ELi64ELc84ELc78ELb1ELb0ELb0EfKffEEviiiT16_PT17_ilS6_ilS4_S6_ilPT18_ili26rocblas_geam_ex_operation_,"axG",@progbits,_ZN12_GLOBAL__N_120geam_min_plus_kernelIf15HIP_vector_typeIfLj2EES2_Li8ELi32ELi64ELi128ELi4ELi4ELi64ELi4ELi64ELc84ELc78ELb1ELb0ELb0EfKffEEviiiT16_PT17_ilS6_ilS4_S6_ilPT18_ili26rocblas_geam_ex_operation_,comdat
	.globl	_ZN12_GLOBAL__N_120geam_min_plus_kernelIf15HIP_vector_typeIfLj2EES2_Li8ELi32ELi64ELi128ELi4ELi4ELi64ELi4ELi64ELc84ELc78ELb1ELb0ELb0EfKffEEviiiT16_PT17_ilS6_ilS4_S6_ilPT18_ili26rocblas_geam_ex_operation_ ; -- Begin function _ZN12_GLOBAL__N_120geam_min_plus_kernelIf15HIP_vector_typeIfLj2EES2_Li8ELi32ELi64ELi128ELi4ELi4ELi64ELi4ELi64ELc84ELc78ELb1ELb0ELb0EfKffEEviiiT16_PT17_ilS6_ilS4_S6_ilPT18_ili26rocblas_geam_ex_operation_
	.p2align	8
	.type	_ZN12_GLOBAL__N_120geam_min_plus_kernelIf15HIP_vector_typeIfLj2EES2_Li8ELi32ELi64ELi128ELi4ELi4ELi64ELi4ELi64ELc84ELc78ELb1ELb0ELb0EfKffEEviiiT16_PT17_ilS6_ilS4_S6_ilPT18_ili26rocblas_geam_ex_operation_,@function
_ZN12_GLOBAL__N_120geam_min_plus_kernelIf15HIP_vector_typeIfLj2EES2_Li8ELi32ELi64ELi128ELi4ELi4ELi64ELi4ELi64ELc84ELc78ELb1ELb0ELb0EfKffEEviiiT16_PT17_ilS6_ilS4_S6_ilPT18_ili26rocblas_geam_ex_operation_: ; @_ZN12_GLOBAL__N_120geam_min_plus_kernelIf15HIP_vector_typeIfLj2EES2_Li8ELi32ELi64ELi128ELi4ELi4ELi64ELi4ELi64ELc84ELc78ELb1ELb0ELb0EfKffEEviiiT16_PT17_ilS6_ilS4_S6_ilPT18_ili26rocblas_geam_ex_operation_
; %bb.0:
	s_clause 0x1
	s_load_dwordx2 s[16:17], s[4:5], 0x8
	s_load_dwordx4 s[0:3], s[4:5], 0x20
	s_waitcnt lgkmcnt(0)
	v_cmp_eq_f32_e64 s8, s17, 0
	s_and_b32 vcc_lo, exec_lo, s8
	s_cbranch_vccnz .LBB85_83
; %bb.1:
	s_load_dwordx2 s[10:11], s[4:5], 0x10
	s_mul_i32 s1, s1, s7
	s_mul_hi_u32 s9, s0, s7
	s_mul_i32 s0, s0, s7
	s_add_i32 s1, s9, s1
	s_lshl_b64 s[0:1], s[0:1], 2
	s_waitcnt lgkmcnt(0)
	s_add_u32 s18, s10, s0
	s_addc_u32 s19, s11, s1
	s_andn2_b32 vcc_lo, exec_lo, s8
	s_mov_b32 s0, -1
	s_cbranch_vccnz .LBB85_3
.LBB85_2:
	s_mov_b32 s0, 0
.LBB85_3:
	s_mov_b64 s[12:13], 0
	s_andn2_b32 vcc_lo, exec_lo, s0
	s_mov_b64 s[14:15], 0
	s_cbranch_vccnz .LBB85_5
; %bb.4:
	s_load_dwordx2 s[0:1], s[4:5], 0x38
	s_waitcnt lgkmcnt(0)
	s_mul_i32 s1, s1, s7
	s_mul_hi_u32 s8, s0, s7
	s_mul_i32 s0, s0, s7
	s_add_i32 s1, s8, s1
	s_lshl_b64 s[0:1], s[0:1], 2
	s_add_u32 s14, s2, s0
	s_addc_u32 s15, s3, s1
.LBB85_5:
	s_clause 0x1
	s_load_dword s2, s[4:5], 0x40
	s_load_dwordx4 s[8:11], s[4:5], 0x58
	s_mov_b32 s17, 0
	s_waitcnt lgkmcnt(0)
	v_cmp_eq_f32_e64 s0, s2, 0
	s_and_b32 s0, exec_lo, s0
	s_mov_b32 vcc_lo, s0
	s_cbranch_vccnz .LBB85_7
; %bb.6:
	s_load_dwordx2 s[12:13], s[4:5], 0x48
	s_mul_i32 s1, s9, s7
	s_mul_hi_u32 s3, s8, s7
	s_mul_i32 s8, s8, s7
	s_add_i32 s9, s3, s1
	s_lshl_b64 s[8:9], s[8:9], 2
	s_waitcnt lgkmcnt(0)
	s_add_u32 s12, s12, s8
	s_addc_u32 s13, s13, s9
.LBB85_7:
	s_clause 0x2
	s_load_dword s1, s[4:5], 0x0
	s_load_dword s8, s[4:5], 0x18
	;; [unrolled: 1-line block ×3, first 2 shown]
	v_and_b32_e32 v78, 3, v0
	v_mov_b32_e32 v76, 0
	v_lshl_or_b32 v83, v0, 4, 0x1000
	v_lshlrev_b32_e32 v84, 4, v1
	v_lshlrev_b32_e32 v13, 2, v78
	v_mov_b32_e32 v77, v76
	v_mov_b32_e32 v74, v76
	;; [unrolled: 1-line block ×11, first 2 shown]
	s_waitcnt lgkmcnt(0)
	s_add_i32 s1, s1, -1
	v_mov_b32_e32 v64, v76
	s_ashr_i32 s3, s1, 31
	v_mov_b32_e32 v65, v76
	s_lshr_b32 s3, s3, 26
	v_mov_b32_e32 v62, v76
	s_add_i32 s1, s1, s3
	v_mov_b32_e32 v63, v76
	s_ashr_i32 s1, s1, 6
	v_mov_b32_e32 v60, v76
	s_add_i32 s3, s1, 1
	s_not_b32 s1, s1
	v_cvt_f32_u32_e32 v2, s3
	v_mov_b32_e32 v61, v76
	v_mov_b32_e32 v58, v76
	;; [unrolled: 1-line block ×4, first 2 shown]
	v_rcp_iflag_f32_e32 v2, v2
	v_mov_b32_e32 v57, v76
	v_mov_b32_e32 v54, v76
	;; [unrolled: 1-line block ×9, first 2 shown]
	v_mul_f32_e32 v2, 0x4f7ffffe, v2
	v_mov_b32_e32 v46, v76
	v_mov_b32_e32 v47, v76
	;; [unrolled: 1-line block ×4, first 2 shown]
	v_cvt_u32_f32_e32 v2, v2
	v_mov_b32_e32 v42, v76
	v_mov_b32_e32 v43, v76
	;; [unrolled: 1-line block ×4, first 2 shown]
	v_readfirstlane_b32 s20, v2
	v_lshl_add_u32 v2, v1, 3, v0
	v_mov_b32_e32 v38, v76
	v_mov_b32_e32 v39, v76
	;; [unrolled: 1-line block ×3, first 2 shown]
	s_mul_i32 s1, s1, s20
	v_lshrrev_b32_e32 v12, 2, v2
	s_mul_hi_u32 s1, s20, s1
	v_mov_b32_e32 v37, v76
	s_add_i32 s20, s20, s1
	v_mov_b32_e32 v34, v76
	s_mul_hi_u32 s1, s6, s20
	v_lshl_or_b32 v85, v12, 4, v13
	s_mul_i32 s20, s1, s3
	s_add_i32 s21, s1, 1
	s_sub_i32 s20, s6, s20
	v_mov_b32_e32 v35, v76
	s_sub_i32 s22, s20, s3
	s_cmp_ge_u32 s20, s3
	v_mov_b32_e32 v32, v76
	s_cselect_b32 s1, s21, s1
	s_cselect_b32 s20, s22, s20
	s_add_i32 s21, s1, 1
	s_cmp_ge_u32 s20, s3
	v_mov_b32_e32 v33, v76
	s_cselect_b32 s1, s21, s1
	v_mov_b32_e32 v30, v76
	s_mul_i32 s3, s1, s3
	s_lshl_b32 s1, s1, 7
	s_sub_i32 s3, s6, s3
	v_add_nc_u32_e32 v4, s1, v12
	s_lshl_b32 s3, s3, 6
	v_add_co_u32 v14, s6, s14, v13
	v_add_nc_u32_e32 v5, s3, v12
	v_mad_i64_i32 v[2:3], null, v4, s9, 0
	v_add_nc_u32_e32 v6, 64, v4
	v_add_co_ci_u32_e64 v15, null, s15, 0, s6
	v_mad_i64_i32 v[4:5], null, v5, s8, 0
	v_mad_i64_i32 v[6:7], null, v6, s9, 0
	v_lshlrev_b64 v[2:3], 2, v[2:3]
	v_cmp_neq_f32_e64 s6, s2, 0
	v_mov_b32_e32 v31, v76
	v_mov_b32_e32 v28, v76
	v_lshlrev_b64 v[8:9], 2, v[4:5]
	v_mov_b32_e32 v29, v76
	v_lshlrev_b64 v[4:5], 2, v[6:7]
	v_add_co_u32 v10, vcc_lo, v14, v2
	v_add_co_ci_u32_e64 v11, null, v15, v3, vcc_lo
	v_add_co_u32 v79, vcc_lo, s18, v8
	v_add_co_ci_u32_e64 v80, null, s19, v9, vcc_lo
	;; [unrolled: 2-line block ×4, first 2 shown]
	s_clause 0x1
	global_load_dword v81, v[10:11], off
	global_load_dword v82, v[6:7], off
	;; [unrolled: 1-line block ×3, first 2 shown]
	s_clause 0x1
	global_load_dword v6, v[6:7], off offset:16
	global_load_dword v7, v[10:11], off offset:16
	;; [unrolled: 1-line block ×3, first 2 shown]
	v_mov_b32_e32 v14, v76
	v_mov_b32_e32 v15, v76
	;; [unrolled: 1-line block ×14, first 2 shown]
	v_add_nc_u32_e32 v86, 0x1000, v85
	s_mov_b32 s8, -1
	s_waitcnt vmcnt(4)
	ds_write2st64_b32 v85, v81, v82 offset1:4
	s_waitcnt vmcnt(3)
	ds_write_b32 v85, v87 offset:4096
	s_waitcnt vmcnt(0) lgkmcnt(0)
	s_barrier
	buffer_gl0_inv
.LBB85_8:                               ; =>This Inner Loop Header: Depth=1
	v_cndmask_b32_e64 v9, 0, 1, s8
	s_lshl_b32 s8, s17, 2
	s_mov_b32 s17, 2
	v_add_nc_u32_e32 v13, s8, v83
	v_cmp_ne_u32_e32 vcc_lo, 1, v9
	ds_read2_b64 v[9:12], v13 offset1:16
	ds_read2_b64 v[87:90], v13 offset0:32 offset1:48
	ds_read2_b64 v[91:94], v13 offset0:64 offset1:80
	;; [unrolled: 1-line block ×3, first 2 shown]
	v_add_nc_u32_e32 v13, s8, v84
	s_mov_b32 s8, 0
	s_and_b32 vcc_lo, exec_lo, vcc_lo
	ds_read2st64_b64 v[99:102], v13 offset1:1
	ds_read2st64_b64 v[103:106], v13 offset0:2 offset1:3
	s_waitcnt lgkmcnt(5)
	v_max_f32_e32 v9, v9, v9
	v_max_f32_e32 v11, v11, v11
	;; [unrolled: 1-line block ×4, first 2 shown]
	s_waitcnt lgkmcnt(4)
	v_max_f32_e32 v88, v88, v88
	v_max_f32_e32 v90, v90, v90
	s_waitcnt lgkmcnt(3)
	v_max_f32_e32 v92, v92, v92
	v_max_f32_e32 v94, v94, v94
	;; [unrolled: 3-line block ×3, first 2 shown]
	v_max_f32_e32 v96, v96, v96
	v_min_f32_e32 v81, v9, v13
	v_min_f32_e32 v99, v10, v82
	v_add_f32_e32 v76, v81, v76
	v_min_f32_e32 v81, v11, v13
	v_add_f32_e32 v77, v99, v77
	;; [unrolled: 2-line block ×3, first 2 shown]
	v_max_f32_e32 v81, v87, v87
	v_add_f32_e32 v75, v99, v75
	v_min_f32_e32 v99, v88, v82
	v_min_f32_e32 v87, v81, v13
	v_add_f32_e32 v73, v99, v73
	v_min_f32_e32 v99, v90, v82
	v_add_f32_e32 v72, v87, v72
	v_max_f32_e32 v87, v89, v89
	v_add_f32_e32 v71, v99, v71
	v_min_f32_e32 v99, v92, v82
	v_min_f32_e32 v89, v87, v13
	v_add_f32_e32 v15, v99, v15
	v_min_f32_e32 v99, v94, v82
	v_add_f32_e32 v70, v89, v70
	v_max_f32_e32 v89, v91, v91
	v_add_f32_e32 v69, v99, v69
	v_min_f32_e32 v99, v96, v82
	v_min_f32_e32 v91, v89, v13
	v_add_f32_e32 v67, v99, v67
	v_add_f32_e32 v14, v91, v14
	v_max_f32_e32 v91, v93, v93
	v_min_f32_e32 v93, v91, v13
	v_add_f32_e32 v68, v93, v68
	v_max_f32_e32 v93, v95, v95
	v_min_f32_e32 v95, v93, v13
	v_add_f32_e32 v66, v95, v66
	v_max_f32_e32 v95, v97, v97
	v_max_f32_e32 v97, v98, v98
	;; [unrolled: 1-line block ×3, first 2 shown]
	v_min_f32_e32 v13, v95, v13
	v_min_f32_e32 v82, v97, v82
	;; [unrolled: 1-line block ×3, first 2 shown]
	v_add_f32_e32 v64, v13, v64
	v_max_f32_e32 v13, v101, v101
	v_add_f32_e32 v65, v82, v65
	v_add_f32_e32 v63, v99, v63
	v_min_f32_e32 v99, v12, v98
	v_min_f32_e32 v82, v9, v13
	v_add_f32_e32 v61, v99, v61
	v_min_f32_e32 v99, v88, v98
	v_add_f32_e32 v62, v82, v62
	;; [unrolled: 2-line block ×11, first 2 shown]
	v_add_f32_e32 v52, v82, v52
	v_min_f32_e32 v82, v93, v13
	v_min_f32_e32 v13, v95, v13
	v_add_f32_e32 v50, v82, v50
	v_min_f32_e32 v82, v97, v98
	v_add_f32_e32 v48, v13, v48
	s_waitcnt lgkmcnt(0)
	v_max_f32_e32 v13, v103, v103
	v_max_f32_e32 v98, v104, v104
	v_add_f32_e32 v49, v82, v49
	v_min_f32_e32 v82, v9, v13
	v_min_f32_e32 v99, v10, v98
	v_add_f32_e32 v46, v82, v46
	v_min_f32_e32 v82, v11, v13
	v_add_f32_e32 v47, v99, v47
	;; [unrolled: 2-line block ×11, first 2 shown]
	v_min_f32_e32 v82, v93, v13
	v_min_f32_e32 v13, v95, v13
	v_add_f32_e32 v37, v99, v37
	v_min_f32_e32 v99, v96, v98
	v_add_f32_e32 v34, v82, v34
	;; [unrolled: 2-line block ×3, first 2 shown]
	v_max_f32_e32 v13, v105, v105
	v_add_f32_e32 v35, v99, v35
	v_add_f32_e32 v33, v82, v33
	v_max_f32_e32 v82, v106, v106
	v_min_f32_e32 v9, v9, v13
	v_min_f32_e32 v10, v10, v82
	v_add_f32_e32 v30, v9, v30
	v_min_f32_e32 v9, v11, v13
	v_add_f32_e32 v31, v10, v31
	;; [unrolled: 2-line block ×15, first 2 shown]
	v_add_f32_e32 v17, v10, v17
	s_cbranch_vccz .LBB85_8
; %bb.9:
	v_lshl_add_u32 v81, v0, 4, 0x1400
	v_lshl_add_u32 v82, v1, 4, 0x800
	s_cmp_lt_i32 s16, 9
	ds_write_b32 v85, v8 offset:5120
	ds_write2st64_b32 v85, v7, v6 offset0:8 offset1:12
	s_waitcnt lgkmcnt(0)
	s_barrier
	buffer_gl0_inv
	s_cbranch_scc1 .LBB85_16
; %bb.10:
	v_add_nc_u32_e32 v87, 0x1400, v85
	v_add_nc_u32_e32 v88, 0x800, v85
	v_mov_b32_e32 v7, 0
	s_add_i32 s8, s16, -8
	s_mov_b32 s9, 8
	s_mov_b32 s16, 0
.LBB85_11:                              ; =>This Loop Header: Depth=1
                                        ;     Child Loop BB85_12 Depth 2
                                        ;     Child Loop BB85_14 Depth 2
	v_or_b32_e32 v6, s9, v78
	s_mov_b32 s18, -1
	s_mov_b32 s17, 0
	v_lshlrev_b64 v[8:9], 2, v[6:7]
	v_add_co_u32 v6, vcc_lo, s14, v8
	v_add_co_ci_u32_e64 v13, null, s15, v9, vcc_lo
	v_add_co_u32 v8, vcc_lo, v79, v8
	v_add_co_ci_u32_e64 v9, null, v80, v9, vcc_lo
	;; [unrolled: 2-line block ×4, first 2 shown]
	global_load_dword v6, v[8:9], off
	s_clause 0x1
	global_load_dword v89, v[10:11], off
	global_load_dword v90, v[12:13], off
.LBB85_12:                              ;   Parent Loop BB85_11 Depth=1
                                        ; =>  This Inner Loop Header: Depth=2
	s_lshl_b32 s17, s17, 2
	v_cndmask_b32_e64 v91, 0, 1, s18
	v_add_nc_u32_e32 v103, s17, v81
	v_add_nc_u32_e32 v111, s17, v82
	s_mov_b32 s18, 0
	s_mov_b32 s17, 2
	v_cmp_ne_u32_e32 vcc_lo, 1, v91
	ds_read2_b64 v[91:94], v103 offset1:16
	ds_read2_b64 v[95:98], v103 offset0:32 offset1:48
	ds_read2_b64 v[99:102], v103 offset0:64 offset1:80
	;; [unrolled: 1-line block ×3, first 2 shown]
	ds_read2st64_b64 v[107:110], v111 offset1:1
	ds_read2st64_b64 v[111:114], v111 offset0:2 offset1:3
	s_and_b32 vcc_lo, exec_lo, vcc_lo
	s_waitcnt lgkmcnt(5)
	v_max_f32_e32 v116, v92, v92
	v_max_f32_e32 v115, v91, v91
	s_waitcnt lgkmcnt(1)
	v_max_f32_e32 v108, v108, v108
	v_max_f32_e32 v107, v107, v107
	v_min_f32_e32 v92, v116, v108
	v_min_f32_e32 v91, v115, v107
	v_add_f32_e32 v77, v92, v77
	v_max_f32_e32 v92, v93, v93
	v_max_f32_e32 v93, v94, v94
	v_add_f32_e32 v76, v91, v76
	v_min_f32_e32 v91, v92, v107
	v_min_f32_e32 v94, v93, v108
	v_add_f32_e32 v74, v91, v74
	v_add_f32_e32 v75, v94, v75
	v_max_f32_e32 v94, v95, v95
	v_max_f32_e32 v95, v96, v96
	v_min_f32_e32 v91, v94, v107
	v_min_f32_e32 v96, v95, v108
	v_add_f32_e32 v72, v91, v72
	v_add_f32_e32 v73, v96, v73
	v_max_f32_e32 v96, v97, v97
	v_max_f32_e32 v97, v98, v98
	;; [unrolled: 6-line block ×6, first 2 shown]
	v_min_f32_e32 v105, v104, v107
	v_min_f32_e32 v106, v91, v108
	v_max_f32_e32 v107, v110, v110
	v_add_f32_e32 v64, v105, v64
	v_max_f32_e32 v105, v109, v109
	v_add_f32_e32 v65, v106, v65
	v_min_f32_e32 v108, v116, v107
	v_min_f32_e32 v106, v115, v105
	v_add_f32_e32 v63, v108, v63
	v_min_f32_e32 v108, v93, v107
	v_add_f32_e32 v62, v106, v62
	;; [unrolled: 2-line block ×12, first 2 shown]
	v_min_f32_e32 v106, v102, v105
	v_min_f32_e32 v105, v104, v105
	v_add_f32_e32 v51, v108, v51
	v_add_f32_e32 v50, v106, v50
	v_min_f32_e32 v106, v91, v107
	v_add_f32_e32 v48, v105, v48
	s_waitcnt lgkmcnt(0)
	v_max_f32_e32 v105, v111, v111
	v_max_f32_e32 v107, v112, v112
	v_add_f32_e32 v49, v106, v49
	v_min_f32_e32 v106, v115, v105
	v_min_f32_e32 v108, v116, v107
	v_add_f32_e32 v46, v106, v46
	v_min_f32_e32 v106, v92, v105
	v_add_f32_e32 v47, v108, v47
	;; [unrolled: 2-line block ×11, first 2 shown]
	v_min_f32_e32 v106, v102, v105
	v_min_f32_e32 v105, v104, v105
	v_add_f32_e32 v37, v108, v37
	v_min_f32_e32 v108, v103, v107
	v_add_f32_e32 v34, v106, v34
	v_add_f32_e32 v32, v105, v32
	v_max_f32_e32 v105, v113, v113
	v_min_f32_e32 v106, v91, v107
	v_max_f32_e32 v107, v114, v114
	v_add_f32_e32 v35, v108, v35
	v_min_f32_e32 v92, v92, v105
	v_add_f32_e32 v33, v106, v33
	v_min_f32_e32 v93, v93, v107
	v_min_f32_e32 v106, v115, v105
	;; [unrolled: 1-line block ×3, first 2 shown]
	v_add_f32_e32 v28, v92, v28
	v_min_f32_e32 v92, v94, v105
	v_add_f32_e32 v29, v93, v29
	v_min_f32_e32 v93, v95, v107
	v_min_f32_e32 v91, v91, v107
	v_add_f32_e32 v31, v108, v31
	v_add_f32_e32 v26, v92, v26
	v_min_f32_e32 v92, v96, v105
	v_add_f32_e32 v27, v93, v27
	v_min_f32_e32 v93, v97, v107
	v_add_f32_e32 v30, v106, v30
	v_add_f32_e32 v17, v91, v17
	;; [unrolled: 1-line block ×3, first 2 shown]
	v_min_f32_e32 v92, v98, v105
	v_add_f32_e32 v25, v93, v25
	v_min_f32_e32 v93, v99, v107
	v_add_f32_e32 v22, v92, v22
	;; [unrolled: 2-line block ×7, first 2 shown]
	v_add_f32_e32 v16, v92, v16
	s_cbranch_vccz .LBB85_12
; %bb.13:                               ;   in Loop: Header=BB85_11 Depth=1
	s_waitcnt vmcnt(2)
	ds_write_b32 v86, v6
	s_waitcnt vmcnt(0)
	ds_write2st64_b32 v85, v89, v90 offset1:4
	s_waitcnt lgkmcnt(0)
	s_barrier
	buffer_gl0_inv
	global_load_dword v6, v[8:9], off offset:16
	s_clause 0x1
	global_load_dword v8, v[10:11], off offset:16
	global_load_dword v9, v[12:13], off offset:16
	s_mov_b32 s17, -1
.LBB85_14:                              ;   Parent Loop BB85_11 Depth=1
                                        ; =>  This Inner Loop Header: Depth=2
	s_lshl_b32 s18, s18, 2
	s_andn2_b32 vcc_lo, exec_lo, s17
	v_add_nc_u32_e32 v97, s18, v83
	v_add_nc_u32_e32 v105, s18, v84
	s_mov_b32 s17, 0
	s_mov_b32 s18, 2
	ds_read2_b64 v[10:13], v97 offset1:16
	ds_read2_b64 v[89:92], v97 offset0:32 offset1:48
	ds_read2_b64 v[93:96], v97 offset0:64 offset1:80
	;; [unrolled: 1-line block ×3, first 2 shown]
	ds_read2st64_b64 v[101:104], v105 offset1:1
	ds_read2st64_b64 v[105:108], v105 offset0:2 offset1:3
	s_waitcnt lgkmcnt(5)
	v_max_f32_e32 v10, v10, v10
	v_max_f32_e32 v11, v11, v11
	;; [unrolled: 1-line block ×3, first 2 shown]
	s_waitcnt lgkmcnt(1)
	v_max_f32_e32 v101, v101, v101
	v_max_f32_e32 v102, v102, v102
	;; [unrolled: 1-line block ×5, first 2 shown]
	v_min_f32_e32 v109, v10, v101
	v_min_f32_e32 v110, v11, v102
	v_max_f32_e32 v91, v91, v91
	v_max_f32_e32 v92, v92, v92
	;; [unrolled: 1-line block ×3, first 2 shown]
	v_add_f32_e32 v76, v109, v76
	v_min_f32_e32 v109, v12, v101
	v_add_f32_e32 v77, v110, v77
	v_min_f32_e32 v110, v13, v102
	v_max_f32_e32 v94, v94, v94
	v_max_f32_e32 v95, v95, v95
	v_add_f32_e32 v74, v109, v74
	v_min_f32_e32 v109, v89, v101
	v_add_f32_e32 v75, v110, v75
	v_min_f32_e32 v110, v90, v102
	v_max_f32_e32 v96, v96, v96
	v_max_f32_e32 v97, v97, v97
	;; [unrolled: 6-line block ×3, first 2 shown]
	v_add_f32_e32 v70, v109, v70
	v_min_f32_e32 v109, v93, v101
	v_add_f32_e32 v71, v110, v71
	v_min_f32_e32 v110, v94, v102
	v_max_f32_e32 v100, v100, v100
	v_add_f32_e32 v14, v109, v14
	v_min_f32_e32 v109, v95, v101
	v_add_f32_e32 v15, v110, v15
	v_min_f32_e32 v110, v96, v102
	;; [unrolled: 2-line block ×3, first 2 shown]
	v_min_f32_e32 v101, v99, v101
	v_add_f32_e32 v69, v110, v69
	v_min_f32_e32 v110, v98, v102
	v_min_f32_e32 v102, v100, v102
	v_add_f32_e32 v66, v109, v66
	v_add_f32_e32 v64, v101, v64
	v_max_f32_e32 v101, v103, v103
	v_max_f32_e32 v103, v104, v104
	v_add_f32_e32 v65, v102, v65
	v_add_f32_e32 v67, v110, v67
	v_min_f32_e32 v102, v10, v101
	v_min_f32_e32 v104, v11, v103
	v_add_f32_e32 v62, v102, v62
	v_min_f32_e32 v102, v12, v101
	v_add_f32_e32 v63, v104, v63
	;; [unrolled: 2-line block ×11, first 2 shown]
	v_min_f32_e32 v102, v97, v101
	v_min_f32_e32 v101, v99, v101
	v_add_f32_e32 v53, v104, v53
	v_min_f32_e32 v104, v98, v103
	v_add_f32_e32 v50, v102, v50
	;; [unrolled: 2-line block ×3, first 2 shown]
	s_waitcnt lgkmcnt(0)
	v_max_f32_e32 v101, v105, v105
	v_max_f32_e32 v103, v106, v106
	v_add_f32_e32 v51, v104, v51
	v_add_f32_e32 v49, v102, v49
	v_min_f32_e32 v102, v10, v101
	v_min_f32_e32 v104, v11, v103
	v_add_f32_e32 v46, v102, v46
	v_min_f32_e32 v102, v12, v101
	v_add_f32_e32 v47, v104, v47
	;; [unrolled: 2-line block ×11, first 2 shown]
	v_min_f32_e32 v102, v97, v101
	v_min_f32_e32 v101, v99, v101
	v_add_f32_e32 v37, v104, v37
	v_min_f32_e32 v104, v98, v103
	v_add_f32_e32 v34, v102, v34
	;; [unrolled: 2-line block ×3, first 2 shown]
	v_max_f32_e32 v101, v107, v107
	v_add_f32_e32 v35, v104, v35
	v_add_f32_e32 v33, v102, v33
	v_max_f32_e32 v102, v108, v108
	v_min_f32_e32 v10, v10, v101
	v_min_f32_e32 v11, v11, v102
	v_add_f32_e32 v30, v10, v30
	v_min_f32_e32 v10, v12, v101
	v_add_f32_e32 v31, v11, v31
	;; [unrolled: 2-line block ×15, first 2 shown]
	v_add_f32_e32 v17, v11, v17
	s_cbranch_vccz .LBB85_14
; %bb.15:                               ;   in Loop: Header=BB85_11 Depth=1
	s_add_i32 s16, s16, 8
	s_add_i32 s9, s9, 8
	s_cmp_ge_i32 s16, s8
	s_waitcnt vmcnt(2)
	ds_write_b32 v87, v6
	s_waitcnt vmcnt(0)
	ds_write2st64_b32 v88, v8, v9 offset1:4
	s_waitcnt lgkmcnt(0)
	s_barrier
	buffer_gl0_inv
	s_cbranch_scc0 .LBB85_11
.LBB85_16:
	s_mov_b32 s9, 0
	s_mov_b32 s8, -1
.LBB85_17:                              ; =>This Inner Loop Header: Depth=1
	s_lshl_b32 s9, s9, 2
	s_andn2_b32 vcc_lo, exec_lo, s8
	v_add_nc_u32_e32 v78, s9, v81
	s_mov_b32 s8, 0
	ds_read2_b64 v[2:5], v78 offset1:16
	ds_read2_b64 v[6:9], v78 offset0:32 offset1:48
	ds_read2_b64 v[10:13], v78 offset0:64 offset1:80
	;; [unrolled: 1-line block ×3, first 2 shown]
	v_add_nc_u32_e32 v78, s9, v82
	s_mov_b32 s9, 2
	ds_read2st64_b64 v[87:90], v78 offset1:1
	ds_read2st64_b64 v[91:94], v78 offset0:2 offset1:3
	s_waitcnt lgkmcnt(5)
	v_max_f32_e32 v2, v2, v2
	v_max_f32_e32 v4, v4, v4
	s_waitcnt lgkmcnt(4)
	v_max_f32_e32 v6, v6, v6
	v_max_f32_e32 v8, v8, v8
	v_max_f32_e32 v3, v3, v3
	s_waitcnt lgkmcnt(3)
	v_max_f32_e32 v10, v10, v10
	;; [unrolled: 4-line block ×3, first 2 shown]
	v_max_f32_e32 v80, v88, v88
	v_max_f32_e32 v7, v7, v7
	;; [unrolled: 1-line block ×4, first 2 shown]
	v_min_f32_e32 v79, v2, v78
	v_min_f32_e32 v87, v3, v80
	v_max_f32_e32 v13, v13, v13
	v_max_f32_e32 v84, v84, v84
	v_add_f32_e32 v76, v79, v76
	v_min_f32_e32 v79, v4, v78
	v_add_f32_e32 v77, v87, v77
	v_min_f32_e32 v87, v5, v80
	v_add_f32_e32 v74, v79, v74
	v_min_f32_e32 v79, v6, v78
	v_add_f32_e32 v75, v87, v75
	v_min_f32_e32 v87, v7, v80
	v_add_f32_e32 v72, v79, v72
	v_min_f32_e32 v79, v8, v78
	v_add_f32_e32 v73, v87, v73
	v_min_f32_e32 v87, v9, v80
	v_add_f32_e32 v70, v79, v70
	v_min_f32_e32 v79, v10, v78
	v_add_f32_e32 v71, v87, v71
	v_min_f32_e32 v87, v11, v80
	v_add_f32_e32 v14, v79, v14
	v_min_f32_e32 v79, v12, v78
	v_add_f32_e32 v15, v87, v15
	v_min_f32_e32 v87, v13, v80
	v_add_f32_e32 v68, v79, v68
	v_max_f32_e32 v79, v83, v83
	v_add_f32_e32 v69, v87, v69
	v_min_f32_e32 v87, v84, v80
	v_min_f32_e32 v83, v79, v78
	v_add_f32_e32 v67, v87, v67
	v_add_f32_e32 v66, v83, v66
	v_max_f32_e32 v83, v85, v85
	v_max_f32_e32 v85, v86, v86
	;; [unrolled: 1-line block ×3, first 2 shown]
	v_min_f32_e32 v78, v83, v78
	v_min_f32_e32 v80, v85, v80
	;; [unrolled: 1-line block ×3, first 2 shown]
	v_add_f32_e32 v64, v78, v64
	v_max_f32_e32 v78, v89, v89
	v_add_f32_e32 v65, v80, v65
	v_add_f32_e32 v63, v87, v63
	v_min_f32_e32 v87, v5, v86
	v_min_f32_e32 v80, v2, v78
	v_add_f32_e32 v61, v87, v61
	v_min_f32_e32 v87, v7, v86
	v_add_f32_e32 v62, v80, v62
	;; [unrolled: 2-line block ×11, first 2 shown]
	v_add_f32_e32 v52, v80, v52
	v_min_f32_e32 v80, v79, v78
	v_min_f32_e32 v78, v83, v78
	v_add_f32_e32 v50, v80, v50
	v_min_f32_e32 v80, v85, v86
	v_add_f32_e32 v48, v78, v48
	s_waitcnt lgkmcnt(0)
	v_max_f32_e32 v78, v91, v91
	v_max_f32_e32 v86, v92, v92
	v_add_f32_e32 v49, v80, v49
	v_min_f32_e32 v80, v2, v78
	v_min_f32_e32 v87, v3, v86
	v_add_f32_e32 v46, v80, v46
	v_min_f32_e32 v80, v4, v78
	v_add_f32_e32 v47, v87, v47
	;; [unrolled: 2-line block ×11, first 2 shown]
	v_min_f32_e32 v80, v79, v78
	v_min_f32_e32 v78, v83, v78
	v_add_f32_e32 v37, v87, v37
	v_min_f32_e32 v87, v84, v86
	v_add_f32_e32 v34, v80, v34
	;; [unrolled: 2-line block ×3, first 2 shown]
	v_max_f32_e32 v78, v93, v93
	v_add_f32_e32 v35, v87, v35
	v_add_f32_e32 v33, v80, v33
	v_max_f32_e32 v80, v94, v94
	v_min_f32_e32 v2, v2, v78
	v_min_f32_e32 v3, v3, v80
	v_add_f32_e32 v30, v2, v30
	v_min_f32_e32 v2, v4, v78
	v_add_f32_e32 v31, v3, v31
	;; [unrolled: 2-line block ×15, first 2 shown]
	v_add_f32_e32 v17, v3, v17
	s_cbranch_vccz .LBB85_17
; %bb.18:
	s_load_dword s8, s[4:5], 0x50
	v_add_nc_u32_e32 v78, s1, v1
	v_add_nc_u32_e32 v12, s3, v0
	v_cndmask_b32_e64 v0, 0, 1, s6
	v_mov_b32_e32 v4, 0
	v_ashrrev_i32_e32 v13, 31, v12
	v_cmp_ne_u32_e64 s1, 1, v0
	s_waitcnt lgkmcnt(0)
	v_mad_i64_i32 v[1:2], null, v78, s8, 0
	v_lshlrev_b64 v[2:3], 2, v[1:2]
	v_lshlrev_b64 v[0:1], 2, v[12:13]
	v_add_co_u32 v79, vcc_lo, s12, v2
	v_add_co_ci_u32_e64 v80, null, s13, v3, vcc_lo
	v_mov_b32_e32 v2, 0
	s_andn2_b32 vcc_lo, exec_lo, s6
	s_cbranch_vccnz .LBB85_20
; %bb.19:
	v_add_co_u32 v2, vcc_lo, v79, v0
	v_add_co_ci_u32_e64 v3, null, v80, v1, vcc_lo
	global_load_dword v2, v[2:3], off
	s_waitcnt vmcnt(0)
	v_mul_f32_e32 v2, s2, v2
.LBB85_20:
	s_clause 0x1
	s_load_dword s3, s[4:5], 0x68
	s_load_dwordx2 s[4:5], s[4:5], 0x70
	v_add_nc_u32_e32 v7, 8, v12
	v_add_f32_e32 v3, v76, v77
	v_ashrrev_i32_e32 v8, 31, v7
	v_add_f32_e32 v9, v3, v2
	v_lshlrev_b64 v[2:3], 2, v[7:8]
	s_waitcnt lgkmcnt(0)
	v_mad_i64_i32 v[5:6], null, v78, s3, 0
	s_mul_i32 s5, s5, s7
	s_mul_hi_u32 s6, s4, s7
	s_mul_i32 s4, s4, s7
	s_add_i32 s5, s6, s5
	s_lshl_b64 s[4:5], s[4:5], 2
	v_lshlrev_b64 v[5:6], 2, v[5:6]
	s_add_u32 s4, s10, s4
	s_addc_u32 s5, s11, s5
	v_add_co_u32 v76, vcc_lo, s4, v5
	v_add_co_ci_u32_e64 v77, null, s5, v6, vcc_lo
	v_add_co_u32 v5, vcc_lo, v76, v0
	v_add_co_ci_u32_e64 v6, null, v77, v1, vcc_lo
	s_and_b32 vcc_lo, exec_lo, s1
	global_store_dword v[5:6], v9, off
	s_cbranch_vccnz .LBB85_22
; %bb.21:
	v_add_co_u32 v4, vcc_lo, v79, v2
	v_add_co_ci_u32_e64 v5, null, v80, v3, vcc_lo
	global_load_dword v4, v[4:5], off
	s_waitcnt vmcnt(0)
	v_mul_f32_e32 v4, s2, v4
.LBB85_22:
	v_add_nc_u32_e32 v5, 16, v12
	v_add_f32_e32 v7, v74, v75
	v_add_co_u32 v9, vcc_lo, v76, v2
	v_add_co_ci_u32_e64 v10, null, v77, v3, vcc_lo
	v_ashrrev_i32_e32 v6, 31, v5
	v_add_f32_e32 v7, v7, v4
	v_mov_b32_e32 v8, 0
	s_and_b32 vcc_lo, exec_lo, s1
	v_lshlrev_b64 v[4:5], 2, v[5:6]
	v_mov_b32_e32 v6, 0
	global_store_dword v[9:10], v7, off
	s_cbranch_vccnz .LBB85_24
; %bb.23:
	v_add_co_u32 v6, vcc_lo, v79, v4
	v_add_co_ci_u32_e64 v7, null, v80, v5, vcc_lo
	global_load_dword v6, v[6:7], off
	s_waitcnt vmcnt(0)
	v_mul_f32_e32 v6, s2, v6
.LBB85_24:
	v_add_nc_u32_e32 v9, 24, v12
	v_add_f32_e32 v7, v72, v73
	v_add_co_u32 v72, vcc_lo, v76, v4
	v_add_co_ci_u32_e64 v73, null, v77, v5, vcc_lo
	v_ashrrev_i32_e32 v10, 31, v9
	v_add_f32_e32 v11, v7, v6
	s_and_b32 vcc_lo, exec_lo, s1
	v_lshlrev_b64 v[6:7], 2, v[9:10]
	global_store_dword v[72:73], v11, off
	s_cbranch_vccnz .LBB85_26
; %bb.25:
	v_add_co_u32 v8, vcc_lo, v79, v6
	v_add_co_ci_u32_e64 v9, null, v80, v7, vcc_lo
	global_load_dword v8, v[8:9], off
	s_waitcnt vmcnt(0)
	v_mul_f32_e32 v8, s2, v8
.LBB85_26:
	v_add_nc_u32_e32 v9, 32, v12
	v_add_f32_e32 v11, v70, v71
	v_add_co_u32 v70, vcc_lo, v76, v6
	v_add_co_ci_u32_e64 v71, null, v77, v7, vcc_lo
	v_ashrrev_i32_e32 v10, 31, v9
	v_add_f32_e32 v13, v11, v8
	v_mov_b32_e32 v8, 0
	s_and_b32 vcc_lo, exec_lo, s1
	v_lshlrev_b64 v[10:11], 2, v[9:10]
	v_mov_b32_e32 v9, 0
	global_store_dword v[70:71], v13, off
	s_cbranch_vccnz .LBB85_28
; %bb.27:
	v_add_co_u32 v70, vcc_lo, v79, v10
	v_add_co_ci_u32_e64 v71, null, v80, v11, vcc_lo
	global_load_dword v9, v[70:71], off
	s_waitcnt vmcnt(0)
	v_mul_f32_e32 v9, s2, v9
.LBB85_28:
	v_add_nc_u32_e32 v13, 40, v12
	v_add_f32_e32 v15, v14, v15
	v_add_co_u32 v70, vcc_lo, v76, v10
	v_add_co_ci_u32_e64 v71, null, v77, v11, vcc_lo
	v_ashrrev_i32_e32 v14, 31, v13
	v_add_f32_e32 v9, v15, v9
	s_and_b32 vcc_lo, exec_lo, s1
	v_lshlrev_b64 v[14:15], 2, v[13:14]
	global_store_dword v[70:71], v9, off
	s_cbranch_vccnz .LBB85_30
; %bb.29:
	v_add_co_u32 v8, vcc_lo, v79, v14
	v_add_co_ci_u32_e64 v9, null, v80, v15, vcc_lo
	global_load_dword v8, v[8:9], off
	s_waitcnt vmcnt(0)
	v_mul_f32_e32 v8, s2, v8
.LBB85_30:
	v_add_nc_u32_e32 v70, 48, v12
	v_add_f32_e32 v9, v68, v69
	v_add_co_u32 v72, vcc_lo, v76, v14
	v_add_co_ci_u32_e64 v73, null, v77, v15, vcc_lo
	v_ashrrev_i32_e32 v71, 31, v70
	v_add_f32_e32 v69, v9, v8
	v_mov_b32_e32 v68, 0
	v_mov_b32_e32 v13, 0
	s_and_b32 vcc_lo, exec_lo, s1
	v_lshlrev_b64 v[8:9], 2, v[70:71]
	global_store_dword v[72:73], v69, off
	s_cbranch_vccnz .LBB85_32
; %bb.31:
	v_add_co_u32 v69, vcc_lo, v79, v8
	v_add_co_ci_u32_e64 v70, null, v80, v9, vcc_lo
	global_load_dword v13, v[69:70], off
	s_waitcnt vmcnt(0)
	v_mul_f32_e32 v13, s2, v13
.LBB85_32:
	v_add_nc_u32_e32 v69, 56, v12
	v_add_f32_e32 v12, v66, v67
	v_add_co_u32 v66, vcc_lo, v76, v8
	v_add_co_ci_u32_e64 v67, null, v77, v9, vcc_lo
	v_ashrrev_i32_e32 v70, 31, v69
	v_add_f32_e32 v71, v12, v13
	s_and_b32 vcc_lo, exec_lo, s1
	v_lshlrev_b64 v[12:13], 2, v[69:70]
	global_store_dword v[66:67], v71, off
	s_cbranch_vccnz .LBB85_34
; %bb.33:
	v_add_co_u32 v66, vcc_lo, v79, v12
	v_add_co_ci_u32_e64 v67, null, v80, v13, vcc_lo
	global_load_dword v66, v[66:67], off
	s_waitcnt vmcnt(0)
	v_mul_f32_e32 v68, s2, v66
.LBB85_34:
	v_add_nc_u32_e32 v67, 32, v78
	v_add_f32_e32 v71, v64, v65
	v_mov_b32_e32 v66, 0
	v_mad_i64_i32 v[69:70], null, v67, s8, 0
	v_add_f32_e32 v71, v71, v68
	v_mov_b32_e32 v68, 0
	v_lshlrev_b64 v[64:65], 2, v[69:70]
	v_add_co_u32 v69, vcc_lo, v76, v12
	v_add_co_ci_u32_e64 v70, null, v77, v13, vcc_lo
	v_add_co_u32 v64, vcc_lo, s12, v64
	v_add_co_ci_u32_e64 v65, null, s13, v65, vcc_lo
	s_and_b32 vcc_lo, exec_lo, s1
	global_store_dword v[69:70], v71, off
	s_cbranch_vccnz .LBB85_36
; %bb.35:
	v_add_co_u32 v68, vcc_lo, v64, v0
	v_add_co_ci_u32_e64 v69, null, v65, v1, vcc_lo
	global_load_dword v68, v[68:69], off
	s_waitcnt vmcnt(0)
	v_mul_f32_e32 v68, s2, v68
.LBB85_36:
	v_mad_i64_i32 v[69:70], null, v67, s3, 0
	v_add_f32_e32 v67, v62, v63
	v_lshlrev_b64 v[69:70], 2, v[69:70]
	v_add_co_u32 v62, vcc_lo, s4, v69
	v_add_co_ci_u32_e64 v63, null, s5, v70, vcc_lo
	v_add_f32_e32 v69, v67, v68
	v_add_co_u32 v67, vcc_lo, v62, v0
	v_add_co_ci_u32_e64 v68, null, v63, v1, vcc_lo
	s_and_b32 vcc_lo, exec_lo, s1
	global_store_dword v[67:68], v69, off
	s_cbranch_vccnz .LBB85_38
; %bb.37:
	v_add_co_u32 v66, vcc_lo, v64, v2
	v_add_co_ci_u32_e64 v67, null, v65, v3, vcc_lo
	global_load_dword v66, v[66:67], off
	s_waitcnt vmcnt(0)
	v_mul_f32_e32 v66, s2, v66
.LBB85_38:
	v_add_f32_e32 v60, v60, v61
	v_add_co_u32 v67, vcc_lo, v62, v2
	v_add_co_ci_u32_e64 v68, null, v63, v3, vcc_lo
	v_add_f32_e32 v66, v60, v66
	v_mov_b32_e32 v60, 0
	v_mov_b32_e32 v61, 0
	s_and_b32 vcc_lo, exec_lo, s1
	global_store_dword v[67:68], v66, off
	s_cbranch_vccnz .LBB85_40
; %bb.39:
	v_add_co_u32 v66, vcc_lo, v64, v4
	v_add_co_ci_u32_e64 v67, null, v65, v5, vcc_lo
	global_load_dword v61, v[66:67], off
	s_waitcnt vmcnt(0)
	v_mul_f32_e32 v61, s2, v61
.LBB85_40:
	v_add_f32_e32 v58, v58, v59
	v_add_f32_e32 v61, v58, v61
	v_add_co_u32 v58, vcc_lo, v62, v4
	v_add_co_ci_u32_e64 v59, null, v63, v5, vcc_lo
	s_and_b32 vcc_lo, exec_lo, s1
	global_store_dword v[58:59], v61, off
	s_cbranch_vccnz .LBB85_42
; %bb.41:
	v_add_co_u32 v58, vcc_lo, v64, v6
	v_add_co_ci_u32_e64 v59, null, v65, v7, vcc_lo
	global_load_dword v58, v[58:59], off
	s_waitcnt vmcnt(0)
	v_mul_f32_e32 v60, s2, v58
.LBB85_42:
	v_add_f32_e32 v56, v56, v57
	v_add_co_u32 v58, vcc_lo, v62, v6
	v_add_co_ci_u32_e64 v59, null, v63, v7, vcc_lo
	v_add_f32_e32 v60, v56, v60
	v_mov_b32_e32 v56, 0
	v_mov_b32_e32 v57, 0
	s_and_b32 vcc_lo, exec_lo, s1
	global_store_dword v[58:59], v60, off
	s_cbranch_vccnz .LBB85_44
; %bb.43:
	v_add_co_u32 v57, vcc_lo, v64, v10
	v_add_co_ci_u32_e64 v58, null, v65, v11, vcc_lo
	global_load_dword v57, v[57:58], off
	s_waitcnt vmcnt(0)
	v_mul_f32_e32 v57, s2, v57
.LBB85_44:
	v_add_f32_e32 v54, v54, v55
	;; [unrolled: 30-line block ×3, first 2 shown]
	v_add_f32_e32 v53, v50, v53
	v_add_co_u32 v50, vcc_lo, v62, v8
	v_add_co_ci_u32_e64 v51, null, v63, v9, vcc_lo
	s_and_b32 vcc_lo, exec_lo, s1
	global_store_dword v[50:51], v53, off
	s_cbranch_vccnz .LBB85_50
; %bb.49:
	v_add_co_u32 v50, vcc_lo, v64, v12
	v_add_co_ci_u32_e64 v51, null, v65, v13, vcc_lo
	global_load_dword v50, v[50:51], off
	s_waitcnt vmcnt(0)
	v_mul_f32_e32 v52, s2, v50
.LBB85_50:
	v_add_nc_u32_e32 v51, 64, v78
	v_add_f32_e32 v55, v48, v49
	v_mov_b32_e32 v50, 0
	v_mad_i64_i32 v[53:54], null, v51, s8, 0
	v_add_f32_e32 v55, v55, v52
	v_mov_b32_e32 v52, 0
	v_lshlrev_b64 v[48:49], 2, v[53:54]
	v_add_co_u32 v53, vcc_lo, v62, v12
	v_add_co_ci_u32_e64 v54, null, v63, v13, vcc_lo
	v_add_co_u32 v48, vcc_lo, s12, v48
	v_add_co_ci_u32_e64 v49, null, s13, v49, vcc_lo
	s_and_b32 vcc_lo, exec_lo, s1
	global_store_dword v[53:54], v55, off
	s_cbranch_vccnz .LBB85_52
; %bb.51:
	v_add_co_u32 v52, vcc_lo, v48, v0
	v_add_co_ci_u32_e64 v53, null, v49, v1, vcc_lo
	global_load_dword v52, v[52:53], off
	s_waitcnt vmcnt(0)
	v_mul_f32_e32 v52, s2, v52
.LBB85_52:
	v_mad_i64_i32 v[53:54], null, v51, s3, 0
	v_add_f32_e32 v51, v46, v47
	v_lshlrev_b64 v[53:54], 2, v[53:54]
	v_add_co_u32 v46, vcc_lo, s4, v53
	v_add_co_ci_u32_e64 v47, null, s5, v54, vcc_lo
	v_add_f32_e32 v53, v51, v52
	v_add_co_u32 v51, vcc_lo, v46, v0
	v_add_co_ci_u32_e64 v52, null, v47, v1, vcc_lo
	s_and_b32 vcc_lo, exec_lo, s1
	global_store_dword v[51:52], v53, off
	s_cbranch_vccnz .LBB85_54
; %bb.53:
	v_add_co_u32 v50, vcc_lo, v48, v2
	v_add_co_ci_u32_e64 v51, null, v49, v3, vcc_lo
	global_load_dword v50, v[50:51], off
	s_waitcnt vmcnt(0)
	v_mul_f32_e32 v50, s2, v50
.LBB85_54:
	v_add_f32_e32 v44, v44, v45
	v_add_co_u32 v51, vcc_lo, v46, v2
	v_add_co_ci_u32_e64 v52, null, v47, v3, vcc_lo
	v_add_f32_e32 v50, v44, v50
	v_mov_b32_e32 v44, 0
	v_mov_b32_e32 v45, 0
	s_and_b32 vcc_lo, exec_lo, s1
	global_store_dword v[51:52], v50, off
	s_cbranch_vccnz .LBB85_56
; %bb.55:
	v_add_co_u32 v50, vcc_lo, v48, v4
	v_add_co_ci_u32_e64 v51, null, v49, v5, vcc_lo
	global_load_dword v45, v[50:51], off
	s_waitcnt vmcnt(0)
	v_mul_f32_e32 v45, s2, v45
.LBB85_56:
	v_add_f32_e32 v42, v42, v43
	v_add_f32_e32 v45, v42, v45
	v_add_co_u32 v42, vcc_lo, v46, v4
	v_add_co_ci_u32_e64 v43, null, v47, v5, vcc_lo
	s_and_b32 vcc_lo, exec_lo, s1
	global_store_dword v[42:43], v45, off
	s_cbranch_vccnz .LBB85_58
; %bb.57:
	v_add_co_u32 v42, vcc_lo, v48, v6
	v_add_co_ci_u32_e64 v43, null, v49, v7, vcc_lo
	global_load_dword v42, v[42:43], off
	s_waitcnt vmcnt(0)
	v_mul_f32_e32 v44, s2, v42
.LBB85_58:
	v_add_f32_e32 v40, v40, v41
	v_add_co_u32 v42, vcc_lo, v46, v6
	v_add_co_ci_u32_e64 v43, null, v47, v7, vcc_lo
	v_add_f32_e32 v44, v40, v44
	v_mov_b32_e32 v40, 0
	v_mov_b32_e32 v41, 0
	s_and_b32 vcc_lo, exec_lo, s1
	global_store_dword v[42:43], v44, off
	s_cbranch_vccnz .LBB85_60
; %bb.59:
	v_add_co_u32 v41, vcc_lo, v48, v10
	v_add_co_ci_u32_e64 v42, null, v49, v11, vcc_lo
	global_load_dword v41, v[41:42], off
	s_waitcnt vmcnt(0)
	v_mul_f32_e32 v41, s2, v41
.LBB85_60:
	v_add_f32_e32 v38, v38, v39
	;; [unrolled: 30-line block ×3, first 2 shown]
	v_add_f32_e32 v37, v34, v37
	v_add_co_u32 v34, vcc_lo, v46, v8
	v_add_co_ci_u32_e64 v35, null, v47, v9, vcc_lo
	s_and_b32 vcc_lo, exec_lo, s1
	global_store_dword v[34:35], v37, off
	s_cbranch_vccnz .LBB85_66
; %bb.65:
	v_add_co_u32 v34, vcc_lo, v48, v12
	v_add_co_ci_u32_e64 v35, null, v49, v13, vcc_lo
	global_load_dword v34, v[34:35], off
	s_waitcnt vmcnt(0)
	v_mul_f32_e32 v36, s2, v34
.LBB85_66:
	v_add_nc_u32_e32 v35, 0x60, v78
	v_add_f32_e32 v39, v32, v33
	v_mov_b32_e32 v34, 0
	v_mad_i64_i32 v[37:38], null, v35, s8, 0
	v_add_f32_e32 v39, v39, v36
	v_mov_b32_e32 v36, 0
	v_lshlrev_b64 v[32:33], 2, v[37:38]
	v_add_co_u32 v37, vcc_lo, v46, v12
	v_add_co_ci_u32_e64 v38, null, v47, v13, vcc_lo
	v_add_co_u32 v32, vcc_lo, s12, v32
	v_add_co_ci_u32_e64 v33, null, s13, v33, vcc_lo
	s_and_b32 vcc_lo, exec_lo, s1
	global_store_dword v[37:38], v39, off
	s_cbranch_vccnz .LBB85_68
; %bb.67:
	v_add_co_u32 v36, vcc_lo, v32, v0
	v_add_co_ci_u32_e64 v37, null, v33, v1, vcc_lo
	global_load_dword v36, v[36:37], off
	s_waitcnt vmcnt(0)
	v_mul_f32_e32 v36, s2, v36
.LBB85_68:
	v_mad_i64_i32 v[37:38], null, v35, s3, 0
	v_add_f32_e32 v35, v30, v31
	v_add_f32_e32 v35, v35, v36
	v_lshlrev_b64 v[37:38], 2, v[37:38]
	v_add_co_u32 v30, vcc_lo, s4, v37
	v_add_co_ci_u32_e64 v31, null, s5, v38, vcc_lo
	v_add_co_u32 v0, vcc_lo, v30, v0
	v_add_co_ci_u32_e64 v1, null, v31, v1, vcc_lo
	s_and_b32 vcc_lo, exec_lo, s1
	global_store_dword v[0:1], v35, off
	s_cbranch_vccnz .LBB85_70
; %bb.69:
	v_add_co_u32 v0, vcc_lo, v32, v2
	v_add_co_ci_u32_e64 v1, null, v33, v3, vcc_lo
	global_load_dword v0, v[0:1], off
	s_waitcnt vmcnt(0)
	v_mul_f32_e32 v34, s2, v0
.LBB85_70:
	v_add_f32_e32 v0, v28, v29
	v_add_co_u32 v2, vcc_lo, v30, v2
	v_add_co_ci_u32_e64 v3, null, v31, v3, vcc_lo
	v_add_f32_e32 v28, v0, v34
	v_mov_b32_e32 v0, 0
	v_mov_b32_e32 v1, 0
	s_and_b32 vcc_lo, exec_lo, s1
	global_store_dword v[2:3], v28, off
	s_cbranch_vccnz .LBB85_72
; %bb.71:
	v_add_co_u32 v1, vcc_lo, v32, v4
	v_add_co_ci_u32_e64 v2, null, v33, v5, vcc_lo
	global_load_dword v1, v[1:2], off
	s_waitcnt vmcnt(0)
	v_mul_f32_e32 v1, s2, v1
.LBB85_72:
	v_add_f32_e32 v2, v26, v27
	v_add_f32_e32 v3, v2, v1
	v_add_co_u32 v1, vcc_lo, v30, v4
	v_add_co_ci_u32_e64 v2, null, v31, v5, vcc_lo
	s_and_b32 vcc_lo, exec_lo, s1
	global_store_dword v[1:2], v3, off
	s_cbranch_vccnz .LBB85_74
; %bb.73:
	v_add_co_u32 v0, vcc_lo, v32, v6
	v_add_co_ci_u32_e64 v1, null, v33, v7, vcc_lo
	global_load_dword v0, v[0:1], off
	s_waitcnt vmcnt(0)
	v_mul_f32_e32 v0, s2, v0
.LBB85_74:
	v_add_f32_e32 v1, v24, v25
	v_add_co_u32 v2, vcc_lo, v30, v6
	v_add_co_ci_u32_e64 v3, null, v31, v7, vcc_lo
	v_add_f32_e32 v4, v1, v0
	v_mov_b32_e32 v0, 0
	v_mov_b32_e32 v1, 0
	s_and_b32 vcc_lo, exec_lo, s1
	global_store_dword v[2:3], v4, off
	s_cbranch_vccnz .LBB85_76
; %bb.75:
	v_add_co_u32 v1, vcc_lo, v32, v10
	v_add_co_ci_u32_e64 v2, null, v33, v11, vcc_lo
	global_load_dword v1, v[1:2], off
	s_waitcnt vmcnt(0)
	v_mul_f32_e32 v1, s2, v1
.LBB85_76:
	v_add_f32_e32 v2, v22, v23
	v_add_f32_e32 v3, v2, v1
	v_add_co_u32 v1, vcc_lo, v30, v10
	v_add_co_ci_u32_e64 v2, null, v31, v11, vcc_lo
	s_and_b32 vcc_lo, exec_lo, s1
	global_store_dword v[1:2], v3, off
	s_cbranch_vccnz .LBB85_78
; %bb.77:
	v_add_co_u32 v0, vcc_lo, v32, v14
	v_add_co_ci_u32_e64 v1, null, v33, v15, vcc_lo
	global_load_dword v0, v[0:1], off
	s_waitcnt vmcnt(0)
	v_mul_f32_e32 v0, s2, v0
.LBB85_78:
	v_add_f32_e32 v3, v20, v21
	v_add_co_u32 v1, vcc_lo, v30, v14
	v_add_co_ci_u32_e64 v2, null, v31, v15, vcc_lo
	v_add_f32_e32 v3, v3, v0
	v_add_f32_e32 v0, v18, v19
	s_mov_b32 s1, -1
	s_mov_b32 vcc_lo, s0
	global_store_dword v[1:2], v3, off
	s_cbranch_vccz .LBB85_80
; %bb.79:
	v_add_co_u32 v1, vcc_lo, v30, v8
	v_add_f32_e32 v3, 0, v0
	v_add_co_ci_u32_e64 v2, null, v31, v9, vcc_lo
	s_mov_b32 s1, 0
	global_store_dword v[1:2], v3, off
.LBB85_80:
	v_mov_b32_e32 v1, 0
	s_andn2_b32 vcc_lo, exec_lo, s1
	s_cbranch_vccnz .LBB85_82
; %bb.81:
	v_add_co_u32 v1, vcc_lo, v32, v8
	v_add_co_ci_u32_e64 v2, null, v33, v9, vcc_lo
	global_load_dword v3, v[1:2], off
	v_add_co_u32 v1, vcc_lo, v30, v8
	v_add_co_ci_u32_e64 v2, null, v31, v9, vcc_lo
	s_waitcnt vmcnt(0)
	v_fmac_f32_e32 v0, s2, v3
	v_add_co_u32 v3, vcc_lo, v32, v12
	v_add_co_ci_u32_e64 v4, null, v33, v13, vcc_lo
	global_store_dword v[1:2], v0, off
	global_load_dword v0, v[3:4], off
	s_waitcnt vmcnt(0)
	v_mul_f32_e32 v1, s2, v0
.LBB85_82:
	v_add_f32_e32 v0, v16, v17
	v_add_f32_e32 v2, v0, v1
	v_add_co_u32 v0, vcc_lo, v30, v12
	v_add_co_ci_u32_e64 v1, null, v31, v13, vcc_lo
	global_store_dword v[0:1], v2, off
	s_endpgm
.LBB85_83:
	s_mov_b64 s[18:19], 0
	s_andn2_b32 vcc_lo, exec_lo, s8
	s_mov_b32 s0, -1
	s_cbranch_vccz .LBB85_2
	s_branch .LBB85_3
	.section	.rodata,"a",@progbits
	.p2align	6, 0x0
	.amdhsa_kernel _ZN12_GLOBAL__N_120geam_min_plus_kernelIf15HIP_vector_typeIfLj2EES2_Li8ELi32ELi64ELi128ELi4ELi4ELi64ELi4ELi64ELc84ELc78ELb1ELb0ELb0EfKffEEviiiT16_PT17_ilS6_ilS4_S6_ilPT18_ili26rocblas_geam_ex_operation_
		.amdhsa_group_segment_fixed_size 6144
		.amdhsa_private_segment_fixed_size 0
		.amdhsa_kernarg_size 128
		.amdhsa_user_sgpr_count 6
		.amdhsa_user_sgpr_private_segment_buffer 1
		.amdhsa_user_sgpr_dispatch_ptr 0
		.amdhsa_user_sgpr_queue_ptr 0
		.amdhsa_user_sgpr_kernarg_segment_ptr 1
		.amdhsa_user_sgpr_dispatch_id 0
		.amdhsa_user_sgpr_flat_scratch_init 0
		.amdhsa_user_sgpr_private_segment_size 0
		.amdhsa_wavefront_size32 1
		.amdhsa_uses_dynamic_stack 0
		.amdhsa_system_sgpr_private_segment_wavefront_offset 0
		.amdhsa_system_sgpr_workgroup_id_x 1
		.amdhsa_system_sgpr_workgroup_id_y 0
		.amdhsa_system_sgpr_workgroup_id_z 1
		.amdhsa_system_sgpr_workgroup_info 0
		.amdhsa_system_vgpr_workitem_id 1
		.amdhsa_next_free_vgpr 117
		.amdhsa_next_free_sgpr 23
		.amdhsa_reserve_vcc 1
		.amdhsa_reserve_flat_scratch 0
		.amdhsa_float_round_mode_32 0
		.amdhsa_float_round_mode_16_64 0
		.amdhsa_float_denorm_mode_32 3
		.amdhsa_float_denorm_mode_16_64 3
		.amdhsa_dx10_clamp 1
		.amdhsa_ieee_mode 1
		.amdhsa_fp16_overflow 0
		.amdhsa_workgroup_processor_mode 1
		.amdhsa_memory_ordered 1
		.amdhsa_forward_progress 1
		.amdhsa_shared_vgpr_count 0
		.amdhsa_exception_fp_ieee_invalid_op 0
		.amdhsa_exception_fp_denorm_src 0
		.amdhsa_exception_fp_ieee_div_zero 0
		.amdhsa_exception_fp_ieee_overflow 0
		.amdhsa_exception_fp_ieee_underflow 0
		.amdhsa_exception_fp_ieee_inexact 0
		.amdhsa_exception_int_div_zero 0
	.end_amdhsa_kernel
	.section	.text._ZN12_GLOBAL__N_120geam_min_plus_kernelIf15HIP_vector_typeIfLj2EES2_Li8ELi32ELi64ELi128ELi4ELi4ELi64ELi4ELi64ELc84ELc78ELb1ELb0ELb0EfKffEEviiiT16_PT17_ilS6_ilS4_S6_ilPT18_ili26rocblas_geam_ex_operation_,"axG",@progbits,_ZN12_GLOBAL__N_120geam_min_plus_kernelIf15HIP_vector_typeIfLj2EES2_Li8ELi32ELi64ELi128ELi4ELi4ELi64ELi4ELi64ELc84ELc78ELb1ELb0ELb0EfKffEEviiiT16_PT17_ilS6_ilS4_S6_ilPT18_ili26rocblas_geam_ex_operation_,comdat
.Lfunc_end85:
	.size	_ZN12_GLOBAL__N_120geam_min_plus_kernelIf15HIP_vector_typeIfLj2EES2_Li8ELi32ELi64ELi128ELi4ELi4ELi64ELi4ELi64ELc84ELc78ELb1ELb0ELb0EfKffEEviiiT16_PT17_ilS6_ilS4_S6_ilPT18_ili26rocblas_geam_ex_operation_, .Lfunc_end85-_ZN12_GLOBAL__N_120geam_min_plus_kernelIf15HIP_vector_typeIfLj2EES2_Li8ELi32ELi64ELi128ELi4ELi4ELi64ELi4ELi64ELc84ELc78ELb1ELb0ELb0EfKffEEviiiT16_PT17_ilS6_ilS4_S6_ilPT18_ili26rocblas_geam_ex_operation_
                                        ; -- End function
	.set _ZN12_GLOBAL__N_120geam_min_plus_kernelIf15HIP_vector_typeIfLj2EES2_Li8ELi32ELi64ELi128ELi4ELi4ELi64ELi4ELi64ELc84ELc78ELb1ELb0ELb0EfKffEEviiiT16_PT17_ilS6_ilS4_S6_ilPT18_ili26rocblas_geam_ex_operation_.num_vgpr, 117
	.set _ZN12_GLOBAL__N_120geam_min_plus_kernelIf15HIP_vector_typeIfLj2EES2_Li8ELi32ELi64ELi128ELi4ELi4ELi64ELi4ELi64ELc84ELc78ELb1ELb0ELb0EfKffEEviiiT16_PT17_ilS6_ilS4_S6_ilPT18_ili26rocblas_geam_ex_operation_.num_agpr, 0
	.set _ZN12_GLOBAL__N_120geam_min_plus_kernelIf15HIP_vector_typeIfLj2EES2_Li8ELi32ELi64ELi128ELi4ELi4ELi64ELi4ELi64ELc84ELc78ELb1ELb0ELb0EfKffEEviiiT16_PT17_ilS6_ilS4_S6_ilPT18_ili26rocblas_geam_ex_operation_.numbered_sgpr, 23
	.set _ZN12_GLOBAL__N_120geam_min_plus_kernelIf15HIP_vector_typeIfLj2EES2_Li8ELi32ELi64ELi128ELi4ELi4ELi64ELi4ELi64ELc84ELc78ELb1ELb0ELb0EfKffEEviiiT16_PT17_ilS6_ilS4_S6_ilPT18_ili26rocblas_geam_ex_operation_.num_named_barrier, 0
	.set _ZN12_GLOBAL__N_120geam_min_plus_kernelIf15HIP_vector_typeIfLj2EES2_Li8ELi32ELi64ELi128ELi4ELi4ELi64ELi4ELi64ELc84ELc78ELb1ELb0ELb0EfKffEEviiiT16_PT17_ilS6_ilS4_S6_ilPT18_ili26rocblas_geam_ex_operation_.private_seg_size, 0
	.set _ZN12_GLOBAL__N_120geam_min_plus_kernelIf15HIP_vector_typeIfLj2EES2_Li8ELi32ELi64ELi128ELi4ELi4ELi64ELi4ELi64ELc84ELc78ELb1ELb0ELb0EfKffEEviiiT16_PT17_ilS6_ilS4_S6_ilPT18_ili26rocblas_geam_ex_operation_.uses_vcc, 1
	.set _ZN12_GLOBAL__N_120geam_min_plus_kernelIf15HIP_vector_typeIfLj2EES2_Li8ELi32ELi64ELi128ELi4ELi4ELi64ELi4ELi64ELc84ELc78ELb1ELb0ELb0EfKffEEviiiT16_PT17_ilS6_ilS4_S6_ilPT18_ili26rocblas_geam_ex_operation_.uses_flat_scratch, 0
	.set _ZN12_GLOBAL__N_120geam_min_plus_kernelIf15HIP_vector_typeIfLj2EES2_Li8ELi32ELi64ELi128ELi4ELi4ELi64ELi4ELi64ELc84ELc78ELb1ELb0ELb0EfKffEEviiiT16_PT17_ilS6_ilS4_S6_ilPT18_ili26rocblas_geam_ex_operation_.has_dyn_sized_stack, 0
	.set _ZN12_GLOBAL__N_120geam_min_plus_kernelIf15HIP_vector_typeIfLj2EES2_Li8ELi32ELi64ELi128ELi4ELi4ELi64ELi4ELi64ELc84ELc78ELb1ELb0ELb0EfKffEEviiiT16_PT17_ilS6_ilS4_S6_ilPT18_ili26rocblas_geam_ex_operation_.has_recursion, 0
	.set _ZN12_GLOBAL__N_120geam_min_plus_kernelIf15HIP_vector_typeIfLj2EES2_Li8ELi32ELi64ELi128ELi4ELi4ELi64ELi4ELi64ELc84ELc78ELb1ELb0ELb0EfKffEEviiiT16_PT17_ilS6_ilS4_S6_ilPT18_ili26rocblas_geam_ex_operation_.has_indirect_call, 0
	.section	.AMDGPU.csdata,"",@progbits
; Kernel info:
; codeLenInByte = 7088
; TotalNumSgprs: 25
; NumVgprs: 117
; ScratchSize: 0
; MemoryBound: 0
; FloatMode: 240
; IeeeMode: 1
; LDSByteSize: 6144 bytes/workgroup (compile time only)
; SGPRBlocks: 0
; VGPRBlocks: 14
; NumSGPRsForWavesPerEU: 25
; NumVGPRsForWavesPerEU: 117
; Occupancy: 8
; WaveLimiterHint : 0
; COMPUTE_PGM_RSRC2:SCRATCH_EN: 0
; COMPUTE_PGM_RSRC2:USER_SGPR: 6
; COMPUTE_PGM_RSRC2:TRAP_HANDLER: 0
; COMPUTE_PGM_RSRC2:TGID_X_EN: 1
; COMPUTE_PGM_RSRC2:TGID_Y_EN: 0
; COMPUTE_PGM_RSRC2:TGID_Z_EN: 1
; COMPUTE_PGM_RSRC2:TIDIG_COMP_CNT: 1
	.section	.text._ZN12_GLOBAL__N_120geam_min_plus_kernelIf15HIP_vector_typeIfLj2EES2_Li8ELi32ELi64ELi128ELi4ELi4ELi64ELi4ELi64ELc84ELc78ELb0ELb0ELb0EfKffEEviiiT16_PT17_ilS6_ilS4_S6_ilPT18_ili26rocblas_geam_ex_operation_,"axG",@progbits,_ZN12_GLOBAL__N_120geam_min_plus_kernelIf15HIP_vector_typeIfLj2EES2_Li8ELi32ELi64ELi128ELi4ELi4ELi64ELi4ELi64ELc84ELc78ELb0ELb0ELb0EfKffEEviiiT16_PT17_ilS6_ilS4_S6_ilPT18_ili26rocblas_geam_ex_operation_,comdat
	.globl	_ZN12_GLOBAL__N_120geam_min_plus_kernelIf15HIP_vector_typeIfLj2EES2_Li8ELi32ELi64ELi128ELi4ELi4ELi64ELi4ELi64ELc84ELc78ELb0ELb0ELb0EfKffEEviiiT16_PT17_ilS6_ilS4_S6_ilPT18_ili26rocblas_geam_ex_operation_ ; -- Begin function _ZN12_GLOBAL__N_120geam_min_plus_kernelIf15HIP_vector_typeIfLj2EES2_Li8ELi32ELi64ELi128ELi4ELi4ELi64ELi4ELi64ELc84ELc78ELb0ELb0ELb0EfKffEEviiiT16_PT17_ilS6_ilS4_S6_ilPT18_ili26rocblas_geam_ex_operation_
	.p2align	8
	.type	_ZN12_GLOBAL__N_120geam_min_plus_kernelIf15HIP_vector_typeIfLj2EES2_Li8ELi32ELi64ELi128ELi4ELi4ELi64ELi4ELi64ELc84ELc78ELb0ELb0ELb0EfKffEEviiiT16_PT17_ilS6_ilS4_S6_ilPT18_ili26rocblas_geam_ex_operation_,@function
_ZN12_GLOBAL__N_120geam_min_plus_kernelIf15HIP_vector_typeIfLj2EES2_Li8ELi32ELi64ELi128ELi4ELi4ELi64ELi4ELi64ELc84ELc78ELb0ELb0ELb0EfKffEEviiiT16_PT17_ilS6_ilS4_S6_ilPT18_ili26rocblas_geam_ex_operation_: ; @_ZN12_GLOBAL__N_120geam_min_plus_kernelIf15HIP_vector_typeIfLj2EES2_Li8ELi32ELi64ELi128ELi4ELi4ELi64ELi4ELi64ELc84ELc78ELb0ELb0ELb0EfKffEEviiiT16_PT17_ilS6_ilS4_S6_ilPT18_ili26rocblas_geam_ex_operation_
; %bb.0:
	s_clause 0x1
	s_load_dwordx2 s[14:15], s[4:5], 0x8
	s_load_dwordx4 s[8:11], s[4:5], 0x20
	s_waitcnt lgkmcnt(0)
	v_cmp_eq_f32_e64 s0, s15, 0
	s_and_b32 s1, exec_lo, s0
	s_mov_b32 vcc_lo, s1
	s_cbranch_vccnz .LBB86_95
; %bb.1:
	s_load_dwordx2 s[2:3], s[4:5], 0x10
	s_mul_i32 s9, s9, s7
	s_mul_hi_u32 s12, s8, s7
	s_mul_i32 s8, s8, s7
	s_add_i32 s9, s12, s9
	s_lshl_b64 s[8:9], s[8:9], 2
	s_waitcnt lgkmcnt(0)
	s_add_u32 s18, s2, s8
	s_addc_u32 s19, s3, s9
	s_andn2_b32 vcc_lo, exec_lo, s0
	s_mov_b32 s0, -1
	s_cbranch_vccnz .LBB86_3
.LBB86_2:
	s_mov_b32 s0, 0
.LBB86_3:
	s_mov_b64 s[12:13], 0
	s_andn2_b32 vcc_lo, exec_lo, s0
	s_mov_b64 s[16:17], 0
	s_cbranch_vccnz .LBB86_5
; %bb.4:
	s_load_dwordx2 s[2:3], s[4:5], 0x38
	s_waitcnt lgkmcnt(0)
	s_mul_i32 s0, s3, s7
	s_mul_hi_u32 s3, s2, s7
	s_mul_i32 s2, s2, s7
	s_add_i32 s3, s3, s0
	s_lshl_b64 s[2:3], s[2:3], 2
	s_add_u32 s16, s10, s2
	s_addc_u32 s17, s11, s3
.LBB86_5:
	s_clause 0x1
	s_load_dword s3, s[4:5], 0x40
	s_load_dwordx4 s[8:11], s[4:5], 0x58
	v_cmp_neq_f32_e64 s21, s15, 0
	s_waitcnt lgkmcnt(0)
	v_cmp_eq_f32_e64 s0, s3, 0
	s_and_b32 s0, exec_lo, s0
	s_mov_b32 vcc_lo, s0
	s_cbranch_vccnz .LBB86_7
; %bb.6:
	s_load_dwordx2 s[12:13], s[4:5], 0x48
	s_mul_i32 s2, s9, s7
	s_mul_hi_u32 s9, s8, s7
	s_mul_i32 s8, s8, s7
	s_add_i32 s9, s9, s2
	s_lshl_b64 s[8:9], s[8:9], 2
	s_waitcnt lgkmcnt(0)
	s_add_u32 s12, s12, s8
	s_addc_u32 s13, s13, s9
.LBB86_7:
	s_clause 0x2
	s_load_dword s2, s[4:5], 0x0
	s_load_dword s20, s[4:5], 0x18
	;; [unrolled: 1-line block ×3, first 2 shown]
	v_and_b32_e32 v12, 3, v0
	v_cndmask_b32_e64 v3, 0, 1, s21
	v_mov_b32_e32 v7, 0
	v_mov_b32_e32 v10, 0
	;; [unrolled: 1-line block ×3, first 2 shown]
	v_lshlrev_b32_e32 v6, 2, v12
	v_mov_b32_e32 v14, 0
	s_waitcnt lgkmcnt(0)
	s_add_i32 s2, s2, -1
	s_ashr_i32 s8, s2, 31
	s_lshr_b32 s8, s8, 26
	s_add_i32 s2, s2, s8
	s_ashr_i32 s2, s2, 6
	s_add_i32 s8, s2, 1
	s_not_b32 s2, s2
	v_cvt_f32_u32_e32 v2, s8
	v_rcp_iflag_f32_e32 v2, v2
	v_mul_f32_e32 v2, 0x4f7ffffe, v2
	v_cvt_u32_f32_e32 v2, v2
	v_readfirstlane_b32 s22, v2
	v_lshl_add_u32 v2, v1, 3, v0
	s_mul_i32 s2, s2, s22
	v_lshrrev_b32_e32 v5, 2, v2
	s_mul_hi_u32 s2, s22, s2
	s_add_i32 s22, s22, s2
	s_mul_hi_u32 s2, s6, s22
	s_mul_i32 s22, s2, s8
	s_add_i32 s23, s2, 1
	s_sub_i32 s22, s6, s22
	s_sub_i32 s24, s22, s8
	s_cmp_ge_u32 s22, s8
	s_cselect_b32 s2, s23, s2
	s_cselect_b32 s22, s24, s22
	s_add_i32 s23, s2, 1
	s_cmp_ge_u32 s22, s8
	s_cselect_b32 s2, s23, s2
	s_andn2_b32 vcc_lo, exec_lo, s21
	s_mul_i32 s22, s2, s8
	s_lshl_b32 s8, s2, 7
	s_sub_i32 s6, s6, s22
	v_add_nc_u32_e32 v2, s8, v5
	s_lshl_b32 s6, s6, 6
	v_cmp_ne_u32_e64 s2, 1, v3
	v_add_nc_u32_e32 v4, s6, v5
	v_add_nc_u32_e32 v3, 64, v2
	s_cbranch_vccnz .LBB86_9
; %bb.8:
	v_mad_i64_i32 v[8:9], null, v4, s20, 0
	v_mad_i64_i32 v[10:11], null, v2, s9, 0
	;; [unrolled: 1-line block ×3, first 2 shown]
	v_add_co_u32 v15, s21, s16, v6
	v_lshlrev_b64 v[8:9], 2, v[8:9]
	v_add_co_ci_u32_e64 v16, null, s17, 0, s21
	v_lshlrev_b64 v[13:14], 2, v[13:14]
	v_add_co_u32 v17, vcc_lo, s18, v8
	v_add_co_ci_u32_e64 v18, null, s19, v9, vcc_lo
	v_lshlrev_b64 v[8:9], 2, v[10:11]
	v_add_co_u32 v10, vcc_lo, v17, v6
	v_add_co_ci_u32_e64 v11, null, 0, v18, vcc_lo
	v_add_co_u32 v8, vcc_lo, v15, v8
	v_add_co_ci_u32_e64 v9, null, v16, v9, vcc_lo
	;; [unrolled: 2-line block ×3, first 2 shown]
	global_load_dword v8, v[8:9], off
	global_load_dword v9, v[10:11], off
	;; [unrolled: 1-line block ×3, first 2 shown]
	s_waitcnt vmcnt(2)
	v_mul_f32_e32 v14, s15, v8
	s_waitcnt vmcnt(1)
	v_mul_f32_e32 v10, s15, v9
	;; [unrolled: 2-line block ×3, first 2 shown]
.LBB86_9:
	v_mov_b32_e32 v9, 0
	v_mov_b32_e32 v8, 0
	s_and_b32 vcc_lo, exec_lo, s2
	s_cbranch_vccnz .LBB86_11
; %bb.10:
	v_mad_i64_i32 v[7:8], null, v4, s20, 0
	v_mad_i64_i32 v[15:16], null, v2, s9, 0
	;; [unrolled: 1-line block ×3, first 2 shown]
	v_add_co_u32 v9, s2, s16, v6
	v_lshlrev_b64 v[7:8], 2, v[7:8]
	v_add_co_ci_u32_e64 v13, null, s17, 0, s2
	v_lshlrev_b64 v[17:18], 2, v[17:18]
	v_add_co_u32 v19, vcc_lo, s18, v7
	v_add_co_ci_u32_e64 v20, null, s19, v8, vcc_lo
	v_lshlrev_b64 v[7:8], 2, v[15:16]
	v_add_co_u32 v15, vcc_lo, v19, v6
	v_add_co_ci_u32_e64 v16, null, 0, v20, vcc_lo
	v_add_co_u32 v7, vcc_lo, v9, v7
	v_add_co_ci_u32_e64 v8, null, v13, v8, vcc_lo
	;; [unrolled: 2-line block ×3, first 2 shown]
	global_load_dword v7, v[7:8], off offset:16
	global_load_dword v9, v[15:16], off offset:16
	;; [unrolled: 1-line block ×3, first 2 shown]
	s_waitcnt vmcnt(2)
	v_mul_f32_e32 v8, s15, v7
	s_waitcnt vmcnt(1)
	v_mul_f32_e32 v7, s15, v9
	;; [unrolled: 2-line block ×3, first 2 shown]
.LBB86_11:
	v_lshlrev_b32_e32 v13, 4, v5
	v_mov_b32_e32 v74, 0
	v_cmp_neq_f32_e64 s2, s3, 0
	v_lshl_or_b32 v76, v0, 4, 0x1000
	v_lshlrev_b32_e32 v77, 4, v1
	v_lshl_or_b32 v13, v12, 2, v13
	v_mov_b32_e32 v75, v74
	v_mov_b32_e32 v72, v74
	;; [unrolled: 1-line block ×4, first 2 shown]
	v_add_nc_u32_e32 v78, 0x1000, v13
	ds_write_b32 v13, v10 offset:4096
	ds_write2st64_b32 v13, v14, v11 offset1:4
	v_mov_b32_e32 v71, v74
	v_mov_b32_e32 v10, v74
	;; [unrolled: 1-line block ×59, first 2 shown]
	s_mov_b32 s22, 0
	s_mov_b32 s21, -1
	s_waitcnt lgkmcnt(0)
	s_barrier
	buffer_gl0_inv
.LBB86_12:                              ; =>This Inner Loop Header: Depth=1
	s_lshl_b32 s22, s22, 2
	s_andn2_b32 vcc_lo, exec_lo, s21
	v_add_nc_u32_e32 v91, s22, v76
	v_add_nc_u32_e32 v99, s22, v77
	s_mov_b32 s21, 0
	s_mov_b32 s22, 2
	ds_read2_b64 v[79:82], v91 offset1:16
	ds_read2_b64 v[83:86], v91 offset0:32 offset1:48
	ds_read2_b64 v[87:90], v91 offset0:64 offset1:80
	;; [unrolled: 1-line block ×3, first 2 shown]
	ds_read2st64_b64 v[95:98], v99 offset1:1
	ds_read2st64_b64 v[99:102], v99 offset0:2 offset1:3
	s_waitcnt lgkmcnt(5)
	v_max_f32_e32 v103, v79, v79
	v_max_f32_e32 v81, v81, v81
	s_waitcnt lgkmcnt(4)
	v_max_f32_e32 v83, v83, v83
	s_waitcnt lgkmcnt(1)
	v_max_f32_e32 v95, v95, v95
	v_max_f32_e32 v85, v85, v85
	;; [unrolled: 1-line block ×5, first 2 shown]
	v_min_f32_e32 v79, v103, v95
	v_max_f32_e32 v89, v89, v89
	v_max_f32_e32 v82, v82, v82
	;; [unrolled: 1-line block ×3, first 2 shown]
	v_min_f32_e32 v104, v80, v96
	v_add_f32_e32 v74, v79, v74
	v_min_f32_e32 v79, v81, v95
	v_max_f32_e32 v84, v84, v84
	v_max_f32_e32 v86, v86, v86
	v_add_f32_e32 v75, v104, v75
	v_min_f32_e32 v104, v82, v96
	v_add_f32_e32 v72, v79, v72
	v_min_f32_e32 v79, v83, v95
	v_max_f32_e32 v88, v88, v88
	v_max_f32_e32 v93, v93, v93
	v_add_f32_e32 v73, v104, v73
	;; [unrolled: 6-line block ×3, first 2 shown]
	v_min_f32_e32 v104, v86, v96
	v_add_f32_e32 v10, v79, v10
	v_min_f32_e32 v79, v87, v95
	v_add_f32_e32 v11, v104, v11
	;; [unrolled: 2-line block ×5, first 2 shown]
	v_min_f32_e32 v79, v91, v95
	v_min_f32_e32 v95, v93, v95
	v_add_f32_e32 v69, v104, v69
	v_min_f32_e32 v104, v92, v96
	v_add_f32_e32 v66, v79, v66
	v_max_f32_e32 v79, v94, v94
	v_add_f32_e32 v64, v95, v64
	v_add_f32_e32 v67, v104, v67
	v_min_f32_e32 v94, v79, v96
	v_max_f32_e32 v96, v98, v98
	v_add_f32_e32 v65, v94, v65
	v_max_f32_e32 v94, v97, v97
	v_min_f32_e32 v97, v80, v96
	v_min_f32_e32 v95, v103, v94
	v_add_f32_e32 v63, v97, v63
	v_min_f32_e32 v97, v82, v96
	v_add_f32_e32 v62, v95, v62
	v_min_f32_e32 v95, v81, v94
	v_add_f32_e32 v61, v97, v61
	v_min_f32_e32 v97, v84, v96
	v_add_f32_e32 v60, v95, v60
	v_min_f32_e32 v95, v83, v94
	v_add_f32_e32 v59, v97, v59
	v_min_f32_e32 v97, v86, v96
	v_add_f32_e32 v58, v95, v58
	v_min_f32_e32 v95, v85, v94
	v_add_f32_e32 v57, v97, v57
	v_min_f32_e32 v97, v88, v96
	v_add_f32_e32 v56, v95, v56
	v_min_f32_e32 v95, v87, v94
	v_add_f32_e32 v55, v97, v55
	v_min_f32_e32 v97, v90, v96
	v_add_f32_e32 v54, v95, v54
	v_min_f32_e32 v95, v89, v94
	v_add_f32_e32 v53, v97, v53
	v_min_f32_e32 v97, v92, v96
	v_add_f32_e32 v52, v95, v52
	v_min_f32_e32 v95, v91, v94
	v_min_f32_e32 v94, v93, v94
	v_add_f32_e32 v51, v97, v51
	v_add_f32_e32 v50, v95, v50
	v_min_f32_e32 v95, v79, v96
	v_add_f32_e32 v48, v94, v48
	s_waitcnt lgkmcnt(0)
	v_max_f32_e32 v94, v99, v99
	v_max_f32_e32 v96, v100, v100
	v_add_f32_e32 v49, v95, v49
	v_min_f32_e32 v95, v103, v94
	v_min_f32_e32 v97, v80, v96
	v_add_f32_e32 v46, v95, v46
	v_min_f32_e32 v95, v81, v94
	v_add_f32_e32 v47, v97, v47
	;; [unrolled: 2-line block ×12, first 2 shown]
	v_min_f32_e32 v97, v92, v96
	v_min_f32_e32 v94, v93, v94
	v_add_f32_e32 v34, v95, v34
	v_min_f32_e32 v95, v79, v96
	v_max_f32_e32 v96, v102, v102
	v_add_f32_e32 v32, v94, v32
	v_max_f32_e32 v94, v101, v101
	v_add_f32_e32 v35, v97, v35
	v_add_f32_e32 v33, v95, v33
	v_min_f32_e32 v80, v80, v96
	v_min_f32_e32 v79, v79, v96
	;; [unrolled: 1-line block ×3, first 2 shown]
	v_add_f32_e32 v31, v80, v31
	v_min_f32_e32 v80, v81, v94
	v_min_f32_e32 v81, v82, v96
	v_add_f32_e32 v30, v95, v30
	v_add_f32_e32 v17, v79, v17
	;; [unrolled: 1-line block ×3, first 2 shown]
	v_min_f32_e32 v80, v83, v94
	v_add_f32_e32 v29, v81, v29
	v_min_f32_e32 v81, v84, v96
	v_add_f32_e32 v26, v80, v26
	;; [unrolled: 2-line block ×11, first 2 shown]
	v_add_f32_e32 v16, v80, v16
	s_cbranch_vccz .LBB86_12
; %bb.13:
	v_lshl_or_b32 v5, v5, 4, v6
	v_lshl_add_u32 v79, v0, 4, 0x1400
	v_lshl_add_u32 v80, v1, 4, 0x800
	s_cmp_lt_i32 s14, 9
	ds_write_b32 v5, v7 offset:5120
	ds_write2st64_b32 v5, v8, v9 offset0:8 offset1:12
	s_waitcnt lgkmcnt(0)
	s_barrier
	buffer_gl0_inv
	s_cbranch_scc1 .LBB86_28
; %bb.14:
	v_mad_i64_i32 v[6:7], null, v4, s20, 0
	v_mad_i64_i32 v[83:84], null, v3, s9, 0
	;; [unrolled: 1-line block ×3, first 2 shown]
	v_add_nc_u32_e32 v81, 0x1400, v5
	v_add_nc_u32_e32 v82, 0x800, v5
	v_lshlrev_b64 v[6:7], 2, v[6:7]
	s_add_i32 s9, s14, -8
	v_lshlrev_b64 v[4:5], 2, v[83:84]
	s_mov_b32 s14, 8
	v_lshlrev_b64 v[2:3], 2, v[8:9]
	v_add_co_u32 v83, vcc_lo, s18, v6
	v_add_co_ci_u32_e64 v84, null, s19, v7, vcc_lo
	v_mov_b32_e32 v7, 0
	s_mov_b32 s18, 0
.LBB86_15:                              ; =>This Loop Header: Depth=1
                                        ;     Child Loop BB86_20 Depth 2
                                        ;     Child Loop BB86_26 Depth 2
	s_mov_b32 s19, -1
	s_mov_b32 vcc_lo, s1
                                        ; implicit-def: $vgpr8_vgpr9
	s_cbranch_vccz .LBB86_17
; %bb.16:                               ;   in Loop: Header=BB86_15 Depth=1
	v_mov_b32_e32 v8, v7
	s_mov_b32 s19, 0
.LBB86_17:                              ;   in Loop: Header=BB86_15 Depth=1
	v_mov_b32_e32 v6, 0
	v_mov_b32_e32 v9, 0
	s_andn2_b32 vcc_lo, exec_lo, s19
	s_cbranch_vccnz .LBB86_19
; %bb.18:                               ;   in Loop: Header=BB86_15 Depth=1
	v_or_b32_e32 v6, s14, v12
	v_lshlrev_b64 v[8:9], 2, v[6:7]
	v_add_co_u32 v6, vcc_lo, s16, v8
	v_add_co_ci_u32_e64 v88, null, s17, v9, vcc_lo
	v_add_co_u32 v8, vcc_lo, v83, v8
	v_add_co_ci_u32_e64 v9, null, v84, v9, vcc_lo
	;; [unrolled: 2-line block ×4, first 2 shown]
	global_load_dword v6, v[8:9], off
	s_clause 0x1
	global_load_dword v8, v[85:86], off
	global_load_dword v9, v[87:88], off
	s_waitcnt vmcnt(2)
	v_mul_f32_e32 v6, s15, v6
	s_waitcnt vmcnt(1)
	v_mul_f32_e32 v8, s15, v8
	;; [unrolled: 2-line block ×3, first 2 shown]
.LBB86_19:                              ;   in Loop: Header=BB86_15 Depth=1
	s_mov_b32 s20, 0
	s_mov_b32 s19, -1
.LBB86_20:                              ;   Parent Loop BB86_15 Depth=1
                                        ; =>  This Inner Loop Header: Depth=2
	s_lshl_b32 s20, s20, 2
	s_andn2_b32 vcc_lo, exec_lo, s19
	v_add_nc_u32_e32 v97, s20, v79
	v_add_nc_u32_e32 v105, s20, v80
	s_mov_b32 s19, 0
	s_mov_b32 s20, 2
	ds_read2_b64 v[85:88], v97 offset1:16
	ds_read2_b64 v[89:92], v97 offset0:32 offset1:48
	ds_read2_b64 v[93:96], v97 offset0:64 offset1:80
	;; [unrolled: 1-line block ×3, first 2 shown]
	ds_read2st64_b64 v[101:104], v105 offset1:1
	ds_read2st64_b64 v[105:108], v105 offset0:2 offset1:3
	s_waitcnt lgkmcnt(5)
	v_max_f32_e32 v85, v85, v85
	v_max_f32_e32 v86, v86, v86
	v_max_f32_e32 v87, v87, v87
	s_waitcnt lgkmcnt(1)
	v_max_f32_e32 v101, v101, v101
	v_max_f32_e32 v102, v102, v102
	;; [unrolled: 1-line block ×5, first 2 shown]
	v_min_f32_e32 v109, v85, v101
	v_min_f32_e32 v110, v86, v102
	v_max_f32_e32 v91, v91, v91
	v_max_f32_e32 v92, v92, v92
	v_max_f32_e32 v93, v93, v93
	v_add_f32_e32 v74, v109, v74
	v_min_f32_e32 v109, v87, v101
	v_add_f32_e32 v75, v110, v75
	v_min_f32_e32 v110, v88, v102
	v_max_f32_e32 v94, v94, v94
	v_max_f32_e32 v95, v95, v95
	v_add_f32_e32 v72, v109, v72
	v_min_f32_e32 v109, v89, v101
	v_add_f32_e32 v73, v110, v73
	v_min_f32_e32 v110, v90, v102
	v_max_f32_e32 v96, v96, v96
	v_max_f32_e32 v97, v97, v97
	;; [unrolled: 6-line block ×3, first 2 shown]
	v_add_f32_e32 v10, v109, v10
	v_min_f32_e32 v109, v93, v101
	v_add_f32_e32 v11, v110, v11
	v_min_f32_e32 v110, v94, v102
	v_max_f32_e32 v100, v100, v100
	v_add_f32_e32 v14, v109, v14
	v_min_f32_e32 v109, v95, v101
	v_add_f32_e32 v15, v110, v15
	v_min_f32_e32 v110, v96, v102
	;; [unrolled: 2-line block ×3, first 2 shown]
	v_min_f32_e32 v101, v99, v101
	v_add_f32_e32 v69, v110, v69
	v_min_f32_e32 v110, v98, v102
	v_min_f32_e32 v102, v100, v102
	v_add_f32_e32 v66, v109, v66
	v_add_f32_e32 v64, v101, v64
	v_max_f32_e32 v101, v103, v103
	v_max_f32_e32 v103, v104, v104
	v_add_f32_e32 v65, v102, v65
	v_add_f32_e32 v67, v110, v67
	v_min_f32_e32 v102, v85, v101
	v_min_f32_e32 v104, v86, v103
	v_add_f32_e32 v62, v102, v62
	v_min_f32_e32 v102, v87, v101
	v_add_f32_e32 v63, v104, v63
	;; [unrolled: 2-line block ×11, first 2 shown]
	v_min_f32_e32 v102, v97, v101
	v_min_f32_e32 v101, v99, v101
	v_add_f32_e32 v53, v104, v53
	v_min_f32_e32 v104, v98, v103
	v_add_f32_e32 v50, v102, v50
	;; [unrolled: 2-line block ×3, first 2 shown]
	s_waitcnt lgkmcnt(0)
	v_max_f32_e32 v101, v105, v105
	v_max_f32_e32 v103, v106, v106
	v_add_f32_e32 v51, v104, v51
	v_add_f32_e32 v49, v102, v49
	v_min_f32_e32 v102, v85, v101
	v_min_f32_e32 v104, v86, v103
	v_add_f32_e32 v46, v102, v46
	v_min_f32_e32 v102, v87, v101
	v_add_f32_e32 v47, v104, v47
	;; [unrolled: 2-line block ×11, first 2 shown]
	v_min_f32_e32 v102, v97, v101
	v_min_f32_e32 v101, v99, v101
	v_add_f32_e32 v37, v104, v37
	v_min_f32_e32 v104, v98, v103
	v_add_f32_e32 v34, v102, v34
	;; [unrolled: 2-line block ×3, first 2 shown]
	v_max_f32_e32 v101, v107, v107
	v_add_f32_e32 v35, v104, v35
	v_add_f32_e32 v33, v102, v33
	v_max_f32_e32 v102, v108, v108
	v_min_f32_e32 v85, v85, v101
	v_min_f32_e32 v86, v86, v102
	v_add_f32_e32 v30, v85, v30
	v_min_f32_e32 v85, v87, v101
	v_add_f32_e32 v31, v86, v31
	;; [unrolled: 2-line block ×15, first 2 shown]
	v_add_f32_e32 v17, v86, v17
	s_cbranch_vccz .LBB86_20
; %bb.21:                               ;   in Loop: Header=BB86_15 Depth=1
	s_mov_b32 s19, -1
	s_mov_b32 vcc_lo, s1
	ds_write_b32 v78, v6
	ds_write2st64_b32 v13, v8, v9 offset1:4
	s_waitcnt lgkmcnt(0)
	s_barrier
	buffer_gl0_inv
                                        ; implicit-def: $vgpr8_vgpr9
	s_cbranch_vccz .LBB86_23
; %bb.22:                               ;   in Loop: Header=BB86_15 Depth=1
	v_mov_b32_e32 v8, v7
	s_mov_b32 s19, 0
.LBB86_23:                              ;   in Loop: Header=BB86_15 Depth=1
	v_mov_b32_e32 v6, 0
	v_mov_b32_e32 v9, 0
	s_andn2_b32 vcc_lo, exec_lo, s19
	s_cbranch_vccnz .LBB86_25
; %bb.24:                               ;   in Loop: Header=BB86_15 Depth=1
	v_or_b32_e32 v6, s14, v12
	v_lshlrev_b64 v[8:9], 2, v[6:7]
	v_add_co_u32 v6, vcc_lo, s16, v8
	v_add_co_ci_u32_e64 v88, null, s17, v9, vcc_lo
	v_add_co_u32 v8, vcc_lo, v83, v8
	v_add_co_ci_u32_e64 v9, null, v84, v9, vcc_lo
	;; [unrolled: 2-line block ×4, first 2 shown]
	global_load_dword v6, v[8:9], off offset:16
	s_clause 0x1
	global_load_dword v8, v[85:86], off offset:16
	global_load_dword v9, v[87:88], off offset:16
	s_waitcnt vmcnt(2)
	v_mul_f32_e32 v6, s15, v6
	s_waitcnt vmcnt(1)
	v_mul_f32_e32 v8, s15, v8
	;; [unrolled: 2-line block ×3, first 2 shown]
.LBB86_25:                              ;   in Loop: Header=BB86_15 Depth=1
	s_mov_b32 s20, 0
	s_mov_b32 s19, -1
.LBB86_26:                              ;   Parent Loop BB86_15 Depth=1
                                        ; =>  This Inner Loop Header: Depth=2
	s_lshl_b32 s20, s20, 2
	s_andn2_b32 vcc_lo, exec_lo, s19
	v_add_nc_u32_e32 v97, s20, v76
	v_add_nc_u32_e32 v105, s20, v77
	s_mov_b32 s19, 0
	s_mov_b32 s20, 2
	ds_read2_b64 v[85:88], v97 offset1:16
	ds_read2_b64 v[89:92], v97 offset0:32 offset1:48
	ds_read2_b64 v[93:96], v97 offset0:64 offset1:80
	;; [unrolled: 1-line block ×3, first 2 shown]
	ds_read2st64_b64 v[101:104], v105 offset1:1
	ds_read2st64_b64 v[105:108], v105 offset0:2 offset1:3
	s_waitcnt lgkmcnt(5)
	v_max_f32_e32 v85, v85, v85
	v_max_f32_e32 v86, v86, v86
	;; [unrolled: 1-line block ×3, first 2 shown]
	s_waitcnt lgkmcnt(1)
	v_max_f32_e32 v101, v101, v101
	v_max_f32_e32 v102, v102, v102
	;; [unrolled: 1-line block ×5, first 2 shown]
	v_min_f32_e32 v109, v85, v101
	v_min_f32_e32 v110, v86, v102
	v_max_f32_e32 v91, v91, v91
	v_max_f32_e32 v92, v92, v92
	;; [unrolled: 1-line block ×3, first 2 shown]
	v_add_f32_e32 v74, v109, v74
	v_min_f32_e32 v109, v87, v101
	v_add_f32_e32 v75, v110, v75
	v_min_f32_e32 v110, v88, v102
	v_max_f32_e32 v94, v94, v94
	v_max_f32_e32 v95, v95, v95
	v_add_f32_e32 v72, v109, v72
	v_min_f32_e32 v109, v89, v101
	v_add_f32_e32 v73, v110, v73
	v_min_f32_e32 v110, v90, v102
	v_max_f32_e32 v96, v96, v96
	v_max_f32_e32 v97, v97, v97
	;; [unrolled: 6-line block ×3, first 2 shown]
	v_add_f32_e32 v10, v109, v10
	v_min_f32_e32 v109, v93, v101
	v_add_f32_e32 v11, v110, v11
	v_min_f32_e32 v110, v94, v102
	v_max_f32_e32 v100, v100, v100
	v_add_f32_e32 v14, v109, v14
	v_min_f32_e32 v109, v95, v101
	v_add_f32_e32 v15, v110, v15
	v_min_f32_e32 v110, v96, v102
	;; [unrolled: 2-line block ×3, first 2 shown]
	v_min_f32_e32 v101, v99, v101
	v_add_f32_e32 v69, v110, v69
	v_min_f32_e32 v110, v98, v102
	v_min_f32_e32 v102, v100, v102
	v_add_f32_e32 v66, v109, v66
	v_add_f32_e32 v64, v101, v64
	v_max_f32_e32 v101, v103, v103
	v_max_f32_e32 v103, v104, v104
	v_add_f32_e32 v65, v102, v65
	v_add_f32_e32 v67, v110, v67
	v_min_f32_e32 v102, v85, v101
	v_min_f32_e32 v104, v86, v103
	v_add_f32_e32 v62, v102, v62
	v_min_f32_e32 v102, v87, v101
	v_add_f32_e32 v63, v104, v63
	;; [unrolled: 2-line block ×11, first 2 shown]
	v_min_f32_e32 v102, v97, v101
	v_min_f32_e32 v101, v99, v101
	v_add_f32_e32 v53, v104, v53
	v_min_f32_e32 v104, v98, v103
	v_add_f32_e32 v50, v102, v50
	;; [unrolled: 2-line block ×3, first 2 shown]
	s_waitcnt lgkmcnt(0)
	v_max_f32_e32 v101, v105, v105
	v_max_f32_e32 v103, v106, v106
	v_add_f32_e32 v51, v104, v51
	v_add_f32_e32 v49, v102, v49
	v_min_f32_e32 v102, v85, v101
	v_min_f32_e32 v104, v86, v103
	v_add_f32_e32 v46, v102, v46
	v_min_f32_e32 v102, v87, v101
	v_add_f32_e32 v47, v104, v47
	;; [unrolled: 2-line block ×11, first 2 shown]
	v_min_f32_e32 v102, v97, v101
	v_min_f32_e32 v101, v99, v101
	v_add_f32_e32 v37, v104, v37
	v_min_f32_e32 v104, v98, v103
	v_add_f32_e32 v34, v102, v34
	;; [unrolled: 2-line block ×3, first 2 shown]
	v_max_f32_e32 v101, v107, v107
	v_add_f32_e32 v35, v104, v35
	v_add_f32_e32 v33, v102, v33
	v_max_f32_e32 v102, v108, v108
	v_min_f32_e32 v85, v85, v101
	v_min_f32_e32 v86, v86, v102
	v_add_f32_e32 v30, v85, v30
	v_min_f32_e32 v85, v87, v101
	v_add_f32_e32 v31, v86, v31
	;; [unrolled: 2-line block ×15, first 2 shown]
	v_add_f32_e32 v17, v86, v17
	s_cbranch_vccz .LBB86_26
; %bb.27:                               ;   in Loop: Header=BB86_15 Depth=1
	s_add_i32 s18, s18, 8
	s_add_i32 s14, s14, 8
	s_cmp_ge_i32 s18, s9
	ds_write_b32 v81, v6
	ds_write2st64_b32 v82, v8, v9 offset1:4
	s_waitcnt lgkmcnt(0)
	s_barrier
	buffer_gl0_inv
	s_cbranch_scc0 .LBB86_15
.LBB86_28:
	s_mov_b32 s9, 0
	s_mov_b32 s1, -1
.LBB86_29:                              ; =>This Inner Loop Header: Depth=1
	s_lshl_b32 s9, s9, 2
	s_andn2_b32 vcc_lo, exec_lo, s1
	v_add_nc_u32_e32 v12, s9, v79
	s_mov_b32 s1, 0
	ds_read2_b64 v[2:5], v12 offset1:16
	ds_read2_b64 v[6:9], v12 offset0:32 offset1:48
	ds_read2_b64 v[81:84], v12 offset0:64 offset1:80
	;; [unrolled: 1-line block ×3, first 2 shown]
	v_add_nc_u32_e32 v12, s9, v80
	s_mov_b32 s9, 2
	ds_read2st64_b64 v[89:92], v12 offset1:1
	ds_read2st64_b64 v[93:96], v12 offset0:2 offset1:3
	s_waitcnt lgkmcnt(5)
	v_max_f32_e32 v2, v2, v2
	v_max_f32_e32 v3, v3, v3
	v_max_f32_e32 v4, v4, v4
	v_max_f32_e32 v5, v5, v5
	s_waitcnt lgkmcnt(4)
	v_max_f32_e32 v6, v6, v6
	v_max_f32_e32 v7, v7, v7
	v_max_f32_e32 v8, v8, v8
	v_max_f32_e32 v9, v9, v9
	s_waitcnt lgkmcnt(1)
	v_max_f32_e32 v12, v89, v89
	v_max_f32_e32 v76, v90, v90
	v_max_f32_e32 v78, v82, v82
	v_max_f32_e32 v82, v84, v84
	v_max_f32_e32 v84, v86, v86
	v_min_f32_e32 v13, v2, v12
	v_min_f32_e32 v77, v3, v76
	v_max_f32_e32 v86, v92, v92
	v_add_f32_e32 v74, v13, v74
	v_min_f32_e32 v13, v4, v12
	v_add_f32_e32 v75, v77, v75
	v_min_f32_e32 v77, v5, v76
	;; [unrolled: 2-line block ×6, first 2 shown]
	v_add_f32_e32 v10, v13, v10
	v_max_f32_e32 v13, v81, v81
	v_add_f32_e32 v11, v77, v11
	v_min_f32_e32 v81, v78, v76
	v_min_f32_e32 v77, v13, v12
	v_add_f32_e32 v15, v81, v15
	v_add_f32_e32 v14, v77, v14
	v_max_f32_e32 v77, v83, v83
	v_min_f32_e32 v83, v82, v76
	v_min_f32_e32 v81, v77, v12
	v_add_f32_e32 v69, v83, v69
	v_add_f32_e32 v68, v81, v68
	v_max_f32_e32 v81, v85, v85
	v_min_f32_e32 v85, v84, v76
	v_min_f32_e32 v83, v81, v12
	v_add_f32_e32 v67, v85, v67
	v_max_f32_e32 v85, v88, v88
	v_add_f32_e32 v66, v83, v66
	v_max_f32_e32 v83, v87, v87
	v_min_f32_e32 v76, v85, v76
	v_min_f32_e32 v87, v3, v86
	;; [unrolled: 1-line block ×3, first 2 shown]
	v_add_f32_e32 v65, v76, v65
	v_add_f32_e32 v63, v87, v63
	v_min_f32_e32 v87, v5, v86
	v_add_f32_e32 v64, v12, v64
	v_max_f32_e32 v12, v91, v91
	v_add_f32_e32 v61, v87, v61
	v_min_f32_e32 v87, v7, v86
	v_min_f32_e32 v76, v2, v12
	v_add_f32_e32 v59, v87, v59
	v_min_f32_e32 v87, v9, v86
	v_add_f32_e32 v62, v76, v62
	;; [unrolled: 2-line block ×9, first 2 shown]
	v_add_f32_e32 v54, v76, v54
	v_min_f32_e32 v76, v77, v12
	v_add_f32_e32 v52, v76, v52
	v_min_f32_e32 v76, v81, v12
	v_min_f32_e32 v12, v83, v12
	v_add_f32_e32 v50, v76, v50
	v_min_f32_e32 v76, v85, v86
	v_add_f32_e32 v48, v12, v48
	s_waitcnt lgkmcnt(0)
	v_max_f32_e32 v12, v93, v93
	v_max_f32_e32 v86, v94, v94
	v_add_f32_e32 v49, v76, v49
	v_min_f32_e32 v76, v2, v12
	v_min_f32_e32 v87, v3, v86
	v_add_f32_e32 v46, v76, v46
	v_min_f32_e32 v76, v4, v12
	v_add_f32_e32 v47, v87, v47
	;; [unrolled: 2-line block ×11, first 2 shown]
	v_min_f32_e32 v76, v81, v12
	v_min_f32_e32 v12, v83, v12
	v_add_f32_e32 v37, v87, v37
	v_min_f32_e32 v87, v84, v86
	v_add_f32_e32 v34, v76, v34
	;; [unrolled: 2-line block ×3, first 2 shown]
	v_max_f32_e32 v12, v95, v95
	v_add_f32_e32 v35, v87, v35
	v_add_f32_e32 v33, v76, v33
	v_max_f32_e32 v76, v96, v96
	v_min_f32_e32 v2, v2, v12
	v_min_f32_e32 v3, v3, v76
	v_add_f32_e32 v30, v2, v30
	v_min_f32_e32 v2, v4, v12
	v_add_f32_e32 v31, v3, v31
	;; [unrolled: 2-line block ×15, first 2 shown]
	v_add_f32_e32 v17, v3, v17
	s_cbranch_vccz .LBB86_29
; %bb.30:
	s_load_dword s9, s[4:5], 0x50
	v_add_nc_u32_e32 v76, s8, v1
	v_add_nc_u32_e32 v12, s6, v0
	v_cndmask_b32_e64 v0, 0, 1, s2
	v_mov_b32_e32 v4, 0
	v_ashrrev_i32_e32 v13, 31, v12
	v_cmp_ne_u32_e64 s1, 1, v0
	s_waitcnt lgkmcnt(0)
	v_mad_i64_i32 v[1:2], null, v76, s9, 0
	v_lshlrev_b64 v[2:3], 2, v[1:2]
	v_lshlrev_b64 v[0:1], 2, v[12:13]
	v_add_co_u32 v77, vcc_lo, s12, v2
	v_add_co_ci_u32_e64 v78, null, s13, v3, vcc_lo
	v_mov_b32_e32 v2, 0
	s_andn2_b32 vcc_lo, exec_lo, s2
	s_cbranch_vccnz .LBB86_32
; %bb.31:
	v_add_co_u32 v2, vcc_lo, v77, v0
	v_add_co_ci_u32_e64 v3, null, v78, v1, vcc_lo
	global_load_dword v2, v[2:3], off
	s_waitcnt vmcnt(0)
	v_mul_f32_e32 v2, s3, v2
.LBB86_32:
	s_clause 0x1
	s_load_dword s2, s[4:5], 0x68
	s_load_dwordx2 s[4:5], s[4:5], 0x70
	v_add_nc_u32_e32 v7, 8, v12
	v_add_f32_e32 v3, v74, v75
	v_ashrrev_i32_e32 v8, 31, v7
	v_add_f32_e32 v9, v3, v2
	v_lshlrev_b64 v[2:3], 2, v[7:8]
	s_waitcnt lgkmcnt(0)
	v_mad_i64_i32 v[5:6], null, v76, s2, 0
	s_mul_i32 s5, s5, s7
	s_mul_hi_u32 s6, s4, s7
	s_mul_i32 s4, s4, s7
	s_add_i32 s5, s6, s5
	s_lshl_b64 s[4:5], s[4:5], 2
	v_lshlrev_b64 v[5:6], 2, v[5:6]
	s_add_u32 s4, s10, s4
	s_addc_u32 s5, s11, s5
	v_add_co_u32 v74, vcc_lo, s4, v5
	v_add_co_ci_u32_e64 v75, null, s5, v6, vcc_lo
	v_add_co_u32 v5, vcc_lo, v74, v0
	v_add_co_ci_u32_e64 v6, null, v75, v1, vcc_lo
	s_and_b32 vcc_lo, exec_lo, s1
	global_store_dword v[5:6], v9, off
	s_cbranch_vccnz .LBB86_34
; %bb.33:
	v_add_co_u32 v4, vcc_lo, v77, v2
	v_add_co_ci_u32_e64 v5, null, v78, v3, vcc_lo
	global_load_dword v4, v[4:5], off
	s_waitcnt vmcnt(0)
	v_mul_f32_e32 v4, s3, v4
.LBB86_34:
	v_add_nc_u32_e32 v5, 16, v12
	v_add_f32_e32 v7, v72, v73
	v_add_co_u32 v72, vcc_lo, v74, v2
	v_add_co_ci_u32_e64 v73, null, v75, v3, vcc_lo
	v_ashrrev_i32_e32 v6, 31, v5
	v_add_f32_e32 v7, v7, v4
	v_mov_b32_e32 v8, 0
	s_and_b32 vcc_lo, exec_lo, s1
	v_lshlrev_b64 v[4:5], 2, v[5:6]
	v_mov_b32_e32 v6, 0
	global_store_dword v[72:73], v7, off
	s_cbranch_vccnz .LBB86_36
; %bb.35:
	v_add_co_u32 v6, vcc_lo, v77, v4
	v_add_co_ci_u32_e64 v7, null, v78, v5, vcc_lo
	global_load_dword v6, v[6:7], off
	s_waitcnt vmcnt(0)
	v_mul_f32_e32 v6, s3, v6
.LBB86_36:
	v_add_nc_u32_e32 v72, 24, v12
	v_add_f32_e32 v7, v70, v71
	v_add_co_u32 v70, vcc_lo, v74, v4
	v_add_co_ci_u32_e64 v71, null, v75, v5, vcc_lo
	v_ashrrev_i32_e32 v73, 31, v72
	v_add_f32_e32 v9, v7, v6
	s_and_b32 vcc_lo, exec_lo, s1
	v_lshlrev_b64 v[6:7], 2, v[72:73]
	global_store_dword v[70:71], v9, off
	s_cbranch_vccnz .LBB86_38
; %bb.37:
	v_add_co_u32 v8, vcc_lo, v77, v6
	v_add_co_ci_u32_e64 v9, null, v78, v7, vcc_lo
	global_load_dword v8, v[8:9], off
	s_waitcnt vmcnt(0)
	v_mul_f32_e32 v8, s3, v8
.LBB86_38:
	v_add_nc_u32_e32 v9, 32, v12
	v_add_f32_e32 v11, v10, v11
	v_add_co_u32 v70, vcc_lo, v74, v6
	v_add_co_ci_u32_e64 v71, null, v75, v7, vcc_lo
	v_ashrrev_i32_e32 v10, 31, v9
	v_add_f32_e32 v13, v11, v8
	v_mov_b32_e32 v8, 0
	s_and_b32 vcc_lo, exec_lo, s1
	v_lshlrev_b64 v[10:11], 2, v[9:10]
	v_mov_b32_e32 v9, 0
	global_store_dword v[70:71], v13, off
	s_cbranch_vccnz .LBB86_40
; %bb.39:
	v_add_co_u32 v70, vcc_lo, v77, v10
	v_add_co_ci_u32_e64 v71, null, v78, v11, vcc_lo
	global_load_dword v9, v[70:71], off
	s_waitcnt vmcnt(0)
	v_mul_f32_e32 v9, s3, v9
.LBB86_40:
	v_add_nc_u32_e32 v13, 40, v12
	v_add_f32_e32 v15, v14, v15
	v_add_co_u32 v70, vcc_lo, v74, v10
	v_add_co_ci_u32_e64 v71, null, v75, v11, vcc_lo
	v_ashrrev_i32_e32 v14, 31, v13
	v_add_f32_e32 v9, v15, v9
	s_and_b32 vcc_lo, exec_lo, s1
	v_lshlrev_b64 v[14:15], 2, v[13:14]
	global_store_dword v[70:71], v9, off
	s_cbranch_vccnz .LBB86_42
; %bb.41:
	v_add_co_u32 v8, vcc_lo, v77, v14
	v_add_co_ci_u32_e64 v9, null, v78, v15, vcc_lo
	global_load_dword v8, v[8:9], off
	s_waitcnt vmcnt(0)
	v_mul_f32_e32 v8, s3, v8
.LBB86_42:
	v_add_nc_u32_e32 v70, 48, v12
	v_add_f32_e32 v9, v68, v69
	v_add_co_u32 v72, vcc_lo, v74, v14
	v_add_co_ci_u32_e64 v73, null, v75, v15, vcc_lo
	v_ashrrev_i32_e32 v71, 31, v70
	v_add_f32_e32 v69, v9, v8
	v_mov_b32_e32 v68, 0
	v_mov_b32_e32 v13, 0
	s_and_b32 vcc_lo, exec_lo, s1
	v_lshlrev_b64 v[8:9], 2, v[70:71]
	global_store_dword v[72:73], v69, off
	s_cbranch_vccnz .LBB86_44
; %bb.43:
	v_add_co_u32 v69, vcc_lo, v77, v8
	v_add_co_ci_u32_e64 v70, null, v78, v9, vcc_lo
	global_load_dword v13, v[69:70], off
	s_waitcnt vmcnt(0)
	v_mul_f32_e32 v13, s3, v13
.LBB86_44:
	v_add_nc_u32_e32 v69, 56, v12
	v_add_f32_e32 v12, v66, v67
	v_add_co_u32 v66, vcc_lo, v74, v8
	v_add_co_ci_u32_e64 v67, null, v75, v9, vcc_lo
	v_ashrrev_i32_e32 v70, 31, v69
	v_add_f32_e32 v71, v12, v13
	s_and_b32 vcc_lo, exec_lo, s1
	v_lshlrev_b64 v[12:13], 2, v[69:70]
	global_store_dword v[66:67], v71, off
	s_cbranch_vccnz .LBB86_46
; %bb.45:
	v_add_co_u32 v66, vcc_lo, v77, v12
	v_add_co_ci_u32_e64 v67, null, v78, v13, vcc_lo
	global_load_dword v66, v[66:67], off
	s_waitcnt vmcnt(0)
	v_mul_f32_e32 v68, s3, v66
.LBB86_46:
	v_add_nc_u32_e32 v67, 32, v76
	v_add_f32_e32 v71, v64, v65
	v_mov_b32_e32 v66, 0
	v_mad_i64_i32 v[69:70], null, v67, s9, 0
	v_add_f32_e32 v71, v71, v68
	v_mov_b32_e32 v68, 0
	v_lshlrev_b64 v[64:65], 2, v[69:70]
	v_add_co_u32 v69, vcc_lo, v74, v12
	v_add_co_ci_u32_e64 v70, null, v75, v13, vcc_lo
	v_add_co_u32 v64, vcc_lo, s12, v64
	v_add_co_ci_u32_e64 v65, null, s13, v65, vcc_lo
	s_and_b32 vcc_lo, exec_lo, s1
	global_store_dword v[69:70], v71, off
	s_cbranch_vccnz .LBB86_48
; %bb.47:
	v_add_co_u32 v68, vcc_lo, v64, v0
	v_add_co_ci_u32_e64 v69, null, v65, v1, vcc_lo
	global_load_dword v68, v[68:69], off
	s_waitcnt vmcnt(0)
	v_mul_f32_e32 v68, s3, v68
.LBB86_48:
	v_mad_i64_i32 v[69:70], null, v67, s2, 0
	v_add_f32_e32 v67, v62, v63
	v_lshlrev_b64 v[69:70], 2, v[69:70]
	v_add_co_u32 v62, vcc_lo, s4, v69
	v_add_co_ci_u32_e64 v63, null, s5, v70, vcc_lo
	v_add_f32_e32 v69, v67, v68
	v_add_co_u32 v67, vcc_lo, v62, v0
	v_add_co_ci_u32_e64 v68, null, v63, v1, vcc_lo
	s_and_b32 vcc_lo, exec_lo, s1
	global_store_dword v[67:68], v69, off
	s_cbranch_vccnz .LBB86_50
; %bb.49:
	v_add_co_u32 v66, vcc_lo, v64, v2
	v_add_co_ci_u32_e64 v67, null, v65, v3, vcc_lo
	global_load_dword v66, v[66:67], off
	s_waitcnt vmcnt(0)
	v_mul_f32_e32 v66, s3, v66
.LBB86_50:
	v_add_f32_e32 v60, v60, v61
	v_add_co_u32 v67, vcc_lo, v62, v2
	v_add_co_ci_u32_e64 v68, null, v63, v3, vcc_lo
	v_add_f32_e32 v66, v60, v66
	v_mov_b32_e32 v60, 0
	v_mov_b32_e32 v61, 0
	s_and_b32 vcc_lo, exec_lo, s1
	global_store_dword v[67:68], v66, off
	s_cbranch_vccnz .LBB86_52
; %bb.51:
	v_add_co_u32 v66, vcc_lo, v64, v4
	v_add_co_ci_u32_e64 v67, null, v65, v5, vcc_lo
	global_load_dword v61, v[66:67], off
	s_waitcnt vmcnt(0)
	v_mul_f32_e32 v61, s3, v61
.LBB86_52:
	v_add_f32_e32 v58, v58, v59
	v_add_f32_e32 v61, v58, v61
	v_add_co_u32 v58, vcc_lo, v62, v4
	v_add_co_ci_u32_e64 v59, null, v63, v5, vcc_lo
	s_and_b32 vcc_lo, exec_lo, s1
	global_store_dword v[58:59], v61, off
	s_cbranch_vccnz .LBB86_54
; %bb.53:
	v_add_co_u32 v58, vcc_lo, v64, v6
	v_add_co_ci_u32_e64 v59, null, v65, v7, vcc_lo
	global_load_dword v58, v[58:59], off
	s_waitcnt vmcnt(0)
	v_mul_f32_e32 v60, s3, v58
.LBB86_54:
	v_add_f32_e32 v56, v56, v57
	v_add_co_u32 v58, vcc_lo, v62, v6
	v_add_co_ci_u32_e64 v59, null, v63, v7, vcc_lo
	v_add_f32_e32 v60, v56, v60
	v_mov_b32_e32 v56, 0
	v_mov_b32_e32 v57, 0
	s_and_b32 vcc_lo, exec_lo, s1
	global_store_dword v[58:59], v60, off
	s_cbranch_vccnz .LBB86_56
; %bb.55:
	v_add_co_u32 v57, vcc_lo, v64, v10
	v_add_co_ci_u32_e64 v58, null, v65, v11, vcc_lo
	global_load_dword v57, v[57:58], off
	s_waitcnt vmcnt(0)
	v_mul_f32_e32 v57, s3, v57
.LBB86_56:
	v_add_f32_e32 v54, v54, v55
	;; [unrolled: 30-line block ×3, first 2 shown]
	v_add_f32_e32 v53, v50, v53
	v_add_co_u32 v50, vcc_lo, v62, v8
	v_add_co_ci_u32_e64 v51, null, v63, v9, vcc_lo
	s_and_b32 vcc_lo, exec_lo, s1
	global_store_dword v[50:51], v53, off
	s_cbranch_vccnz .LBB86_62
; %bb.61:
	v_add_co_u32 v50, vcc_lo, v64, v12
	v_add_co_ci_u32_e64 v51, null, v65, v13, vcc_lo
	global_load_dword v50, v[50:51], off
	s_waitcnt vmcnt(0)
	v_mul_f32_e32 v52, s3, v50
.LBB86_62:
	v_add_nc_u32_e32 v51, 64, v76
	v_add_f32_e32 v55, v48, v49
	v_mov_b32_e32 v50, 0
	v_mad_i64_i32 v[53:54], null, v51, s9, 0
	v_add_f32_e32 v55, v55, v52
	v_mov_b32_e32 v52, 0
	v_lshlrev_b64 v[48:49], 2, v[53:54]
	v_add_co_u32 v53, vcc_lo, v62, v12
	v_add_co_ci_u32_e64 v54, null, v63, v13, vcc_lo
	v_add_co_u32 v48, vcc_lo, s12, v48
	v_add_co_ci_u32_e64 v49, null, s13, v49, vcc_lo
	s_and_b32 vcc_lo, exec_lo, s1
	global_store_dword v[53:54], v55, off
	s_cbranch_vccnz .LBB86_64
; %bb.63:
	v_add_co_u32 v52, vcc_lo, v48, v0
	v_add_co_ci_u32_e64 v53, null, v49, v1, vcc_lo
	global_load_dword v52, v[52:53], off
	s_waitcnt vmcnt(0)
	v_mul_f32_e32 v52, s3, v52
.LBB86_64:
	v_mad_i64_i32 v[53:54], null, v51, s2, 0
	v_add_f32_e32 v51, v46, v47
	v_lshlrev_b64 v[53:54], 2, v[53:54]
	v_add_co_u32 v46, vcc_lo, s4, v53
	v_add_co_ci_u32_e64 v47, null, s5, v54, vcc_lo
	v_add_f32_e32 v53, v51, v52
	v_add_co_u32 v51, vcc_lo, v46, v0
	v_add_co_ci_u32_e64 v52, null, v47, v1, vcc_lo
	s_and_b32 vcc_lo, exec_lo, s1
	global_store_dword v[51:52], v53, off
	s_cbranch_vccnz .LBB86_66
; %bb.65:
	v_add_co_u32 v50, vcc_lo, v48, v2
	v_add_co_ci_u32_e64 v51, null, v49, v3, vcc_lo
	global_load_dword v50, v[50:51], off
	s_waitcnt vmcnt(0)
	v_mul_f32_e32 v50, s3, v50
.LBB86_66:
	v_add_f32_e32 v44, v44, v45
	v_add_co_u32 v51, vcc_lo, v46, v2
	v_add_co_ci_u32_e64 v52, null, v47, v3, vcc_lo
	v_add_f32_e32 v50, v44, v50
	v_mov_b32_e32 v44, 0
	v_mov_b32_e32 v45, 0
	s_and_b32 vcc_lo, exec_lo, s1
	global_store_dword v[51:52], v50, off
	s_cbranch_vccnz .LBB86_68
; %bb.67:
	v_add_co_u32 v50, vcc_lo, v48, v4
	v_add_co_ci_u32_e64 v51, null, v49, v5, vcc_lo
	global_load_dword v45, v[50:51], off
	s_waitcnt vmcnt(0)
	v_mul_f32_e32 v45, s3, v45
.LBB86_68:
	v_add_f32_e32 v42, v42, v43
	v_add_f32_e32 v45, v42, v45
	v_add_co_u32 v42, vcc_lo, v46, v4
	v_add_co_ci_u32_e64 v43, null, v47, v5, vcc_lo
	s_and_b32 vcc_lo, exec_lo, s1
	global_store_dword v[42:43], v45, off
	s_cbranch_vccnz .LBB86_70
; %bb.69:
	v_add_co_u32 v42, vcc_lo, v48, v6
	v_add_co_ci_u32_e64 v43, null, v49, v7, vcc_lo
	global_load_dword v42, v[42:43], off
	s_waitcnt vmcnt(0)
	v_mul_f32_e32 v44, s3, v42
.LBB86_70:
	v_add_f32_e32 v40, v40, v41
	v_add_co_u32 v42, vcc_lo, v46, v6
	v_add_co_ci_u32_e64 v43, null, v47, v7, vcc_lo
	v_add_f32_e32 v44, v40, v44
	v_mov_b32_e32 v40, 0
	v_mov_b32_e32 v41, 0
	s_and_b32 vcc_lo, exec_lo, s1
	global_store_dword v[42:43], v44, off
	s_cbranch_vccnz .LBB86_72
; %bb.71:
	v_add_co_u32 v41, vcc_lo, v48, v10
	v_add_co_ci_u32_e64 v42, null, v49, v11, vcc_lo
	global_load_dword v41, v[41:42], off
	s_waitcnt vmcnt(0)
	v_mul_f32_e32 v41, s3, v41
.LBB86_72:
	v_add_f32_e32 v38, v38, v39
	;; [unrolled: 30-line block ×3, first 2 shown]
	v_add_f32_e32 v37, v34, v37
	v_add_co_u32 v34, vcc_lo, v46, v8
	v_add_co_ci_u32_e64 v35, null, v47, v9, vcc_lo
	s_and_b32 vcc_lo, exec_lo, s1
	global_store_dword v[34:35], v37, off
	s_cbranch_vccnz .LBB86_78
; %bb.77:
	v_add_co_u32 v34, vcc_lo, v48, v12
	v_add_co_ci_u32_e64 v35, null, v49, v13, vcc_lo
	global_load_dword v34, v[34:35], off
	s_waitcnt vmcnt(0)
	v_mul_f32_e32 v36, s3, v34
.LBB86_78:
	v_add_nc_u32_e32 v35, 0x60, v76
	v_add_f32_e32 v39, v32, v33
	v_mov_b32_e32 v34, 0
	v_mad_i64_i32 v[37:38], null, v35, s9, 0
	v_add_f32_e32 v39, v39, v36
	v_mov_b32_e32 v36, 0
	v_lshlrev_b64 v[32:33], 2, v[37:38]
	v_add_co_u32 v37, vcc_lo, v46, v12
	v_add_co_ci_u32_e64 v38, null, v47, v13, vcc_lo
	v_add_co_u32 v32, vcc_lo, s12, v32
	v_add_co_ci_u32_e64 v33, null, s13, v33, vcc_lo
	s_and_b32 vcc_lo, exec_lo, s1
	global_store_dword v[37:38], v39, off
	s_cbranch_vccnz .LBB86_80
; %bb.79:
	v_add_co_u32 v36, vcc_lo, v32, v0
	v_add_co_ci_u32_e64 v37, null, v33, v1, vcc_lo
	global_load_dword v36, v[36:37], off
	s_waitcnt vmcnt(0)
	v_mul_f32_e32 v36, s3, v36
.LBB86_80:
	v_mad_i64_i32 v[37:38], null, v35, s2, 0
	v_add_f32_e32 v35, v30, v31
	v_add_f32_e32 v35, v35, v36
	v_lshlrev_b64 v[37:38], 2, v[37:38]
	v_add_co_u32 v30, vcc_lo, s4, v37
	v_add_co_ci_u32_e64 v31, null, s5, v38, vcc_lo
	v_add_co_u32 v0, vcc_lo, v30, v0
	v_add_co_ci_u32_e64 v1, null, v31, v1, vcc_lo
	s_and_b32 vcc_lo, exec_lo, s1
	global_store_dword v[0:1], v35, off
	s_cbranch_vccnz .LBB86_82
; %bb.81:
	v_add_co_u32 v0, vcc_lo, v32, v2
	v_add_co_ci_u32_e64 v1, null, v33, v3, vcc_lo
	global_load_dword v0, v[0:1], off
	s_waitcnt vmcnt(0)
	v_mul_f32_e32 v34, s3, v0
.LBB86_82:
	v_add_f32_e32 v0, v28, v29
	v_add_co_u32 v2, vcc_lo, v30, v2
	v_add_co_ci_u32_e64 v3, null, v31, v3, vcc_lo
	v_add_f32_e32 v28, v0, v34
	v_mov_b32_e32 v0, 0
	v_mov_b32_e32 v1, 0
	s_and_b32 vcc_lo, exec_lo, s1
	global_store_dword v[2:3], v28, off
	s_cbranch_vccnz .LBB86_84
; %bb.83:
	v_add_co_u32 v1, vcc_lo, v32, v4
	v_add_co_ci_u32_e64 v2, null, v33, v5, vcc_lo
	global_load_dword v1, v[1:2], off
	s_waitcnt vmcnt(0)
	v_mul_f32_e32 v1, s3, v1
.LBB86_84:
	v_add_f32_e32 v2, v26, v27
	v_add_f32_e32 v3, v2, v1
	v_add_co_u32 v1, vcc_lo, v30, v4
	v_add_co_ci_u32_e64 v2, null, v31, v5, vcc_lo
	s_and_b32 vcc_lo, exec_lo, s1
	global_store_dword v[1:2], v3, off
	s_cbranch_vccnz .LBB86_86
; %bb.85:
	v_add_co_u32 v0, vcc_lo, v32, v6
	v_add_co_ci_u32_e64 v1, null, v33, v7, vcc_lo
	global_load_dword v0, v[0:1], off
	s_waitcnt vmcnt(0)
	v_mul_f32_e32 v0, s3, v0
.LBB86_86:
	v_add_f32_e32 v1, v24, v25
	v_add_co_u32 v2, vcc_lo, v30, v6
	v_add_co_ci_u32_e64 v3, null, v31, v7, vcc_lo
	v_add_f32_e32 v4, v1, v0
	v_mov_b32_e32 v0, 0
	v_mov_b32_e32 v1, 0
	s_and_b32 vcc_lo, exec_lo, s1
	global_store_dword v[2:3], v4, off
	s_cbranch_vccnz .LBB86_88
; %bb.87:
	v_add_co_u32 v1, vcc_lo, v32, v10
	v_add_co_ci_u32_e64 v2, null, v33, v11, vcc_lo
	global_load_dword v1, v[1:2], off
	s_waitcnt vmcnt(0)
	v_mul_f32_e32 v1, s3, v1
.LBB86_88:
	v_add_f32_e32 v2, v22, v23
	v_add_f32_e32 v3, v2, v1
	v_add_co_u32 v1, vcc_lo, v30, v10
	v_add_co_ci_u32_e64 v2, null, v31, v11, vcc_lo
	s_and_b32 vcc_lo, exec_lo, s1
	global_store_dword v[1:2], v3, off
	s_cbranch_vccnz .LBB86_90
; %bb.89:
	v_add_co_u32 v0, vcc_lo, v32, v14
	v_add_co_ci_u32_e64 v1, null, v33, v15, vcc_lo
	global_load_dword v0, v[0:1], off
	s_waitcnt vmcnt(0)
	v_mul_f32_e32 v0, s3, v0
.LBB86_90:
	v_add_f32_e32 v3, v20, v21
	v_add_co_u32 v1, vcc_lo, v30, v14
	v_add_co_ci_u32_e64 v2, null, v31, v15, vcc_lo
	v_add_f32_e32 v3, v3, v0
	v_add_f32_e32 v0, v18, v19
	s_mov_b32 s1, -1
	s_mov_b32 vcc_lo, s0
	global_store_dword v[1:2], v3, off
	s_cbranch_vccz .LBB86_92
; %bb.91:
	v_add_co_u32 v1, vcc_lo, v30, v8
	v_add_f32_e32 v3, 0, v0
	v_add_co_ci_u32_e64 v2, null, v31, v9, vcc_lo
	s_mov_b32 s1, 0
	global_store_dword v[1:2], v3, off
.LBB86_92:
	v_mov_b32_e32 v1, 0
	s_andn2_b32 vcc_lo, exec_lo, s1
	s_cbranch_vccnz .LBB86_94
; %bb.93:
	v_add_co_u32 v1, vcc_lo, v32, v8
	v_add_co_ci_u32_e64 v2, null, v33, v9, vcc_lo
	global_load_dword v3, v[1:2], off
	v_add_co_u32 v1, vcc_lo, v30, v8
	v_add_co_ci_u32_e64 v2, null, v31, v9, vcc_lo
	s_waitcnt vmcnt(0)
	v_fmac_f32_e32 v0, s3, v3
	v_add_co_u32 v3, vcc_lo, v32, v12
	v_add_co_ci_u32_e64 v4, null, v33, v13, vcc_lo
	global_store_dword v[1:2], v0, off
	global_load_dword v0, v[3:4], off
	s_waitcnt vmcnt(0)
	v_mul_f32_e32 v1, s3, v0
.LBB86_94:
	v_add_f32_e32 v0, v16, v17
	v_add_f32_e32 v2, v0, v1
	v_add_co_u32 v0, vcc_lo, v30, v12
	v_add_co_ci_u32_e64 v1, null, v31, v13, vcc_lo
	global_store_dword v[0:1], v2, off
	s_endpgm
.LBB86_95:
	s_mov_b64 s[18:19], 0
	s_andn2_b32 vcc_lo, exec_lo, s0
	s_mov_b32 s0, -1
	s_cbranch_vccz .LBB86_2
	s_branch .LBB86_3
	.section	.rodata,"a",@progbits
	.p2align	6, 0x0
	.amdhsa_kernel _ZN12_GLOBAL__N_120geam_min_plus_kernelIf15HIP_vector_typeIfLj2EES2_Li8ELi32ELi64ELi128ELi4ELi4ELi64ELi4ELi64ELc84ELc78ELb0ELb0ELb0EfKffEEviiiT16_PT17_ilS6_ilS4_S6_ilPT18_ili26rocblas_geam_ex_operation_
		.amdhsa_group_segment_fixed_size 6144
		.amdhsa_private_segment_fixed_size 0
		.amdhsa_kernarg_size 128
		.amdhsa_user_sgpr_count 6
		.amdhsa_user_sgpr_private_segment_buffer 1
		.amdhsa_user_sgpr_dispatch_ptr 0
		.amdhsa_user_sgpr_queue_ptr 0
		.amdhsa_user_sgpr_kernarg_segment_ptr 1
		.amdhsa_user_sgpr_dispatch_id 0
		.amdhsa_user_sgpr_flat_scratch_init 0
		.amdhsa_user_sgpr_private_segment_size 0
		.amdhsa_wavefront_size32 1
		.amdhsa_uses_dynamic_stack 0
		.amdhsa_system_sgpr_private_segment_wavefront_offset 0
		.amdhsa_system_sgpr_workgroup_id_x 1
		.amdhsa_system_sgpr_workgroup_id_y 0
		.amdhsa_system_sgpr_workgroup_id_z 1
		.amdhsa_system_sgpr_workgroup_info 0
		.amdhsa_system_vgpr_workitem_id 1
		.amdhsa_next_free_vgpr 111
		.amdhsa_next_free_sgpr 25
		.amdhsa_reserve_vcc 1
		.amdhsa_reserve_flat_scratch 0
		.amdhsa_float_round_mode_32 0
		.amdhsa_float_round_mode_16_64 0
		.amdhsa_float_denorm_mode_32 3
		.amdhsa_float_denorm_mode_16_64 3
		.amdhsa_dx10_clamp 1
		.amdhsa_ieee_mode 1
		.amdhsa_fp16_overflow 0
		.amdhsa_workgroup_processor_mode 1
		.amdhsa_memory_ordered 1
		.amdhsa_forward_progress 1
		.amdhsa_shared_vgpr_count 0
		.amdhsa_exception_fp_ieee_invalid_op 0
		.amdhsa_exception_fp_denorm_src 0
		.amdhsa_exception_fp_ieee_div_zero 0
		.amdhsa_exception_fp_ieee_overflow 0
		.amdhsa_exception_fp_ieee_underflow 0
		.amdhsa_exception_fp_ieee_inexact 0
		.amdhsa_exception_int_div_zero 0
	.end_amdhsa_kernel
	.section	.text._ZN12_GLOBAL__N_120geam_min_plus_kernelIf15HIP_vector_typeIfLj2EES2_Li8ELi32ELi64ELi128ELi4ELi4ELi64ELi4ELi64ELc84ELc78ELb0ELb0ELb0EfKffEEviiiT16_PT17_ilS6_ilS4_S6_ilPT18_ili26rocblas_geam_ex_operation_,"axG",@progbits,_ZN12_GLOBAL__N_120geam_min_plus_kernelIf15HIP_vector_typeIfLj2EES2_Li8ELi32ELi64ELi128ELi4ELi4ELi64ELi4ELi64ELc84ELc78ELb0ELb0ELb0EfKffEEviiiT16_PT17_ilS6_ilS4_S6_ilPT18_ili26rocblas_geam_ex_operation_,comdat
.Lfunc_end86:
	.size	_ZN12_GLOBAL__N_120geam_min_plus_kernelIf15HIP_vector_typeIfLj2EES2_Li8ELi32ELi64ELi128ELi4ELi4ELi64ELi4ELi64ELc84ELc78ELb0ELb0ELb0EfKffEEviiiT16_PT17_ilS6_ilS4_S6_ilPT18_ili26rocblas_geam_ex_operation_, .Lfunc_end86-_ZN12_GLOBAL__N_120geam_min_plus_kernelIf15HIP_vector_typeIfLj2EES2_Li8ELi32ELi64ELi128ELi4ELi4ELi64ELi4ELi64ELc84ELc78ELb0ELb0ELb0EfKffEEviiiT16_PT17_ilS6_ilS4_S6_ilPT18_ili26rocblas_geam_ex_operation_
                                        ; -- End function
	.set _ZN12_GLOBAL__N_120geam_min_plus_kernelIf15HIP_vector_typeIfLj2EES2_Li8ELi32ELi64ELi128ELi4ELi4ELi64ELi4ELi64ELc84ELc78ELb0ELb0ELb0EfKffEEviiiT16_PT17_ilS6_ilS4_S6_ilPT18_ili26rocblas_geam_ex_operation_.num_vgpr, 111
	.set _ZN12_GLOBAL__N_120geam_min_plus_kernelIf15HIP_vector_typeIfLj2EES2_Li8ELi32ELi64ELi128ELi4ELi4ELi64ELi4ELi64ELc84ELc78ELb0ELb0ELb0EfKffEEviiiT16_PT17_ilS6_ilS4_S6_ilPT18_ili26rocblas_geam_ex_operation_.num_agpr, 0
	.set _ZN12_GLOBAL__N_120geam_min_plus_kernelIf15HIP_vector_typeIfLj2EES2_Li8ELi32ELi64ELi128ELi4ELi4ELi64ELi4ELi64ELc84ELc78ELb0ELb0ELb0EfKffEEviiiT16_PT17_ilS6_ilS4_S6_ilPT18_ili26rocblas_geam_ex_operation_.numbered_sgpr, 25
	.set _ZN12_GLOBAL__N_120geam_min_plus_kernelIf15HIP_vector_typeIfLj2EES2_Li8ELi32ELi64ELi128ELi4ELi4ELi64ELi4ELi64ELc84ELc78ELb0ELb0ELb0EfKffEEviiiT16_PT17_ilS6_ilS4_S6_ilPT18_ili26rocblas_geam_ex_operation_.num_named_barrier, 0
	.set _ZN12_GLOBAL__N_120geam_min_plus_kernelIf15HIP_vector_typeIfLj2EES2_Li8ELi32ELi64ELi128ELi4ELi4ELi64ELi4ELi64ELc84ELc78ELb0ELb0ELb0EfKffEEviiiT16_PT17_ilS6_ilS4_S6_ilPT18_ili26rocblas_geam_ex_operation_.private_seg_size, 0
	.set _ZN12_GLOBAL__N_120geam_min_plus_kernelIf15HIP_vector_typeIfLj2EES2_Li8ELi32ELi64ELi128ELi4ELi4ELi64ELi4ELi64ELc84ELc78ELb0ELb0ELb0EfKffEEviiiT16_PT17_ilS6_ilS4_S6_ilPT18_ili26rocblas_geam_ex_operation_.uses_vcc, 1
	.set _ZN12_GLOBAL__N_120geam_min_plus_kernelIf15HIP_vector_typeIfLj2EES2_Li8ELi32ELi64ELi128ELi4ELi4ELi64ELi4ELi64ELc84ELc78ELb0ELb0ELb0EfKffEEviiiT16_PT17_ilS6_ilS4_S6_ilPT18_ili26rocblas_geam_ex_operation_.uses_flat_scratch, 0
	.set _ZN12_GLOBAL__N_120geam_min_plus_kernelIf15HIP_vector_typeIfLj2EES2_Li8ELi32ELi64ELi128ELi4ELi4ELi64ELi4ELi64ELc84ELc78ELb0ELb0ELb0EfKffEEviiiT16_PT17_ilS6_ilS4_S6_ilPT18_ili26rocblas_geam_ex_operation_.has_dyn_sized_stack, 0
	.set _ZN12_GLOBAL__N_120geam_min_plus_kernelIf15HIP_vector_typeIfLj2EES2_Li8ELi32ELi64ELi128ELi4ELi4ELi64ELi4ELi64ELc84ELc78ELb0ELb0ELb0EfKffEEviiiT16_PT17_ilS6_ilS4_S6_ilPT18_ili26rocblas_geam_ex_operation_.has_recursion, 0
	.set _ZN12_GLOBAL__N_120geam_min_plus_kernelIf15HIP_vector_typeIfLj2EES2_Li8ELi32ELi64ELi128ELi4ELi4ELi64ELi4ELi64ELc84ELc78ELb0ELb0ELb0EfKffEEviiiT16_PT17_ilS6_ilS4_S6_ilPT18_ili26rocblas_geam_ex_operation_.has_indirect_call, 0
	.section	.AMDGPU.csdata,"",@progbits
; Kernel info:
; codeLenInByte = 7544
; TotalNumSgprs: 27
; NumVgprs: 111
; ScratchSize: 0
; MemoryBound: 0
; FloatMode: 240
; IeeeMode: 1
; LDSByteSize: 6144 bytes/workgroup (compile time only)
; SGPRBlocks: 0
; VGPRBlocks: 13
; NumSGPRsForWavesPerEU: 27
; NumVGPRsForWavesPerEU: 111
; Occupancy: 9
; WaveLimiterHint : 0
; COMPUTE_PGM_RSRC2:SCRATCH_EN: 0
; COMPUTE_PGM_RSRC2:USER_SGPR: 6
; COMPUTE_PGM_RSRC2:TRAP_HANDLER: 0
; COMPUTE_PGM_RSRC2:TGID_X_EN: 1
; COMPUTE_PGM_RSRC2:TGID_Y_EN: 0
; COMPUTE_PGM_RSRC2:TGID_Z_EN: 1
; COMPUTE_PGM_RSRC2:TIDIG_COMP_CNT: 1
	.section	.text._ZN12_GLOBAL__N_120geam_min_plus_kernelIf15HIP_vector_typeIfLj2EES2_Li8ELi32ELi64ELi128ELi4ELi4ELi64ELi4ELi64ELc84ELc78ELb0ELb1ELb0EPKfS3_fEEviiiT16_PT17_ilS7_ilS5_S7_ilPT18_ili26rocblas_geam_ex_operation_,"axG",@progbits,_ZN12_GLOBAL__N_120geam_min_plus_kernelIf15HIP_vector_typeIfLj2EES2_Li8ELi32ELi64ELi128ELi4ELi4ELi64ELi4ELi64ELc84ELc78ELb0ELb1ELb0EPKfS3_fEEviiiT16_PT17_ilS7_ilS5_S7_ilPT18_ili26rocblas_geam_ex_operation_,comdat
	.globl	_ZN12_GLOBAL__N_120geam_min_plus_kernelIf15HIP_vector_typeIfLj2EES2_Li8ELi32ELi64ELi128ELi4ELi4ELi64ELi4ELi64ELc84ELc78ELb0ELb1ELb0EPKfS3_fEEviiiT16_PT17_ilS7_ilS5_S7_ilPT18_ili26rocblas_geam_ex_operation_ ; -- Begin function _ZN12_GLOBAL__N_120geam_min_plus_kernelIf15HIP_vector_typeIfLj2EES2_Li8ELi32ELi64ELi128ELi4ELi4ELi64ELi4ELi64ELc84ELc78ELb0ELb1ELb0EPKfS3_fEEviiiT16_PT17_ilS7_ilS5_S7_ilPT18_ili26rocblas_geam_ex_operation_
	.p2align	8
	.type	_ZN12_GLOBAL__N_120geam_min_plus_kernelIf15HIP_vector_typeIfLj2EES2_Li8ELi32ELi64ELi128ELi4ELi4ELi64ELi4ELi64ELc84ELc78ELb0ELb1ELb0EPKfS3_fEEviiiT16_PT17_ilS7_ilS5_S7_ilPT18_ili26rocblas_geam_ex_operation_,@function
_ZN12_GLOBAL__N_120geam_min_plus_kernelIf15HIP_vector_typeIfLj2EES2_Li8ELi32ELi64ELi128ELi4ELi4ELi64ELi4ELi64ELc84ELc78ELb0ELb1ELb0EPKfS3_fEEviiiT16_PT17_ilS7_ilS5_S7_ilPT18_ili26rocblas_geam_ex_operation_: ; @_ZN12_GLOBAL__N_120geam_min_plus_kernelIf15HIP_vector_typeIfLj2EES2_Li8ELi32ELi64ELi128ELi4ELi4ELi64ELi4ELi64ELc84ELc78ELb0ELb1ELb0EPKfS3_fEEviiiT16_PT17_ilS7_ilS5_S7_ilPT18_ili26rocblas_geam_ex_operation_
; %bb.0:
	s_clause 0x1
	s_load_dwordx4 s[12:15], s[4:5], 0x10
	s_load_dwordx4 s[0:3], s[4:5], 0x28
	s_mov_b32 s18, s7
	s_mov_b32 s19, 0
	s_mov_b64 s[20:21], 0
	s_lshl_b64 s[16:17], s[18:19], 2
	s_mov_b64 s[22:23], 0
	s_waitcnt lgkmcnt(0)
	s_add_u32 s8, s12, s16
	s_addc_u32 s9, s13, s17
	s_load_dword s24, s[8:9], 0x0
	s_clause 0x1
	s_load_dwordx4 s[8:11], s[4:5], 0x40
	s_load_dwordx2 s[12:13], s[4:5], 0x50
	s_waitcnt lgkmcnt(0)
	v_cmp_eq_f32_e64 s7, s24, 0
	v_cmp_neq_f32_e64 s25, s24, 0
	s_add_u32 s10, s10, s16
	s_addc_u32 s11, s11, s17
	s_and_b32 vcc_lo, exec_lo, s7
	s_cbranch_vccnz .LBB87_2
; %bb.1:
	s_mul_i32 s1, s1, s18
	s_mul_hi_u32 s7, s0, s18
	s_mul_i32 s0, s0, s18
	s_add_i32 s1, s7, s1
	s_lshl_b64 s[0:1], s[0:1], 2
	s_add_u32 s22, s14, s0
	s_addc_u32 s23, s15, s1
.LBB87_2:
	s_load_dword s19, s[10:11], 0x0
	s_andn2_b32 vcc_lo, exec_lo, s25
	s_cbranch_vccnz .LBB87_4
; %bb.3:
	s_mul_i32 s0, s9, s18
	s_mul_hi_u32 s1, s8, s18
	s_add_i32 s1, s1, s0
	s_mul_i32 s0, s8, s18
	s_lshl_b64 s[0:1], s[0:1], 2
	s_add_u32 s20, s2, s0
	s_addc_u32 s21, s3, s1
.LBB87_4:
	s_load_dwordx4 s[8:11], s[4:5], 0x60
	s_waitcnt lgkmcnt(0)
	v_cmp_eq_f32_e64 s0, s19, 0
	v_cmp_neq_f32_e64 s3, s19, 0
	s_and_b32 vcc_lo, exec_lo, s0
	s_cbranch_vccnz .LBB87_6
; %bb.5:
	s_mul_i32 s0, s9, s18
	s_mul_hi_u32 s1, s8, s18
	s_add_i32 s1, s1, s0
	s_mul_i32 s0, s8, s18
	s_lshl_b64 s[0:1], s[0:1], 2
	s_add_u32 s16, s12, s0
	s_addc_u32 s17, s13, s1
	s_branch .LBB87_7
.LBB87_6:
	s_mov_b64 s[16:17], 0
.LBB87_7:
	s_load_dwordx4 s[12:15], s[4:5], 0x0
	s_waitcnt lgkmcnt(0)
	s_load_dword s15, s[4:5], 0x20
	v_and_b32_e32 v72, 3, v0
	v_mov_b32_e32 v8, 0
	v_mov_b32_e32 v9, 0
	v_lshlrev_b32_e32 v4, 2, v72
	s_add_i32 s0, s12, -1
	v_cmp_gt_i32_e32 vcc_lo, s14, v72
	s_ashr_i32 s1, s0, 31
	s_lshr_b32 s1, s1, 26
	s_add_i32 s0, s0, s1
	s_ashr_i32 s0, s0, 6
	s_add_i32 s2, s0, 1
	s_not_b32 s0, s0
	v_cvt_f32_u32_e32 v2, s2
	v_rcp_iflag_f32_e32 v2, v2
	v_mul_f32_e32 v2, 0x4f7ffffe, v2
	v_cvt_u32_f32_e32 v2, v2
	v_readfirstlane_b32 s1, v2
	v_lshl_add_u32 v2, v1, 3, v0
	s_mul_i32 s0, s0, s1
	v_lshrrev_b32_e32 v3, 2, v2
	s_mul_hi_u32 s0, s1, s0
	s_add_i32 s1, s1, s0
	s_mul_hi_u32 s0, s6, s1
	s_mul_i32 s1, s0, s2
	s_add_i32 s7, s0, 1
	s_sub_i32 s1, s6, s1
	s_sub_i32 s8, s1, s2
	s_cmp_ge_u32 s1, s2
	s_cselect_b32 s0, s7, s0
	s_cselect_b32 s1, s8, s1
	s_add_i32 s7, s0, 1
	s_cmp_ge_u32 s1, s2
	s_cselect_b32 s1, s7, s0
	s_mul_i32 s0, s1, s2
	s_sub_i32 s0, s6, s0
	s_lshl_b32 s6, s0, 6
	v_add_nc_u32_e32 v2, s6, v3
	v_cmp_gt_i32_e64 s0, s12, v2
	s_and_b32 s2, vcc_lo, s0
	s_and_b32 s7, s25, s2
	s_and_saveexec_b32 s2, s7
	s_cbranch_execz .LBB87_9
; %bb.8:
	s_waitcnt lgkmcnt(0)
	v_mad_i64_i32 v[5:6], null, v2, s15, 0
	v_lshlrev_b64 v[5:6], 2, v[5:6]
	v_add_co_u32 v5, vcc_lo, s22, v5
	v_add_co_ci_u32_e64 v6, null, s23, v6, vcc_lo
	v_add_co_u32 v5, vcc_lo, v5, v4
	v_add_co_ci_u32_e64 v6, null, 0, v6, vcc_lo
	global_load_dword v5, v[5:6], off
	s_waitcnt vmcnt(0)
	v_mul_f32_e32 v9, s24, v5
.LBB87_9:
	s_or_b32 exec_lo, exec_lo, s2
	s_add_i32 s8, s14, -1
	s_load_dword s26, s[4:5], 0x38
	v_min_i32_e32 v6, s8, v72
	s_lshl_b32 s7, s1, 7
	v_cmp_le_i32_e32 vcc_lo, s14, v72
	v_add_nc_u32_e32 v5, s7, v3
	s_xor_b32 s9, s25, -1
	v_ashrrev_i32_e32 v7, 31, v6
	v_cmp_le_i32_e64 s1, s13, v5
	v_lshlrev_b64 v[6:7], 2, v[6:7]
	v_add_co_u32 v11, s2, s20, v6
	v_add_co_ci_u32_e64 v12, null, s21, v7, s2
	s_or_b32 s2, s1, s9
	s_nor_b32 s1, vcc_lo, s2
	s_and_saveexec_b32 s27, s1
	s_cbranch_execz .LBB87_11
; %bb.10:
	s_waitcnt lgkmcnt(0)
	v_mad_i64_i32 v[6:7], null, v5, s26, 0
	v_lshlrev_b64 v[6:7], 2, v[6:7]
	v_add_co_u32 v6, s1, v11, v6
	v_add_co_ci_u32_e64 v7, null, v12, v7, s1
	global_load_dword v6, v[6:7], off
	s_waitcnt vmcnt(0)
	v_mul_f32_e32 v8, s24, v6
.LBB87_11:
	s_or_b32 exec_lo, exec_lo, s27
	v_add_nc_u32_e32 v6, 64, v5
	v_mov_b32_e32 v7, 0
	v_mov_b32_e32 v10, 0
	v_cmp_le_i32_e64 s1, s13, v6
	s_or_b32 s9, s1, s9
	s_nor_b32 s27, vcc_lo, s9
	s_and_saveexec_b32 s1, s27
	s_cbranch_execz .LBB87_13
; %bb.12:
	s_waitcnt lgkmcnt(0)
	v_mad_i64_i32 v[13:14], null, v6, s26, 0
	v_lshlrev_b64 v[13:14], 2, v[13:14]
	v_add_co_u32 v10, vcc_lo, v11, v13
	v_add_co_ci_u32_e64 v11, null, v12, v14, vcc_lo
	global_load_dword v10, v[10:11], off
	s_waitcnt vmcnt(0)
	v_mul_f32_e32 v10, s24, v10
.LBB87_13:
	s_or_b32 exec_lo, exec_lo, s1
	v_or_b32_e32 v11, 4, v72
	v_cmp_gt_i32_e32 vcc_lo, s14, v11
	s_and_b32 s1, vcc_lo, s0
	s_and_b32 s27, s25, s1
	s_and_saveexec_b32 s1, s27
	s_cbranch_execz .LBB87_15
; %bb.14:
	s_waitcnt lgkmcnt(0)
	v_mad_i64_i32 v[12:13], null, v2, s15, 0
	v_lshlrev_b64 v[12:13], 2, v[12:13]
	v_add_co_u32 v7, vcc_lo, s22, v12
	v_add_co_ci_u32_e64 v13, null, s23, v13, vcc_lo
	v_add_co_u32 v12, vcc_lo, v7, v4
	v_add_co_ci_u32_e64 v13, null, 0, v13, vcc_lo
	global_load_dword v7, v[12:13], off offset:16
	s_waitcnt vmcnt(0)
	v_mul_f32_e32 v7, s24, v7
.LBB87_15:
	s_or_b32 exec_lo, exec_lo, s1
	v_min_i32_e32 v12, s8, v11
	v_cmp_le_i32_e32 vcc_lo, s14, v11
	v_mov_b32_e32 v79, 0
	v_mov_b32_e32 v80, 0
	v_ashrrev_i32_e32 v13, 31, v12
	v_lshlrev_b64 v[12:13], 2, v[12:13]
	v_add_co_u32 v11, s1, s20, v12
	v_add_co_ci_u32_e64 v12, null, s21, v13, s1
	s_nor_b32 s1, vcc_lo, s2
	s_and_saveexec_b32 s27, s1
	s_cbranch_execz .LBB87_17
; %bb.16:
	s_waitcnt lgkmcnt(0)
	v_mad_i64_i32 v[13:14], null, v5, s26, 0
	v_lshlrev_b64 v[13:14], 2, v[13:14]
	v_add_co_u32 v13, s1, v11, v13
	v_add_co_ci_u32_e64 v14, null, v12, v14, s1
	global_load_dword v13, v[13:14], off
	s_waitcnt vmcnt(0)
	v_mul_f32_e32 v80, s24, v13
.LBB87_17:
	s_or_b32 exec_lo, exec_lo, s27
	s_nor_b32 s27, vcc_lo, s9
	s_and_saveexec_b32 s1, s27
	s_cbranch_execz .LBB87_19
; %bb.18:
	s_waitcnt lgkmcnt(0)
	v_mad_i64_i32 v[13:14], null, v6, s26, 0
	v_lshlrev_b64 v[13:14], 2, v[13:14]
	v_add_co_u32 v11, vcc_lo, v11, v13
	v_add_co_ci_u32_e64 v12, null, v12, v14, vcc_lo
	global_load_dword v11, v[11:12], off
	s_waitcnt vmcnt(0)
	v_mul_f32_e32 v79, s24, v11
.LBB87_19:
	s_or_b32 exec_lo, exec_lo, s1
	v_lshlrev_b32_e32 v11, 4, v3
	v_mov_b32_e32 v70, 0
	v_lshl_or_b32 v74, v0, 4, 0x1000
	v_lshlrev_b32_e32 v75, 4, v1
	s_mov_b32 s27, 0
	v_lshl_or_b32 v73, v72, 2, v11
	v_mov_b32_e32 v71, v70
	v_mov_b32_e32 v68, v70
	;; [unrolled: 1-line block ×4, first 2 shown]
	v_add_nc_u32_e32 v76, 0x1000, v73
	ds_write_b32 v73, v9 offset:4096
	ds_write2st64_b32 v73, v8, v10 offset1:4
	v_mov_b32_e32 v8, v70
	v_mov_b32_e32 v9, v70
	;; [unrolled: 1-line block ×59, first 2 shown]
	s_mov_b32 s1, -1
	s_waitcnt lgkmcnt(0)
	s_barrier
	buffer_gl0_inv
.LBB87_20:                              ; =>This Inner Loop Header: Depth=1
	s_lshl_b32 s27, s27, 2
	s_andn2_b32 vcc_lo, exec_lo, s1
	v_add_nc_u32_e32 v77, s27, v74
	s_mov_b32 s1, 0
	ds_read2_b64 v[81:84], v77 offset1:16
	ds_read2_b64 v[85:88], v77 offset0:32 offset1:48
	ds_read2_b64 v[89:92], v77 offset0:64 offset1:80
	;; [unrolled: 1-line block ×3, first 2 shown]
	v_add_nc_u32_e32 v77, s27, v75
	s_mov_b32 s27, 2
	ds_read2st64_b64 v[97:100], v77 offset1:1
	ds_read2st64_b64 v[101:104], v77 offset0:2 offset1:3
	s_waitcnt lgkmcnt(5)
	v_max_f32_e32 v78, v81, v81
	v_max_f32_e32 v82, v82, v82
	;; [unrolled: 1-line block ×3, first 2 shown]
	s_waitcnt lgkmcnt(4)
	v_max_f32_e32 v86, v86, v86
	v_max_f32_e32 v88, v88, v88
	s_waitcnt lgkmcnt(3)
	v_max_f32_e32 v90, v90, v90
	v_max_f32_e32 v92, v92, v92
	s_waitcnt lgkmcnt(2)
	v_max_f32_e32 v94, v94, v94
	s_waitcnt lgkmcnt(1)
	v_max_f32_e32 v77, v97, v97
	v_max_f32_e32 v97, v98, v98
	v_min_f32_e32 v81, v78, v77
	v_min_f32_e32 v98, v82, v97
	v_add_f32_e32 v70, v70, v81
	v_max_f32_e32 v81, v83, v83
	v_add_f32_e32 v71, v71, v98
	v_min_f32_e32 v98, v84, v97
	v_min_f32_e32 v83, v81, v77
	v_add_f32_e32 v69, v69, v98
	v_min_f32_e32 v98, v86, v97
	v_add_f32_e32 v68, v68, v83
	v_max_f32_e32 v83, v85, v85
	v_add_f32_e32 v9, v9, v98
	v_min_f32_e32 v98, v88, v97
	v_min_f32_e32 v85, v83, v77
	v_add_f32_e32 v11, v11, v98
	;; [unrolled: 7-line block ×3, first 2 shown]
	v_add_f32_e32 v10, v10, v87
	v_max_f32_e32 v87, v89, v89
	v_min_f32_e32 v98, v94, v97
	v_min_f32_e32 v89, v87, v77
	v_add_f32_e32 v17, v17, v98
	v_add_f32_e32 v12, v12, v89
	v_max_f32_e32 v89, v91, v91
	v_min_f32_e32 v91, v89, v77
	v_add_f32_e32 v14, v14, v91
	v_max_f32_e32 v91, v93, v93
	v_min_f32_e32 v93, v91, v77
	;; [unrolled: 3-line block ×3, first 2 shown]
	v_max_f32_e32 v77, v96, v96
	v_add_f32_e32 v66, v66, v95
	v_min_f32_e32 v96, v77, v97
	v_max_f32_e32 v95, v99, v99
	v_max_f32_e32 v97, v100, v100
	v_add_f32_e32 v67, v67, v96
	v_min_f32_e32 v96, v78, v95
	v_min_f32_e32 v98, v82, v97
	v_add_f32_e32 v64, v64, v96
	v_min_f32_e32 v96, v81, v95
	v_add_f32_e32 v65, v65, v98
	;; [unrolled: 2-line block ×11, first 2 shown]
	v_min_f32_e32 v96, v91, v95
	v_min_f32_e32 v95, v93, v95
	v_add_f32_e32 v55, v55, v98
	v_min_f32_e32 v98, v94, v97
	v_add_f32_e32 v52, v52, v96
	v_min_f32_e32 v96, v77, v97
	v_add_f32_e32 v50, v50, v95
	s_waitcnt lgkmcnt(0)
	v_max_f32_e32 v95, v101, v101
	v_max_f32_e32 v97, v102, v102
	v_add_f32_e32 v53, v53, v98
	v_add_f32_e32 v51, v51, v96
	v_min_f32_e32 v96, v78, v95
	v_min_f32_e32 v98, v82, v97
	v_add_f32_e32 v48, v48, v96
	v_min_f32_e32 v96, v81, v95
	v_add_f32_e32 v49, v49, v98
	;; [unrolled: 2-line block ×11, first 2 shown]
	v_min_f32_e32 v96, v91, v95
	v_min_f32_e32 v95, v93, v95
	v_add_f32_e32 v39, v39, v98
	v_min_f32_e32 v98, v94, v97
	v_add_f32_e32 v36, v36, v96
	v_add_f32_e32 v34, v34, v95
	v_max_f32_e32 v95, v103, v103
	v_min_f32_e32 v96, v77, v97
	v_add_f32_e32 v37, v37, v98
	v_min_f32_e32 v78, v78, v95
	v_add_f32_e32 v35, v35, v96
	v_max_f32_e32 v96, v104, v104
	v_add_f32_e32 v32, v32, v78
	v_min_f32_e32 v78, v81, v95
	v_min_f32_e32 v81, v84, v96
	;; [unrolled: 1-line block ×4, first 2 shown]
	v_add_f32_e32 v30, v30, v78
	v_min_f32_e32 v78, v83, v95
	v_add_f32_e32 v31, v31, v81
	v_min_f32_e32 v81, v86, v96
	v_add_f32_e32 v33, v33, v82
	v_add_f32_e32 v19, v19, v77
	v_add_f32_e32 v28, v28, v78
	v_min_f32_e32 v78, v85, v95
	v_add_f32_e32 v29, v29, v81
	v_min_f32_e32 v81, v88, v96
	v_add_f32_e32 v26, v26, v78
	v_min_f32_e32 v78, v87, v95
	v_add_f32_e32 v27, v27, v81
	v_min_f32_e32 v81, v90, v96
	v_add_f32_e32 v24, v24, v78
	v_min_f32_e32 v78, v89, v95
	v_add_f32_e32 v25, v25, v81
	v_min_f32_e32 v81, v92, v96
	v_add_f32_e32 v22, v22, v78
	v_min_f32_e32 v78, v91, v95
	v_add_f32_e32 v23, v23, v81
	v_min_f32_e32 v81, v94, v96
	v_add_f32_e32 v20, v20, v78
	v_min_f32_e32 v78, v93, v95
	v_add_f32_e32 v21, v21, v81
	v_add_f32_e32 v18, v18, v78
	s_cbranch_vccz .LBB87_20
; %bb.21:
	v_lshl_or_b32 v3, v3, 4, v4
	v_lshl_add_u32 v77, v0, 4, 0x1400
	v_lshl_add_u32 v78, v1, 4, 0x800
	s_cmp_lt_i32 s14, 9
	ds_write_b32 v3, v7 offset:5120
	ds_write2st64_b32 v3, v80, v79 offset0:8 offset1:12
	s_waitcnt lgkmcnt(0)
	s_barrier
	buffer_gl0_inv
	s_cbranch_scc1 .LBB87_40
; %bb.22:
	v_mad_i64_i32 v[79:80], null, v2, s15, 0
	v_mad_i64_i32 v[4:5], null, v5, s26, 0
	;; [unrolled: 1-line block ×3, first 2 shown]
	s_add_i32 s15, s14, -8
	v_lshlrev_b64 v[81:82], 2, v[79:80]
	v_add_nc_u32_e32 v79, 0x1400, v3
	v_add_nc_u32_e32 v80, 0x800, v3
	v_lshlrev_b64 v[2:3], 2, v[4:5]
	v_lshlrev_b64 v[4:5], 2, v[6:7]
	v_mov_b32_e32 v7, 0
	v_add_co_u32 v81, vcc_lo, s22, v81
	v_add_co_ci_u32_e64 v82, null, s23, v82, vcc_lo
	s_mov_b32 s22, 8
	s_mov_b32 s23, 0
.LBB87_23:                              ; =>This Loop Header: Depth=1
                                        ;     Child Loop BB87_30 Depth 2
                                        ;     Child Loop BB87_38 Depth 2
	v_or_b32_e32 v6, s22, v72
	v_mov_b32_e32 v83, 0
	v_cmp_gt_i32_e32 vcc_lo, s14, v6
	s_and_b32 s1, vcc_lo, s0
	s_and_b32 s26, s25, s1
	s_and_saveexec_b32 s1, s26
	s_cbranch_execz .LBB87_25
; %bb.24:                               ;   in Loop: Header=BB87_23 Depth=1
	v_lshlrev_b64 v[83:84], 2, v[6:7]
	v_add_co_u32 v83, vcc_lo, v81, v83
	v_add_co_ci_u32_e64 v84, null, v82, v84, vcc_lo
	global_load_dword v83, v[83:84], off
	s_waitcnt vmcnt(0)
	v_mul_f32_e32 v83, s24, v83
.LBB87_25:                              ;   in Loop: Header=BB87_23 Depth=1
	s_or_b32 exec_lo, exec_lo, s1
	v_min_i32_e32 v84, s8, v6
	v_cmp_le_i32_e32 vcc_lo, s14, v6
	v_ashrrev_i32_e32 v85, 31, v84
	v_lshlrev_b64 v[86:87], 2, v[84:85]
	v_mov_b32_e32 v84, 0
	v_mov_b32_e32 v85, 0
	v_add_co_u32 v86, s1, s20, v86
	v_add_co_ci_u32_e64 v87, null, s21, v87, s1
	s_nor_b32 s1, s2, vcc_lo
	s_and_saveexec_b32 s26, s1
	s_cbranch_execz .LBB87_27
; %bb.26:                               ;   in Loop: Header=BB87_23 Depth=1
	v_add_co_u32 v88, s1, v86, v2
	v_add_co_ci_u32_e64 v89, null, v87, v3, s1
	global_load_dword v85, v[88:89], off
	s_waitcnt vmcnt(0)
	v_mul_f32_e32 v85, s24, v85
.LBB87_27:                              ;   in Loop: Header=BB87_23 Depth=1
	s_or_b32 exec_lo, exec_lo, s26
	s_nor_b32 s26, s9, vcc_lo
	s_and_saveexec_b32 s1, s26
	s_cbranch_execz .LBB87_29
; %bb.28:                               ;   in Loop: Header=BB87_23 Depth=1
	v_add_co_u32 v86, vcc_lo, v86, v4
	v_add_co_ci_u32_e64 v87, null, v87, v5, vcc_lo
	global_load_dword v84, v[86:87], off
	s_waitcnt vmcnt(0)
	v_mul_f32_e32 v84, s24, v84
.LBB87_29:                              ;   in Loop: Header=BB87_23 Depth=1
	s_or_b32 exec_lo, exec_lo, s1
	s_mov_b32 s26, 0
	s_mov_b32 s1, -1
.LBB87_30:                              ;   Parent Loop BB87_23 Depth=1
                                        ; =>  This Inner Loop Header: Depth=2
	s_lshl_b32 s26, s26, 2
	s_andn2_b32 vcc_lo, exec_lo, s1
	v_add_nc_u32_e32 v98, s26, v77
	v_add_nc_u32_e32 v106, s26, v78
	s_mov_b32 s1, 0
	s_mov_b32 s26, 2
	ds_read2_b64 v[86:89], v98 offset1:16
	ds_read2_b64 v[90:93], v98 offset0:32 offset1:48
	ds_read2_b64 v[94:97], v98 offset0:64 offset1:80
	;; [unrolled: 1-line block ×3, first 2 shown]
	ds_read2st64_b64 v[102:105], v106 offset1:1
	ds_read2st64_b64 v[106:109], v106 offset0:2 offset1:3
	s_waitcnt lgkmcnt(5)
	v_max_f32_e32 v86, v86, v86
	v_max_f32_e32 v87, v87, v87
	;; [unrolled: 1-line block ×3, first 2 shown]
	s_waitcnt lgkmcnt(1)
	v_max_f32_e32 v102, v102, v102
	v_max_f32_e32 v103, v103, v103
	;; [unrolled: 1-line block ×5, first 2 shown]
	v_min_f32_e32 v110, v86, v102
	v_min_f32_e32 v111, v87, v103
	v_max_f32_e32 v92, v92, v92
	v_max_f32_e32 v93, v93, v93
	;; [unrolled: 1-line block ×3, first 2 shown]
	v_add_f32_e32 v70, v70, v110
	v_min_f32_e32 v110, v88, v102
	v_add_f32_e32 v71, v71, v111
	v_min_f32_e32 v111, v89, v103
	v_max_f32_e32 v95, v95, v95
	v_max_f32_e32 v96, v96, v96
	v_add_f32_e32 v68, v68, v110
	v_min_f32_e32 v110, v90, v102
	v_add_f32_e32 v69, v69, v111
	v_min_f32_e32 v111, v91, v103
	v_max_f32_e32 v97, v97, v97
	v_max_f32_e32 v98, v98, v98
	;; [unrolled: 6-line block ×3, first 2 shown]
	v_add_f32_e32 v10, v10, v110
	v_min_f32_e32 v110, v94, v102
	v_add_f32_e32 v11, v11, v111
	v_min_f32_e32 v111, v95, v103
	v_max_f32_e32 v101, v101, v101
	v_add_f32_e32 v12, v12, v110
	v_min_f32_e32 v110, v96, v102
	v_add_f32_e32 v13, v13, v111
	v_min_f32_e32 v111, v97, v103
	;; [unrolled: 2-line block ×3, first 2 shown]
	v_min_f32_e32 v102, v100, v102
	v_add_f32_e32 v15, v15, v111
	v_min_f32_e32 v111, v99, v103
	v_min_f32_e32 v103, v101, v103
	v_add_f32_e32 v16, v16, v110
	v_add_f32_e32 v66, v66, v102
	v_max_f32_e32 v102, v104, v104
	v_max_f32_e32 v104, v105, v105
	v_add_f32_e32 v67, v67, v103
	v_add_f32_e32 v17, v17, v111
	v_min_f32_e32 v103, v86, v102
	v_min_f32_e32 v105, v87, v104
	v_add_f32_e32 v64, v64, v103
	v_min_f32_e32 v103, v88, v102
	v_add_f32_e32 v65, v65, v105
	;; [unrolled: 2-line block ×11, first 2 shown]
	v_min_f32_e32 v103, v98, v102
	v_min_f32_e32 v102, v100, v102
	v_add_f32_e32 v55, v55, v105
	v_min_f32_e32 v105, v99, v104
	v_add_f32_e32 v52, v52, v103
	;; [unrolled: 2-line block ×3, first 2 shown]
	s_waitcnt lgkmcnt(0)
	v_max_f32_e32 v102, v106, v106
	v_max_f32_e32 v104, v107, v107
	v_add_f32_e32 v53, v53, v105
	v_add_f32_e32 v51, v51, v103
	v_min_f32_e32 v103, v86, v102
	v_min_f32_e32 v105, v87, v104
	v_add_f32_e32 v48, v48, v103
	v_min_f32_e32 v103, v88, v102
	v_add_f32_e32 v49, v49, v105
	;; [unrolled: 2-line block ×11, first 2 shown]
	v_min_f32_e32 v103, v98, v102
	v_min_f32_e32 v102, v100, v102
	v_add_f32_e32 v39, v39, v105
	v_min_f32_e32 v105, v99, v104
	v_add_f32_e32 v36, v36, v103
	;; [unrolled: 2-line block ×3, first 2 shown]
	v_max_f32_e32 v102, v108, v108
	v_add_f32_e32 v37, v37, v105
	v_add_f32_e32 v35, v35, v103
	v_max_f32_e32 v103, v109, v109
	v_min_f32_e32 v86, v86, v102
	v_min_f32_e32 v87, v87, v103
	v_add_f32_e32 v32, v32, v86
	v_min_f32_e32 v86, v88, v102
	v_add_f32_e32 v33, v33, v87
	;; [unrolled: 2-line block ×15, first 2 shown]
	v_add_f32_e32 v19, v19, v87
	s_cbranch_vccz .LBB87_30
; %bb.31:                               ;   in Loop: Header=BB87_23 Depth=1
	v_or_b32_e32 v86, 4, v6
	ds_write_b32 v76, v83
	ds_write2st64_b32 v73, v85, v84 offset1:4
	v_mov_b32_e32 v83, 0
	v_mov_b32_e32 v84, 0
	v_cmp_gt_i32_e32 vcc_lo, s14, v86
	s_waitcnt lgkmcnt(0)
	s_barrier
	buffer_gl0_inv
	s_and_b32 s1, vcc_lo, s0
	s_and_b32 s26, s25, s1
	s_and_saveexec_b32 s1, s26
	s_cbranch_execz .LBB87_33
; %bb.32:                               ;   in Loop: Header=BB87_23 Depth=1
	v_lshlrev_b64 v[84:85], 2, v[6:7]
	v_add_co_u32 v84, vcc_lo, v81, v84
	v_add_co_ci_u32_e64 v85, null, v82, v85, vcc_lo
	global_load_dword v6, v[84:85], off offset:16
	s_waitcnt vmcnt(0)
	v_mul_f32_e32 v84, s24, v6
.LBB87_33:                              ;   in Loop: Header=BB87_23 Depth=1
	s_or_b32 exec_lo, exec_lo, s1
	v_min_i32_e32 v87, s8, v86
	v_cmp_le_i32_e32 vcc_lo, s14, v86
	v_ashrrev_i32_e32 v88, 31, v87
	v_lshlrev_b64 v[87:88], 2, v[87:88]
	v_add_co_u32 v85, s1, s20, v87
	v_add_co_ci_u32_e64 v86, null, s21, v88, s1
	s_nor_b32 s1, s2, vcc_lo
	s_and_saveexec_b32 s26, s1
	s_cbranch_execz .LBB87_35
; %bb.34:                               ;   in Loop: Header=BB87_23 Depth=1
	v_add_co_u32 v87, s1, v85, v2
	v_add_co_ci_u32_e64 v88, null, v86, v3, s1
	global_load_dword v6, v[87:88], off
	s_waitcnt vmcnt(0)
	v_mul_f32_e32 v83, s24, v6
.LBB87_35:                              ;   in Loop: Header=BB87_23 Depth=1
	s_or_b32 exec_lo, exec_lo, s26
	v_mov_b32_e32 v6, 0
	s_nor_b32 s26, s9, vcc_lo
	s_and_saveexec_b32 s1, s26
	s_cbranch_execz .LBB87_37
; %bb.36:                               ;   in Loop: Header=BB87_23 Depth=1
	v_add_co_u32 v85, vcc_lo, v85, v4
	v_add_co_ci_u32_e64 v86, null, v86, v5, vcc_lo
	global_load_dword v6, v[85:86], off
	s_waitcnt vmcnt(0)
	v_mul_f32_e32 v6, s24, v6
.LBB87_37:                              ;   in Loop: Header=BB87_23 Depth=1
	s_or_b32 exec_lo, exec_lo, s1
	s_mov_b32 s26, 0
	s_mov_b32 s1, -1
.LBB87_38:                              ;   Parent Loop BB87_23 Depth=1
                                        ; =>  This Inner Loop Header: Depth=2
	s_lshl_b32 s26, s26, 2
	s_andn2_b32 vcc_lo, exec_lo, s1
	v_add_nc_u32_e32 v97, s26, v74
	v_add_nc_u32_e32 v105, s26, v75
	s_mov_b32 s1, 0
	s_mov_b32 s26, 2
	ds_read2_b64 v[85:88], v97 offset1:16
	ds_read2_b64 v[89:92], v97 offset0:32 offset1:48
	ds_read2_b64 v[93:96], v97 offset0:64 offset1:80
	;; [unrolled: 1-line block ×3, first 2 shown]
	ds_read2st64_b64 v[101:104], v105 offset1:1
	ds_read2st64_b64 v[105:108], v105 offset0:2 offset1:3
	s_waitcnt lgkmcnt(5)
	v_max_f32_e32 v85, v85, v85
	v_max_f32_e32 v86, v86, v86
	;; [unrolled: 1-line block ×3, first 2 shown]
	s_waitcnt lgkmcnt(1)
	v_max_f32_e32 v101, v101, v101
	v_max_f32_e32 v102, v102, v102
	;; [unrolled: 1-line block ×5, first 2 shown]
	v_min_f32_e32 v109, v85, v101
	v_min_f32_e32 v110, v86, v102
	v_max_f32_e32 v91, v91, v91
	v_max_f32_e32 v92, v92, v92
	;; [unrolled: 1-line block ×3, first 2 shown]
	v_add_f32_e32 v70, v70, v109
	v_min_f32_e32 v109, v87, v101
	v_add_f32_e32 v71, v71, v110
	v_min_f32_e32 v110, v88, v102
	v_max_f32_e32 v94, v94, v94
	v_max_f32_e32 v95, v95, v95
	v_add_f32_e32 v68, v68, v109
	v_min_f32_e32 v109, v89, v101
	v_add_f32_e32 v69, v69, v110
	v_min_f32_e32 v110, v90, v102
	v_max_f32_e32 v96, v96, v96
	v_max_f32_e32 v97, v97, v97
	v_add_f32_e32 v8, v8, v109
	v_min_f32_e32 v109, v91, v101
	v_add_f32_e32 v9, v9, v110
	v_min_f32_e32 v110, v92, v102
	v_max_f32_e32 v99, v99, v99
	v_max_f32_e32 v98, v98, v98
	v_add_f32_e32 v10, v10, v109
	v_min_f32_e32 v109, v93, v101
	v_add_f32_e32 v11, v11, v110
	v_min_f32_e32 v110, v94, v102
	v_max_f32_e32 v100, v100, v100
	v_add_f32_e32 v12, v12, v109
	v_min_f32_e32 v109, v95, v101
	v_add_f32_e32 v13, v13, v110
	v_min_f32_e32 v110, v96, v102
	v_add_f32_e32 v14, v14, v109
	v_min_f32_e32 v109, v97, v101
	v_min_f32_e32 v101, v99, v101
	v_add_f32_e32 v15, v15, v110
	v_min_f32_e32 v110, v98, v102
	v_min_f32_e32 v102, v100, v102
	v_add_f32_e32 v16, v16, v109
	v_add_f32_e32 v66, v66, v101
	v_max_f32_e32 v101, v103, v103
	v_max_f32_e32 v103, v104, v104
	v_add_f32_e32 v67, v67, v102
	v_add_f32_e32 v17, v17, v110
	v_min_f32_e32 v102, v85, v101
	v_min_f32_e32 v104, v86, v103
	v_add_f32_e32 v64, v64, v102
	v_min_f32_e32 v102, v87, v101
	v_add_f32_e32 v65, v65, v104
	;; [unrolled: 2-line block ×11, first 2 shown]
	v_min_f32_e32 v102, v97, v101
	v_min_f32_e32 v101, v99, v101
	v_add_f32_e32 v55, v55, v104
	v_min_f32_e32 v104, v98, v103
	v_add_f32_e32 v52, v52, v102
	;; [unrolled: 2-line block ×3, first 2 shown]
	s_waitcnt lgkmcnt(0)
	v_max_f32_e32 v101, v105, v105
	v_max_f32_e32 v103, v106, v106
	v_add_f32_e32 v53, v53, v104
	v_add_f32_e32 v51, v51, v102
	v_min_f32_e32 v102, v85, v101
	v_min_f32_e32 v104, v86, v103
	v_add_f32_e32 v48, v48, v102
	v_min_f32_e32 v102, v87, v101
	v_add_f32_e32 v49, v49, v104
	v_min_f32_e32 v104, v88, v103
	v_add_f32_e32 v46, v46, v102
	v_min_f32_e32 v102, v89, v101
	v_add_f32_e32 v47, v47, v104
	v_min_f32_e32 v104, v90, v103
	v_add_f32_e32 v44, v44, v102
	v_min_f32_e32 v102, v91, v101
	v_add_f32_e32 v45, v45, v104
	v_min_f32_e32 v104, v92, v103
	v_add_f32_e32 v42, v42, v102
	v_min_f32_e32 v102, v93, v101
	v_add_f32_e32 v43, v43, v104
	v_min_f32_e32 v104, v94, v103
	v_add_f32_e32 v40, v40, v102
	v_min_f32_e32 v102, v95, v101
	v_add_f32_e32 v41, v41, v104
	v_min_f32_e32 v104, v96, v103
	v_add_f32_e32 v38, v38, v102
	v_min_f32_e32 v102, v97, v101
	v_min_f32_e32 v101, v99, v101
	v_add_f32_e32 v39, v39, v104
	v_min_f32_e32 v104, v98, v103
	v_add_f32_e32 v36, v36, v102
	;; [unrolled: 2-line block ×3, first 2 shown]
	v_max_f32_e32 v101, v107, v107
	v_add_f32_e32 v37, v37, v104
	v_add_f32_e32 v35, v35, v102
	v_max_f32_e32 v102, v108, v108
	v_min_f32_e32 v85, v85, v101
	v_min_f32_e32 v86, v86, v102
	v_add_f32_e32 v32, v32, v85
	v_min_f32_e32 v85, v87, v101
	v_add_f32_e32 v33, v33, v86
	;; [unrolled: 2-line block ×15, first 2 shown]
	v_add_f32_e32 v19, v19, v86
	s_cbranch_vccz .LBB87_38
; %bb.39:                               ;   in Loop: Header=BB87_23 Depth=1
	s_add_i32 s23, s23, 8
	s_add_i32 s22, s22, 8
	s_cmp_ge_i32 s23, s15
	ds_write_b32 v79, v84
	ds_write2st64_b32 v80, v83, v6 offset1:4
	s_waitcnt lgkmcnt(0)
	s_barrier
	buffer_gl0_inv
	s_cbranch_scc0 .LBB87_23
.LBB87_40:
	s_mov_b32 s0, -1
.LBB87_41:                              ; =>This Inner Loop Header: Depth=1
	s_lshl_b32 s1, s1, 2
	s_andn2_b32 vcc_lo, exec_lo, s0
	v_add_nc_u32_e32 v6, s1, v77
	s_mov_b32 s0, 0
	ds_read2_b64 v[2:5], v6 offset1:16
	ds_read2_b64 v[72:75], v6 offset0:32 offset1:48
	ds_read2_b64 v[79:82], v6 offset0:64 offset1:80
	;; [unrolled: 1-line block ×3, first 2 shown]
	v_add_nc_u32_e32 v6, s1, v78
	s_mov_b32 s1, 2
	ds_read2st64_b64 v[87:90], v6 offset1:1
	ds_read2st64_b64 v[91:94], v6 offset0:2 offset1:3
	s_waitcnt lgkmcnt(5)
	v_max_f32_e32 v2, v2, v2
	v_max_f32_e32 v4, v4, v4
	;; [unrolled: 1-line block ×4, first 2 shown]
	s_waitcnt lgkmcnt(4)
	v_max_f32_e32 v73, v73, v73
	v_max_f32_e32 v75, v75, v75
	s_waitcnt lgkmcnt(3)
	v_max_f32_e32 v80, v80, v80
	v_max_f32_e32 v82, v82, v82
	;; [unrolled: 3-line block ×3, first 2 shown]
	v_max_f32_e32 v84, v84, v84
	v_min_f32_e32 v7, v2, v6
	v_min_f32_e32 v87, v3, v76
	v_add_f32_e32 v70, v70, v7
	v_min_f32_e32 v7, v4, v6
	v_add_f32_e32 v71, v71, v87
	;; [unrolled: 2-line block ×3, first 2 shown]
	v_max_f32_e32 v7, v72, v72
	v_add_f32_e32 v69, v69, v87
	v_min_f32_e32 v87, v73, v76
	v_min_f32_e32 v72, v7, v6
	v_add_f32_e32 v9, v9, v87
	v_min_f32_e32 v87, v75, v76
	v_add_f32_e32 v8, v8, v72
	v_max_f32_e32 v72, v74, v74
	v_add_f32_e32 v11, v11, v87
	v_min_f32_e32 v87, v80, v76
	v_min_f32_e32 v74, v72, v6
	v_add_f32_e32 v13, v13, v87
	v_min_f32_e32 v87, v82, v76
	v_add_f32_e32 v10, v10, v74
	v_max_f32_e32 v74, v79, v79
	v_add_f32_e32 v15, v15, v87
	v_min_f32_e32 v87, v84, v76
	v_min_f32_e32 v79, v74, v6
	v_add_f32_e32 v17, v17, v87
	v_add_f32_e32 v12, v12, v79
	v_max_f32_e32 v79, v81, v81
	v_min_f32_e32 v81, v79, v6
	v_add_f32_e32 v14, v14, v81
	v_max_f32_e32 v81, v83, v83
	v_min_f32_e32 v83, v81, v6
	v_add_f32_e32 v16, v16, v83
	v_max_f32_e32 v83, v85, v85
	v_max_f32_e32 v85, v86, v86
	;; [unrolled: 1-line block ×3, first 2 shown]
	v_min_f32_e32 v6, v83, v6
	v_min_f32_e32 v76, v85, v76
	;; [unrolled: 1-line block ×3, first 2 shown]
	v_add_f32_e32 v66, v66, v6
	v_max_f32_e32 v6, v89, v89
	v_add_f32_e32 v67, v67, v76
	v_add_f32_e32 v65, v65, v87
	v_min_f32_e32 v87, v5, v86
	v_min_f32_e32 v76, v2, v6
	v_add_f32_e32 v63, v63, v87
	v_min_f32_e32 v87, v73, v86
	v_add_f32_e32 v64, v64, v76
	;; [unrolled: 2-line block ×11, first 2 shown]
	v_add_f32_e32 v54, v54, v76
	v_min_f32_e32 v76, v81, v6
	v_min_f32_e32 v6, v83, v6
	v_add_f32_e32 v52, v52, v76
	v_min_f32_e32 v76, v85, v86
	v_add_f32_e32 v50, v50, v6
	s_waitcnt lgkmcnt(0)
	v_max_f32_e32 v6, v91, v91
	v_max_f32_e32 v86, v92, v92
	v_add_f32_e32 v51, v51, v76
	v_min_f32_e32 v76, v2, v6
	v_min_f32_e32 v87, v3, v86
	v_add_f32_e32 v48, v48, v76
	v_min_f32_e32 v76, v4, v6
	v_add_f32_e32 v49, v49, v87
	;; [unrolled: 2-line block ×11, first 2 shown]
	v_min_f32_e32 v76, v81, v6
	v_min_f32_e32 v6, v83, v6
	v_add_f32_e32 v39, v39, v87
	v_min_f32_e32 v87, v84, v86
	v_add_f32_e32 v36, v36, v76
	;; [unrolled: 2-line block ×3, first 2 shown]
	v_max_f32_e32 v6, v93, v93
	v_add_f32_e32 v37, v37, v87
	v_add_f32_e32 v35, v35, v76
	v_max_f32_e32 v76, v94, v94
	v_min_f32_e32 v2, v2, v6
	v_min_f32_e32 v3, v3, v76
	v_add_f32_e32 v32, v32, v2
	v_min_f32_e32 v2, v4, v6
	v_add_f32_e32 v33, v33, v3
	;; [unrolled: 2-line block ×15, first 2 shown]
	v_add_f32_e32 v19, v19, v3
	s_cbranch_vccz .LBB87_41
; %bb.42:
	s_clause 0x2
	s_load_dwordx2 s[0:1], s[4:5], 0x78
	s_load_dword s14, s[4:5], 0x58
	s_load_dword s9, s[4:5], 0x70
	v_add_nc_u32_e32 v73, s7, v1
	v_add_nc_u32_e32 v0, s6, v0
	v_cndmask_b32_e64 v72, 0, 1, s3
	v_cmp_gt_i32_e64 s8, s13, v73
	s_waitcnt lgkmcnt(0)
	s_mul_i32 s1, s1, s18
	v_mad_i64_i32 v[1:2], null, v73, s14, 0
	v_mad_i64_i32 v[3:4], null, v73, s9, 0
	s_mul_hi_u32 s2, s0, s18
	s_mul_i32 s4, s0, s18
	s_add_i32 s5, s2, s1
	v_cmp_gt_i32_e64 s0, s12, v0
	v_lshlrev_b64 v[5:6], 2, v[1:2]
	s_lshl_b64 s[4:5], s[4:5], 2
	v_lshlrev_b64 v[2:3], 2, v[3:4]
	s_add_u32 s10, s10, s4
	s_addc_u32 s11, s11, s5
	v_ashrrev_i32_e32 v1, 31, v0
	v_add_co_u32 v76, vcc_lo, s16, v5
	v_add_co_ci_u32_e64 v77, null, s17, v6, vcc_lo
	v_add_co_u32 v74, vcc_lo, s10, v2
	v_add_co_ci_u32_e64 v75, null, s11, v3, vcc_lo
	s_and_b32 s2, s0, s8
	s_and_saveexec_b32 s1, s2
	s_cbranch_execz .LBB87_47
; %bb.43:
	v_lshlrev_b64 v[2:3], 2, v[0:1]
	s_andn2_b32 vcc_lo, exec_lo, s3
	s_cbranch_vccnz .LBB87_45
; %bb.44:
	v_add_co_u32 v4, vcc_lo, v76, v2
	v_add_co_ci_u32_e64 v5, null, v77, v3, vcc_lo
	global_load_dword v4, v[4:5], off
	s_waitcnt vmcnt(0)
	v_mul_f32_e32 v4, s19, v4
	s_branch .LBB87_46
.LBB87_45:
	v_mov_b32_e32 v4, 0
.LBB87_46:
	v_add_f32_e32 v5, v70, v71
	v_add_co_u32 v2, vcc_lo, v74, v2
	v_add_co_ci_u32_e64 v3, null, v75, v3, vcc_lo
	v_add_f32_e32 v4, v5, v4
	global_store_dword v[2:3], v4, off
.LBB87_47:
	s_or_b32 exec_lo, exec_lo, s1
	v_add_nc_u32_e32 v2, 8, v0
	v_cmp_gt_i32_e64 s1, s12, v2
	v_ashrrev_i32_e32 v3, 31, v2
	s_and_b32 s3, s1, s8
	s_and_saveexec_b32 s2, s3
	s_cbranch_execz .LBB87_52
; %bb.48:
	v_cmp_ne_u32_e32 vcc_lo, 1, v72
	v_lshlrev_b64 v[4:5], 2, v[2:3]
	s_cbranch_vccnz .LBB87_50
; %bb.49:
	v_add_co_u32 v6, vcc_lo, v76, v4
	v_add_co_ci_u32_e64 v7, null, v77, v5, vcc_lo
	global_load_dword v6, v[6:7], off
	s_waitcnt vmcnt(0)
	v_mul_f32_e32 v6, s19, v6
	s_branch .LBB87_51
.LBB87_50:
	v_mov_b32_e32 v6, 0
.LBB87_51:
	v_add_f32_e32 v7, v68, v69
	v_add_co_u32 v4, vcc_lo, v74, v4
	v_add_co_ci_u32_e64 v5, null, v75, v5, vcc_lo
	v_add_f32_e32 v6, v7, v6
	global_store_dword v[4:5], v6, off
.LBB87_52:
	s_or_b32 exec_lo, exec_lo, s2
	v_add_nc_u32_e32 v4, 16, v0
	v_cmp_gt_i32_e64 s2, s12, v4
	v_ashrrev_i32_e32 v5, 31, v4
	s_and_b32 s4, s2, s8
	s_and_saveexec_b32 s3, s4
	s_cbranch_execz .LBB87_57
; %bb.53:
	v_cmp_ne_u32_e32 vcc_lo, 1, v72
	v_lshlrev_b64 v[6:7], 2, v[4:5]
	s_cbranch_vccnz .LBB87_55
; %bb.54:
	v_add_co_u32 v68, vcc_lo, v76, v6
	v_add_co_ci_u32_e64 v69, null, v77, v7, vcc_lo
	global_load_dword v68, v[68:69], off
	s_waitcnt vmcnt(0)
	v_mul_f32_e32 v68, s19, v68
	s_branch .LBB87_56
.LBB87_55:
	v_mov_b32_e32 v68, 0
.LBB87_56:
	v_add_f32_e32 v8, v8, v9
	v_add_co_u32 v6, vcc_lo, v74, v6
	v_add_co_ci_u32_e64 v7, null, v75, v7, vcc_lo
	v_add_f32_e32 v8, v8, v68
	global_store_dword v[6:7], v8, off
.LBB87_57:
	;; [unrolled: 27-line block ×7, first 2 shown]
	s_or_b32 exec_lo, exec_lo, s8
	v_add_nc_u32_e32 v68, 32, v73
	v_mad_i64_i32 v[16:17], null, v68, s14, 0
	v_mad_i64_i32 v[66:67], null, v68, s9, 0
	v_cmp_gt_i32_e64 s8, s13, v68
	v_lshlrev_b64 v[16:17], 2, v[16:17]
	s_and_b32 s15, s0, s8
	v_lshlrev_b64 v[66:67], 2, v[66:67]
	v_add_co_u32 v68, vcc_lo, s16, v16
	v_add_co_ci_u32_e64 v69, null, s17, v17, vcc_lo
	v_add_co_u32 v66, vcc_lo, s10, v66
	v_add_co_ci_u32_e64 v67, null, s11, v67, vcc_lo
	s_and_saveexec_b32 s12, s15
	s_cbranch_execnz .LBB87_90
; %bb.83:
	s_or_b32 exec_lo, exec_lo, s12
	s_and_b32 s15, s1, s8
	s_and_saveexec_b32 s12, s15
	s_cbranch_execnz .LBB87_94
.LBB87_84:
	s_or_b32 exec_lo, exec_lo, s12
	s_and_b32 s15, s2, s8
	s_and_saveexec_b32 s12, s15
	s_cbranch_execnz .LBB87_98
.LBB87_85:
	s_or_b32 exec_lo, exec_lo, s12
	s_and_b32 s15, s3, s8
	s_and_saveexec_b32 s12, s15
	s_cbranch_execnz .LBB87_102
.LBB87_86:
	s_or_b32 exec_lo, exec_lo, s12
	s_and_b32 s15, s4, s8
	s_and_saveexec_b32 s12, s15
	s_cbranch_execnz .LBB87_106
.LBB87_87:
	s_or_b32 exec_lo, exec_lo, s12
	s_and_b32 s15, s5, s8
	s_and_saveexec_b32 s12, s15
	s_cbranch_execnz .LBB87_110
.LBB87_88:
	s_or_b32 exec_lo, exec_lo, s12
	s_and_b32 s15, s6, s8
	s_and_saveexec_b32 s12, s15
	s_cbranch_execnz .LBB87_114
.LBB87_89:
	s_or_b32 exec_lo, exec_lo, s12
	s_and_b32 s12, s7, s8
	s_and_saveexec_b32 s8, s12
	s_cbranch_execnz .LBB87_118
	s_branch .LBB87_122
.LBB87_90:
	v_cmp_ne_u32_e32 vcc_lo, 1, v72
	v_lshlrev_b64 v[16:17], 2, v[0:1]
	s_cbranch_vccnz .LBB87_92
; %bb.91:
	v_add_co_u32 v70, vcc_lo, v68, v16
	v_add_co_ci_u32_e64 v71, null, v69, v17, vcc_lo
	global_load_dword v70, v[70:71], off
	s_waitcnt vmcnt(0)
	v_mul_f32_e32 v70, s19, v70
	s_branch .LBB87_93
.LBB87_92:
	v_mov_b32_e32 v70, 0
.LBB87_93:
	v_add_f32_e32 v64, v64, v65
	v_add_co_u32 v16, vcc_lo, v66, v16
	v_add_co_ci_u32_e64 v17, null, v67, v17, vcc_lo
	v_add_f32_e32 v64, v64, v70
	global_store_dword v[16:17], v64, off
	s_or_b32 exec_lo, exec_lo, s12
	s_and_b32 s15, s1, s8
	s_and_saveexec_b32 s12, s15
	s_cbranch_execz .LBB87_84
.LBB87_94:
	v_cmp_ne_u32_e32 vcc_lo, 1, v72
	v_lshlrev_b64 v[16:17], 2, v[2:3]
	s_cbranch_vccnz .LBB87_96
; %bb.95:
	v_add_co_u32 v64, vcc_lo, v68, v16
	v_add_co_ci_u32_e64 v65, null, v69, v17, vcc_lo
	global_load_dword v64, v[64:65], off
	s_waitcnt vmcnt(0)
	v_mul_f32_e32 v64, s19, v64
	s_branch .LBB87_97
.LBB87_96:
	v_mov_b32_e32 v64, 0
.LBB87_97:
	v_add_f32_e32 v62, v62, v63
	v_add_co_u32 v16, vcc_lo, v66, v16
	v_add_co_ci_u32_e64 v17, null, v67, v17, vcc_lo
	v_add_f32_e32 v62, v62, v64
	global_store_dword v[16:17], v62, off
	s_or_b32 exec_lo, exec_lo, s12
	s_and_b32 s15, s2, s8
	s_and_saveexec_b32 s12, s15
	s_cbranch_execz .LBB87_85
.LBB87_98:
	v_cmp_ne_u32_e32 vcc_lo, 1, v72
	v_lshlrev_b64 v[16:17], 2, v[4:5]
	s_cbranch_vccnz .LBB87_100
; %bb.99:
	v_add_co_u32 v62, vcc_lo, v68, v16
	v_add_co_ci_u32_e64 v63, null, v69, v17, vcc_lo
	global_load_dword v62, v[62:63], off
	s_waitcnt vmcnt(0)
	v_mul_f32_e32 v62, s19, v62
	s_branch .LBB87_101
.LBB87_100:
	v_mov_b32_e32 v62, 0
.LBB87_101:
	v_add_f32_e32 v60, v60, v61
	v_add_co_u32 v16, vcc_lo, v66, v16
	v_add_co_ci_u32_e64 v17, null, v67, v17, vcc_lo
	v_add_f32_e32 v60, v60, v62
	global_store_dword v[16:17], v60, off
	s_or_b32 exec_lo, exec_lo, s12
	s_and_b32 s15, s3, s8
	s_and_saveexec_b32 s12, s15
	s_cbranch_execz .LBB87_86
.LBB87_102:
	v_cmp_ne_u32_e32 vcc_lo, 1, v72
	v_lshlrev_b64 v[16:17], 2, v[6:7]
	s_cbranch_vccnz .LBB87_104
; %bb.103:
	v_add_co_u32 v60, vcc_lo, v68, v16
	v_add_co_ci_u32_e64 v61, null, v69, v17, vcc_lo
	global_load_dword v60, v[60:61], off
	s_waitcnt vmcnt(0)
	v_mul_f32_e32 v60, s19, v60
	s_branch .LBB87_105
.LBB87_104:
	v_mov_b32_e32 v60, 0
.LBB87_105:
	v_add_f32_e32 v58, v58, v59
	v_add_co_u32 v16, vcc_lo, v66, v16
	v_add_co_ci_u32_e64 v17, null, v67, v17, vcc_lo
	v_add_f32_e32 v58, v58, v60
	global_store_dword v[16:17], v58, off
	s_or_b32 exec_lo, exec_lo, s12
	s_and_b32 s15, s4, s8
	s_and_saveexec_b32 s12, s15
	s_cbranch_execz .LBB87_87
.LBB87_106:
	v_cmp_ne_u32_e32 vcc_lo, 1, v72
	v_lshlrev_b64 v[16:17], 2, v[8:9]
	s_cbranch_vccnz .LBB87_108
; %bb.107:
	v_add_co_u32 v58, vcc_lo, v68, v16
	v_add_co_ci_u32_e64 v59, null, v69, v17, vcc_lo
	global_load_dword v58, v[58:59], off
	s_waitcnt vmcnt(0)
	v_mul_f32_e32 v58, s19, v58
	s_branch .LBB87_109
.LBB87_108:
	v_mov_b32_e32 v58, 0
.LBB87_109:
	v_add_f32_e32 v56, v56, v57
	v_add_co_u32 v16, vcc_lo, v66, v16
	v_add_co_ci_u32_e64 v17, null, v67, v17, vcc_lo
	v_add_f32_e32 v56, v56, v58
	global_store_dword v[16:17], v56, off
	s_or_b32 exec_lo, exec_lo, s12
	s_and_b32 s15, s5, s8
	s_and_saveexec_b32 s12, s15
	s_cbranch_execz .LBB87_88
.LBB87_110:
	v_cmp_ne_u32_e32 vcc_lo, 1, v72
	v_lshlrev_b64 v[16:17], 2, v[10:11]
	s_cbranch_vccnz .LBB87_112
; %bb.111:
	v_add_co_u32 v56, vcc_lo, v68, v16
	v_add_co_ci_u32_e64 v57, null, v69, v17, vcc_lo
	global_load_dword v56, v[56:57], off
	s_waitcnt vmcnt(0)
	v_mul_f32_e32 v56, s19, v56
	s_branch .LBB87_113
.LBB87_112:
	v_mov_b32_e32 v56, 0
.LBB87_113:
	v_add_f32_e32 v54, v54, v55
	v_add_co_u32 v16, vcc_lo, v66, v16
	v_add_co_ci_u32_e64 v17, null, v67, v17, vcc_lo
	v_add_f32_e32 v54, v54, v56
	global_store_dword v[16:17], v54, off
	s_or_b32 exec_lo, exec_lo, s12
	s_and_b32 s15, s6, s8
	s_and_saveexec_b32 s12, s15
	s_cbranch_execz .LBB87_89
.LBB87_114:
	v_cmp_ne_u32_e32 vcc_lo, 1, v72
	v_lshlrev_b64 v[16:17], 2, v[12:13]
	s_cbranch_vccnz .LBB87_116
; %bb.115:
	v_add_co_u32 v54, vcc_lo, v68, v16
	v_add_co_ci_u32_e64 v55, null, v69, v17, vcc_lo
	global_load_dword v54, v[54:55], off
	s_waitcnt vmcnt(0)
	v_mul_f32_e32 v54, s19, v54
	s_branch .LBB87_117
.LBB87_116:
	v_mov_b32_e32 v54, 0
.LBB87_117:
	v_add_f32_e32 v52, v52, v53
	v_add_co_u32 v16, vcc_lo, v66, v16
	v_add_co_ci_u32_e64 v17, null, v67, v17, vcc_lo
	v_add_f32_e32 v52, v52, v54
	global_store_dword v[16:17], v52, off
	s_or_b32 exec_lo, exec_lo, s12
	s_and_b32 s12, s7, s8
	s_and_saveexec_b32 s8, s12
	s_cbranch_execz .LBB87_122
.LBB87_118:
	v_cmp_ne_u32_e32 vcc_lo, 1, v72
	v_lshlrev_b64 v[16:17], 2, v[14:15]
	s_cbranch_vccnz .LBB87_120
; %bb.119:
	v_add_co_u32 v52, vcc_lo, v68, v16
	v_add_co_ci_u32_e64 v53, null, v69, v17, vcc_lo
	global_load_dword v52, v[52:53], off
	s_waitcnt vmcnt(0)
	v_mul_f32_e32 v52, s19, v52
	s_branch .LBB87_121
.LBB87_120:
	v_mov_b32_e32 v52, 0
.LBB87_121:
	v_add_f32_e32 v50, v50, v51
	v_add_co_u32 v16, vcc_lo, v66, v16
	v_add_co_ci_u32_e64 v17, null, v67, v17, vcc_lo
	v_add_f32_e32 v50, v50, v52
	global_store_dword v[16:17], v50, off
.LBB87_122:
	s_or_b32 exec_lo, exec_lo, s8
	v_add_nc_u32_e32 v52, 64, v73
	v_mad_i64_i32 v[16:17], null, v52, s14, 0
	v_mad_i64_i32 v[50:51], null, v52, s9, 0
	v_cmp_gt_i32_e64 s8, s13, v52
	v_lshlrev_b64 v[16:17], 2, v[16:17]
	s_and_b32 s15, s0, s8
	v_lshlrev_b64 v[50:51], 2, v[50:51]
	v_add_co_u32 v52, vcc_lo, s16, v16
	v_add_co_ci_u32_e64 v53, null, s17, v17, vcc_lo
	v_add_co_u32 v50, vcc_lo, s10, v50
	v_add_co_ci_u32_e64 v51, null, s11, v51, vcc_lo
	s_and_saveexec_b32 s12, s15
	s_cbranch_execnz .LBB87_130
; %bb.123:
	s_or_b32 exec_lo, exec_lo, s12
	s_and_b32 s15, s1, s8
	s_and_saveexec_b32 s12, s15
	s_cbranch_execnz .LBB87_134
.LBB87_124:
	s_or_b32 exec_lo, exec_lo, s12
	s_and_b32 s15, s2, s8
	s_and_saveexec_b32 s12, s15
	s_cbranch_execnz .LBB87_138
.LBB87_125:
	s_or_b32 exec_lo, exec_lo, s12
	s_and_b32 s15, s3, s8
	s_and_saveexec_b32 s12, s15
	s_cbranch_execnz .LBB87_142
.LBB87_126:
	s_or_b32 exec_lo, exec_lo, s12
	s_and_b32 s15, s4, s8
	s_and_saveexec_b32 s12, s15
	s_cbranch_execnz .LBB87_146
.LBB87_127:
	s_or_b32 exec_lo, exec_lo, s12
	s_and_b32 s15, s5, s8
	s_and_saveexec_b32 s12, s15
	s_cbranch_execnz .LBB87_150
.LBB87_128:
	s_or_b32 exec_lo, exec_lo, s12
	s_and_b32 s15, s6, s8
	s_and_saveexec_b32 s12, s15
	s_cbranch_execnz .LBB87_154
.LBB87_129:
	s_or_b32 exec_lo, exec_lo, s12
	s_and_b32 s12, s7, s8
	s_and_saveexec_b32 s8, s12
	s_cbranch_execnz .LBB87_158
	s_branch .LBB87_162
.LBB87_130:
	v_cmp_ne_u32_e32 vcc_lo, 1, v72
	v_lshlrev_b64 v[16:17], 2, v[0:1]
	s_cbranch_vccnz .LBB87_132
; %bb.131:
	v_add_co_u32 v54, vcc_lo, v52, v16
	v_add_co_ci_u32_e64 v55, null, v53, v17, vcc_lo
	global_load_dword v54, v[54:55], off
	s_waitcnt vmcnt(0)
	v_mul_f32_e32 v54, s19, v54
	s_branch .LBB87_133
.LBB87_132:
	v_mov_b32_e32 v54, 0
.LBB87_133:
	v_add_f32_e32 v48, v48, v49
	v_add_co_u32 v16, vcc_lo, v50, v16
	v_add_co_ci_u32_e64 v17, null, v51, v17, vcc_lo
	v_add_f32_e32 v48, v48, v54
	global_store_dword v[16:17], v48, off
	s_or_b32 exec_lo, exec_lo, s12
	s_and_b32 s15, s1, s8
	s_and_saveexec_b32 s12, s15
	s_cbranch_execz .LBB87_124
.LBB87_134:
	v_cmp_ne_u32_e32 vcc_lo, 1, v72
	v_lshlrev_b64 v[16:17], 2, v[2:3]
	s_cbranch_vccnz .LBB87_136
; %bb.135:
	v_add_co_u32 v48, vcc_lo, v52, v16
	v_add_co_ci_u32_e64 v49, null, v53, v17, vcc_lo
	global_load_dword v48, v[48:49], off
	s_waitcnt vmcnt(0)
	v_mul_f32_e32 v48, s19, v48
	s_branch .LBB87_137
.LBB87_136:
	v_mov_b32_e32 v48, 0
.LBB87_137:
	v_add_f32_e32 v46, v46, v47
	v_add_co_u32 v16, vcc_lo, v50, v16
	v_add_co_ci_u32_e64 v17, null, v51, v17, vcc_lo
	v_add_f32_e32 v46, v46, v48
	global_store_dword v[16:17], v46, off
	s_or_b32 exec_lo, exec_lo, s12
	s_and_b32 s15, s2, s8
	s_and_saveexec_b32 s12, s15
	s_cbranch_execz .LBB87_125
.LBB87_138:
	v_cmp_ne_u32_e32 vcc_lo, 1, v72
	v_lshlrev_b64 v[16:17], 2, v[4:5]
	s_cbranch_vccnz .LBB87_140
; %bb.139:
	v_add_co_u32 v46, vcc_lo, v52, v16
	v_add_co_ci_u32_e64 v47, null, v53, v17, vcc_lo
	global_load_dword v46, v[46:47], off
	s_waitcnt vmcnt(0)
	v_mul_f32_e32 v46, s19, v46
	s_branch .LBB87_141
.LBB87_140:
	v_mov_b32_e32 v46, 0
.LBB87_141:
	v_add_f32_e32 v44, v44, v45
	v_add_co_u32 v16, vcc_lo, v50, v16
	v_add_co_ci_u32_e64 v17, null, v51, v17, vcc_lo
	v_add_f32_e32 v44, v44, v46
	global_store_dword v[16:17], v44, off
	s_or_b32 exec_lo, exec_lo, s12
	s_and_b32 s15, s3, s8
	s_and_saveexec_b32 s12, s15
	s_cbranch_execz .LBB87_126
.LBB87_142:
	v_cmp_ne_u32_e32 vcc_lo, 1, v72
	v_lshlrev_b64 v[16:17], 2, v[6:7]
	s_cbranch_vccnz .LBB87_144
; %bb.143:
	v_add_co_u32 v44, vcc_lo, v52, v16
	v_add_co_ci_u32_e64 v45, null, v53, v17, vcc_lo
	global_load_dword v44, v[44:45], off
	s_waitcnt vmcnt(0)
	v_mul_f32_e32 v44, s19, v44
	s_branch .LBB87_145
.LBB87_144:
	v_mov_b32_e32 v44, 0
.LBB87_145:
	v_add_f32_e32 v42, v42, v43
	v_add_co_u32 v16, vcc_lo, v50, v16
	v_add_co_ci_u32_e64 v17, null, v51, v17, vcc_lo
	v_add_f32_e32 v42, v42, v44
	global_store_dword v[16:17], v42, off
	s_or_b32 exec_lo, exec_lo, s12
	s_and_b32 s15, s4, s8
	s_and_saveexec_b32 s12, s15
	s_cbranch_execz .LBB87_127
.LBB87_146:
	v_cmp_ne_u32_e32 vcc_lo, 1, v72
	v_lshlrev_b64 v[16:17], 2, v[8:9]
	s_cbranch_vccnz .LBB87_148
; %bb.147:
	v_add_co_u32 v42, vcc_lo, v52, v16
	v_add_co_ci_u32_e64 v43, null, v53, v17, vcc_lo
	global_load_dword v42, v[42:43], off
	s_waitcnt vmcnt(0)
	v_mul_f32_e32 v42, s19, v42
	s_branch .LBB87_149
.LBB87_148:
	v_mov_b32_e32 v42, 0
.LBB87_149:
	v_add_f32_e32 v40, v40, v41
	v_add_co_u32 v16, vcc_lo, v50, v16
	v_add_co_ci_u32_e64 v17, null, v51, v17, vcc_lo
	v_add_f32_e32 v40, v40, v42
	global_store_dword v[16:17], v40, off
	s_or_b32 exec_lo, exec_lo, s12
	s_and_b32 s15, s5, s8
	s_and_saveexec_b32 s12, s15
	s_cbranch_execz .LBB87_128
.LBB87_150:
	v_cmp_ne_u32_e32 vcc_lo, 1, v72
	v_lshlrev_b64 v[16:17], 2, v[10:11]
	s_cbranch_vccnz .LBB87_152
; %bb.151:
	v_add_co_u32 v40, vcc_lo, v52, v16
	v_add_co_ci_u32_e64 v41, null, v53, v17, vcc_lo
	global_load_dword v40, v[40:41], off
	s_waitcnt vmcnt(0)
	v_mul_f32_e32 v40, s19, v40
	s_branch .LBB87_153
.LBB87_152:
	v_mov_b32_e32 v40, 0
.LBB87_153:
	v_add_f32_e32 v38, v38, v39
	v_add_co_u32 v16, vcc_lo, v50, v16
	v_add_co_ci_u32_e64 v17, null, v51, v17, vcc_lo
	v_add_f32_e32 v38, v38, v40
	global_store_dword v[16:17], v38, off
	s_or_b32 exec_lo, exec_lo, s12
	s_and_b32 s15, s6, s8
	s_and_saveexec_b32 s12, s15
	s_cbranch_execz .LBB87_129
.LBB87_154:
	v_cmp_ne_u32_e32 vcc_lo, 1, v72
	v_lshlrev_b64 v[16:17], 2, v[12:13]
	s_cbranch_vccnz .LBB87_156
; %bb.155:
	v_add_co_u32 v38, vcc_lo, v52, v16
	v_add_co_ci_u32_e64 v39, null, v53, v17, vcc_lo
	global_load_dword v38, v[38:39], off
	s_waitcnt vmcnt(0)
	v_mul_f32_e32 v38, s19, v38
	s_branch .LBB87_157
.LBB87_156:
	v_mov_b32_e32 v38, 0
.LBB87_157:
	v_add_f32_e32 v36, v36, v37
	v_add_co_u32 v16, vcc_lo, v50, v16
	v_add_co_ci_u32_e64 v17, null, v51, v17, vcc_lo
	v_add_f32_e32 v36, v36, v38
	global_store_dword v[16:17], v36, off
	s_or_b32 exec_lo, exec_lo, s12
	s_and_b32 s12, s7, s8
	s_and_saveexec_b32 s8, s12
	s_cbranch_execz .LBB87_162
.LBB87_158:
	v_cmp_ne_u32_e32 vcc_lo, 1, v72
	v_lshlrev_b64 v[16:17], 2, v[14:15]
	s_cbranch_vccnz .LBB87_160
; %bb.159:
	v_add_co_u32 v36, vcc_lo, v52, v16
	v_add_co_ci_u32_e64 v37, null, v53, v17, vcc_lo
	global_load_dword v36, v[36:37], off
	s_waitcnt vmcnt(0)
	v_mul_f32_e32 v36, s19, v36
	s_branch .LBB87_161
.LBB87_160:
	v_mov_b32_e32 v36, 0
.LBB87_161:
	v_add_f32_e32 v34, v34, v35
	v_add_co_u32 v16, vcc_lo, v50, v16
	v_add_co_ci_u32_e64 v17, null, v51, v17, vcc_lo
	v_add_f32_e32 v34, v34, v36
	global_store_dword v[16:17], v34, off
.LBB87_162:
	s_or_b32 exec_lo, exec_lo, s8
	v_add_nc_u32_e32 v36, 0x60, v73
	v_mad_i64_i32 v[16:17], null, v36, s14, 0
	v_mad_i64_i32 v[34:35], null, v36, s9, 0
	v_cmp_gt_i32_e64 s8, s13, v36
	v_lshlrev_b64 v[16:17], 2, v[16:17]
	s_and_b32 s9, s0, s8
	v_lshlrev_b64 v[36:37], 2, v[34:35]
	v_add_co_u32 v34, vcc_lo, s16, v16
	v_add_co_ci_u32_e64 v35, null, s17, v17, vcc_lo
	v_add_co_u32 v16, vcc_lo, s10, v36
	v_add_co_ci_u32_e64 v17, null, s11, v37, vcc_lo
	s_and_saveexec_b32 s0, s9
	s_cbranch_execnz .LBB87_171
; %bb.163:
	s_or_b32 exec_lo, exec_lo, s0
	s_and_b32 s1, s1, s8
	s_and_saveexec_b32 s0, s1
	s_cbranch_execnz .LBB87_175
.LBB87_164:
	s_or_b32 exec_lo, exec_lo, s0
	s_and_b32 s1, s2, s8
	s_and_saveexec_b32 s0, s1
	s_cbranch_execnz .LBB87_179
.LBB87_165:
	s_or_b32 exec_lo, exec_lo, s0
	s_and_b32 s1, s3, s8
	s_and_saveexec_b32 s0, s1
	s_cbranch_execnz .LBB87_183
.LBB87_166:
	s_or_b32 exec_lo, exec_lo, s0
	s_and_b32 s1, s4, s8
	s_and_saveexec_b32 s0, s1
	s_cbranch_execnz .LBB87_187
.LBB87_167:
	s_or_b32 exec_lo, exec_lo, s0
	s_and_b32 s1, s5, s8
	s_and_saveexec_b32 s0, s1
	s_cbranch_execnz .LBB87_191
.LBB87_168:
	s_or_b32 exec_lo, exec_lo, s0
	s_and_b32 s1, s6, s8
	s_and_saveexec_b32 s0, s1
	s_cbranch_execnz .LBB87_195
.LBB87_169:
	s_or_b32 exec_lo, exec_lo, s0
	s_and_b32 s0, s7, s8
	s_and_saveexec_b32 s1, s0
	s_cbranch_execnz .LBB87_199
.LBB87_170:
	s_endpgm
.LBB87_171:
	v_cmp_ne_u32_e32 vcc_lo, 1, v72
	v_lshlrev_b64 v[0:1], 2, v[0:1]
	s_cbranch_vccnz .LBB87_173
; %bb.172:
	v_add_co_u32 v36, vcc_lo, v34, v0
	v_add_co_ci_u32_e64 v37, null, v35, v1, vcc_lo
	global_load_dword v36, v[36:37], off
	s_waitcnt vmcnt(0)
	v_mul_f32_e32 v36, s19, v36
	s_branch .LBB87_174
.LBB87_173:
	v_mov_b32_e32 v36, 0
.LBB87_174:
	v_add_f32_e32 v32, v32, v33
	v_add_co_u32 v0, vcc_lo, v16, v0
	v_add_co_ci_u32_e64 v1, null, v17, v1, vcc_lo
	v_add_f32_e32 v32, v32, v36
	global_store_dword v[0:1], v32, off
	s_or_b32 exec_lo, exec_lo, s0
	s_and_b32 s1, s1, s8
	s_and_saveexec_b32 s0, s1
	s_cbranch_execz .LBB87_164
.LBB87_175:
	v_cmp_ne_u32_e32 vcc_lo, 1, v72
	v_lshlrev_b64 v[0:1], 2, v[2:3]
	s_cbranch_vccnz .LBB87_177
; %bb.176:
	v_add_co_u32 v2, vcc_lo, v34, v0
	v_add_co_ci_u32_e64 v3, null, v35, v1, vcc_lo
	global_load_dword v2, v[2:3], off
	s_waitcnt vmcnt(0)
	v_mul_f32_e32 v2, s19, v2
	s_branch .LBB87_178
.LBB87_177:
	v_mov_b32_e32 v2, 0
.LBB87_178:
	v_add_f32_e32 v3, v30, v31
	v_add_co_u32 v0, vcc_lo, v16, v0
	v_add_co_ci_u32_e64 v1, null, v17, v1, vcc_lo
	v_add_f32_e32 v2, v3, v2
	global_store_dword v[0:1], v2, off
	s_or_b32 exec_lo, exec_lo, s0
	s_and_b32 s1, s2, s8
	s_and_saveexec_b32 s0, s1
	s_cbranch_execz .LBB87_165
.LBB87_179:
	v_cmp_ne_u32_e32 vcc_lo, 1, v72
	v_lshlrev_b64 v[0:1], 2, v[4:5]
	s_cbranch_vccnz .LBB87_181
; %bb.180:
	v_add_co_u32 v2, vcc_lo, v34, v0
	v_add_co_ci_u32_e64 v3, null, v35, v1, vcc_lo
	global_load_dword v2, v[2:3], off
	s_waitcnt vmcnt(0)
	v_mul_f32_e32 v2, s19, v2
	s_branch .LBB87_182
.LBB87_181:
	v_mov_b32_e32 v2, 0
.LBB87_182:
	v_add_f32_e32 v3, v28, v29
	v_add_co_u32 v0, vcc_lo, v16, v0
	v_add_co_ci_u32_e64 v1, null, v17, v1, vcc_lo
	v_add_f32_e32 v2, v3, v2
	global_store_dword v[0:1], v2, off
	s_or_b32 exec_lo, exec_lo, s0
	s_and_b32 s1, s3, s8
	s_and_saveexec_b32 s0, s1
	s_cbranch_execz .LBB87_166
.LBB87_183:
	v_cmp_ne_u32_e32 vcc_lo, 1, v72
	v_lshlrev_b64 v[0:1], 2, v[6:7]
	s_cbranch_vccnz .LBB87_185
; %bb.184:
	v_add_co_u32 v2, vcc_lo, v34, v0
	v_add_co_ci_u32_e64 v3, null, v35, v1, vcc_lo
	global_load_dword v2, v[2:3], off
	s_waitcnt vmcnt(0)
	v_mul_f32_e32 v2, s19, v2
	s_branch .LBB87_186
.LBB87_185:
	v_mov_b32_e32 v2, 0
.LBB87_186:
	v_add_f32_e32 v3, v26, v27
	v_add_co_u32 v0, vcc_lo, v16, v0
	v_add_co_ci_u32_e64 v1, null, v17, v1, vcc_lo
	v_add_f32_e32 v2, v3, v2
	global_store_dword v[0:1], v2, off
	s_or_b32 exec_lo, exec_lo, s0
	s_and_b32 s1, s4, s8
	s_and_saveexec_b32 s0, s1
	s_cbranch_execz .LBB87_167
.LBB87_187:
	v_cmp_ne_u32_e32 vcc_lo, 1, v72
	v_lshlrev_b64 v[0:1], 2, v[8:9]
	s_cbranch_vccnz .LBB87_189
; %bb.188:
	v_add_co_u32 v2, vcc_lo, v34, v0
	v_add_co_ci_u32_e64 v3, null, v35, v1, vcc_lo
	global_load_dword v2, v[2:3], off
	s_waitcnt vmcnt(0)
	v_mul_f32_e32 v2, s19, v2
	s_branch .LBB87_190
.LBB87_189:
	v_mov_b32_e32 v2, 0
.LBB87_190:
	v_add_f32_e32 v3, v24, v25
	v_add_co_u32 v0, vcc_lo, v16, v0
	v_add_co_ci_u32_e64 v1, null, v17, v1, vcc_lo
	v_add_f32_e32 v2, v3, v2
	global_store_dword v[0:1], v2, off
	s_or_b32 exec_lo, exec_lo, s0
	s_and_b32 s1, s5, s8
	s_and_saveexec_b32 s0, s1
	s_cbranch_execz .LBB87_168
.LBB87_191:
	v_cmp_ne_u32_e32 vcc_lo, 1, v72
	v_lshlrev_b64 v[0:1], 2, v[10:11]
	s_cbranch_vccnz .LBB87_193
; %bb.192:
	v_add_co_u32 v2, vcc_lo, v34, v0
	v_add_co_ci_u32_e64 v3, null, v35, v1, vcc_lo
	global_load_dword v2, v[2:3], off
	s_waitcnt vmcnt(0)
	v_mul_f32_e32 v2, s19, v2
	s_branch .LBB87_194
.LBB87_193:
	v_mov_b32_e32 v2, 0
.LBB87_194:
	v_add_f32_e32 v3, v22, v23
	v_add_co_u32 v0, vcc_lo, v16, v0
	v_add_co_ci_u32_e64 v1, null, v17, v1, vcc_lo
	v_add_f32_e32 v2, v3, v2
	global_store_dword v[0:1], v2, off
	s_or_b32 exec_lo, exec_lo, s0
	s_and_b32 s1, s6, s8
	s_and_saveexec_b32 s0, s1
	s_cbranch_execz .LBB87_169
.LBB87_195:
	v_cmp_ne_u32_e32 vcc_lo, 1, v72
	v_lshlrev_b64 v[0:1], 2, v[12:13]
	s_cbranch_vccnz .LBB87_197
; %bb.196:
	v_add_co_u32 v2, vcc_lo, v34, v0
	v_add_co_ci_u32_e64 v3, null, v35, v1, vcc_lo
	global_load_dword v2, v[2:3], off
	s_waitcnt vmcnt(0)
	v_mul_f32_e32 v2, s19, v2
	s_branch .LBB87_198
.LBB87_197:
	v_mov_b32_e32 v2, 0
.LBB87_198:
	v_add_f32_e32 v3, v20, v21
	v_add_co_u32 v0, vcc_lo, v16, v0
	v_add_co_ci_u32_e64 v1, null, v17, v1, vcc_lo
	v_add_f32_e32 v2, v3, v2
	global_store_dword v[0:1], v2, off
	s_or_b32 exec_lo, exec_lo, s0
	s_and_b32 s0, s7, s8
	s_and_saveexec_b32 s1, s0
	s_cbranch_execz .LBB87_170
.LBB87_199:
	v_cmp_ne_u32_e32 vcc_lo, 1, v72
	v_lshlrev_b64 v[0:1], 2, v[14:15]
	s_cbranch_vccnz .LBB87_201
; %bb.200:
	v_add_co_u32 v2, vcc_lo, v34, v0
	v_add_co_ci_u32_e64 v3, null, v35, v1, vcc_lo
	global_load_dword v2, v[2:3], off
	s_waitcnt vmcnt(0)
	v_mul_f32_e32 v2, s19, v2
	s_branch .LBB87_202
.LBB87_201:
	v_mov_b32_e32 v2, 0
.LBB87_202:
	v_add_f32_e32 v3, v18, v19
	v_add_co_u32 v0, vcc_lo, v16, v0
	v_add_co_ci_u32_e64 v1, null, v17, v1, vcc_lo
	v_add_f32_e32 v2, v3, v2
	global_store_dword v[0:1], v2, off
	s_endpgm
	.section	.rodata,"a",@progbits
	.p2align	6, 0x0
	.amdhsa_kernel _ZN12_GLOBAL__N_120geam_min_plus_kernelIf15HIP_vector_typeIfLj2EES2_Li8ELi32ELi64ELi128ELi4ELi4ELi64ELi4ELi64ELc84ELc78ELb0ELb1ELb0EPKfS3_fEEviiiT16_PT17_ilS7_ilS5_S7_ilPT18_ili26rocblas_geam_ex_operation_
		.amdhsa_group_segment_fixed_size 6144
		.amdhsa_private_segment_fixed_size 0
		.amdhsa_kernarg_size 136
		.amdhsa_user_sgpr_count 6
		.amdhsa_user_sgpr_private_segment_buffer 1
		.amdhsa_user_sgpr_dispatch_ptr 0
		.amdhsa_user_sgpr_queue_ptr 0
		.amdhsa_user_sgpr_kernarg_segment_ptr 1
		.amdhsa_user_sgpr_dispatch_id 0
		.amdhsa_user_sgpr_flat_scratch_init 0
		.amdhsa_user_sgpr_private_segment_size 0
		.amdhsa_wavefront_size32 1
		.amdhsa_uses_dynamic_stack 0
		.amdhsa_system_sgpr_private_segment_wavefront_offset 0
		.amdhsa_system_sgpr_workgroup_id_x 1
		.amdhsa_system_sgpr_workgroup_id_y 0
		.amdhsa_system_sgpr_workgroup_id_z 1
		.amdhsa_system_sgpr_workgroup_info 0
		.amdhsa_system_vgpr_workitem_id 1
		.amdhsa_next_free_vgpr 112
		.amdhsa_next_free_sgpr 28
		.amdhsa_reserve_vcc 1
		.amdhsa_reserve_flat_scratch 0
		.amdhsa_float_round_mode_32 0
		.amdhsa_float_round_mode_16_64 0
		.amdhsa_float_denorm_mode_32 3
		.amdhsa_float_denorm_mode_16_64 3
		.amdhsa_dx10_clamp 1
		.amdhsa_ieee_mode 1
		.amdhsa_fp16_overflow 0
		.amdhsa_workgroup_processor_mode 1
		.amdhsa_memory_ordered 1
		.amdhsa_forward_progress 1
		.amdhsa_shared_vgpr_count 0
		.amdhsa_exception_fp_ieee_invalid_op 0
		.amdhsa_exception_fp_denorm_src 0
		.amdhsa_exception_fp_ieee_div_zero 0
		.amdhsa_exception_fp_ieee_overflow 0
		.amdhsa_exception_fp_ieee_underflow 0
		.amdhsa_exception_fp_ieee_inexact 0
		.amdhsa_exception_int_div_zero 0
	.end_amdhsa_kernel
	.section	.text._ZN12_GLOBAL__N_120geam_min_plus_kernelIf15HIP_vector_typeIfLj2EES2_Li8ELi32ELi64ELi128ELi4ELi4ELi64ELi4ELi64ELc84ELc78ELb0ELb1ELb0EPKfS3_fEEviiiT16_PT17_ilS7_ilS5_S7_ilPT18_ili26rocblas_geam_ex_operation_,"axG",@progbits,_ZN12_GLOBAL__N_120geam_min_plus_kernelIf15HIP_vector_typeIfLj2EES2_Li8ELi32ELi64ELi128ELi4ELi4ELi64ELi4ELi64ELc84ELc78ELb0ELb1ELb0EPKfS3_fEEviiiT16_PT17_ilS7_ilS5_S7_ilPT18_ili26rocblas_geam_ex_operation_,comdat
.Lfunc_end87:
	.size	_ZN12_GLOBAL__N_120geam_min_plus_kernelIf15HIP_vector_typeIfLj2EES2_Li8ELi32ELi64ELi128ELi4ELi4ELi64ELi4ELi64ELc84ELc78ELb0ELb1ELb0EPKfS3_fEEviiiT16_PT17_ilS7_ilS5_S7_ilPT18_ili26rocblas_geam_ex_operation_, .Lfunc_end87-_ZN12_GLOBAL__N_120geam_min_plus_kernelIf15HIP_vector_typeIfLj2EES2_Li8ELi32ELi64ELi128ELi4ELi4ELi64ELi4ELi64ELc84ELc78ELb0ELb1ELb0EPKfS3_fEEviiiT16_PT17_ilS7_ilS5_S7_ilPT18_ili26rocblas_geam_ex_operation_
                                        ; -- End function
	.set _ZN12_GLOBAL__N_120geam_min_plus_kernelIf15HIP_vector_typeIfLj2EES2_Li8ELi32ELi64ELi128ELi4ELi4ELi64ELi4ELi64ELc84ELc78ELb0ELb1ELb0EPKfS3_fEEviiiT16_PT17_ilS7_ilS5_S7_ilPT18_ili26rocblas_geam_ex_operation_.num_vgpr, 112
	.set _ZN12_GLOBAL__N_120geam_min_plus_kernelIf15HIP_vector_typeIfLj2EES2_Li8ELi32ELi64ELi128ELi4ELi4ELi64ELi4ELi64ELc84ELc78ELb0ELb1ELb0EPKfS3_fEEviiiT16_PT17_ilS7_ilS5_S7_ilPT18_ili26rocblas_geam_ex_operation_.num_agpr, 0
	.set _ZN12_GLOBAL__N_120geam_min_plus_kernelIf15HIP_vector_typeIfLj2EES2_Li8ELi32ELi64ELi128ELi4ELi4ELi64ELi4ELi64ELc84ELc78ELb0ELb1ELb0EPKfS3_fEEviiiT16_PT17_ilS7_ilS5_S7_ilPT18_ili26rocblas_geam_ex_operation_.numbered_sgpr, 28
	.set _ZN12_GLOBAL__N_120geam_min_plus_kernelIf15HIP_vector_typeIfLj2EES2_Li8ELi32ELi64ELi128ELi4ELi4ELi64ELi4ELi64ELc84ELc78ELb0ELb1ELb0EPKfS3_fEEviiiT16_PT17_ilS7_ilS5_S7_ilPT18_ili26rocblas_geam_ex_operation_.num_named_barrier, 0
	.set _ZN12_GLOBAL__N_120geam_min_plus_kernelIf15HIP_vector_typeIfLj2EES2_Li8ELi32ELi64ELi128ELi4ELi4ELi64ELi4ELi64ELc84ELc78ELb0ELb1ELb0EPKfS3_fEEviiiT16_PT17_ilS7_ilS5_S7_ilPT18_ili26rocblas_geam_ex_operation_.private_seg_size, 0
	.set _ZN12_GLOBAL__N_120geam_min_plus_kernelIf15HIP_vector_typeIfLj2EES2_Li8ELi32ELi64ELi128ELi4ELi4ELi64ELi4ELi64ELc84ELc78ELb0ELb1ELb0EPKfS3_fEEviiiT16_PT17_ilS7_ilS5_S7_ilPT18_ili26rocblas_geam_ex_operation_.uses_vcc, 1
	.set _ZN12_GLOBAL__N_120geam_min_plus_kernelIf15HIP_vector_typeIfLj2EES2_Li8ELi32ELi64ELi128ELi4ELi4ELi64ELi4ELi64ELc84ELc78ELb0ELb1ELb0EPKfS3_fEEviiiT16_PT17_ilS7_ilS5_S7_ilPT18_ili26rocblas_geam_ex_operation_.uses_flat_scratch, 0
	.set _ZN12_GLOBAL__N_120geam_min_plus_kernelIf15HIP_vector_typeIfLj2EES2_Li8ELi32ELi64ELi128ELi4ELi4ELi64ELi4ELi64ELc84ELc78ELb0ELb1ELb0EPKfS3_fEEviiiT16_PT17_ilS7_ilS5_S7_ilPT18_ili26rocblas_geam_ex_operation_.has_dyn_sized_stack, 0
	.set _ZN12_GLOBAL__N_120geam_min_plus_kernelIf15HIP_vector_typeIfLj2EES2_Li8ELi32ELi64ELi128ELi4ELi4ELi64ELi4ELi64ELc84ELc78ELb0ELb1ELb0EPKfS3_fEEviiiT16_PT17_ilS7_ilS5_S7_ilPT18_ili26rocblas_geam_ex_operation_.has_recursion, 0
	.set _ZN12_GLOBAL__N_120geam_min_plus_kernelIf15HIP_vector_typeIfLj2EES2_Li8ELi32ELi64ELi128ELi4ELi4ELi64ELi4ELi64ELc84ELc78ELb0ELb1ELb0EPKfS3_fEEviiiT16_PT17_ilS7_ilS5_S7_ilPT18_ili26rocblas_geam_ex_operation_.has_indirect_call, 0
	.section	.AMDGPU.csdata,"",@progbits
; Kernel info:
; codeLenInByte = 9048
; TotalNumSgprs: 30
; NumVgprs: 112
; ScratchSize: 0
; MemoryBound: 0
; FloatMode: 240
; IeeeMode: 1
; LDSByteSize: 6144 bytes/workgroup (compile time only)
; SGPRBlocks: 0
; VGPRBlocks: 13
; NumSGPRsForWavesPerEU: 30
; NumVGPRsForWavesPerEU: 112
; Occupancy: 9
; WaveLimiterHint : 0
; COMPUTE_PGM_RSRC2:SCRATCH_EN: 0
; COMPUTE_PGM_RSRC2:USER_SGPR: 6
; COMPUTE_PGM_RSRC2:TRAP_HANDLER: 0
; COMPUTE_PGM_RSRC2:TGID_X_EN: 1
; COMPUTE_PGM_RSRC2:TGID_Y_EN: 0
; COMPUTE_PGM_RSRC2:TGID_Z_EN: 1
; COMPUTE_PGM_RSRC2:TIDIG_COMP_CNT: 1
	.section	.text._ZN12_GLOBAL__N_120geam_min_plus_kernelIf15HIP_vector_typeIfLj2EES2_Li8ELi32ELi64ELi128ELi4ELi4ELi64ELi4ELi64ELc84ELc78ELb1ELb1ELb0EfKffEEviiiT16_PT17_ilS6_ilS4_S6_ilPT18_ili26rocblas_geam_ex_operation_,"axG",@progbits,_ZN12_GLOBAL__N_120geam_min_plus_kernelIf15HIP_vector_typeIfLj2EES2_Li8ELi32ELi64ELi128ELi4ELi4ELi64ELi4ELi64ELc84ELc78ELb1ELb1ELb0EfKffEEviiiT16_PT17_ilS6_ilS4_S6_ilPT18_ili26rocblas_geam_ex_operation_,comdat
	.globl	_ZN12_GLOBAL__N_120geam_min_plus_kernelIf15HIP_vector_typeIfLj2EES2_Li8ELi32ELi64ELi128ELi4ELi4ELi64ELi4ELi64ELc84ELc78ELb1ELb1ELb0EfKffEEviiiT16_PT17_ilS6_ilS4_S6_ilPT18_ili26rocblas_geam_ex_operation_ ; -- Begin function _ZN12_GLOBAL__N_120geam_min_plus_kernelIf15HIP_vector_typeIfLj2EES2_Li8ELi32ELi64ELi128ELi4ELi4ELi64ELi4ELi64ELc84ELc78ELb1ELb1ELb0EfKffEEviiiT16_PT17_ilS6_ilS4_S6_ilPT18_ili26rocblas_geam_ex_operation_
	.p2align	8
	.type	_ZN12_GLOBAL__N_120geam_min_plus_kernelIf15HIP_vector_typeIfLj2EES2_Li8ELi32ELi64ELi128ELi4ELi4ELi64ELi4ELi64ELc84ELc78ELb1ELb1ELb0EfKffEEviiiT16_PT17_ilS6_ilS4_S6_ilPT18_ili26rocblas_geam_ex_operation_,@function
_ZN12_GLOBAL__N_120geam_min_plus_kernelIf15HIP_vector_typeIfLj2EES2_Li8ELi32ELi64ELi128ELi4ELi4ELi64ELi4ELi64ELc84ELc78ELb1ELb1ELb0EfKffEEviiiT16_PT17_ilS6_ilS4_S6_ilPT18_ili26rocblas_geam_ex_operation_: ; @_ZN12_GLOBAL__N_120geam_min_plus_kernelIf15HIP_vector_typeIfLj2EES2_Li8ELi32ELi64ELi128ELi4ELi4ELi64ELi4ELi64ELc84ELc78ELb1ELb1ELb0EfKffEEviiiT16_PT17_ilS6_ilS4_S6_ilPT18_ili26rocblas_geam_ex_operation_
; %bb.0:
	s_clause 0x1
	s_load_dwordx4 s[12:15], s[4:5], 0x0
	s_load_dwordx4 s[0:3], s[4:5], 0x20
	s_waitcnt lgkmcnt(0)
	v_cmp_eq_f32_e64 s8, s15, 0
	s_and_b32 vcc_lo, exec_lo, s8
	s_cbranch_vccnz .LBB88_49
; %bb.1:
	s_load_dwordx2 s[10:11], s[4:5], 0x10
	s_mul_i32 s1, s1, s7
	s_mul_hi_u32 s9, s0, s7
	s_mul_i32 s0, s0, s7
	s_add_i32 s1, s9, s1
	s_lshl_b64 s[0:1], s[0:1], 2
	s_waitcnt lgkmcnt(0)
	s_add_u32 s20, s10, s0
	s_addc_u32 s21, s11, s1
	s_andn2_b32 vcc_lo, exec_lo, s8
	s_mov_b32 s0, -1
	s_cbranch_vccnz .LBB88_3
.LBB88_2:
	s_mov_b32 s0, 0
.LBB88_3:
	s_mov_b64 s[16:17], 0
	s_andn2_b32 vcc_lo, exec_lo, s0
	s_mov_b64 s[18:19], 0
	s_cbranch_vccnz .LBB88_5
; %bb.4:
	s_load_dwordx2 s[0:1], s[4:5], 0x38
	s_waitcnt lgkmcnt(0)
	s_mul_i32 s1, s1, s7
	s_mul_hi_u32 s8, s0, s7
	s_mul_i32 s0, s0, s7
	s_add_i32 s1, s8, s1
	s_lshl_b64 s[0:1], s[0:1], 2
	s_add_u32 s18, s2, s0
	s_addc_u32 s19, s3, s1
.LBB88_5:
	s_clause 0x1
	s_load_dword s15, s[4:5], 0x40
	s_load_dwordx4 s[8:11], s[4:5], 0x58
	s_waitcnt lgkmcnt(0)
	v_cmp_eq_f32_e64 s0, s15, 0
	v_cmp_neq_f32_e64 s22, s15, 0
	s_and_b32 vcc_lo, exec_lo, s0
	s_cbranch_vccnz .LBB88_7
; %bb.6:
	s_load_dwordx2 s[0:1], s[4:5], 0x48
	s_mul_i32 s2, s9, s7
	s_mul_hi_u32 s3, s8, s7
	s_add_i32 s3, s3, s2
	s_mul_i32 s2, s8, s7
	s_lshl_b64 s[2:3], s[2:3], 2
	s_waitcnt lgkmcnt(0)
	s_add_u32 s16, s0, s2
	s_addc_u32 s17, s1, s3
.LBB88_7:
	s_add_i32 s0, s12, -1
	s_load_dword s9, s[4:5], 0x18
	s_ashr_i32 s1, s0, 31
	v_and_b32_e32 v74, 3, v0
	s_lshr_b32 s1, s1, 26
                                        ; implicit-def: $vgpr10
	s_add_i32 s0, s0, s1
	v_cmp_le_i32_e32 vcc_lo, s14, v74
	s_ashr_i32 s0, s0, 6
	v_lshlrev_b32_e32 v4, 2, v74
	s_add_i32 s1, s0, 1
	s_not_b32 s0, s0
	v_cvt_f32_u32_e32 v2, s1
	v_rcp_iflag_f32_e32 v2, v2
	v_mul_f32_e32 v2, 0x4f7ffffe, v2
	v_cvt_u32_f32_e32 v2, v2
	v_readfirstlane_b32 s2, v2
	v_lshl_add_u32 v2, v1, 3, v0
	s_mul_i32 s0, s0, s2
	v_lshrrev_b32_e32 v3, 2, v2
	s_mul_hi_u32 s0, s2, s0
	s_add_i32 s2, s2, s0
	s_mul_hi_u32 s0, s6, s2
	s_mul_i32 s2, s0, s1
	s_add_i32 s3, s0, 1
	s_sub_i32 s2, s6, s2
	s_sub_i32 s8, s2, s1
	s_cmp_ge_u32 s2, s1
	s_cselect_b32 s0, s3, s0
	s_cselect_b32 s2, s8, s2
	s_add_i32 s3, s0, 1
	s_cmp_ge_u32 s2, s1
	s_cselect_b32 s2, s3, s0
	s_mul_i32 s0, s2, s1
	s_sub_i32 s0, s6, s0
	s_lshl_b32 s6, s0, 6
	v_add_nc_u32_e32 v2, s6, v3
	v_cmp_le_i32_e64 s0, s12, v2
	s_nor_b32 s1, vcc_lo, s0
	s_and_saveexec_b32 s3, s1
	s_xor_b32 s3, exec_lo, s3
	s_cbranch_execz .LBB88_9
; %bb.8:
	s_waitcnt lgkmcnt(0)
	v_mad_i64_i32 v[5:6], null, v2, s9, 0
	v_lshlrev_b64 v[5:6], 2, v[5:6]
	v_add_co_u32 v5, s1, s20, v5
	v_add_co_ci_u32_e64 v6, null, s21, v6, s1
	v_add_co_u32 v5, s1, v5, v4
	v_add_co_ci_u32_e64 v6, null, 0, v6, s1
	global_load_dword v10, v[5:6], off
.LBB88_9:
	s_andn2_saveexec_b32 s1, s3
	s_cbranch_execz .LBB88_11
; %bb.10:
	s_waitcnt vmcnt(0)
	v_mov_b32_e32 v10, 0
.LBB88_11:
	s_or_b32 exec_lo, exec_lo, s1
	s_load_dword s23, s[4:5], 0x30
	s_lshl_b32 s8, s2, 7
	v_lshlrev_b32_e32 v6, 2, v74
	v_add_nc_u32_e32 v5, s8, v3
	v_mov_b32_e32 v11, 0
	v_mov_b32_e32 v12, 0
	v_add_co_u32 v7, s2, s18, v6
	v_cmp_le_i32_e64 s1, s13, v5
	v_add_co_ci_u32_e64 v8, null, s19, 0, s2
	s_nor_b32 s2, vcc_lo, s1
	s_and_saveexec_b32 s3, s2
	s_cbranch_execz .LBB88_13
; %bb.12:
	s_waitcnt lgkmcnt(0)
	v_mad_i64_i32 v[12:13], null, v5, s23, 0
	v_lshlrev_b64 v[12:13], 2, v[12:13]
	v_add_co_u32 v12, s2, v7, v12
	v_add_co_ci_u32_e64 v13, null, v8, v13, s2
	global_load_dword v12, v[12:13], off
.LBB88_13:
	s_or_b32 exec_lo, exec_lo, s3
	v_add_nc_u32_e32 v6, 64, v5
	v_cmp_le_i32_e64 s2, s13, v6
	s_nor_b32 s24, vcc_lo, s2
	s_and_saveexec_b32 s3, s24
	s_cbranch_execz .LBB88_15
; %bb.14:
	s_waitcnt lgkmcnt(0)
	v_mad_i64_i32 v[13:14], null, v6, s23, 0
	v_lshlrev_b64 v[13:14], 2, v[13:14]
	v_add_co_u32 v7, vcc_lo, v7, v13
	v_add_co_ci_u32_e64 v8, null, v8, v14, vcc_lo
	global_load_dword v11, v[7:8], off
.LBB88_15:
	s_or_b32 exec_lo, exec_lo, s3
	v_or_b32_e32 v8, 4, v74
                                        ; implicit-def: $vgpr7
	v_cmp_le_i32_e32 vcc_lo, s14, v8
	s_nor_b32 s3, vcc_lo, s0
	s_and_saveexec_b32 s24, s3
	s_xor_b32 s24, exec_lo, s24
	s_cbranch_execz .LBB88_17
; %bb.16:
	s_waitcnt lgkmcnt(0)
	v_mad_i64_i32 v[13:14], null, v2, s9, 0
	v_lshlrev_b64 v[13:14], 2, v[13:14]
	v_add_co_u32 v7, s3, s20, v13
	v_add_co_ci_u32_e64 v9, null, s21, v14, s3
	v_add_co_u32 v13, s3, v7, v4
	v_add_co_ci_u32_e64 v14, null, 0, v9, s3
	global_load_dword v7, v[13:14], off offset:16
.LBB88_17:
	s_andn2_saveexec_b32 s3, s24
	s_cbranch_execz .LBB88_19
; %bb.18:
	s_waitcnt vmcnt(0)
	v_mov_b32_e32 v7, 0
.LBB88_19:
	s_or_b32 exec_lo, exec_lo, s3
	v_lshlrev_b32_e32 v9, 2, v8
	v_mov_b32_e32 v8, 0
	v_add_co_u32 v13, s3, s18, v9
	v_add_co_ci_u32_e64 v14, null, s19, 0, s3
	v_mov_b32_e32 v9, 0
	s_nor_b32 s3, vcc_lo, s1
	s_and_saveexec_b32 s24, s3
	s_cbranch_execz .LBB88_21
; %bb.20:
	s_waitcnt lgkmcnt(0)
	v_mad_i64_i32 v[15:16], null, v5, s23, 0
	v_lshlrev_b64 v[15:16], 2, v[15:16]
	v_add_co_u32 v15, s3, v13, v15
	v_add_co_ci_u32_e64 v16, null, v14, v16, s3
	global_load_dword v9, v[15:16], off
.LBB88_21:
	s_or_b32 exec_lo, exec_lo, s24
	s_nor_b32 s24, vcc_lo, s2
	s_and_saveexec_b32 s3, s24
	s_cbranch_execz .LBB88_23
; %bb.22:
	s_waitcnt lgkmcnt(0)
	v_mad_i64_i32 v[15:16], null, v6, s23, 0
	v_lshlrev_b64 v[15:16], 2, v[15:16]
	v_add_co_u32 v13, vcc_lo, v13, v15
	v_add_co_ci_u32_e64 v14, null, v14, v16, vcc_lo
	global_load_dword v8, v[13:14], off
.LBB88_23:
	s_or_b32 exec_lo, exec_lo, s3
	v_lshlrev_b32_e32 v13, 4, v3
	v_mov_b32_e32 v72, 0
	v_lshl_or_b32 v78, v0, 4, 0x1000
	v_lshlrev_b32_e32 v79, 4, v1
	s_mov_b32 s24, 0
	v_lshl_or_b32 v77, v74, 2, v13
	v_mov_b32_e32 v73, v72
	v_mov_b32_e32 v70, v72
	;; [unrolled: 1-line block ×4, first 2 shown]
	v_add_nc_u32_e32 v80, 0x1000, v77
	s_waitcnt vmcnt(0)
	ds_write_b32 v77, v10 offset:4096
	ds_write2st64_b32 v77, v12, v11 offset1:4
	v_mov_b32_e32 v69, v72
	v_mov_b32_e32 v10, v72
	;; [unrolled: 1-line block ×59, first 2 shown]
	s_mov_b32 s3, -1
	s_waitcnt lgkmcnt(0)
	s_barrier
	buffer_gl0_inv
.LBB88_24:                              ; =>This Inner Loop Header: Depth=1
	s_lshl_b32 s24, s24, 2
	s_andn2_b32 vcc_lo, exec_lo, s3
	v_add_nc_u32_e32 v75, s24, v78
	s_mov_b32 s3, 0
	ds_read2_b64 v[81:84], v75 offset1:16
	ds_read2_b64 v[85:88], v75 offset0:32 offset1:48
	ds_read2_b64 v[89:92], v75 offset0:64 offset1:80
	;; [unrolled: 1-line block ×3, first 2 shown]
	v_add_nc_u32_e32 v75, s24, v79
	s_mov_b32 s24, 2
	ds_read2st64_b64 v[97:100], v75 offset1:1
	ds_read2st64_b64 v[101:104], v75 offset0:2 offset1:3
	s_waitcnt lgkmcnt(5)
	v_max_f32_e32 v76, v81, v81
	v_max_f32_e32 v82, v82, v82
	;; [unrolled: 1-line block ×3, first 2 shown]
	s_waitcnt lgkmcnt(4)
	v_max_f32_e32 v86, v86, v86
	v_max_f32_e32 v88, v88, v88
	s_waitcnt lgkmcnt(3)
	v_max_f32_e32 v90, v90, v90
	v_max_f32_e32 v92, v92, v92
	s_waitcnt lgkmcnt(2)
	v_max_f32_e32 v94, v94, v94
	s_waitcnt lgkmcnt(1)
	v_max_f32_e32 v75, v97, v97
	v_max_f32_e32 v97, v98, v98
	v_min_f32_e32 v81, v76, v75
	v_min_f32_e32 v98, v82, v97
	v_add_f32_e32 v72, v72, v81
	v_max_f32_e32 v81, v83, v83
	v_add_f32_e32 v73, v73, v98
	v_min_f32_e32 v98, v84, v97
	v_min_f32_e32 v83, v81, v75
	v_add_f32_e32 v71, v71, v98
	v_min_f32_e32 v98, v86, v97
	v_add_f32_e32 v70, v70, v83
	v_max_f32_e32 v83, v85, v85
	v_add_f32_e32 v69, v69, v98
	v_min_f32_e32 v98, v88, v97
	v_min_f32_e32 v85, v83, v75
	v_add_f32_e32 v11, v11, v98
	;; [unrolled: 7-line block ×3, first 2 shown]
	v_add_f32_e32 v10, v10, v87
	v_max_f32_e32 v87, v89, v89
	v_min_f32_e32 v98, v94, v97
	v_min_f32_e32 v89, v87, v75
	v_add_f32_e32 v17, v17, v98
	v_add_f32_e32 v12, v12, v89
	v_max_f32_e32 v89, v91, v91
	v_min_f32_e32 v91, v89, v75
	v_add_f32_e32 v14, v14, v91
	v_max_f32_e32 v91, v93, v93
	v_min_f32_e32 v93, v91, v75
	v_add_f32_e32 v16, v16, v93
	v_max_f32_e32 v93, v95, v95
	v_max_f32_e32 v95, v96, v96
	v_min_f32_e32 v75, v93, v75
	v_min_f32_e32 v96, v95, v97
	v_max_f32_e32 v97, v100, v100
	v_add_f32_e32 v66, v66, v75
	v_max_f32_e32 v75, v99, v99
	v_add_f32_e32 v67, v67, v96
	v_min_f32_e32 v98, v82, v97
	v_min_f32_e32 v96, v76, v75
	v_add_f32_e32 v65, v65, v98
	v_min_f32_e32 v98, v84, v97
	v_add_f32_e32 v64, v64, v96
	v_min_f32_e32 v96, v81, v75
	v_add_f32_e32 v63, v63, v98
	v_min_f32_e32 v98, v86, v97
	v_add_f32_e32 v62, v62, v96
	v_min_f32_e32 v96, v83, v75
	v_add_f32_e32 v61, v61, v98
	v_min_f32_e32 v98, v88, v97
	v_add_f32_e32 v60, v60, v96
	v_min_f32_e32 v96, v85, v75
	v_add_f32_e32 v59, v59, v98
	v_min_f32_e32 v98, v90, v97
	v_add_f32_e32 v58, v58, v96
	v_min_f32_e32 v96, v87, v75
	v_add_f32_e32 v57, v57, v98
	v_min_f32_e32 v98, v92, v97
	v_add_f32_e32 v56, v56, v96
	v_min_f32_e32 v96, v89, v75
	v_add_f32_e32 v55, v55, v98
	v_min_f32_e32 v98, v94, v97
	v_add_f32_e32 v54, v54, v96
	v_min_f32_e32 v96, v91, v75
	v_min_f32_e32 v75, v93, v75
	v_add_f32_e32 v53, v53, v98
	v_add_f32_e32 v52, v52, v96
	v_min_f32_e32 v96, v95, v97
	v_add_f32_e32 v50, v50, v75
	s_waitcnt lgkmcnt(0)
	v_max_f32_e32 v75, v101, v101
	v_max_f32_e32 v97, v102, v102
	v_add_f32_e32 v51, v51, v96
	v_min_f32_e32 v96, v76, v75
	v_min_f32_e32 v98, v82, v97
	v_add_f32_e32 v48, v48, v96
	v_min_f32_e32 v96, v81, v75
	v_add_f32_e32 v49, v49, v98
	;; [unrolled: 2-line block ×11, first 2 shown]
	v_min_f32_e32 v96, v91, v75
	v_min_f32_e32 v75, v93, v75
	v_add_f32_e32 v39, v39, v98
	v_min_f32_e32 v98, v94, v97
	v_add_f32_e32 v36, v36, v96
	v_add_f32_e32 v34, v34, v75
	v_max_f32_e32 v75, v103, v103
	v_min_f32_e32 v96, v95, v97
	v_add_f32_e32 v37, v37, v98
	v_min_f32_e32 v76, v76, v75
	v_add_f32_e32 v35, v35, v96
	v_max_f32_e32 v96, v104, v104
	v_add_f32_e32 v32, v32, v76
	v_min_f32_e32 v76, v81, v75
	v_min_f32_e32 v81, v84, v96
	v_min_f32_e32 v82, v82, v96
	v_add_f32_e32 v30, v30, v76
	v_min_f32_e32 v76, v83, v75
	v_add_f32_e32 v31, v31, v81
	v_min_f32_e32 v81, v86, v96
	v_add_f32_e32 v33, v33, v82
	v_add_f32_e32 v28, v28, v76
	v_min_f32_e32 v76, v85, v75
	v_add_f32_e32 v29, v29, v81
	v_min_f32_e32 v81, v88, v96
	;; [unrolled: 2-line block ×8, first 2 shown]
	v_min_f32_e32 v75, v93, v75
	v_add_f32_e32 v20, v20, v76
	v_min_f32_e32 v76, v95, v96
	v_add_f32_e32 v21, v21, v81
	v_add_f32_e32 v18, v18, v75
	;; [unrolled: 1-line block ×3, first 2 shown]
	s_cbranch_vccz .LBB88_24
; %bb.25:
	v_lshl_or_b32 v3, v3, 4, v4
	v_lshl_add_u32 v75, v0, 4, 0x1400
	v_lshl_add_u32 v76, v1, 4, 0x800
	s_cmp_lt_i32 s14, 9
	ds_write_b32 v3, v7 offset:5120
	ds_write2st64_b32 v3, v9, v8 offset0:8 offset1:12
	s_waitcnt lgkmcnt(0)
	s_barrier
	buffer_gl0_inv
	s_cbranch_scc1 .LBB88_44
; %bb.26:
	v_mad_i64_i32 v[7:8], null, v2, s9, 0
	v_mad_i64_i32 v[4:5], null, v5, s23, 0
	;; [unrolled: 1-line block ×3, first 2 shown]
	v_add_nc_u32_e32 v81, 0x1400, v3
	v_add_nc_u32_e32 v82, 0x800, v3
	v_lshlrev_b64 v[6:7], 2, v[7:8]
	s_add_i32 s9, s14, -8
	v_lshlrev_b64 v[2:3], 2, v[4:5]
	v_lshlrev_b64 v[4:5], 2, v[83:84]
	v_add_co_u32 v83, vcc_lo, s20, v6
	v_add_co_ci_u32_e64 v84, null, s21, v7, vcc_lo
	v_mov_b32_e32 v7, 0
	s_mov_b32 s20, 8
	s_mov_b32 s21, 0
.LBB88_27:                              ; =>This Loop Header: Depth=1
                                        ;     Child Loop BB88_34 Depth 2
                                        ;     Child Loop BB88_42 Depth 2
	v_or_b32_e32 v6, s20, v74
	v_mov_b32_e32 v87, v7
	v_cmp_le_i32_e32 vcc_lo, s14, v6
	v_lshlrev_b64 v[8:9], 2, v[6:7]
	s_nor_b32 s3, vcc_lo, s0
	s_and_saveexec_b32 s23, s3
	s_cbranch_execz .LBB88_29
; %bb.28:                               ;   in Loop: Header=BB88_27 Depth=1
	v_add_co_u32 v85, s3, v83, v8
	v_add_co_ci_u32_e64 v86, null, v84, v9, s3
	global_load_dword v87, v[85:86], off
.LBB88_29:                              ;   in Loop: Header=BB88_27 Depth=1
	s_or_b32 exec_lo, exec_lo, s23
	v_add_co_u32 v85, s3, s18, v8
	v_add_co_ci_u32_e64 v86, null, s19, v9, s3
	v_mov_b32_e32 v88, 0
	v_mov_b32_e32 v89, 0
	s_nor_b32 s3, s1, vcc_lo
	s_and_saveexec_b32 s23, s3
	s_cbranch_execz .LBB88_31
; %bb.30:                               ;   in Loop: Header=BB88_27 Depth=1
	v_add_co_u32 v89, s3, v85, v2
	v_add_co_ci_u32_e64 v90, null, v86, v3, s3
	global_load_dword v89, v[89:90], off
.LBB88_31:                              ;   in Loop: Header=BB88_27 Depth=1
	s_or_b32 exec_lo, exec_lo, s23
	s_nor_b32 s23, s2, vcc_lo
	s_and_saveexec_b32 s3, s23
	s_cbranch_execz .LBB88_33
; %bb.32:                               ;   in Loop: Header=BB88_27 Depth=1
	v_add_co_u32 v90, vcc_lo, v85, v4
	v_add_co_ci_u32_e64 v91, null, v86, v5, vcc_lo
	global_load_dword v88, v[90:91], off
.LBB88_33:                              ;   in Loop: Header=BB88_27 Depth=1
	s_or_b32 exec_lo, exec_lo, s3
	s_mov_b32 s23, 0
	s_mov_b32 s3, -1
.LBB88_34:                              ;   Parent Loop BB88_27 Depth=1
                                        ; =>  This Inner Loop Header: Depth=2
	s_lshl_b32 s23, s23, 2
	s_andn2_b32 vcc_lo, exec_lo, s3
	v_add_nc_u32_e32 v102, s23, v75
	v_add_nc_u32_e32 v110, s23, v76
	s_mov_b32 s3, 0
	s_mov_b32 s23, 2
	ds_read2_b64 v[90:93], v102 offset1:16
	ds_read2_b64 v[94:97], v102 offset0:32 offset1:48
	ds_read2_b64 v[98:101], v102 offset0:64 offset1:80
	;; [unrolled: 1-line block ×3, first 2 shown]
	ds_read2st64_b64 v[106:109], v110 offset1:1
	ds_read2st64_b64 v[110:113], v110 offset0:2 offset1:3
	s_waitcnt lgkmcnt(5)
	v_max_f32_e32 v115, v91, v91
	v_max_f32_e32 v114, v90, v90
	s_waitcnt lgkmcnt(1)
	v_max_f32_e32 v107, v107, v107
	v_max_f32_e32 v106, v106, v106
	v_min_f32_e32 v91, v115, v107
	v_min_f32_e32 v90, v114, v106
	v_add_f32_e32 v73, v73, v91
	v_max_f32_e32 v91, v92, v92
	v_max_f32_e32 v92, v93, v93
	v_add_f32_e32 v72, v72, v90
	v_min_f32_e32 v90, v91, v106
	v_min_f32_e32 v93, v92, v107
	v_add_f32_e32 v70, v70, v90
	v_add_f32_e32 v71, v71, v93
	v_max_f32_e32 v93, v94, v94
	v_max_f32_e32 v94, v95, v95
	v_min_f32_e32 v90, v93, v106
	v_min_f32_e32 v95, v94, v107
	v_add_f32_e32 v68, v68, v90
	v_add_f32_e32 v69, v69, v95
	v_max_f32_e32 v95, v96, v96
	v_max_f32_e32 v96, v97, v97
	;; [unrolled: 6-line block ×6, first 2 shown]
	v_min_f32_e32 v104, v103, v106
	v_min_f32_e32 v105, v90, v107
	v_max_f32_e32 v106, v109, v109
	v_add_f32_e32 v66, v66, v104
	v_max_f32_e32 v104, v108, v108
	v_add_f32_e32 v67, v67, v105
	v_min_f32_e32 v107, v115, v106
	v_min_f32_e32 v105, v114, v104
	v_add_f32_e32 v65, v65, v107
	v_min_f32_e32 v107, v92, v106
	v_add_f32_e32 v64, v64, v105
	v_min_f32_e32 v105, v91, v104
	v_add_f32_e32 v63, v63, v107
	v_min_f32_e32 v107, v94, v106
	v_add_f32_e32 v62, v62, v105
	v_min_f32_e32 v105, v93, v104
	v_add_f32_e32 v61, v61, v107
	v_min_f32_e32 v107, v96, v106
	v_add_f32_e32 v60, v60, v105
	v_min_f32_e32 v105, v95, v104
	v_add_f32_e32 v59, v59, v107
	v_min_f32_e32 v107, v98, v106
	v_add_f32_e32 v58, v58, v105
	v_min_f32_e32 v105, v97, v104
	v_add_f32_e32 v57, v57, v107
	v_min_f32_e32 v107, v100, v106
	v_add_f32_e32 v56, v56, v105
	v_min_f32_e32 v105, v99, v104
	v_add_f32_e32 v55, v55, v107
	v_min_f32_e32 v107, v102, v106
	v_add_f32_e32 v54, v54, v105
	v_min_f32_e32 v105, v101, v104
	v_min_f32_e32 v104, v103, v104
	v_add_f32_e32 v53, v53, v107
	v_add_f32_e32 v52, v52, v105
	v_min_f32_e32 v105, v90, v106
	v_add_f32_e32 v50, v50, v104
	s_waitcnt lgkmcnt(0)
	v_max_f32_e32 v104, v110, v110
	v_max_f32_e32 v106, v111, v111
	v_add_f32_e32 v51, v51, v105
	v_min_f32_e32 v105, v114, v104
	v_min_f32_e32 v107, v115, v106
	v_add_f32_e32 v48, v48, v105
	v_min_f32_e32 v105, v91, v104
	v_add_f32_e32 v49, v49, v107
	;; [unrolled: 2-line block ×11, first 2 shown]
	v_min_f32_e32 v105, v101, v104
	v_min_f32_e32 v104, v103, v104
	v_add_f32_e32 v39, v39, v107
	v_min_f32_e32 v107, v102, v106
	v_add_f32_e32 v36, v36, v105
	v_add_f32_e32 v34, v34, v104
	v_max_f32_e32 v104, v112, v112
	v_min_f32_e32 v105, v90, v106
	v_max_f32_e32 v106, v113, v113
	v_add_f32_e32 v37, v37, v107
	v_min_f32_e32 v91, v91, v104
	v_add_f32_e32 v35, v35, v105
	v_min_f32_e32 v92, v92, v106
	v_min_f32_e32 v105, v114, v104
	;; [unrolled: 1-line block ×3, first 2 shown]
	v_add_f32_e32 v30, v30, v91
	v_min_f32_e32 v91, v93, v104
	v_add_f32_e32 v31, v31, v92
	v_min_f32_e32 v92, v94, v106
	v_min_f32_e32 v90, v90, v106
	v_add_f32_e32 v33, v33, v107
	v_add_f32_e32 v28, v28, v91
	v_min_f32_e32 v91, v95, v104
	v_add_f32_e32 v29, v29, v92
	v_min_f32_e32 v92, v96, v106
	v_add_f32_e32 v32, v32, v105
	v_add_f32_e32 v19, v19, v90
	;; [unrolled: 1-line block ×3, first 2 shown]
	v_min_f32_e32 v91, v97, v104
	v_add_f32_e32 v27, v27, v92
	v_min_f32_e32 v92, v98, v106
	v_add_f32_e32 v24, v24, v91
	;; [unrolled: 2-line block ×7, first 2 shown]
	v_add_f32_e32 v18, v18, v91
	s_cbranch_vccz .LBB88_34
; %bb.35:                               ;   in Loop: Header=BB88_27 Depth=1
	v_or_b32_e32 v6, 4, v6
	s_waitcnt vmcnt(0)
	ds_write_b32 v80, v87
	ds_write2st64_b32 v77, v89, v88 offset1:4
	v_mov_b32_e32 v87, 0
	s_waitcnt lgkmcnt(0)
	s_barrier
	v_cmp_le_i32_e32 vcc_lo, s14, v6
	v_mov_b32_e32 v6, 0
	buffer_gl0_inv
	s_nor_b32 s3, vcc_lo, s0
	s_and_saveexec_b32 s23, s3
	s_cbranch_execz .LBB88_37
; %bb.36:                               ;   in Loop: Header=BB88_27 Depth=1
	v_add_co_u32 v8, s3, v83, v8
	v_add_co_ci_u32_e64 v9, null, v84, v9, s3
	global_load_dword v87, v[8:9], off offset:16
.LBB88_37:                              ;   in Loop: Header=BB88_27 Depth=1
	s_or_b32 exec_lo, exec_lo, s23
	s_nor_b32 s3, s1, vcc_lo
	s_and_saveexec_b32 s23, s3
	s_cbranch_execz .LBB88_39
; %bb.38:                               ;   in Loop: Header=BB88_27 Depth=1
	v_add_co_u32 v8, s3, v85, v2
	v_add_co_ci_u32_e64 v9, null, v86, v3, s3
	global_load_dword v6, v[8:9], off offset:16
.LBB88_39:                              ;   in Loop: Header=BB88_27 Depth=1
	s_or_b32 exec_lo, exec_lo, s23
	v_mov_b32_e32 v8, 0
	s_nor_b32 s23, s2, vcc_lo
	s_and_saveexec_b32 s3, s23
	s_cbranch_execz .LBB88_41
; %bb.40:                               ;   in Loop: Header=BB88_27 Depth=1
	v_add_co_u32 v8, vcc_lo, v85, v4
	v_add_co_ci_u32_e64 v9, null, v86, v5, vcc_lo
	global_load_dword v8, v[8:9], off offset:16
.LBB88_41:                              ;   in Loop: Header=BB88_27 Depth=1
	s_or_b32 exec_lo, exec_lo, s3
	s_mov_b32 s23, 0
	s_mov_b32 s3, -1
.LBB88_42:                              ;   Parent Loop BB88_27 Depth=1
                                        ; =>  This Inner Loop Header: Depth=2
	s_lshl_b32 s23, s23, 2
	s_andn2_b32 vcc_lo, exec_lo, s3
	v_add_nc_u32_e32 v9, s23, v78
	s_mov_b32 s3, 0
	ds_read2_b64 v[88:91], v9 offset1:16
	ds_read2_b64 v[92:95], v9 offset0:32 offset1:48
	ds_read2_b64 v[96:99], v9 offset0:64 offset1:80
	ds_read2_b64 v[100:103], v9 offset0:96 offset1:112
	v_add_nc_u32_e32 v9, s23, v79
	s_mov_b32 s23, 2
	ds_read2st64_b64 v[104:107], v9 offset1:1
	ds_read2st64_b64 v[108:111], v9 offset0:2 offset1:3
	s_waitcnt lgkmcnt(5)
	v_max_f32_e32 v85, v88, v88
	v_max_f32_e32 v89, v89, v89
	;; [unrolled: 1-line block ×3, first 2 shown]
	s_waitcnt lgkmcnt(4)
	v_max_f32_e32 v93, v93, v93
	v_max_f32_e32 v95, v95, v95
	s_waitcnt lgkmcnt(3)
	v_max_f32_e32 v97, v97, v97
	v_max_f32_e32 v99, v99, v99
	s_waitcnt lgkmcnt(2)
	v_max_f32_e32 v101, v101, v101
	s_waitcnt lgkmcnt(1)
	v_max_f32_e32 v9, v104, v104
	v_max_f32_e32 v88, v105, v105
	v_min_f32_e32 v86, v85, v9
	v_min_f32_e32 v104, v89, v88
	v_add_f32_e32 v72, v72, v86
	v_max_f32_e32 v86, v90, v90
	v_add_f32_e32 v73, v73, v104
	v_min_f32_e32 v104, v91, v88
	v_min_f32_e32 v90, v86, v9
	v_add_f32_e32 v71, v71, v104
	v_min_f32_e32 v104, v93, v88
	v_add_f32_e32 v70, v70, v90
	v_max_f32_e32 v90, v92, v92
	v_add_f32_e32 v69, v69, v104
	v_min_f32_e32 v104, v95, v88
	v_min_f32_e32 v92, v90, v9
	v_add_f32_e32 v11, v11, v104
	;; [unrolled: 7-line block ×3, first 2 shown]
	v_add_f32_e32 v10, v10, v94
	v_max_f32_e32 v94, v96, v96
	v_min_f32_e32 v104, v101, v88
	v_min_f32_e32 v96, v94, v9
	v_add_f32_e32 v17, v17, v104
	v_add_f32_e32 v12, v12, v96
	v_max_f32_e32 v96, v98, v98
	v_min_f32_e32 v98, v96, v9
	v_add_f32_e32 v14, v14, v98
	v_max_f32_e32 v98, v100, v100
	v_min_f32_e32 v100, v98, v9
	v_add_f32_e32 v16, v16, v100
	v_max_f32_e32 v100, v102, v102
	v_max_f32_e32 v102, v103, v103
	;; [unrolled: 1-line block ×3, first 2 shown]
	v_min_f32_e32 v9, v100, v9
	v_min_f32_e32 v88, v102, v88
	;; [unrolled: 1-line block ×3, first 2 shown]
	v_add_f32_e32 v66, v66, v9
	v_max_f32_e32 v9, v106, v106
	v_add_f32_e32 v67, v67, v88
	v_add_f32_e32 v65, v65, v104
	v_min_f32_e32 v104, v91, v103
	v_min_f32_e32 v88, v85, v9
	v_add_f32_e32 v63, v63, v104
	v_min_f32_e32 v104, v93, v103
	v_add_f32_e32 v64, v64, v88
	;; [unrolled: 2-line block ×11, first 2 shown]
	v_add_f32_e32 v54, v54, v88
	v_min_f32_e32 v88, v98, v9
	v_min_f32_e32 v9, v100, v9
	v_add_f32_e32 v52, v52, v88
	v_min_f32_e32 v88, v102, v103
	v_add_f32_e32 v50, v50, v9
	s_waitcnt lgkmcnt(0)
	v_max_f32_e32 v9, v108, v108
	v_max_f32_e32 v103, v109, v109
	v_add_f32_e32 v51, v51, v88
	v_min_f32_e32 v88, v85, v9
	v_min_f32_e32 v104, v89, v103
	v_add_f32_e32 v48, v48, v88
	v_min_f32_e32 v88, v86, v9
	v_add_f32_e32 v49, v49, v104
	;; [unrolled: 2-line block ×11, first 2 shown]
	v_min_f32_e32 v88, v98, v9
	v_min_f32_e32 v9, v100, v9
	v_add_f32_e32 v39, v39, v104
	v_min_f32_e32 v104, v101, v103
	v_add_f32_e32 v36, v36, v88
	v_add_f32_e32 v34, v34, v9
	v_max_f32_e32 v9, v110, v110
	v_min_f32_e32 v88, v102, v103
	v_add_f32_e32 v37, v37, v104
	v_min_f32_e32 v85, v85, v9
	v_add_f32_e32 v35, v35, v88
	v_max_f32_e32 v88, v111, v111
	v_add_f32_e32 v32, v32, v85
	v_min_f32_e32 v85, v86, v9
	v_min_f32_e32 v86, v91, v88
	;; [unrolled: 1-line block ×3, first 2 shown]
	v_add_f32_e32 v30, v30, v85
	v_min_f32_e32 v85, v90, v9
	v_add_f32_e32 v31, v31, v86
	v_min_f32_e32 v86, v93, v88
	v_add_f32_e32 v33, v33, v89
	v_add_f32_e32 v28, v28, v85
	v_min_f32_e32 v85, v92, v9
	v_add_f32_e32 v29, v29, v86
	v_min_f32_e32 v86, v95, v88
	;; [unrolled: 2-line block ×8, first 2 shown]
	v_min_f32_e32 v9, v100, v9
	v_add_f32_e32 v20, v20, v85
	v_min_f32_e32 v85, v102, v88
	v_add_f32_e32 v21, v21, v86
	v_add_f32_e32 v18, v18, v9
	;; [unrolled: 1-line block ×3, first 2 shown]
	s_cbranch_vccz .LBB88_42
; %bb.43:                               ;   in Loop: Header=BB88_27 Depth=1
	s_add_i32 s21, s21, 8
	s_add_i32 s20, s20, 8
	s_cmp_ge_i32 s21, s9
	s_waitcnt vmcnt(0)
	ds_write_b32 v81, v87
	ds_write2st64_b32 v82, v6, v8 offset1:4
	s_waitcnt lgkmcnt(0)
	s_barrier
	buffer_gl0_inv
	s_cbranch_scc0 .LBB88_27
.LBB88_44:
	s_mov_b32 s1, 0
	s_mov_b32 s0, -1
.LBB88_45:                              ; =>This Inner Loop Header: Depth=1
	s_lshl_b32 s1, s1, 2
	s_andn2_b32 vcc_lo, exec_lo, s0
	v_add_nc_u32_e32 v74, s1, v75
	s_mov_b32 s0, 0
	ds_read2_b64 v[2:5], v74 offset1:16
	ds_read2_b64 v[6:9], v74 offset0:32 offset1:48
	ds_read2_b64 v[77:80], v74 offset0:64 offset1:80
	;; [unrolled: 1-line block ×3, first 2 shown]
	v_add_nc_u32_e32 v74, s1, v76
	s_mov_b32 s1, 2
	ds_read2st64_b64 v[85:88], v74 offset1:1
	ds_read2st64_b64 v[89:92], v74 offset0:2 offset1:3
	s_waitcnt lgkmcnt(5)
	v_max_f32_e32 v2, v2, v2
	v_max_f32_e32 v4, v4, v4
	s_waitcnt lgkmcnt(4)
	v_max_f32_e32 v6, v6, v6
	v_max_f32_e32 v8, v8, v8
	;; [unrolled: 3-line block ×5, first 2 shown]
	v_max_f32_e32 v84, v84, v84
	v_max_f32_e32 v3, v3, v3
	;; [unrolled: 1-line block ×3, first 2 shown]
	v_min_f32_e32 v85, v2, v74
	v_max_f32_e32 v7, v7, v7
	v_max_f32_e32 v9, v9, v9
	v_min_f32_e32 v93, v3, v86
	v_max_f32_e32 v78, v78, v78
	v_add_f32_e32 v72, v72, v85
	v_min_f32_e32 v85, v4, v74
	v_max_f32_e32 v80, v80, v80
	v_add_f32_e32 v73, v73, v93
	;; [unrolled: 3-line block ×3, first 2 shown]
	v_min_f32_e32 v85, v6, v74
	v_add_f32_e32 v71, v71, v93
	v_min_f32_e32 v93, v7, v86
	v_add_f32_e32 v68, v68, v85
	;; [unrolled: 2-line block ×8, first 2 shown]
	v_min_f32_e32 v85, v81, v74
	v_min_f32_e32 v74, v83, v74
	v_add_f32_e32 v15, v15, v93
	v_min_f32_e32 v93, v82, v86
	v_add_f32_e32 v16, v16, v85
	;; [unrolled: 2-line block ×3, first 2 shown]
	v_max_f32_e32 v74, v87, v87
	v_max_f32_e32 v86, v88, v88
	v_add_f32_e32 v17, v17, v93
	v_add_f32_e32 v67, v67, v85
	v_min_f32_e32 v85, v2, v74
	v_min_f32_e32 v87, v3, v86
	v_add_f32_e32 v64, v64, v85
	v_min_f32_e32 v85, v4, v74
	v_add_f32_e32 v65, v65, v87
	;; [unrolled: 2-line block ×11, first 2 shown]
	v_min_f32_e32 v85, v81, v74
	v_min_f32_e32 v74, v83, v74
	v_add_f32_e32 v55, v55, v87
	v_min_f32_e32 v87, v82, v86
	v_add_f32_e32 v52, v52, v85
	;; [unrolled: 2-line block ×3, first 2 shown]
	s_waitcnt lgkmcnt(0)
	v_max_f32_e32 v74, v89, v89
	v_max_f32_e32 v86, v90, v90
	v_add_f32_e32 v53, v53, v87
	v_add_f32_e32 v51, v51, v85
	v_min_f32_e32 v85, v2, v74
	v_min_f32_e32 v87, v3, v86
	v_add_f32_e32 v48, v48, v85
	v_min_f32_e32 v85, v4, v74
	v_add_f32_e32 v49, v49, v87
	;; [unrolled: 2-line block ×11, first 2 shown]
	v_min_f32_e32 v85, v81, v74
	v_min_f32_e32 v74, v83, v74
	v_add_f32_e32 v39, v39, v87
	v_min_f32_e32 v87, v82, v86
	v_add_f32_e32 v36, v36, v85
	;; [unrolled: 2-line block ×3, first 2 shown]
	v_max_f32_e32 v74, v91, v91
	v_add_f32_e32 v37, v37, v87
	v_add_f32_e32 v35, v35, v85
	v_max_f32_e32 v85, v92, v92
	v_min_f32_e32 v2, v2, v74
	v_min_f32_e32 v3, v3, v85
	v_add_f32_e32 v32, v32, v2
	v_min_f32_e32 v2, v4, v74
	v_add_f32_e32 v33, v33, v3
	;; [unrolled: 2-line block ×15, first 2 shown]
	v_add_f32_e32 v19, v19, v3
	s_cbranch_vccz .LBB88_45
; %bb.46:
	s_clause 0x2
	s_load_dwordx2 s[0:1], s[4:5], 0x70
	s_load_dword s14, s[4:5], 0x50
	s_load_dword s9, s[4:5], 0x68
	v_add_nc_u32_e32 v75, s8, v1
	v_add_nc_u32_e32 v0, s6, v0
	v_cndmask_b32_e64 v74, 0, 1, s22
	v_cmp_gt_i32_e64 s8, s13, v75
	s_waitcnt lgkmcnt(0)
	s_mul_i32 s1, s1, s7
	v_mad_i64_i32 v[1:2], null, v75, s14, 0
	v_mad_i64_i32 v[3:4], null, v75, s9, 0
	s_mul_hi_u32 s3, s0, s7
	s_mul_i32 s2, s0, s7
	s_add_i32 s3, s3, s1
	v_cmp_gt_i32_e64 s0, s12, v0
	v_lshlrev_b64 v[5:6], 2, v[1:2]
	s_lshl_b64 s[2:3], s[2:3], 2
	v_lshlrev_b64 v[2:3], 2, v[3:4]
	s_add_u32 s10, s10, s2
	s_addc_u32 s11, s11, s3
	v_ashrrev_i32_e32 v1, 31, v0
	v_add_co_u32 v78, vcc_lo, s16, v5
	v_add_co_ci_u32_e64 v79, null, s17, v6, vcc_lo
	v_add_co_u32 v76, vcc_lo, s10, v2
	v_add_co_ci_u32_e64 v77, null, s11, v3, vcc_lo
	s_and_b32 s2, s0, s8
	s_and_saveexec_b32 s1, s2
	s_cbranch_execz .LBB88_52
; %bb.47:
	v_lshlrev_b64 v[2:3], 2, v[0:1]
	s_andn2_b32 vcc_lo, exec_lo, s22
	s_cbranch_vccnz .LBB88_50
; %bb.48:
	v_add_co_u32 v4, vcc_lo, v78, v2
	v_add_co_ci_u32_e64 v5, null, v79, v3, vcc_lo
	global_load_dword v4, v[4:5], off
	s_waitcnt vmcnt(0)
	v_mul_f32_e32 v4, s15, v4
	s_branch .LBB88_51
.LBB88_49:
	s_mov_b64 s[20:21], 0
	s_andn2_b32 vcc_lo, exec_lo, s8
	s_mov_b32 s0, -1
	s_cbranch_vccz .LBB88_2
	s_branch .LBB88_3
.LBB88_50:
	v_mov_b32_e32 v4, 0
.LBB88_51:
	v_add_f32_e32 v5, v72, v73
	v_add_co_u32 v2, vcc_lo, v76, v2
	v_add_co_ci_u32_e64 v3, null, v77, v3, vcc_lo
	v_add_f32_e32 v4, v5, v4
	global_store_dword v[2:3], v4, off
.LBB88_52:
	s_or_b32 exec_lo, exec_lo, s1
	v_add_nc_u32_e32 v2, 8, v0
	v_cmp_gt_i32_e64 s1, s12, v2
	v_ashrrev_i32_e32 v3, 31, v2
	s_and_b32 s3, s1, s8
	s_and_saveexec_b32 s2, s3
	s_cbranch_execz .LBB88_57
; %bb.53:
	v_cmp_ne_u32_e32 vcc_lo, 1, v74
	v_lshlrev_b64 v[4:5], 2, v[2:3]
	s_cbranch_vccnz .LBB88_55
; %bb.54:
	v_add_co_u32 v6, vcc_lo, v78, v4
	v_add_co_ci_u32_e64 v7, null, v79, v5, vcc_lo
	global_load_dword v6, v[6:7], off
	s_waitcnt vmcnt(0)
	v_mul_f32_e32 v6, s15, v6
	s_branch .LBB88_56
.LBB88_55:
	v_mov_b32_e32 v6, 0
.LBB88_56:
	v_add_f32_e32 v7, v70, v71
	v_add_co_u32 v4, vcc_lo, v76, v4
	v_add_co_ci_u32_e64 v5, null, v77, v5, vcc_lo
	v_add_f32_e32 v6, v7, v6
	global_store_dword v[4:5], v6, off
.LBB88_57:
	s_or_b32 exec_lo, exec_lo, s2
	v_add_nc_u32_e32 v4, 16, v0
	v_cmp_gt_i32_e64 s2, s12, v4
	v_ashrrev_i32_e32 v5, 31, v4
	s_and_b32 s4, s2, s8
	s_and_saveexec_b32 s3, s4
	s_cbranch_execz .LBB88_62
; %bb.58:
	v_cmp_ne_u32_e32 vcc_lo, 1, v74
	v_lshlrev_b64 v[6:7], 2, v[4:5]
	s_cbranch_vccnz .LBB88_60
; %bb.59:
	v_add_co_u32 v8, vcc_lo, v78, v6
	v_add_co_ci_u32_e64 v9, null, v79, v7, vcc_lo
	global_load_dword v8, v[8:9], off
	s_waitcnt vmcnt(0)
	v_mul_f32_e32 v8, s15, v8
	s_branch .LBB88_61
.LBB88_60:
	v_mov_b32_e32 v8, 0
.LBB88_61:
	v_add_f32_e32 v9, v68, v69
	v_add_co_u32 v6, vcc_lo, v76, v6
	v_add_co_ci_u32_e64 v7, null, v77, v7, vcc_lo
	v_add_f32_e32 v8, v9, v8
	global_store_dword v[6:7], v8, off
.LBB88_62:
	;; [unrolled: 27-line block ×7, first 2 shown]
	s_or_b32 exec_lo, exec_lo, s8
	v_add_nc_u32_e32 v68, 32, v75
	v_mad_i64_i32 v[16:17], null, v68, s14, 0
	v_mad_i64_i32 v[66:67], null, v68, s9, 0
	v_cmp_gt_i32_e64 s8, s13, v68
	v_lshlrev_b64 v[16:17], 2, v[16:17]
	s_and_b32 s18, s0, s8
	v_lshlrev_b64 v[66:67], 2, v[66:67]
	v_add_co_u32 v68, vcc_lo, s16, v16
	v_add_co_ci_u32_e64 v69, null, s17, v17, vcc_lo
	v_add_co_u32 v66, vcc_lo, s10, v66
	v_add_co_ci_u32_e64 v67, null, s11, v67, vcc_lo
	s_and_saveexec_b32 s12, s18
	s_cbranch_execnz .LBB88_95
; %bb.88:
	s_or_b32 exec_lo, exec_lo, s12
	s_and_b32 s18, s1, s8
	s_and_saveexec_b32 s12, s18
	s_cbranch_execnz .LBB88_99
.LBB88_89:
	s_or_b32 exec_lo, exec_lo, s12
	s_and_b32 s18, s2, s8
	s_and_saveexec_b32 s12, s18
	s_cbranch_execnz .LBB88_103
.LBB88_90:
	s_or_b32 exec_lo, exec_lo, s12
	s_and_b32 s18, s3, s8
	s_and_saveexec_b32 s12, s18
	s_cbranch_execnz .LBB88_107
.LBB88_91:
	s_or_b32 exec_lo, exec_lo, s12
	s_and_b32 s18, s4, s8
	s_and_saveexec_b32 s12, s18
	s_cbranch_execnz .LBB88_111
.LBB88_92:
	s_or_b32 exec_lo, exec_lo, s12
	s_and_b32 s18, s5, s8
	s_and_saveexec_b32 s12, s18
	s_cbranch_execnz .LBB88_115
.LBB88_93:
	s_or_b32 exec_lo, exec_lo, s12
	s_and_b32 s18, s6, s8
	s_and_saveexec_b32 s12, s18
	s_cbranch_execnz .LBB88_119
.LBB88_94:
	s_or_b32 exec_lo, exec_lo, s12
	s_and_b32 s12, s7, s8
	s_and_saveexec_b32 s8, s12
	s_cbranch_execnz .LBB88_123
	s_branch .LBB88_127
.LBB88_95:
	v_cmp_ne_u32_e32 vcc_lo, 1, v74
	v_lshlrev_b64 v[16:17], 2, v[0:1]
	s_cbranch_vccnz .LBB88_97
; %bb.96:
	v_add_co_u32 v70, vcc_lo, v68, v16
	v_add_co_ci_u32_e64 v71, null, v69, v17, vcc_lo
	global_load_dword v70, v[70:71], off
	s_waitcnt vmcnt(0)
	v_mul_f32_e32 v70, s15, v70
	s_branch .LBB88_98
.LBB88_97:
	v_mov_b32_e32 v70, 0
.LBB88_98:
	v_add_f32_e32 v64, v64, v65
	v_add_co_u32 v16, vcc_lo, v66, v16
	v_add_co_ci_u32_e64 v17, null, v67, v17, vcc_lo
	v_add_f32_e32 v64, v64, v70
	global_store_dword v[16:17], v64, off
	s_or_b32 exec_lo, exec_lo, s12
	s_and_b32 s18, s1, s8
	s_and_saveexec_b32 s12, s18
	s_cbranch_execz .LBB88_89
.LBB88_99:
	v_cmp_ne_u32_e32 vcc_lo, 1, v74
	v_lshlrev_b64 v[16:17], 2, v[2:3]
	s_cbranch_vccnz .LBB88_101
; %bb.100:
	v_add_co_u32 v64, vcc_lo, v68, v16
	v_add_co_ci_u32_e64 v65, null, v69, v17, vcc_lo
	global_load_dword v64, v[64:65], off
	s_waitcnt vmcnt(0)
	v_mul_f32_e32 v64, s15, v64
	s_branch .LBB88_102
.LBB88_101:
	v_mov_b32_e32 v64, 0
.LBB88_102:
	v_add_f32_e32 v62, v62, v63
	v_add_co_u32 v16, vcc_lo, v66, v16
	v_add_co_ci_u32_e64 v17, null, v67, v17, vcc_lo
	v_add_f32_e32 v62, v62, v64
	global_store_dword v[16:17], v62, off
	s_or_b32 exec_lo, exec_lo, s12
	s_and_b32 s18, s2, s8
	s_and_saveexec_b32 s12, s18
	s_cbranch_execz .LBB88_90
.LBB88_103:
	v_cmp_ne_u32_e32 vcc_lo, 1, v74
	v_lshlrev_b64 v[16:17], 2, v[4:5]
	s_cbranch_vccnz .LBB88_105
; %bb.104:
	v_add_co_u32 v62, vcc_lo, v68, v16
	v_add_co_ci_u32_e64 v63, null, v69, v17, vcc_lo
	global_load_dword v62, v[62:63], off
	s_waitcnt vmcnt(0)
	v_mul_f32_e32 v62, s15, v62
	s_branch .LBB88_106
.LBB88_105:
	v_mov_b32_e32 v62, 0
.LBB88_106:
	v_add_f32_e32 v60, v60, v61
	v_add_co_u32 v16, vcc_lo, v66, v16
	v_add_co_ci_u32_e64 v17, null, v67, v17, vcc_lo
	v_add_f32_e32 v60, v60, v62
	global_store_dword v[16:17], v60, off
	s_or_b32 exec_lo, exec_lo, s12
	s_and_b32 s18, s3, s8
	s_and_saveexec_b32 s12, s18
	s_cbranch_execz .LBB88_91
.LBB88_107:
	v_cmp_ne_u32_e32 vcc_lo, 1, v74
	v_lshlrev_b64 v[16:17], 2, v[6:7]
	s_cbranch_vccnz .LBB88_109
; %bb.108:
	v_add_co_u32 v60, vcc_lo, v68, v16
	v_add_co_ci_u32_e64 v61, null, v69, v17, vcc_lo
	global_load_dword v60, v[60:61], off
	s_waitcnt vmcnt(0)
	v_mul_f32_e32 v60, s15, v60
	s_branch .LBB88_110
.LBB88_109:
	v_mov_b32_e32 v60, 0
.LBB88_110:
	v_add_f32_e32 v58, v58, v59
	v_add_co_u32 v16, vcc_lo, v66, v16
	v_add_co_ci_u32_e64 v17, null, v67, v17, vcc_lo
	v_add_f32_e32 v58, v58, v60
	global_store_dword v[16:17], v58, off
	s_or_b32 exec_lo, exec_lo, s12
	s_and_b32 s18, s4, s8
	s_and_saveexec_b32 s12, s18
	s_cbranch_execz .LBB88_92
.LBB88_111:
	v_cmp_ne_u32_e32 vcc_lo, 1, v74
	v_lshlrev_b64 v[16:17], 2, v[8:9]
	s_cbranch_vccnz .LBB88_113
; %bb.112:
	v_add_co_u32 v58, vcc_lo, v68, v16
	v_add_co_ci_u32_e64 v59, null, v69, v17, vcc_lo
	global_load_dword v58, v[58:59], off
	s_waitcnt vmcnt(0)
	v_mul_f32_e32 v58, s15, v58
	s_branch .LBB88_114
.LBB88_113:
	v_mov_b32_e32 v58, 0
.LBB88_114:
	v_add_f32_e32 v56, v56, v57
	v_add_co_u32 v16, vcc_lo, v66, v16
	v_add_co_ci_u32_e64 v17, null, v67, v17, vcc_lo
	v_add_f32_e32 v56, v56, v58
	global_store_dword v[16:17], v56, off
	s_or_b32 exec_lo, exec_lo, s12
	s_and_b32 s18, s5, s8
	s_and_saveexec_b32 s12, s18
	s_cbranch_execz .LBB88_93
.LBB88_115:
	v_cmp_ne_u32_e32 vcc_lo, 1, v74
	v_lshlrev_b64 v[16:17], 2, v[10:11]
	s_cbranch_vccnz .LBB88_117
; %bb.116:
	v_add_co_u32 v56, vcc_lo, v68, v16
	v_add_co_ci_u32_e64 v57, null, v69, v17, vcc_lo
	global_load_dword v56, v[56:57], off
	s_waitcnt vmcnt(0)
	v_mul_f32_e32 v56, s15, v56
	s_branch .LBB88_118
.LBB88_117:
	v_mov_b32_e32 v56, 0
.LBB88_118:
	v_add_f32_e32 v54, v54, v55
	v_add_co_u32 v16, vcc_lo, v66, v16
	v_add_co_ci_u32_e64 v17, null, v67, v17, vcc_lo
	v_add_f32_e32 v54, v54, v56
	global_store_dword v[16:17], v54, off
	s_or_b32 exec_lo, exec_lo, s12
	s_and_b32 s18, s6, s8
	s_and_saveexec_b32 s12, s18
	s_cbranch_execz .LBB88_94
.LBB88_119:
	v_cmp_ne_u32_e32 vcc_lo, 1, v74
	v_lshlrev_b64 v[16:17], 2, v[12:13]
	s_cbranch_vccnz .LBB88_121
; %bb.120:
	v_add_co_u32 v54, vcc_lo, v68, v16
	v_add_co_ci_u32_e64 v55, null, v69, v17, vcc_lo
	global_load_dword v54, v[54:55], off
	s_waitcnt vmcnt(0)
	v_mul_f32_e32 v54, s15, v54
	s_branch .LBB88_122
.LBB88_121:
	v_mov_b32_e32 v54, 0
.LBB88_122:
	v_add_f32_e32 v52, v52, v53
	v_add_co_u32 v16, vcc_lo, v66, v16
	v_add_co_ci_u32_e64 v17, null, v67, v17, vcc_lo
	v_add_f32_e32 v52, v52, v54
	global_store_dword v[16:17], v52, off
	s_or_b32 exec_lo, exec_lo, s12
	s_and_b32 s12, s7, s8
	s_and_saveexec_b32 s8, s12
	s_cbranch_execz .LBB88_127
.LBB88_123:
	v_cmp_ne_u32_e32 vcc_lo, 1, v74
	v_lshlrev_b64 v[16:17], 2, v[14:15]
	s_cbranch_vccnz .LBB88_125
; %bb.124:
	v_add_co_u32 v52, vcc_lo, v68, v16
	v_add_co_ci_u32_e64 v53, null, v69, v17, vcc_lo
	global_load_dword v52, v[52:53], off
	s_waitcnt vmcnt(0)
	v_mul_f32_e32 v52, s15, v52
	s_branch .LBB88_126
.LBB88_125:
	v_mov_b32_e32 v52, 0
.LBB88_126:
	v_add_f32_e32 v50, v50, v51
	v_add_co_u32 v16, vcc_lo, v66, v16
	v_add_co_ci_u32_e64 v17, null, v67, v17, vcc_lo
	v_add_f32_e32 v50, v50, v52
	global_store_dword v[16:17], v50, off
.LBB88_127:
	s_or_b32 exec_lo, exec_lo, s8
	v_add_nc_u32_e32 v52, 64, v75
	v_mad_i64_i32 v[16:17], null, v52, s14, 0
	v_mad_i64_i32 v[50:51], null, v52, s9, 0
	v_cmp_gt_i32_e64 s8, s13, v52
	v_lshlrev_b64 v[16:17], 2, v[16:17]
	s_and_b32 s18, s0, s8
	v_lshlrev_b64 v[50:51], 2, v[50:51]
	v_add_co_u32 v52, vcc_lo, s16, v16
	v_add_co_ci_u32_e64 v53, null, s17, v17, vcc_lo
	v_add_co_u32 v50, vcc_lo, s10, v50
	v_add_co_ci_u32_e64 v51, null, s11, v51, vcc_lo
	s_and_saveexec_b32 s12, s18
	s_cbranch_execnz .LBB88_135
; %bb.128:
	s_or_b32 exec_lo, exec_lo, s12
	s_and_b32 s18, s1, s8
	s_and_saveexec_b32 s12, s18
	s_cbranch_execnz .LBB88_139
.LBB88_129:
	s_or_b32 exec_lo, exec_lo, s12
	s_and_b32 s18, s2, s8
	s_and_saveexec_b32 s12, s18
	s_cbranch_execnz .LBB88_143
.LBB88_130:
	s_or_b32 exec_lo, exec_lo, s12
	s_and_b32 s18, s3, s8
	s_and_saveexec_b32 s12, s18
	s_cbranch_execnz .LBB88_147
.LBB88_131:
	s_or_b32 exec_lo, exec_lo, s12
	s_and_b32 s18, s4, s8
	s_and_saveexec_b32 s12, s18
	s_cbranch_execnz .LBB88_151
.LBB88_132:
	s_or_b32 exec_lo, exec_lo, s12
	s_and_b32 s18, s5, s8
	s_and_saveexec_b32 s12, s18
	s_cbranch_execnz .LBB88_155
.LBB88_133:
	s_or_b32 exec_lo, exec_lo, s12
	s_and_b32 s18, s6, s8
	s_and_saveexec_b32 s12, s18
	s_cbranch_execnz .LBB88_159
.LBB88_134:
	s_or_b32 exec_lo, exec_lo, s12
	s_and_b32 s12, s7, s8
	s_and_saveexec_b32 s8, s12
	s_cbranch_execnz .LBB88_163
	s_branch .LBB88_167
.LBB88_135:
	v_cmp_ne_u32_e32 vcc_lo, 1, v74
	v_lshlrev_b64 v[16:17], 2, v[0:1]
	s_cbranch_vccnz .LBB88_137
; %bb.136:
	v_add_co_u32 v54, vcc_lo, v52, v16
	v_add_co_ci_u32_e64 v55, null, v53, v17, vcc_lo
	global_load_dword v54, v[54:55], off
	s_waitcnt vmcnt(0)
	v_mul_f32_e32 v54, s15, v54
	s_branch .LBB88_138
.LBB88_137:
	v_mov_b32_e32 v54, 0
.LBB88_138:
	v_add_f32_e32 v48, v48, v49
	v_add_co_u32 v16, vcc_lo, v50, v16
	v_add_co_ci_u32_e64 v17, null, v51, v17, vcc_lo
	v_add_f32_e32 v48, v48, v54
	global_store_dword v[16:17], v48, off
	s_or_b32 exec_lo, exec_lo, s12
	s_and_b32 s18, s1, s8
	s_and_saveexec_b32 s12, s18
	s_cbranch_execz .LBB88_129
.LBB88_139:
	v_cmp_ne_u32_e32 vcc_lo, 1, v74
	v_lshlrev_b64 v[16:17], 2, v[2:3]
	s_cbranch_vccnz .LBB88_141
; %bb.140:
	v_add_co_u32 v48, vcc_lo, v52, v16
	v_add_co_ci_u32_e64 v49, null, v53, v17, vcc_lo
	global_load_dword v48, v[48:49], off
	s_waitcnt vmcnt(0)
	v_mul_f32_e32 v48, s15, v48
	s_branch .LBB88_142
.LBB88_141:
	v_mov_b32_e32 v48, 0
.LBB88_142:
	v_add_f32_e32 v46, v46, v47
	v_add_co_u32 v16, vcc_lo, v50, v16
	v_add_co_ci_u32_e64 v17, null, v51, v17, vcc_lo
	v_add_f32_e32 v46, v46, v48
	global_store_dword v[16:17], v46, off
	s_or_b32 exec_lo, exec_lo, s12
	s_and_b32 s18, s2, s8
	s_and_saveexec_b32 s12, s18
	s_cbranch_execz .LBB88_130
.LBB88_143:
	v_cmp_ne_u32_e32 vcc_lo, 1, v74
	v_lshlrev_b64 v[16:17], 2, v[4:5]
	s_cbranch_vccnz .LBB88_145
; %bb.144:
	v_add_co_u32 v46, vcc_lo, v52, v16
	v_add_co_ci_u32_e64 v47, null, v53, v17, vcc_lo
	global_load_dword v46, v[46:47], off
	s_waitcnt vmcnt(0)
	v_mul_f32_e32 v46, s15, v46
	s_branch .LBB88_146
.LBB88_145:
	v_mov_b32_e32 v46, 0
.LBB88_146:
	v_add_f32_e32 v44, v44, v45
	v_add_co_u32 v16, vcc_lo, v50, v16
	v_add_co_ci_u32_e64 v17, null, v51, v17, vcc_lo
	v_add_f32_e32 v44, v44, v46
	global_store_dword v[16:17], v44, off
	s_or_b32 exec_lo, exec_lo, s12
	s_and_b32 s18, s3, s8
	s_and_saveexec_b32 s12, s18
	s_cbranch_execz .LBB88_131
.LBB88_147:
	v_cmp_ne_u32_e32 vcc_lo, 1, v74
	v_lshlrev_b64 v[16:17], 2, v[6:7]
	s_cbranch_vccnz .LBB88_149
; %bb.148:
	v_add_co_u32 v44, vcc_lo, v52, v16
	v_add_co_ci_u32_e64 v45, null, v53, v17, vcc_lo
	global_load_dword v44, v[44:45], off
	s_waitcnt vmcnt(0)
	v_mul_f32_e32 v44, s15, v44
	s_branch .LBB88_150
.LBB88_149:
	v_mov_b32_e32 v44, 0
.LBB88_150:
	v_add_f32_e32 v42, v42, v43
	v_add_co_u32 v16, vcc_lo, v50, v16
	v_add_co_ci_u32_e64 v17, null, v51, v17, vcc_lo
	v_add_f32_e32 v42, v42, v44
	global_store_dword v[16:17], v42, off
	s_or_b32 exec_lo, exec_lo, s12
	s_and_b32 s18, s4, s8
	s_and_saveexec_b32 s12, s18
	s_cbranch_execz .LBB88_132
.LBB88_151:
	v_cmp_ne_u32_e32 vcc_lo, 1, v74
	v_lshlrev_b64 v[16:17], 2, v[8:9]
	s_cbranch_vccnz .LBB88_153
; %bb.152:
	v_add_co_u32 v42, vcc_lo, v52, v16
	v_add_co_ci_u32_e64 v43, null, v53, v17, vcc_lo
	global_load_dword v42, v[42:43], off
	s_waitcnt vmcnt(0)
	v_mul_f32_e32 v42, s15, v42
	s_branch .LBB88_154
.LBB88_153:
	v_mov_b32_e32 v42, 0
.LBB88_154:
	v_add_f32_e32 v40, v40, v41
	v_add_co_u32 v16, vcc_lo, v50, v16
	v_add_co_ci_u32_e64 v17, null, v51, v17, vcc_lo
	v_add_f32_e32 v40, v40, v42
	global_store_dword v[16:17], v40, off
	s_or_b32 exec_lo, exec_lo, s12
	s_and_b32 s18, s5, s8
	s_and_saveexec_b32 s12, s18
	s_cbranch_execz .LBB88_133
.LBB88_155:
	v_cmp_ne_u32_e32 vcc_lo, 1, v74
	v_lshlrev_b64 v[16:17], 2, v[10:11]
	s_cbranch_vccnz .LBB88_157
; %bb.156:
	v_add_co_u32 v40, vcc_lo, v52, v16
	v_add_co_ci_u32_e64 v41, null, v53, v17, vcc_lo
	global_load_dword v40, v[40:41], off
	s_waitcnt vmcnt(0)
	v_mul_f32_e32 v40, s15, v40
	s_branch .LBB88_158
.LBB88_157:
	v_mov_b32_e32 v40, 0
.LBB88_158:
	v_add_f32_e32 v38, v38, v39
	v_add_co_u32 v16, vcc_lo, v50, v16
	v_add_co_ci_u32_e64 v17, null, v51, v17, vcc_lo
	v_add_f32_e32 v38, v38, v40
	global_store_dword v[16:17], v38, off
	s_or_b32 exec_lo, exec_lo, s12
	s_and_b32 s18, s6, s8
	s_and_saveexec_b32 s12, s18
	s_cbranch_execz .LBB88_134
.LBB88_159:
	v_cmp_ne_u32_e32 vcc_lo, 1, v74
	v_lshlrev_b64 v[16:17], 2, v[12:13]
	s_cbranch_vccnz .LBB88_161
; %bb.160:
	v_add_co_u32 v38, vcc_lo, v52, v16
	v_add_co_ci_u32_e64 v39, null, v53, v17, vcc_lo
	global_load_dword v38, v[38:39], off
	s_waitcnt vmcnt(0)
	v_mul_f32_e32 v38, s15, v38
	s_branch .LBB88_162
.LBB88_161:
	v_mov_b32_e32 v38, 0
.LBB88_162:
	v_add_f32_e32 v36, v36, v37
	v_add_co_u32 v16, vcc_lo, v50, v16
	v_add_co_ci_u32_e64 v17, null, v51, v17, vcc_lo
	v_add_f32_e32 v36, v36, v38
	global_store_dword v[16:17], v36, off
	s_or_b32 exec_lo, exec_lo, s12
	s_and_b32 s12, s7, s8
	s_and_saveexec_b32 s8, s12
	s_cbranch_execz .LBB88_167
.LBB88_163:
	v_cmp_ne_u32_e32 vcc_lo, 1, v74
	v_lshlrev_b64 v[16:17], 2, v[14:15]
	s_cbranch_vccnz .LBB88_165
; %bb.164:
	v_add_co_u32 v36, vcc_lo, v52, v16
	v_add_co_ci_u32_e64 v37, null, v53, v17, vcc_lo
	global_load_dword v36, v[36:37], off
	s_waitcnt vmcnt(0)
	v_mul_f32_e32 v36, s15, v36
	s_branch .LBB88_166
.LBB88_165:
	v_mov_b32_e32 v36, 0
.LBB88_166:
	v_add_f32_e32 v34, v34, v35
	v_add_co_u32 v16, vcc_lo, v50, v16
	v_add_co_ci_u32_e64 v17, null, v51, v17, vcc_lo
	v_add_f32_e32 v34, v34, v36
	global_store_dword v[16:17], v34, off
.LBB88_167:
	s_or_b32 exec_lo, exec_lo, s8
	v_add_nc_u32_e32 v36, 0x60, v75
	v_mad_i64_i32 v[16:17], null, v36, s14, 0
	v_mad_i64_i32 v[34:35], null, v36, s9, 0
	v_cmp_gt_i32_e64 s8, s13, v36
	v_lshlrev_b64 v[16:17], 2, v[16:17]
	s_and_b32 s9, s0, s8
	v_lshlrev_b64 v[36:37], 2, v[34:35]
	v_add_co_u32 v34, vcc_lo, s16, v16
	v_add_co_ci_u32_e64 v35, null, s17, v17, vcc_lo
	v_add_co_u32 v16, vcc_lo, s10, v36
	v_add_co_ci_u32_e64 v17, null, s11, v37, vcc_lo
	s_and_saveexec_b32 s0, s9
	s_cbranch_execnz .LBB88_176
; %bb.168:
	s_or_b32 exec_lo, exec_lo, s0
	s_and_b32 s1, s1, s8
	s_and_saveexec_b32 s0, s1
	s_cbranch_execnz .LBB88_180
.LBB88_169:
	s_or_b32 exec_lo, exec_lo, s0
	s_and_b32 s1, s2, s8
	s_and_saveexec_b32 s0, s1
	s_cbranch_execnz .LBB88_184
.LBB88_170:
	s_or_b32 exec_lo, exec_lo, s0
	s_and_b32 s1, s3, s8
	s_and_saveexec_b32 s0, s1
	s_cbranch_execnz .LBB88_188
.LBB88_171:
	s_or_b32 exec_lo, exec_lo, s0
	s_and_b32 s1, s4, s8
	s_and_saveexec_b32 s0, s1
	s_cbranch_execnz .LBB88_192
.LBB88_172:
	s_or_b32 exec_lo, exec_lo, s0
	s_and_b32 s1, s5, s8
	s_and_saveexec_b32 s0, s1
	s_cbranch_execnz .LBB88_196
.LBB88_173:
	s_or_b32 exec_lo, exec_lo, s0
	s_and_b32 s1, s6, s8
	s_and_saveexec_b32 s0, s1
	s_cbranch_execnz .LBB88_200
.LBB88_174:
	s_or_b32 exec_lo, exec_lo, s0
	s_and_b32 s0, s7, s8
	s_and_saveexec_b32 s1, s0
	s_cbranch_execnz .LBB88_204
.LBB88_175:
	s_endpgm
.LBB88_176:
	v_cmp_ne_u32_e32 vcc_lo, 1, v74
	v_lshlrev_b64 v[0:1], 2, v[0:1]
	s_cbranch_vccnz .LBB88_178
; %bb.177:
	v_add_co_u32 v36, vcc_lo, v34, v0
	v_add_co_ci_u32_e64 v37, null, v35, v1, vcc_lo
	global_load_dword v36, v[36:37], off
	s_waitcnt vmcnt(0)
	v_mul_f32_e32 v36, s15, v36
	s_branch .LBB88_179
.LBB88_178:
	v_mov_b32_e32 v36, 0
.LBB88_179:
	v_add_f32_e32 v32, v32, v33
	v_add_co_u32 v0, vcc_lo, v16, v0
	v_add_co_ci_u32_e64 v1, null, v17, v1, vcc_lo
	v_add_f32_e32 v32, v32, v36
	global_store_dword v[0:1], v32, off
	s_or_b32 exec_lo, exec_lo, s0
	s_and_b32 s1, s1, s8
	s_and_saveexec_b32 s0, s1
	s_cbranch_execz .LBB88_169
.LBB88_180:
	v_cmp_ne_u32_e32 vcc_lo, 1, v74
	v_lshlrev_b64 v[0:1], 2, v[2:3]
	s_cbranch_vccnz .LBB88_182
; %bb.181:
	v_add_co_u32 v2, vcc_lo, v34, v0
	v_add_co_ci_u32_e64 v3, null, v35, v1, vcc_lo
	global_load_dword v2, v[2:3], off
	s_waitcnt vmcnt(0)
	v_mul_f32_e32 v2, s15, v2
	s_branch .LBB88_183
.LBB88_182:
	v_mov_b32_e32 v2, 0
.LBB88_183:
	v_add_f32_e32 v3, v30, v31
	v_add_co_u32 v0, vcc_lo, v16, v0
	v_add_co_ci_u32_e64 v1, null, v17, v1, vcc_lo
	v_add_f32_e32 v2, v3, v2
	global_store_dword v[0:1], v2, off
	s_or_b32 exec_lo, exec_lo, s0
	s_and_b32 s1, s2, s8
	s_and_saveexec_b32 s0, s1
	s_cbranch_execz .LBB88_170
.LBB88_184:
	v_cmp_ne_u32_e32 vcc_lo, 1, v74
	v_lshlrev_b64 v[0:1], 2, v[4:5]
	s_cbranch_vccnz .LBB88_186
; %bb.185:
	v_add_co_u32 v2, vcc_lo, v34, v0
	v_add_co_ci_u32_e64 v3, null, v35, v1, vcc_lo
	global_load_dword v2, v[2:3], off
	s_waitcnt vmcnt(0)
	v_mul_f32_e32 v2, s15, v2
	s_branch .LBB88_187
.LBB88_186:
	v_mov_b32_e32 v2, 0
.LBB88_187:
	v_add_f32_e32 v3, v28, v29
	v_add_co_u32 v0, vcc_lo, v16, v0
	v_add_co_ci_u32_e64 v1, null, v17, v1, vcc_lo
	v_add_f32_e32 v2, v3, v2
	global_store_dword v[0:1], v2, off
	s_or_b32 exec_lo, exec_lo, s0
	s_and_b32 s1, s3, s8
	s_and_saveexec_b32 s0, s1
	s_cbranch_execz .LBB88_171
.LBB88_188:
	v_cmp_ne_u32_e32 vcc_lo, 1, v74
	v_lshlrev_b64 v[0:1], 2, v[6:7]
	s_cbranch_vccnz .LBB88_190
; %bb.189:
	v_add_co_u32 v2, vcc_lo, v34, v0
	v_add_co_ci_u32_e64 v3, null, v35, v1, vcc_lo
	global_load_dword v2, v[2:3], off
	s_waitcnt vmcnt(0)
	v_mul_f32_e32 v2, s15, v2
	s_branch .LBB88_191
.LBB88_190:
	v_mov_b32_e32 v2, 0
.LBB88_191:
	v_add_f32_e32 v3, v26, v27
	v_add_co_u32 v0, vcc_lo, v16, v0
	v_add_co_ci_u32_e64 v1, null, v17, v1, vcc_lo
	v_add_f32_e32 v2, v3, v2
	global_store_dword v[0:1], v2, off
	s_or_b32 exec_lo, exec_lo, s0
	s_and_b32 s1, s4, s8
	s_and_saveexec_b32 s0, s1
	s_cbranch_execz .LBB88_172
.LBB88_192:
	v_cmp_ne_u32_e32 vcc_lo, 1, v74
	v_lshlrev_b64 v[0:1], 2, v[8:9]
	s_cbranch_vccnz .LBB88_194
; %bb.193:
	v_add_co_u32 v2, vcc_lo, v34, v0
	v_add_co_ci_u32_e64 v3, null, v35, v1, vcc_lo
	global_load_dword v2, v[2:3], off
	s_waitcnt vmcnt(0)
	v_mul_f32_e32 v2, s15, v2
	s_branch .LBB88_195
.LBB88_194:
	v_mov_b32_e32 v2, 0
.LBB88_195:
	v_add_f32_e32 v3, v24, v25
	v_add_co_u32 v0, vcc_lo, v16, v0
	v_add_co_ci_u32_e64 v1, null, v17, v1, vcc_lo
	v_add_f32_e32 v2, v3, v2
	global_store_dword v[0:1], v2, off
	s_or_b32 exec_lo, exec_lo, s0
	s_and_b32 s1, s5, s8
	s_and_saveexec_b32 s0, s1
	s_cbranch_execz .LBB88_173
.LBB88_196:
	v_cmp_ne_u32_e32 vcc_lo, 1, v74
	v_lshlrev_b64 v[0:1], 2, v[10:11]
	s_cbranch_vccnz .LBB88_198
; %bb.197:
	v_add_co_u32 v2, vcc_lo, v34, v0
	v_add_co_ci_u32_e64 v3, null, v35, v1, vcc_lo
	global_load_dword v2, v[2:3], off
	s_waitcnt vmcnt(0)
	v_mul_f32_e32 v2, s15, v2
	s_branch .LBB88_199
.LBB88_198:
	v_mov_b32_e32 v2, 0
.LBB88_199:
	v_add_f32_e32 v3, v22, v23
	v_add_co_u32 v0, vcc_lo, v16, v0
	v_add_co_ci_u32_e64 v1, null, v17, v1, vcc_lo
	v_add_f32_e32 v2, v3, v2
	global_store_dword v[0:1], v2, off
	s_or_b32 exec_lo, exec_lo, s0
	s_and_b32 s1, s6, s8
	s_and_saveexec_b32 s0, s1
	s_cbranch_execz .LBB88_174
.LBB88_200:
	v_cmp_ne_u32_e32 vcc_lo, 1, v74
	v_lshlrev_b64 v[0:1], 2, v[12:13]
	s_cbranch_vccnz .LBB88_202
; %bb.201:
	v_add_co_u32 v2, vcc_lo, v34, v0
	v_add_co_ci_u32_e64 v3, null, v35, v1, vcc_lo
	global_load_dword v2, v[2:3], off
	s_waitcnt vmcnt(0)
	v_mul_f32_e32 v2, s15, v2
	s_branch .LBB88_203
.LBB88_202:
	v_mov_b32_e32 v2, 0
.LBB88_203:
	v_add_f32_e32 v3, v20, v21
	v_add_co_u32 v0, vcc_lo, v16, v0
	v_add_co_ci_u32_e64 v1, null, v17, v1, vcc_lo
	v_add_f32_e32 v2, v3, v2
	global_store_dword v[0:1], v2, off
	s_or_b32 exec_lo, exec_lo, s0
	s_and_b32 s0, s7, s8
	s_and_saveexec_b32 s1, s0
	s_cbranch_execz .LBB88_175
.LBB88_204:
	v_cmp_ne_u32_e32 vcc_lo, 1, v74
	v_lshlrev_b64 v[0:1], 2, v[14:15]
	s_cbranch_vccnz .LBB88_206
; %bb.205:
	v_add_co_u32 v2, vcc_lo, v34, v0
	v_add_co_ci_u32_e64 v3, null, v35, v1, vcc_lo
	global_load_dword v2, v[2:3], off
	s_waitcnt vmcnt(0)
	v_mul_f32_e32 v2, s15, v2
	s_branch .LBB88_207
.LBB88_206:
	v_mov_b32_e32 v2, 0
.LBB88_207:
	v_add_f32_e32 v3, v18, v19
	v_add_co_u32 v0, vcc_lo, v16, v0
	v_add_co_ci_u32_e64 v1, null, v17, v1, vcc_lo
	v_add_f32_e32 v2, v3, v2
	global_store_dword v[0:1], v2, off
	s_endpgm
	.section	.rodata,"a",@progbits
	.p2align	6, 0x0
	.amdhsa_kernel _ZN12_GLOBAL__N_120geam_min_plus_kernelIf15HIP_vector_typeIfLj2EES2_Li8ELi32ELi64ELi128ELi4ELi4ELi64ELi4ELi64ELc84ELc78ELb1ELb1ELb0EfKffEEviiiT16_PT17_ilS6_ilS4_S6_ilPT18_ili26rocblas_geam_ex_operation_
		.amdhsa_group_segment_fixed_size 6144
		.amdhsa_private_segment_fixed_size 0
		.amdhsa_kernarg_size 128
		.amdhsa_user_sgpr_count 6
		.amdhsa_user_sgpr_private_segment_buffer 1
		.amdhsa_user_sgpr_dispatch_ptr 0
		.amdhsa_user_sgpr_queue_ptr 0
		.amdhsa_user_sgpr_kernarg_segment_ptr 1
		.amdhsa_user_sgpr_dispatch_id 0
		.amdhsa_user_sgpr_flat_scratch_init 0
		.amdhsa_user_sgpr_private_segment_size 0
		.amdhsa_wavefront_size32 1
		.amdhsa_uses_dynamic_stack 0
		.amdhsa_system_sgpr_private_segment_wavefront_offset 0
		.amdhsa_system_sgpr_workgroup_id_x 1
		.amdhsa_system_sgpr_workgroup_id_y 0
		.amdhsa_system_sgpr_workgroup_id_z 1
		.amdhsa_system_sgpr_workgroup_info 0
		.amdhsa_system_vgpr_workitem_id 1
		.amdhsa_next_free_vgpr 116
		.amdhsa_next_free_sgpr 25
		.amdhsa_reserve_vcc 1
		.amdhsa_reserve_flat_scratch 0
		.amdhsa_float_round_mode_32 0
		.amdhsa_float_round_mode_16_64 0
		.amdhsa_float_denorm_mode_32 3
		.amdhsa_float_denorm_mode_16_64 3
		.amdhsa_dx10_clamp 1
		.amdhsa_ieee_mode 1
		.amdhsa_fp16_overflow 0
		.amdhsa_workgroup_processor_mode 1
		.amdhsa_memory_ordered 1
		.amdhsa_forward_progress 1
		.amdhsa_shared_vgpr_count 0
		.amdhsa_exception_fp_ieee_invalid_op 0
		.amdhsa_exception_fp_denorm_src 0
		.amdhsa_exception_fp_ieee_div_zero 0
		.amdhsa_exception_fp_ieee_overflow 0
		.amdhsa_exception_fp_ieee_underflow 0
		.amdhsa_exception_fp_ieee_inexact 0
		.amdhsa_exception_int_div_zero 0
	.end_amdhsa_kernel
	.section	.text._ZN12_GLOBAL__N_120geam_min_plus_kernelIf15HIP_vector_typeIfLj2EES2_Li8ELi32ELi64ELi128ELi4ELi4ELi64ELi4ELi64ELc84ELc78ELb1ELb1ELb0EfKffEEviiiT16_PT17_ilS6_ilS4_S6_ilPT18_ili26rocblas_geam_ex_operation_,"axG",@progbits,_ZN12_GLOBAL__N_120geam_min_plus_kernelIf15HIP_vector_typeIfLj2EES2_Li8ELi32ELi64ELi128ELi4ELi4ELi64ELi4ELi64ELc84ELc78ELb1ELb1ELb0EfKffEEviiiT16_PT17_ilS6_ilS4_S6_ilPT18_ili26rocblas_geam_ex_operation_,comdat
.Lfunc_end88:
	.size	_ZN12_GLOBAL__N_120geam_min_plus_kernelIf15HIP_vector_typeIfLj2EES2_Li8ELi32ELi64ELi128ELi4ELi4ELi64ELi4ELi64ELc84ELc78ELb1ELb1ELb0EfKffEEviiiT16_PT17_ilS6_ilS4_S6_ilPT18_ili26rocblas_geam_ex_operation_, .Lfunc_end88-_ZN12_GLOBAL__N_120geam_min_plus_kernelIf15HIP_vector_typeIfLj2EES2_Li8ELi32ELi64ELi128ELi4ELi4ELi64ELi4ELi64ELc84ELc78ELb1ELb1ELb0EfKffEEviiiT16_PT17_ilS6_ilS4_S6_ilPT18_ili26rocblas_geam_ex_operation_
                                        ; -- End function
	.set _ZN12_GLOBAL__N_120geam_min_plus_kernelIf15HIP_vector_typeIfLj2EES2_Li8ELi32ELi64ELi128ELi4ELi4ELi64ELi4ELi64ELc84ELc78ELb1ELb1ELb0EfKffEEviiiT16_PT17_ilS6_ilS4_S6_ilPT18_ili26rocblas_geam_ex_operation_.num_vgpr, 116
	.set _ZN12_GLOBAL__N_120geam_min_plus_kernelIf15HIP_vector_typeIfLj2EES2_Li8ELi32ELi64ELi128ELi4ELi4ELi64ELi4ELi64ELc84ELc78ELb1ELb1ELb0EfKffEEviiiT16_PT17_ilS6_ilS4_S6_ilPT18_ili26rocblas_geam_ex_operation_.num_agpr, 0
	.set _ZN12_GLOBAL__N_120geam_min_plus_kernelIf15HIP_vector_typeIfLj2EES2_Li8ELi32ELi64ELi128ELi4ELi4ELi64ELi4ELi64ELc84ELc78ELb1ELb1ELb0EfKffEEviiiT16_PT17_ilS6_ilS4_S6_ilPT18_ili26rocblas_geam_ex_operation_.numbered_sgpr, 25
	.set _ZN12_GLOBAL__N_120geam_min_plus_kernelIf15HIP_vector_typeIfLj2EES2_Li8ELi32ELi64ELi128ELi4ELi4ELi64ELi4ELi64ELc84ELc78ELb1ELb1ELb0EfKffEEviiiT16_PT17_ilS6_ilS4_S6_ilPT18_ili26rocblas_geam_ex_operation_.num_named_barrier, 0
	.set _ZN12_GLOBAL__N_120geam_min_plus_kernelIf15HIP_vector_typeIfLj2EES2_Li8ELi32ELi64ELi128ELi4ELi4ELi64ELi4ELi64ELc84ELc78ELb1ELb1ELb0EfKffEEviiiT16_PT17_ilS6_ilS4_S6_ilPT18_ili26rocblas_geam_ex_operation_.private_seg_size, 0
	.set _ZN12_GLOBAL__N_120geam_min_plus_kernelIf15HIP_vector_typeIfLj2EES2_Li8ELi32ELi64ELi128ELi4ELi4ELi64ELi4ELi64ELc84ELc78ELb1ELb1ELb0EfKffEEviiiT16_PT17_ilS6_ilS4_S6_ilPT18_ili26rocblas_geam_ex_operation_.uses_vcc, 1
	.set _ZN12_GLOBAL__N_120geam_min_plus_kernelIf15HIP_vector_typeIfLj2EES2_Li8ELi32ELi64ELi128ELi4ELi4ELi64ELi4ELi64ELc84ELc78ELb1ELb1ELb0EfKffEEviiiT16_PT17_ilS6_ilS4_S6_ilPT18_ili26rocblas_geam_ex_operation_.uses_flat_scratch, 0
	.set _ZN12_GLOBAL__N_120geam_min_plus_kernelIf15HIP_vector_typeIfLj2EES2_Li8ELi32ELi64ELi128ELi4ELi4ELi64ELi4ELi64ELc84ELc78ELb1ELb1ELb0EfKffEEviiiT16_PT17_ilS6_ilS4_S6_ilPT18_ili26rocblas_geam_ex_operation_.has_dyn_sized_stack, 0
	.set _ZN12_GLOBAL__N_120geam_min_plus_kernelIf15HIP_vector_typeIfLj2EES2_Li8ELi32ELi64ELi128ELi4ELi4ELi64ELi4ELi64ELc84ELc78ELb1ELb1ELb0EfKffEEviiiT16_PT17_ilS6_ilS4_S6_ilPT18_ili26rocblas_geam_ex_operation_.has_recursion, 0
	.set _ZN12_GLOBAL__N_120geam_min_plus_kernelIf15HIP_vector_typeIfLj2EES2_Li8ELi32ELi64ELi128ELi4ELi4ELi64ELi4ELi64ELc84ELc78ELb1ELb1ELb0EfKffEEviiiT16_PT17_ilS6_ilS4_S6_ilPT18_ili26rocblas_geam_ex_operation_.has_indirect_call, 0
	.section	.AMDGPU.csdata,"",@progbits
; Kernel info:
; codeLenInByte = 8876
; TotalNumSgprs: 27
; NumVgprs: 116
; ScratchSize: 0
; MemoryBound: 0
; FloatMode: 240
; IeeeMode: 1
; LDSByteSize: 6144 bytes/workgroup (compile time only)
; SGPRBlocks: 0
; VGPRBlocks: 14
; NumSGPRsForWavesPerEU: 27
; NumVGPRsForWavesPerEU: 116
; Occupancy: 8
; WaveLimiterHint : 0
; COMPUTE_PGM_RSRC2:SCRATCH_EN: 0
; COMPUTE_PGM_RSRC2:USER_SGPR: 6
; COMPUTE_PGM_RSRC2:TRAP_HANDLER: 0
; COMPUTE_PGM_RSRC2:TGID_X_EN: 1
; COMPUTE_PGM_RSRC2:TGID_Y_EN: 0
; COMPUTE_PGM_RSRC2:TGID_Z_EN: 1
; COMPUTE_PGM_RSRC2:TIDIG_COMP_CNT: 1
	.section	.text._ZN12_GLOBAL__N_120geam_min_plus_kernelIf15HIP_vector_typeIfLj2EES2_Li8ELi32ELi64ELi128ELi4ELi4ELi64ELi4ELi64ELc84ELc78ELb0ELb1ELb0EfKffEEviiiT16_PT17_ilS6_ilS4_S6_ilPT18_ili26rocblas_geam_ex_operation_,"axG",@progbits,_ZN12_GLOBAL__N_120geam_min_plus_kernelIf15HIP_vector_typeIfLj2EES2_Li8ELi32ELi64ELi128ELi4ELi4ELi64ELi4ELi64ELc84ELc78ELb0ELb1ELb0EfKffEEviiiT16_PT17_ilS6_ilS4_S6_ilPT18_ili26rocblas_geam_ex_operation_,comdat
	.globl	_ZN12_GLOBAL__N_120geam_min_plus_kernelIf15HIP_vector_typeIfLj2EES2_Li8ELi32ELi64ELi128ELi4ELi4ELi64ELi4ELi64ELc84ELc78ELb0ELb1ELb0EfKffEEviiiT16_PT17_ilS6_ilS4_S6_ilPT18_ili26rocblas_geam_ex_operation_ ; -- Begin function _ZN12_GLOBAL__N_120geam_min_plus_kernelIf15HIP_vector_typeIfLj2EES2_Li8ELi32ELi64ELi128ELi4ELi4ELi64ELi4ELi64ELc84ELc78ELb0ELb1ELb0EfKffEEviiiT16_PT17_ilS6_ilS4_S6_ilPT18_ili26rocblas_geam_ex_operation_
	.p2align	8
	.type	_ZN12_GLOBAL__N_120geam_min_plus_kernelIf15HIP_vector_typeIfLj2EES2_Li8ELi32ELi64ELi128ELi4ELi4ELi64ELi4ELi64ELc84ELc78ELb0ELb1ELb0EfKffEEviiiT16_PT17_ilS6_ilS4_S6_ilPT18_ili26rocblas_geam_ex_operation_,@function
_ZN12_GLOBAL__N_120geam_min_plus_kernelIf15HIP_vector_typeIfLj2EES2_Li8ELi32ELi64ELi128ELi4ELi4ELi64ELi4ELi64ELc84ELc78ELb0ELb1ELb0EfKffEEviiiT16_PT17_ilS6_ilS4_S6_ilPT18_ili26rocblas_geam_ex_operation_: ; @_ZN12_GLOBAL__N_120geam_min_plus_kernelIf15HIP_vector_typeIfLj2EES2_Li8ELi32ELi64ELi128ELi4ELi4ELi64ELi4ELi64ELc84ELc78ELb0ELb1ELb0EfKffEEviiiT16_PT17_ilS6_ilS4_S6_ilPT18_ili26rocblas_geam_ex_operation_
; %bb.0:
	s_clause 0x1
	s_load_dwordx4 s[12:15], s[4:5], 0x0
	s_load_dwordx4 s[0:3], s[4:5], 0x20
	s_waitcnt lgkmcnt(0)
	v_cmp_eq_f32_e64 s8, s15, 0
	v_cmp_neq_f32_e64 s23, s15, 0
	s_and_b32 vcc_lo, exec_lo, s8
	s_cbranch_vccnz .LBB89_45
; %bb.1:
	s_load_dwordx2 s[10:11], s[4:5], 0x10
	s_mul_i32 s1, s1, s7
	s_mul_hi_u32 s9, s0, s7
	s_mul_i32 s0, s0, s7
	s_add_i32 s1, s9, s1
	s_lshl_b64 s[0:1], s[0:1], 2
	s_waitcnt lgkmcnt(0)
	s_add_u32 s20, s10, s0
	s_addc_u32 s21, s11, s1
	s_andn2_b32 vcc_lo, exec_lo, s8
	s_mov_b32 s0, -1
	s_cbranch_vccnz .LBB89_3
.LBB89_2:
	s_mov_b32 s0, 0
.LBB89_3:
	s_mov_b64 s[16:17], 0
	s_andn2_b32 vcc_lo, exec_lo, s0
	s_mov_b64 s[18:19], 0
	s_cbranch_vccnz .LBB89_5
; %bb.4:
	s_load_dwordx2 s[0:1], s[4:5], 0x38
	s_waitcnt lgkmcnt(0)
	s_mul_i32 s1, s1, s7
	s_mul_hi_u32 s8, s0, s7
	s_mul_i32 s0, s0, s7
	s_add_i32 s1, s8, s1
	s_lshl_b64 s[0:1], s[0:1], 2
	s_add_u32 s18, s2, s0
	s_addc_u32 s19, s3, s1
.LBB89_5:
	s_clause 0x1
	s_load_dword s22, s[4:5], 0x40
	s_load_dwordx4 s[8:11], s[4:5], 0x58
	s_waitcnt lgkmcnt(0)
	v_cmp_eq_f32_e64 s0, s22, 0
	v_cmp_neq_f32_e64 s3, s22, 0
	s_and_b32 vcc_lo, exec_lo, s0
	s_cbranch_vccnz .LBB89_7
; %bb.6:
	s_load_dwordx2 s[0:1], s[4:5], 0x48
	s_mul_i32 s2, s9, s7
	s_mul_hi_u32 s9, s8, s7
	s_mul_i32 s8, s8, s7
	s_add_i32 s9, s9, s2
	s_lshl_b64 s[8:9], s[8:9], 2
	s_waitcnt lgkmcnt(0)
	s_add_u32 s16, s0, s8
	s_addc_u32 s17, s1, s9
.LBB89_7:
	s_add_i32 s0, s12, -1
	s_load_dword s25, s[4:5], 0x18
	s_ashr_i32 s1, s0, 31
	v_and_b32_e32 v72, 3, v0
	s_lshr_b32 s1, s1, 26
	v_mov_b32_e32 v8, 0
	s_add_i32 s0, s0, s1
	v_mov_b32_e32 v9, 0
	s_ashr_i32 s0, s0, 6
	v_cmp_gt_i32_e32 vcc_lo, s14, v72
	s_add_i32 s2, s0, 1
	s_not_b32 s0, s0
	v_cvt_f32_u32_e32 v2, s2
	v_lshlrev_b32_e32 v4, 2, v72
	v_rcp_iflag_f32_e32 v2, v2
	v_mul_f32_e32 v2, 0x4f7ffffe, v2
	v_cvt_u32_f32_e32 v2, v2
	v_readfirstlane_b32 s1, v2
	v_lshl_add_u32 v2, v1, 3, v0
	s_mul_i32 s0, s0, s1
	v_lshrrev_b32_e32 v3, 2, v2
	s_mul_hi_u32 s0, s1, s0
	s_add_i32 s1, s1, s0
	s_mul_hi_u32 s0, s6, s1
	s_mul_i32 s1, s0, s2
	s_add_i32 s8, s0, 1
	s_sub_i32 s1, s6, s1
	s_sub_i32 s9, s1, s2
	s_cmp_ge_u32 s1, s2
	s_cselect_b32 s0, s8, s0
	s_cselect_b32 s1, s9, s1
	s_add_i32 s8, s0, 1
	s_cmp_ge_u32 s1, s2
	s_cselect_b32 s1, s8, s0
	s_mul_i32 s0, s1, s2
	s_sub_i32 s0, s6, s0
	s_lshl_b32 s6, s0, 6
	v_add_nc_u32_e32 v2, s6, v3
	v_cmp_gt_i32_e64 s0, s12, v2
	s_and_b32 s2, vcc_lo, s0
	s_and_b32 s8, s23, s2
	s_and_saveexec_b32 s2, s8
	s_cbranch_execz .LBB89_9
; %bb.8:
	s_waitcnt lgkmcnt(0)
	v_mad_i64_i32 v[5:6], null, v2, s25, 0
	v_lshlrev_b64 v[5:6], 2, v[5:6]
	v_add_co_u32 v5, vcc_lo, s20, v5
	v_add_co_ci_u32_e64 v6, null, s21, v6, vcc_lo
	v_add_co_u32 v5, vcc_lo, v5, v4
	v_add_co_ci_u32_e64 v6, null, 0, v6, vcc_lo
	global_load_dword v5, v[5:6], off
	s_waitcnt vmcnt(0)
	v_mul_f32_e32 v9, s15, v5
.LBB89_9:
	s_or_b32 exec_lo, exec_lo, s2
	s_add_i32 s9, s14, -1
	s_load_dword s26, s[4:5], 0x30
	v_min_i32_e32 v6, s9, v72
	s_lshl_b32 s8, s1, 7
	v_cmp_le_i32_e32 vcc_lo, s14, v72
	v_add_nc_u32_e32 v5, s8, v3
	s_xor_b32 s24, s23, -1
	v_ashrrev_i32_e32 v7, 31, v6
	v_cmp_le_i32_e64 s1, s13, v5
	v_lshlrev_b64 v[6:7], 2, v[6:7]
	v_add_co_u32 v11, s2, s18, v6
	v_add_co_ci_u32_e64 v12, null, s19, v7, s2
	s_or_b32 s2, s1, s24
	s_nor_b32 s1, vcc_lo, s2
	s_and_saveexec_b32 s27, s1
	s_cbranch_execz .LBB89_11
; %bb.10:
	s_waitcnt lgkmcnt(0)
	v_mad_i64_i32 v[6:7], null, v5, s26, 0
	v_lshlrev_b64 v[6:7], 2, v[6:7]
	v_add_co_u32 v6, s1, v11, v6
	v_add_co_ci_u32_e64 v7, null, v12, v7, s1
	global_load_dword v6, v[6:7], off
	s_waitcnt vmcnt(0)
	v_mul_f32_e32 v8, s15, v6
.LBB89_11:
	s_or_b32 exec_lo, exec_lo, s27
	v_add_nc_u32_e32 v6, 64, v5
	v_mov_b32_e32 v7, 0
	v_mov_b32_e32 v10, 0
	v_cmp_le_i32_e64 s1, s13, v6
	s_or_b32 s24, s1, s24
	s_nor_b32 s27, vcc_lo, s24
	s_and_saveexec_b32 s1, s27
	s_cbranch_execz .LBB89_13
; %bb.12:
	s_waitcnt lgkmcnt(0)
	v_mad_i64_i32 v[13:14], null, v6, s26, 0
	v_lshlrev_b64 v[13:14], 2, v[13:14]
	v_add_co_u32 v10, vcc_lo, v11, v13
	v_add_co_ci_u32_e64 v11, null, v12, v14, vcc_lo
	global_load_dword v10, v[10:11], off
	s_waitcnt vmcnt(0)
	v_mul_f32_e32 v10, s15, v10
.LBB89_13:
	s_or_b32 exec_lo, exec_lo, s1
	v_or_b32_e32 v11, 4, v72
	v_cmp_gt_i32_e32 vcc_lo, s14, v11
	s_and_b32 s1, vcc_lo, s0
	s_and_b32 s27, s23, s1
	s_and_saveexec_b32 s1, s27
	s_cbranch_execz .LBB89_15
; %bb.14:
	s_waitcnt lgkmcnt(0)
	v_mad_i64_i32 v[12:13], null, v2, s25, 0
	v_lshlrev_b64 v[12:13], 2, v[12:13]
	v_add_co_u32 v7, vcc_lo, s20, v12
	v_add_co_ci_u32_e64 v13, null, s21, v13, vcc_lo
	v_add_co_u32 v12, vcc_lo, v7, v4
	v_add_co_ci_u32_e64 v13, null, 0, v13, vcc_lo
	global_load_dword v7, v[12:13], off offset:16
	s_waitcnt vmcnt(0)
	v_mul_f32_e32 v7, s15, v7
.LBB89_15:
	s_or_b32 exec_lo, exec_lo, s1
	v_min_i32_e32 v12, s9, v11
	v_cmp_le_i32_e32 vcc_lo, s14, v11
	v_mov_b32_e32 v79, 0
	v_mov_b32_e32 v80, 0
	v_ashrrev_i32_e32 v13, 31, v12
	v_lshlrev_b64 v[12:13], 2, v[12:13]
	v_add_co_u32 v11, s1, s18, v12
	v_add_co_ci_u32_e64 v12, null, s19, v13, s1
	s_nor_b32 s1, vcc_lo, s2
	s_and_saveexec_b32 s27, s1
	s_cbranch_execz .LBB89_17
; %bb.16:
	s_waitcnt lgkmcnt(0)
	v_mad_i64_i32 v[13:14], null, v5, s26, 0
	v_lshlrev_b64 v[13:14], 2, v[13:14]
	v_add_co_u32 v13, s1, v11, v13
	v_add_co_ci_u32_e64 v14, null, v12, v14, s1
	global_load_dword v13, v[13:14], off
	s_waitcnt vmcnt(0)
	v_mul_f32_e32 v80, s15, v13
.LBB89_17:
	s_or_b32 exec_lo, exec_lo, s27
	s_nor_b32 s27, vcc_lo, s24
	s_and_saveexec_b32 s1, s27
	s_cbranch_execz .LBB89_19
; %bb.18:
	s_waitcnt lgkmcnt(0)
	v_mad_i64_i32 v[13:14], null, v6, s26, 0
	v_lshlrev_b64 v[13:14], 2, v[13:14]
	v_add_co_u32 v11, vcc_lo, v11, v13
	v_add_co_ci_u32_e64 v12, null, v12, v14, vcc_lo
	global_load_dword v11, v[11:12], off
	s_waitcnt vmcnt(0)
	v_mul_f32_e32 v79, s15, v11
.LBB89_19:
	s_or_b32 exec_lo, exec_lo, s1
	v_lshlrev_b32_e32 v11, 4, v3
	v_mov_b32_e32 v70, 0
	v_lshl_or_b32 v74, v0, 4, 0x1000
	v_lshlrev_b32_e32 v75, 4, v1
	s_mov_b32 s27, 0
	v_lshl_or_b32 v73, v72, 2, v11
	v_mov_b32_e32 v71, v70
	v_mov_b32_e32 v68, v70
	v_mov_b32_e32 v69, v70
	v_mov_b32_e32 v11, v70
	v_add_nc_u32_e32 v76, 0x1000, v73
	ds_write_b32 v73, v9 offset:4096
	ds_write2st64_b32 v73, v8, v10 offset1:4
	v_mov_b32_e32 v8, v70
	v_mov_b32_e32 v9, v70
	;; [unrolled: 1-line block ×59, first 2 shown]
	s_mov_b32 s1, -1
	s_waitcnt lgkmcnt(0)
	s_barrier
	buffer_gl0_inv
.LBB89_20:                              ; =>This Inner Loop Header: Depth=1
	s_lshl_b32 s27, s27, 2
	s_andn2_b32 vcc_lo, exec_lo, s1
	v_add_nc_u32_e32 v77, s27, v74
	s_mov_b32 s1, 0
	ds_read2_b64 v[81:84], v77 offset1:16
	ds_read2_b64 v[85:88], v77 offset0:32 offset1:48
	ds_read2_b64 v[89:92], v77 offset0:64 offset1:80
	;; [unrolled: 1-line block ×3, first 2 shown]
	v_add_nc_u32_e32 v77, s27, v75
	s_mov_b32 s27, 2
	ds_read2st64_b64 v[97:100], v77 offset1:1
	ds_read2st64_b64 v[101:104], v77 offset0:2 offset1:3
	s_waitcnt lgkmcnt(5)
	v_max_f32_e32 v78, v81, v81
	v_max_f32_e32 v82, v82, v82
	;; [unrolled: 1-line block ×3, first 2 shown]
	s_waitcnt lgkmcnt(4)
	v_max_f32_e32 v86, v86, v86
	v_max_f32_e32 v88, v88, v88
	s_waitcnt lgkmcnt(3)
	v_max_f32_e32 v90, v90, v90
	v_max_f32_e32 v92, v92, v92
	s_waitcnt lgkmcnt(2)
	v_max_f32_e32 v94, v94, v94
	s_waitcnt lgkmcnt(1)
	v_max_f32_e32 v77, v97, v97
	v_max_f32_e32 v97, v98, v98
	v_min_f32_e32 v81, v78, v77
	v_min_f32_e32 v98, v82, v97
	v_add_f32_e32 v70, v70, v81
	v_max_f32_e32 v81, v83, v83
	v_add_f32_e32 v71, v71, v98
	v_min_f32_e32 v98, v84, v97
	v_min_f32_e32 v83, v81, v77
	v_add_f32_e32 v69, v69, v98
	v_min_f32_e32 v98, v86, v97
	v_add_f32_e32 v68, v68, v83
	v_max_f32_e32 v83, v85, v85
	v_add_f32_e32 v9, v9, v98
	v_min_f32_e32 v98, v88, v97
	v_min_f32_e32 v85, v83, v77
	v_add_f32_e32 v11, v11, v98
	;; [unrolled: 7-line block ×3, first 2 shown]
	v_add_f32_e32 v10, v10, v87
	v_max_f32_e32 v87, v89, v89
	v_min_f32_e32 v98, v94, v97
	v_min_f32_e32 v89, v87, v77
	v_add_f32_e32 v17, v17, v98
	v_add_f32_e32 v12, v12, v89
	v_max_f32_e32 v89, v91, v91
	v_min_f32_e32 v91, v89, v77
	v_add_f32_e32 v14, v14, v91
	v_max_f32_e32 v91, v93, v93
	v_min_f32_e32 v93, v91, v77
	;; [unrolled: 3-line block ×3, first 2 shown]
	v_max_f32_e32 v77, v96, v96
	v_add_f32_e32 v66, v66, v95
	v_min_f32_e32 v96, v77, v97
	v_max_f32_e32 v95, v99, v99
	v_max_f32_e32 v97, v100, v100
	v_add_f32_e32 v67, v67, v96
	v_min_f32_e32 v96, v78, v95
	v_min_f32_e32 v98, v82, v97
	v_add_f32_e32 v64, v64, v96
	v_min_f32_e32 v96, v81, v95
	v_add_f32_e32 v65, v65, v98
	;; [unrolled: 2-line block ×11, first 2 shown]
	v_min_f32_e32 v96, v91, v95
	v_min_f32_e32 v95, v93, v95
	v_add_f32_e32 v55, v55, v98
	v_min_f32_e32 v98, v94, v97
	v_add_f32_e32 v52, v52, v96
	;; [unrolled: 2-line block ×3, first 2 shown]
	s_waitcnt lgkmcnt(0)
	v_max_f32_e32 v95, v101, v101
	v_max_f32_e32 v97, v102, v102
	v_add_f32_e32 v53, v53, v98
	v_add_f32_e32 v51, v51, v96
	v_min_f32_e32 v96, v78, v95
	v_min_f32_e32 v98, v82, v97
	v_add_f32_e32 v48, v48, v96
	v_min_f32_e32 v96, v81, v95
	v_add_f32_e32 v49, v49, v98
	;; [unrolled: 2-line block ×11, first 2 shown]
	v_min_f32_e32 v96, v91, v95
	v_min_f32_e32 v95, v93, v95
	v_add_f32_e32 v39, v39, v98
	v_min_f32_e32 v98, v94, v97
	v_add_f32_e32 v36, v36, v96
	v_add_f32_e32 v34, v34, v95
	v_max_f32_e32 v95, v103, v103
	v_min_f32_e32 v96, v77, v97
	v_add_f32_e32 v37, v37, v98
	v_min_f32_e32 v78, v78, v95
	v_add_f32_e32 v35, v35, v96
	v_max_f32_e32 v96, v104, v104
	v_add_f32_e32 v32, v32, v78
	v_min_f32_e32 v78, v81, v95
	v_min_f32_e32 v81, v84, v96
	;; [unrolled: 1-line block ×4, first 2 shown]
	v_add_f32_e32 v30, v30, v78
	v_min_f32_e32 v78, v83, v95
	v_add_f32_e32 v31, v31, v81
	v_min_f32_e32 v81, v86, v96
	v_add_f32_e32 v33, v33, v82
	v_add_f32_e32 v19, v19, v77
	;; [unrolled: 1-line block ×3, first 2 shown]
	v_min_f32_e32 v78, v85, v95
	v_add_f32_e32 v29, v29, v81
	v_min_f32_e32 v81, v88, v96
	v_add_f32_e32 v26, v26, v78
	;; [unrolled: 2-line block ×9, first 2 shown]
	v_add_f32_e32 v18, v18, v78
	s_cbranch_vccz .LBB89_20
; %bb.21:
	v_lshl_or_b32 v3, v3, 4, v4
	v_lshl_add_u32 v77, v0, 4, 0x1400
	v_lshl_add_u32 v78, v1, 4, 0x800
	s_cmp_lt_i32 s14, 9
	ds_write_b32 v3, v7 offset:5120
	ds_write2st64_b32 v3, v80, v79 offset0:8 offset1:12
	s_waitcnt lgkmcnt(0)
	s_barrier
	buffer_gl0_inv
	s_cbranch_scc1 .LBB89_40
; %bb.22:
	v_mad_i64_i32 v[79:80], null, v2, s25, 0
	v_mad_i64_i32 v[4:5], null, v5, s26, 0
	;; [unrolled: 1-line block ×3, first 2 shown]
	s_mov_b32 s25, 0
	v_lshlrev_b64 v[81:82], 2, v[79:80]
	v_add_nc_u32_e32 v79, 0x1400, v3
	v_add_nc_u32_e32 v80, 0x800, v3
	v_lshlrev_b64 v[2:3], 2, v[4:5]
	v_lshlrev_b64 v[4:5], 2, v[6:7]
	v_mov_b32_e32 v7, 0
	v_add_co_u32 v81, vcc_lo, s20, v81
	v_add_co_ci_u32_e64 v82, null, s21, v82, vcc_lo
	s_add_i32 s20, s14, -8
	s_mov_b32 s21, 8
.LBB89_23:                              ; =>This Loop Header: Depth=1
                                        ;     Child Loop BB89_30 Depth 2
                                        ;     Child Loop BB89_38 Depth 2
	v_or_b32_e32 v6, s21, v72
	v_mov_b32_e32 v83, 0
	v_cmp_gt_i32_e32 vcc_lo, s14, v6
	s_and_b32 s1, vcc_lo, s0
	s_and_b32 s26, s23, s1
	s_and_saveexec_b32 s1, s26
	s_cbranch_execz .LBB89_25
; %bb.24:                               ;   in Loop: Header=BB89_23 Depth=1
	v_lshlrev_b64 v[83:84], 2, v[6:7]
	v_add_co_u32 v83, vcc_lo, v81, v83
	v_add_co_ci_u32_e64 v84, null, v82, v84, vcc_lo
	global_load_dword v83, v[83:84], off
	s_waitcnt vmcnt(0)
	v_mul_f32_e32 v83, s15, v83
.LBB89_25:                              ;   in Loop: Header=BB89_23 Depth=1
	s_or_b32 exec_lo, exec_lo, s1
	v_min_i32_e32 v84, s9, v6
	v_cmp_le_i32_e32 vcc_lo, s14, v6
	v_ashrrev_i32_e32 v85, 31, v84
	v_lshlrev_b64 v[86:87], 2, v[84:85]
	v_mov_b32_e32 v84, 0
	v_mov_b32_e32 v85, 0
	v_add_co_u32 v86, s1, s18, v86
	v_add_co_ci_u32_e64 v87, null, s19, v87, s1
	s_nor_b32 s1, s2, vcc_lo
	s_and_saveexec_b32 s26, s1
	s_cbranch_execz .LBB89_27
; %bb.26:                               ;   in Loop: Header=BB89_23 Depth=1
	v_add_co_u32 v88, s1, v86, v2
	v_add_co_ci_u32_e64 v89, null, v87, v3, s1
	global_load_dword v85, v[88:89], off
	s_waitcnt vmcnt(0)
	v_mul_f32_e32 v85, s15, v85
.LBB89_27:                              ;   in Loop: Header=BB89_23 Depth=1
	s_or_b32 exec_lo, exec_lo, s26
	s_nor_b32 s26, s24, vcc_lo
	s_and_saveexec_b32 s1, s26
	s_cbranch_execz .LBB89_29
; %bb.28:                               ;   in Loop: Header=BB89_23 Depth=1
	v_add_co_u32 v86, vcc_lo, v86, v4
	v_add_co_ci_u32_e64 v87, null, v87, v5, vcc_lo
	global_load_dword v84, v[86:87], off
	s_waitcnt vmcnt(0)
	v_mul_f32_e32 v84, s15, v84
.LBB89_29:                              ;   in Loop: Header=BB89_23 Depth=1
	s_or_b32 exec_lo, exec_lo, s1
	s_mov_b32 s26, 0
	s_mov_b32 s1, -1
.LBB89_30:                              ;   Parent Loop BB89_23 Depth=1
                                        ; =>  This Inner Loop Header: Depth=2
	s_lshl_b32 s26, s26, 2
	s_andn2_b32 vcc_lo, exec_lo, s1
	v_add_nc_u32_e32 v98, s26, v77
	v_add_nc_u32_e32 v106, s26, v78
	s_mov_b32 s1, 0
	s_mov_b32 s26, 2
	ds_read2_b64 v[86:89], v98 offset1:16
	ds_read2_b64 v[90:93], v98 offset0:32 offset1:48
	ds_read2_b64 v[94:97], v98 offset0:64 offset1:80
	;; [unrolled: 1-line block ×3, first 2 shown]
	ds_read2st64_b64 v[102:105], v106 offset1:1
	ds_read2st64_b64 v[106:109], v106 offset0:2 offset1:3
	s_waitcnt lgkmcnt(5)
	v_max_f32_e32 v86, v86, v86
	v_max_f32_e32 v87, v87, v87
	;; [unrolled: 1-line block ×3, first 2 shown]
	s_waitcnt lgkmcnt(1)
	v_max_f32_e32 v102, v102, v102
	v_max_f32_e32 v103, v103, v103
	;; [unrolled: 1-line block ×5, first 2 shown]
	v_min_f32_e32 v110, v86, v102
	v_min_f32_e32 v111, v87, v103
	v_max_f32_e32 v92, v92, v92
	v_max_f32_e32 v93, v93, v93
	;; [unrolled: 1-line block ×3, first 2 shown]
	v_add_f32_e32 v70, v70, v110
	v_min_f32_e32 v110, v88, v102
	v_add_f32_e32 v71, v71, v111
	v_min_f32_e32 v111, v89, v103
	v_max_f32_e32 v95, v95, v95
	v_max_f32_e32 v96, v96, v96
	v_add_f32_e32 v68, v68, v110
	v_min_f32_e32 v110, v90, v102
	v_add_f32_e32 v69, v69, v111
	v_min_f32_e32 v111, v91, v103
	v_max_f32_e32 v97, v97, v97
	v_max_f32_e32 v98, v98, v98
	;; [unrolled: 6-line block ×3, first 2 shown]
	v_add_f32_e32 v10, v10, v110
	v_min_f32_e32 v110, v94, v102
	v_add_f32_e32 v11, v11, v111
	v_min_f32_e32 v111, v95, v103
	v_max_f32_e32 v101, v101, v101
	v_add_f32_e32 v12, v12, v110
	v_min_f32_e32 v110, v96, v102
	v_add_f32_e32 v13, v13, v111
	v_min_f32_e32 v111, v97, v103
	;; [unrolled: 2-line block ×3, first 2 shown]
	v_min_f32_e32 v102, v100, v102
	v_add_f32_e32 v15, v15, v111
	v_min_f32_e32 v111, v99, v103
	v_min_f32_e32 v103, v101, v103
	v_add_f32_e32 v16, v16, v110
	v_add_f32_e32 v66, v66, v102
	v_max_f32_e32 v102, v104, v104
	v_max_f32_e32 v104, v105, v105
	v_add_f32_e32 v67, v67, v103
	v_add_f32_e32 v17, v17, v111
	v_min_f32_e32 v103, v86, v102
	v_min_f32_e32 v105, v87, v104
	v_add_f32_e32 v64, v64, v103
	v_min_f32_e32 v103, v88, v102
	v_add_f32_e32 v65, v65, v105
	;; [unrolled: 2-line block ×11, first 2 shown]
	v_min_f32_e32 v103, v98, v102
	v_min_f32_e32 v102, v100, v102
	v_add_f32_e32 v55, v55, v105
	v_min_f32_e32 v105, v99, v104
	v_add_f32_e32 v52, v52, v103
	;; [unrolled: 2-line block ×3, first 2 shown]
	s_waitcnt lgkmcnt(0)
	v_max_f32_e32 v102, v106, v106
	v_max_f32_e32 v104, v107, v107
	v_add_f32_e32 v53, v53, v105
	v_add_f32_e32 v51, v51, v103
	v_min_f32_e32 v103, v86, v102
	v_min_f32_e32 v105, v87, v104
	v_add_f32_e32 v48, v48, v103
	v_min_f32_e32 v103, v88, v102
	v_add_f32_e32 v49, v49, v105
	;; [unrolled: 2-line block ×11, first 2 shown]
	v_min_f32_e32 v103, v98, v102
	v_min_f32_e32 v102, v100, v102
	v_add_f32_e32 v39, v39, v105
	v_min_f32_e32 v105, v99, v104
	v_add_f32_e32 v36, v36, v103
	;; [unrolled: 2-line block ×3, first 2 shown]
	v_max_f32_e32 v102, v108, v108
	v_add_f32_e32 v37, v37, v105
	v_add_f32_e32 v35, v35, v103
	v_max_f32_e32 v103, v109, v109
	v_min_f32_e32 v86, v86, v102
	v_min_f32_e32 v87, v87, v103
	v_add_f32_e32 v32, v32, v86
	v_min_f32_e32 v86, v88, v102
	v_add_f32_e32 v33, v33, v87
	;; [unrolled: 2-line block ×15, first 2 shown]
	v_add_f32_e32 v19, v19, v87
	s_cbranch_vccz .LBB89_30
; %bb.31:                               ;   in Loop: Header=BB89_23 Depth=1
	v_or_b32_e32 v86, 4, v6
	ds_write_b32 v76, v83
	ds_write2st64_b32 v73, v85, v84 offset1:4
	v_mov_b32_e32 v83, 0
	v_mov_b32_e32 v84, 0
	v_cmp_gt_i32_e32 vcc_lo, s14, v86
	s_waitcnt lgkmcnt(0)
	s_barrier
	buffer_gl0_inv
	s_and_b32 s1, vcc_lo, s0
	s_and_b32 s26, s23, s1
	s_and_saveexec_b32 s1, s26
	s_cbranch_execz .LBB89_33
; %bb.32:                               ;   in Loop: Header=BB89_23 Depth=1
	v_lshlrev_b64 v[84:85], 2, v[6:7]
	v_add_co_u32 v84, vcc_lo, v81, v84
	v_add_co_ci_u32_e64 v85, null, v82, v85, vcc_lo
	global_load_dword v6, v[84:85], off offset:16
	s_waitcnt vmcnt(0)
	v_mul_f32_e32 v84, s15, v6
.LBB89_33:                              ;   in Loop: Header=BB89_23 Depth=1
	s_or_b32 exec_lo, exec_lo, s1
	v_min_i32_e32 v87, s9, v86
	v_cmp_le_i32_e32 vcc_lo, s14, v86
	v_ashrrev_i32_e32 v88, 31, v87
	v_lshlrev_b64 v[87:88], 2, v[87:88]
	v_add_co_u32 v85, s1, s18, v87
	v_add_co_ci_u32_e64 v86, null, s19, v88, s1
	s_nor_b32 s1, s2, vcc_lo
	s_and_saveexec_b32 s26, s1
	s_cbranch_execz .LBB89_35
; %bb.34:                               ;   in Loop: Header=BB89_23 Depth=1
	v_add_co_u32 v87, s1, v85, v2
	v_add_co_ci_u32_e64 v88, null, v86, v3, s1
	global_load_dword v6, v[87:88], off
	s_waitcnt vmcnt(0)
	v_mul_f32_e32 v83, s15, v6
.LBB89_35:                              ;   in Loop: Header=BB89_23 Depth=1
	s_or_b32 exec_lo, exec_lo, s26
	v_mov_b32_e32 v6, 0
	s_nor_b32 s26, s24, vcc_lo
	s_and_saveexec_b32 s1, s26
	s_cbranch_execz .LBB89_37
; %bb.36:                               ;   in Loop: Header=BB89_23 Depth=1
	v_add_co_u32 v85, vcc_lo, v85, v4
	v_add_co_ci_u32_e64 v86, null, v86, v5, vcc_lo
	global_load_dword v6, v[85:86], off
	s_waitcnt vmcnt(0)
	v_mul_f32_e32 v6, s15, v6
.LBB89_37:                              ;   in Loop: Header=BB89_23 Depth=1
	s_or_b32 exec_lo, exec_lo, s1
	s_mov_b32 s26, 0
	s_mov_b32 s1, -1
.LBB89_38:                              ;   Parent Loop BB89_23 Depth=1
                                        ; =>  This Inner Loop Header: Depth=2
	s_lshl_b32 s26, s26, 2
	s_andn2_b32 vcc_lo, exec_lo, s1
	v_add_nc_u32_e32 v97, s26, v74
	v_add_nc_u32_e32 v105, s26, v75
	s_mov_b32 s1, 0
	s_mov_b32 s26, 2
	ds_read2_b64 v[85:88], v97 offset1:16
	ds_read2_b64 v[89:92], v97 offset0:32 offset1:48
	ds_read2_b64 v[93:96], v97 offset0:64 offset1:80
	;; [unrolled: 1-line block ×3, first 2 shown]
	ds_read2st64_b64 v[101:104], v105 offset1:1
	ds_read2st64_b64 v[105:108], v105 offset0:2 offset1:3
	s_waitcnt lgkmcnt(5)
	v_max_f32_e32 v85, v85, v85
	v_max_f32_e32 v86, v86, v86
	;; [unrolled: 1-line block ×3, first 2 shown]
	s_waitcnt lgkmcnt(1)
	v_max_f32_e32 v101, v101, v101
	v_max_f32_e32 v102, v102, v102
	;; [unrolled: 1-line block ×5, first 2 shown]
	v_min_f32_e32 v109, v85, v101
	v_min_f32_e32 v110, v86, v102
	v_max_f32_e32 v91, v91, v91
	v_max_f32_e32 v92, v92, v92
	;; [unrolled: 1-line block ×3, first 2 shown]
	v_add_f32_e32 v70, v70, v109
	v_min_f32_e32 v109, v87, v101
	v_add_f32_e32 v71, v71, v110
	v_min_f32_e32 v110, v88, v102
	v_max_f32_e32 v94, v94, v94
	v_max_f32_e32 v95, v95, v95
	v_add_f32_e32 v68, v68, v109
	v_min_f32_e32 v109, v89, v101
	v_add_f32_e32 v69, v69, v110
	v_min_f32_e32 v110, v90, v102
	v_max_f32_e32 v96, v96, v96
	v_max_f32_e32 v97, v97, v97
	;; [unrolled: 6-line block ×3, first 2 shown]
	v_add_f32_e32 v10, v10, v109
	v_min_f32_e32 v109, v93, v101
	v_add_f32_e32 v11, v11, v110
	v_min_f32_e32 v110, v94, v102
	v_max_f32_e32 v100, v100, v100
	v_add_f32_e32 v12, v12, v109
	v_min_f32_e32 v109, v95, v101
	v_add_f32_e32 v13, v13, v110
	v_min_f32_e32 v110, v96, v102
	;; [unrolled: 2-line block ×3, first 2 shown]
	v_min_f32_e32 v101, v99, v101
	v_add_f32_e32 v15, v15, v110
	v_min_f32_e32 v110, v98, v102
	v_min_f32_e32 v102, v100, v102
	v_add_f32_e32 v16, v16, v109
	v_add_f32_e32 v66, v66, v101
	v_max_f32_e32 v101, v103, v103
	v_max_f32_e32 v103, v104, v104
	v_add_f32_e32 v67, v67, v102
	v_add_f32_e32 v17, v17, v110
	v_min_f32_e32 v102, v85, v101
	v_min_f32_e32 v104, v86, v103
	v_add_f32_e32 v64, v64, v102
	v_min_f32_e32 v102, v87, v101
	v_add_f32_e32 v65, v65, v104
	;; [unrolled: 2-line block ×11, first 2 shown]
	v_min_f32_e32 v102, v97, v101
	v_min_f32_e32 v101, v99, v101
	v_add_f32_e32 v55, v55, v104
	v_min_f32_e32 v104, v98, v103
	v_add_f32_e32 v52, v52, v102
	;; [unrolled: 2-line block ×3, first 2 shown]
	s_waitcnt lgkmcnt(0)
	v_max_f32_e32 v101, v105, v105
	v_max_f32_e32 v103, v106, v106
	v_add_f32_e32 v53, v53, v104
	v_add_f32_e32 v51, v51, v102
	v_min_f32_e32 v102, v85, v101
	v_min_f32_e32 v104, v86, v103
	v_add_f32_e32 v48, v48, v102
	v_min_f32_e32 v102, v87, v101
	v_add_f32_e32 v49, v49, v104
	;; [unrolled: 2-line block ×11, first 2 shown]
	v_min_f32_e32 v102, v97, v101
	v_min_f32_e32 v101, v99, v101
	v_add_f32_e32 v39, v39, v104
	v_min_f32_e32 v104, v98, v103
	v_add_f32_e32 v36, v36, v102
	;; [unrolled: 2-line block ×3, first 2 shown]
	v_max_f32_e32 v101, v107, v107
	v_add_f32_e32 v37, v37, v104
	v_add_f32_e32 v35, v35, v102
	v_max_f32_e32 v102, v108, v108
	v_min_f32_e32 v85, v85, v101
	v_min_f32_e32 v86, v86, v102
	v_add_f32_e32 v32, v32, v85
	v_min_f32_e32 v85, v87, v101
	v_add_f32_e32 v33, v33, v86
	;; [unrolled: 2-line block ×15, first 2 shown]
	v_add_f32_e32 v19, v19, v86
	s_cbranch_vccz .LBB89_38
; %bb.39:                               ;   in Loop: Header=BB89_23 Depth=1
	s_add_i32 s25, s25, 8
	s_add_i32 s21, s21, 8
	s_cmp_ge_i32 s25, s20
	ds_write_b32 v79, v84
	ds_write2st64_b32 v80, v83, v6 offset1:4
	s_waitcnt lgkmcnt(0)
	s_barrier
	buffer_gl0_inv
	s_cbranch_scc0 .LBB89_23
.LBB89_40:
	s_mov_b32 s0, -1
.LBB89_41:                              ; =>This Inner Loop Header: Depth=1
	s_lshl_b32 s1, s1, 2
	s_andn2_b32 vcc_lo, exec_lo, s0
	v_add_nc_u32_e32 v6, s1, v77
	s_mov_b32 s0, 0
	ds_read2_b64 v[2:5], v6 offset1:16
	ds_read2_b64 v[72:75], v6 offset0:32 offset1:48
	ds_read2_b64 v[79:82], v6 offset0:64 offset1:80
	;; [unrolled: 1-line block ×3, first 2 shown]
	v_add_nc_u32_e32 v6, s1, v78
	s_mov_b32 s1, 2
	ds_read2st64_b64 v[87:90], v6 offset1:1
	ds_read2st64_b64 v[91:94], v6 offset0:2 offset1:3
	s_waitcnt lgkmcnt(5)
	v_max_f32_e32 v2, v2, v2
	v_max_f32_e32 v4, v4, v4
	;; [unrolled: 1-line block ×4, first 2 shown]
	s_waitcnt lgkmcnt(4)
	v_max_f32_e32 v73, v73, v73
	v_max_f32_e32 v75, v75, v75
	s_waitcnt lgkmcnt(3)
	v_max_f32_e32 v80, v80, v80
	v_max_f32_e32 v82, v82, v82
	;; [unrolled: 3-line block ×3, first 2 shown]
	v_max_f32_e32 v84, v84, v84
	v_min_f32_e32 v7, v2, v6
	v_min_f32_e32 v87, v3, v76
	v_add_f32_e32 v70, v70, v7
	v_min_f32_e32 v7, v4, v6
	v_add_f32_e32 v71, v71, v87
	;; [unrolled: 2-line block ×3, first 2 shown]
	v_max_f32_e32 v7, v72, v72
	v_add_f32_e32 v69, v69, v87
	v_min_f32_e32 v87, v73, v76
	v_min_f32_e32 v72, v7, v6
	v_add_f32_e32 v9, v9, v87
	v_min_f32_e32 v87, v75, v76
	v_add_f32_e32 v8, v8, v72
	v_max_f32_e32 v72, v74, v74
	v_add_f32_e32 v11, v11, v87
	v_min_f32_e32 v87, v80, v76
	v_min_f32_e32 v74, v72, v6
	v_add_f32_e32 v13, v13, v87
	v_min_f32_e32 v87, v82, v76
	v_add_f32_e32 v10, v10, v74
	v_max_f32_e32 v74, v79, v79
	v_add_f32_e32 v15, v15, v87
	v_min_f32_e32 v87, v84, v76
	v_min_f32_e32 v79, v74, v6
	v_add_f32_e32 v17, v17, v87
	v_add_f32_e32 v12, v12, v79
	v_max_f32_e32 v79, v81, v81
	v_min_f32_e32 v81, v79, v6
	v_add_f32_e32 v14, v14, v81
	v_max_f32_e32 v81, v83, v83
	v_min_f32_e32 v83, v81, v6
	v_add_f32_e32 v16, v16, v83
	v_max_f32_e32 v83, v85, v85
	v_max_f32_e32 v85, v86, v86
	;; [unrolled: 1-line block ×3, first 2 shown]
	v_min_f32_e32 v6, v83, v6
	v_min_f32_e32 v76, v85, v76
	;; [unrolled: 1-line block ×3, first 2 shown]
	v_add_f32_e32 v66, v66, v6
	v_max_f32_e32 v6, v89, v89
	v_add_f32_e32 v67, v67, v76
	v_add_f32_e32 v65, v65, v87
	v_min_f32_e32 v87, v5, v86
	v_min_f32_e32 v76, v2, v6
	v_add_f32_e32 v63, v63, v87
	v_min_f32_e32 v87, v73, v86
	v_add_f32_e32 v64, v64, v76
	;; [unrolled: 2-line block ×11, first 2 shown]
	v_add_f32_e32 v54, v54, v76
	v_min_f32_e32 v76, v81, v6
	v_min_f32_e32 v6, v83, v6
	v_add_f32_e32 v52, v52, v76
	v_min_f32_e32 v76, v85, v86
	v_add_f32_e32 v50, v50, v6
	s_waitcnt lgkmcnt(0)
	v_max_f32_e32 v6, v91, v91
	v_max_f32_e32 v86, v92, v92
	v_add_f32_e32 v51, v51, v76
	v_min_f32_e32 v76, v2, v6
	v_min_f32_e32 v87, v3, v86
	v_add_f32_e32 v48, v48, v76
	v_min_f32_e32 v76, v4, v6
	v_add_f32_e32 v49, v49, v87
	;; [unrolled: 2-line block ×11, first 2 shown]
	v_min_f32_e32 v76, v81, v6
	v_min_f32_e32 v6, v83, v6
	v_add_f32_e32 v39, v39, v87
	v_min_f32_e32 v87, v84, v86
	v_add_f32_e32 v36, v36, v76
	;; [unrolled: 2-line block ×3, first 2 shown]
	v_max_f32_e32 v6, v93, v93
	v_add_f32_e32 v37, v37, v87
	v_add_f32_e32 v35, v35, v76
	v_max_f32_e32 v76, v94, v94
	v_min_f32_e32 v2, v2, v6
	v_min_f32_e32 v3, v3, v76
	v_add_f32_e32 v32, v32, v2
	v_min_f32_e32 v2, v4, v6
	v_add_f32_e32 v33, v33, v3
	;; [unrolled: 2-line block ×15, first 2 shown]
	v_add_f32_e32 v19, v19, v3
	s_cbranch_vccz .LBB89_41
; %bb.42:
	s_clause 0x2
	s_load_dwordx2 s[0:1], s[4:5], 0x70
	s_load_dword s14, s[4:5], 0x50
	s_load_dword s9, s[4:5], 0x68
	v_add_nc_u32_e32 v73, s8, v1
	v_add_nc_u32_e32 v0, s6, v0
	v_cndmask_b32_e64 v72, 0, 1, s3
	v_cmp_gt_i32_e64 s8, s13, v73
	s_waitcnt lgkmcnt(0)
	s_mul_i32 s1, s1, s7
	v_mad_i64_i32 v[1:2], null, v73, s14, 0
	v_mad_i64_i32 v[3:4], null, v73, s9, 0
	s_mul_hi_u32 s2, s0, s7
	s_mul_i32 s4, s0, s7
	s_add_i32 s5, s2, s1
	v_cmp_gt_i32_e64 s0, s12, v0
	v_lshlrev_b64 v[5:6], 2, v[1:2]
	s_lshl_b64 s[4:5], s[4:5], 2
	v_lshlrev_b64 v[2:3], 2, v[3:4]
	s_add_u32 s10, s10, s4
	s_addc_u32 s11, s11, s5
	v_ashrrev_i32_e32 v1, 31, v0
	v_add_co_u32 v76, vcc_lo, s16, v5
	v_add_co_ci_u32_e64 v77, null, s17, v6, vcc_lo
	v_add_co_u32 v74, vcc_lo, s10, v2
	v_add_co_ci_u32_e64 v75, null, s11, v3, vcc_lo
	s_and_b32 s2, s0, s8
	s_and_saveexec_b32 s1, s2
	s_cbranch_execz .LBB89_48
; %bb.43:
	v_lshlrev_b64 v[2:3], 2, v[0:1]
	s_andn2_b32 vcc_lo, exec_lo, s3
	s_cbranch_vccnz .LBB89_46
; %bb.44:
	v_add_co_u32 v4, vcc_lo, v76, v2
	v_add_co_ci_u32_e64 v5, null, v77, v3, vcc_lo
	global_load_dword v4, v[4:5], off
	s_waitcnt vmcnt(0)
	v_mul_f32_e32 v4, s22, v4
	s_branch .LBB89_47
.LBB89_45:
	s_mov_b64 s[20:21], 0
	s_andn2_b32 vcc_lo, exec_lo, s8
	s_mov_b32 s0, -1
	s_cbranch_vccz .LBB89_2
	s_branch .LBB89_3
.LBB89_46:
	v_mov_b32_e32 v4, 0
.LBB89_47:
	v_add_f32_e32 v5, v70, v71
	v_add_co_u32 v2, vcc_lo, v74, v2
	v_add_co_ci_u32_e64 v3, null, v75, v3, vcc_lo
	v_add_f32_e32 v4, v5, v4
	global_store_dword v[2:3], v4, off
.LBB89_48:
	s_or_b32 exec_lo, exec_lo, s1
	v_add_nc_u32_e32 v2, 8, v0
	v_cmp_gt_i32_e64 s1, s12, v2
	v_ashrrev_i32_e32 v3, 31, v2
	s_and_b32 s3, s1, s8
	s_and_saveexec_b32 s2, s3
	s_cbranch_execz .LBB89_53
; %bb.49:
	v_cmp_ne_u32_e32 vcc_lo, 1, v72
	v_lshlrev_b64 v[4:5], 2, v[2:3]
	s_cbranch_vccnz .LBB89_51
; %bb.50:
	v_add_co_u32 v6, vcc_lo, v76, v4
	v_add_co_ci_u32_e64 v7, null, v77, v5, vcc_lo
	global_load_dword v6, v[6:7], off
	s_waitcnt vmcnt(0)
	v_mul_f32_e32 v6, s22, v6
	s_branch .LBB89_52
.LBB89_51:
	v_mov_b32_e32 v6, 0
.LBB89_52:
	v_add_f32_e32 v7, v68, v69
	v_add_co_u32 v4, vcc_lo, v74, v4
	v_add_co_ci_u32_e64 v5, null, v75, v5, vcc_lo
	v_add_f32_e32 v6, v7, v6
	global_store_dword v[4:5], v6, off
.LBB89_53:
	s_or_b32 exec_lo, exec_lo, s2
	v_add_nc_u32_e32 v4, 16, v0
	v_cmp_gt_i32_e64 s2, s12, v4
	v_ashrrev_i32_e32 v5, 31, v4
	s_and_b32 s4, s2, s8
	s_and_saveexec_b32 s3, s4
	s_cbranch_execz .LBB89_58
; %bb.54:
	v_cmp_ne_u32_e32 vcc_lo, 1, v72
	v_lshlrev_b64 v[6:7], 2, v[4:5]
	s_cbranch_vccnz .LBB89_56
; %bb.55:
	v_add_co_u32 v68, vcc_lo, v76, v6
	v_add_co_ci_u32_e64 v69, null, v77, v7, vcc_lo
	global_load_dword v68, v[68:69], off
	s_waitcnt vmcnt(0)
	v_mul_f32_e32 v68, s22, v68
	s_branch .LBB89_57
.LBB89_56:
	v_mov_b32_e32 v68, 0
.LBB89_57:
	v_add_f32_e32 v8, v8, v9
	v_add_co_u32 v6, vcc_lo, v74, v6
	v_add_co_ci_u32_e64 v7, null, v75, v7, vcc_lo
	v_add_f32_e32 v8, v8, v68
	global_store_dword v[6:7], v8, off
.LBB89_58:
	;; [unrolled: 27-line block ×7, first 2 shown]
	s_or_b32 exec_lo, exec_lo, s8
	v_add_nc_u32_e32 v68, 32, v73
	v_mad_i64_i32 v[16:17], null, v68, s14, 0
	v_mad_i64_i32 v[66:67], null, v68, s9, 0
	v_cmp_gt_i32_e64 s8, s13, v68
	v_lshlrev_b64 v[16:17], 2, v[16:17]
	s_and_b32 s15, s0, s8
	v_lshlrev_b64 v[66:67], 2, v[66:67]
	v_add_co_u32 v68, vcc_lo, s16, v16
	v_add_co_ci_u32_e64 v69, null, s17, v17, vcc_lo
	v_add_co_u32 v66, vcc_lo, s10, v66
	v_add_co_ci_u32_e64 v67, null, s11, v67, vcc_lo
	s_and_saveexec_b32 s12, s15
	s_cbranch_execnz .LBB89_91
; %bb.84:
	s_or_b32 exec_lo, exec_lo, s12
	s_and_b32 s15, s1, s8
	s_and_saveexec_b32 s12, s15
	s_cbranch_execnz .LBB89_95
.LBB89_85:
	s_or_b32 exec_lo, exec_lo, s12
	s_and_b32 s15, s2, s8
	s_and_saveexec_b32 s12, s15
	s_cbranch_execnz .LBB89_99
.LBB89_86:
	s_or_b32 exec_lo, exec_lo, s12
	s_and_b32 s15, s3, s8
	s_and_saveexec_b32 s12, s15
	s_cbranch_execnz .LBB89_103
.LBB89_87:
	s_or_b32 exec_lo, exec_lo, s12
	s_and_b32 s15, s4, s8
	s_and_saveexec_b32 s12, s15
	s_cbranch_execnz .LBB89_107
.LBB89_88:
	s_or_b32 exec_lo, exec_lo, s12
	s_and_b32 s15, s5, s8
	s_and_saveexec_b32 s12, s15
	s_cbranch_execnz .LBB89_111
.LBB89_89:
	s_or_b32 exec_lo, exec_lo, s12
	s_and_b32 s15, s6, s8
	s_and_saveexec_b32 s12, s15
	s_cbranch_execnz .LBB89_115
.LBB89_90:
	s_or_b32 exec_lo, exec_lo, s12
	s_and_b32 s12, s7, s8
	s_and_saveexec_b32 s8, s12
	s_cbranch_execnz .LBB89_119
	s_branch .LBB89_123
.LBB89_91:
	v_cmp_ne_u32_e32 vcc_lo, 1, v72
	v_lshlrev_b64 v[16:17], 2, v[0:1]
	s_cbranch_vccnz .LBB89_93
; %bb.92:
	v_add_co_u32 v70, vcc_lo, v68, v16
	v_add_co_ci_u32_e64 v71, null, v69, v17, vcc_lo
	global_load_dword v70, v[70:71], off
	s_waitcnt vmcnt(0)
	v_mul_f32_e32 v70, s22, v70
	s_branch .LBB89_94
.LBB89_93:
	v_mov_b32_e32 v70, 0
.LBB89_94:
	v_add_f32_e32 v64, v64, v65
	v_add_co_u32 v16, vcc_lo, v66, v16
	v_add_co_ci_u32_e64 v17, null, v67, v17, vcc_lo
	v_add_f32_e32 v64, v64, v70
	global_store_dword v[16:17], v64, off
	s_or_b32 exec_lo, exec_lo, s12
	s_and_b32 s15, s1, s8
	s_and_saveexec_b32 s12, s15
	s_cbranch_execz .LBB89_85
.LBB89_95:
	v_cmp_ne_u32_e32 vcc_lo, 1, v72
	v_lshlrev_b64 v[16:17], 2, v[2:3]
	s_cbranch_vccnz .LBB89_97
; %bb.96:
	v_add_co_u32 v64, vcc_lo, v68, v16
	v_add_co_ci_u32_e64 v65, null, v69, v17, vcc_lo
	global_load_dword v64, v[64:65], off
	s_waitcnt vmcnt(0)
	v_mul_f32_e32 v64, s22, v64
	s_branch .LBB89_98
.LBB89_97:
	v_mov_b32_e32 v64, 0
.LBB89_98:
	v_add_f32_e32 v62, v62, v63
	v_add_co_u32 v16, vcc_lo, v66, v16
	v_add_co_ci_u32_e64 v17, null, v67, v17, vcc_lo
	v_add_f32_e32 v62, v62, v64
	global_store_dword v[16:17], v62, off
	s_or_b32 exec_lo, exec_lo, s12
	s_and_b32 s15, s2, s8
	s_and_saveexec_b32 s12, s15
	s_cbranch_execz .LBB89_86
.LBB89_99:
	v_cmp_ne_u32_e32 vcc_lo, 1, v72
	v_lshlrev_b64 v[16:17], 2, v[4:5]
	s_cbranch_vccnz .LBB89_101
; %bb.100:
	v_add_co_u32 v62, vcc_lo, v68, v16
	v_add_co_ci_u32_e64 v63, null, v69, v17, vcc_lo
	global_load_dword v62, v[62:63], off
	s_waitcnt vmcnt(0)
	v_mul_f32_e32 v62, s22, v62
	s_branch .LBB89_102
.LBB89_101:
	v_mov_b32_e32 v62, 0
.LBB89_102:
	v_add_f32_e32 v60, v60, v61
	v_add_co_u32 v16, vcc_lo, v66, v16
	v_add_co_ci_u32_e64 v17, null, v67, v17, vcc_lo
	v_add_f32_e32 v60, v60, v62
	global_store_dword v[16:17], v60, off
	s_or_b32 exec_lo, exec_lo, s12
	s_and_b32 s15, s3, s8
	s_and_saveexec_b32 s12, s15
	s_cbranch_execz .LBB89_87
.LBB89_103:
	v_cmp_ne_u32_e32 vcc_lo, 1, v72
	v_lshlrev_b64 v[16:17], 2, v[6:7]
	s_cbranch_vccnz .LBB89_105
; %bb.104:
	v_add_co_u32 v60, vcc_lo, v68, v16
	v_add_co_ci_u32_e64 v61, null, v69, v17, vcc_lo
	global_load_dword v60, v[60:61], off
	s_waitcnt vmcnt(0)
	v_mul_f32_e32 v60, s22, v60
	s_branch .LBB89_106
.LBB89_105:
	v_mov_b32_e32 v60, 0
.LBB89_106:
	v_add_f32_e32 v58, v58, v59
	v_add_co_u32 v16, vcc_lo, v66, v16
	v_add_co_ci_u32_e64 v17, null, v67, v17, vcc_lo
	v_add_f32_e32 v58, v58, v60
	global_store_dword v[16:17], v58, off
	s_or_b32 exec_lo, exec_lo, s12
	s_and_b32 s15, s4, s8
	s_and_saveexec_b32 s12, s15
	s_cbranch_execz .LBB89_88
.LBB89_107:
	v_cmp_ne_u32_e32 vcc_lo, 1, v72
	v_lshlrev_b64 v[16:17], 2, v[8:9]
	s_cbranch_vccnz .LBB89_109
; %bb.108:
	v_add_co_u32 v58, vcc_lo, v68, v16
	v_add_co_ci_u32_e64 v59, null, v69, v17, vcc_lo
	global_load_dword v58, v[58:59], off
	s_waitcnt vmcnt(0)
	v_mul_f32_e32 v58, s22, v58
	s_branch .LBB89_110
.LBB89_109:
	v_mov_b32_e32 v58, 0
.LBB89_110:
	v_add_f32_e32 v56, v56, v57
	v_add_co_u32 v16, vcc_lo, v66, v16
	v_add_co_ci_u32_e64 v17, null, v67, v17, vcc_lo
	v_add_f32_e32 v56, v56, v58
	global_store_dword v[16:17], v56, off
	s_or_b32 exec_lo, exec_lo, s12
	s_and_b32 s15, s5, s8
	s_and_saveexec_b32 s12, s15
	s_cbranch_execz .LBB89_89
.LBB89_111:
	v_cmp_ne_u32_e32 vcc_lo, 1, v72
	v_lshlrev_b64 v[16:17], 2, v[10:11]
	s_cbranch_vccnz .LBB89_113
; %bb.112:
	v_add_co_u32 v56, vcc_lo, v68, v16
	v_add_co_ci_u32_e64 v57, null, v69, v17, vcc_lo
	global_load_dword v56, v[56:57], off
	s_waitcnt vmcnt(0)
	v_mul_f32_e32 v56, s22, v56
	s_branch .LBB89_114
.LBB89_113:
	v_mov_b32_e32 v56, 0
.LBB89_114:
	v_add_f32_e32 v54, v54, v55
	v_add_co_u32 v16, vcc_lo, v66, v16
	v_add_co_ci_u32_e64 v17, null, v67, v17, vcc_lo
	v_add_f32_e32 v54, v54, v56
	global_store_dword v[16:17], v54, off
	s_or_b32 exec_lo, exec_lo, s12
	s_and_b32 s15, s6, s8
	s_and_saveexec_b32 s12, s15
	s_cbranch_execz .LBB89_90
.LBB89_115:
	v_cmp_ne_u32_e32 vcc_lo, 1, v72
	v_lshlrev_b64 v[16:17], 2, v[12:13]
	s_cbranch_vccnz .LBB89_117
; %bb.116:
	v_add_co_u32 v54, vcc_lo, v68, v16
	v_add_co_ci_u32_e64 v55, null, v69, v17, vcc_lo
	global_load_dword v54, v[54:55], off
	s_waitcnt vmcnt(0)
	v_mul_f32_e32 v54, s22, v54
	s_branch .LBB89_118
.LBB89_117:
	v_mov_b32_e32 v54, 0
.LBB89_118:
	v_add_f32_e32 v52, v52, v53
	v_add_co_u32 v16, vcc_lo, v66, v16
	v_add_co_ci_u32_e64 v17, null, v67, v17, vcc_lo
	v_add_f32_e32 v52, v52, v54
	global_store_dword v[16:17], v52, off
	s_or_b32 exec_lo, exec_lo, s12
	s_and_b32 s12, s7, s8
	s_and_saveexec_b32 s8, s12
	s_cbranch_execz .LBB89_123
.LBB89_119:
	v_cmp_ne_u32_e32 vcc_lo, 1, v72
	v_lshlrev_b64 v[16:17], 2, v[14:15]
	s_cbranch_vccnz .LBB89_121
; %bb.120:
	v_add_co_u32 v52, vcc_lo, v68, v16
	v_add_co_ci_u32_e64 v53, null, v69, v17, vcc_lo
	global_load_dword v52, v[52:53], off
	s_waitcnt vmcnt(0)
	v_mul_f32_e32 v52, s22, v52
	s_branch .LBB89_122
.LBB89_121:
	v_mov_b32_e32 v52, 0
.LBB89_122:
	v_add_f32_e32 v50, v50, v51
	v_add_co_u32 v16, vcc_lo, v66, v16
	v_add_co_ci_u32_e64 v17, null, v67, v17, vcc_lo
	v_add_f32_e32 v50, v50, v52
	global_store_dword v[16:17], v50, off
.LBB89_123:
	s_or_b32 exec_lo, exec_lo, s8
	v_add_nc_u32_e32 v52, 64, v73
	v_mad_i64_i32 v[16:17], null, v52, s14, 0
	v_mad_i64_i32 v[50:51], null, v52, s9, 0
	v_cmp_gt_i32_e64 s8, s13, v52
	v_lshlrev_b64 v[16:17], 2, v[16:17]
	s_and_b32 s15, s0, s8
	v_lshlrev_b64 v[50:51], 2, v[50:51]
	v_add_co_u32 v52, vcc_lo, s16, v16
	v_add_co_ci_u32_e64 v53, null, s17, v17, vcc_lo
	v_add_co_u32 v50, vcc_lo, s10, v50
	v_add_co_ci_u32_e64 v51, null, s11, v51, vcc_lo
	s_and_saveexec_b32 s12, s15
	s_cbranch_execnz .LBB89_131
; %bb.124:
	s_or_b32 exec_lo, exec_lo, s12
	s_and_b32 s15, s1, s8
	s_and_saveexec_b32 s12, s15
	s_cbranch_execnz .LBB89_135
.LBB89_125:
	s_or_b32 exec_lo, exec_lo, s12
	s_and_b32 s15, s2, s8
	s_and_saveexec_b32 s12, s15
	s_cbranch_execnz .LBB89_139
.LBB89_126:
	s_or_b32 exec_lo, exec_lo, s12
	s_and_b32 s15, s3, s8
	s_and_saveexec_b32 s12, s15
	s_cbranch_execnz .LBB89_143
.LBB89_127:
	s_or_b32 exec_lo, exec_lo, s12
	s_and_b32 s15, s4, s8
	s_and_saveexec_b32 s12, s15
	s_cbranch_execnz .LBB89_147
.LBB89_128:
	s_or_b32 exec_lo, exec_lo, s12
	s_and_b32 s15, s5, s8
	s_and_saveexec_b32 s12, s15
	s_cbranch_execnz .LBB89_151
.LBB89_129:
	s_or_b32 exec_lo, exec_lo, s12
	s_and_b32 s15, s6, s8
	s_and_saveexec_b32 s12, s15
	s_cbranch_execnz .LBB89_155
.LBB89_130:
	s_or_b32 exec_lo, exec_lo, s12
	s_and_b32 s12, s7, s8
	s_and_saveexec_b32 s8, s12
	s_cbranch_execnz .LBB89_159
	s_branch .LBB89_163
.LBB89_131:
	v_cmp_ne_u32_e32 vcc_lo, 1, v72
	v_lshlrev_b64 v[16:17], 2, v[0:1]
	s_cbranch_vccnz .LBB89_133
; %bb.132:
	v_add_co_u32 v54, vcc_lo, v52, v16
	v_add_co_ci_u32_e64 v55, null, v53, v17, vcc_lo
	global_load_dword v54, v[54:55], off
	s_waitcnt vmcnt(0)
	v_mul_f32_e32 v54, s22, v54
	s_branch .LBB89_134
.LBB89_133:
	v_mov_b32_e32 v54, 0
.LBB89_134:
	v_add_f32_e32 v48, v48, v49
	v_add_co_u32 v16, vcc_lo, v50, v16
	v_add_co_ci_u32_e64 v17, null, v51, v17, vcc_lo
	v_add_f32_e32 v48, v48, v54
	global_store_dword v[16:17], v48, off
	s_or_b32 exec_lo, exec_lo, s12
	s_and_b32 s15, s1, s8
	s_and_saveexec_b32 s12, s15
	s_cbranch_execz .LBB89_125
.LBB89_135:
	v_cmp_ne_u32_e32 vcc_lo, 1, v72
	v_lshlrev_b64 v[16:17], 2, v[2:3]
	s_cbranch_vccnz .LBB89_137
; %bb.136:
	v_add_co_u32 v48, vcc_lo, v52, v16
	v_add_co_ci_u32_e64 v49, null, v53, v17, vcc_lo
	global_load_dword v48, v[48:49], off
	s_waitcnt vmcnt(0)
	v_mul_f32_e32 v48, s22, v48
	s_branch .LBB89_138
.LBB89_137:
	v_mov_b32_e32 v48, 0
.LBB89_138:
	v_add_f32_e32 v46, v46, v47
	v_add_co_u32 v16, vcc_lo, v50, v16
	v_add_co_ci_u32_e64 v17, null, v51, v17, vcc_lo
	v_add_f32_e32 v46, v46, v48
	global_store_dword v[16:17], v46, off
	s_or_b32 exec_lo, exec_lo, s12
	s_and_b32 s15, s2, s8
	s_and_saveexec_b32 s12, s15
	s_cbranch_execz .LBB89_126
.LBB89_139:
	v_cmp_ne_u32_e32 vcc_lo, 1, v72
	v_lshlrev_b64 v[16:17], 2, v[4:5]
	s_cbranch_vccnz .LBB89_141
; %bb.140:
	v_add_co_u32 v46, vcc_lo, v52, v16
	v_add_co_ci_u32_e64 v47, null, v53, v17, vcc_lo
	global_load_dword v46, v[46:47], off
	s_waitcnt vmcnt(0)
	v_mul_f32_e32 v46, s22, v46
	s_branch .LBB89_142
.LBB89_141:
	v_mov_b32_e32 v46, 0
.LBB89_142:
	v_add_f32_e32 v44, v44, v45
	v_add_co_u32 v16, vcc_lo, v50, v16
	v_add_co_ci_u32_e64 v17, null, v51, v17, vcc_lo
	v_add_f32_e32 v44, v44, v46
	global_store_dword v[16:17], v44, off
	s_or_b32 exec_lo, exec_lo, s12
	s_and_b32 s15, s3, s8
	s_and_saveexec_b32 s12, s15
	s_cbranch_execz .LBB89_127
.LBB89_143:
	v_cmp_ne_u32_e32 vcc_lo, 1, v72
	v_lshlrev_b64 v[16:17], 2, v[6:7]
	s_cbranch_vccnz .LBB89_145
; %bb.144:
	v_add_co_u32 v44, vcc_lo, v52, v16
	v_add_co_ci_u32_e64 v45, null, v53, v17, vcc_lo
	global_load_dword v44, v[44:45], off
	s_waitcnt vmcnt(0)
	v_mul_f32_e32 v44, s22, v44
	s_branch .LBB89_146
.LBB89_145:
	v_mov_b32_e32 v44, 0
.LBB89_146:
	v_add_f32_e32 v42, v42, v43
	v_add_co_u32 v16, vcc_lo, v50, v16
	v_add_co_ci_u32_e64 v17, null, v51, v17, vcc_lo
	v_add_f32_e32 v42, v42, v44
	global_store_dword v[16:17], v42, off
	s_or_b32 exec_lo, exec_lo, s12
	s_and_b32 s15, s4, s8
	s_and_saveexec_b32 s12, s15
	s_cbranch_execz .LBB89_128
.LBB89_147:
	v_cmp_ne_u32_e32 vcc_lo, 1, v72
	v_lshlrev_b64 v[16:17], 2, v[8:9]
	s_cbranch_vccnz .LBB89_149
; %bb.148:
	v_add_co_u32 v42, vcc_lo, v52, v16
	v_add_co_ci_u32_e64 v43, null, v53, v17, vcc_lo
	global_load_dword v42, v[42:43], off
	s_waitcnt vmcnt(0)
	v_mul_f32_e32 v42, s22, v42
	s_branch .LBB89_150
.LBB89_149:
	v_mov_b32_e32 v42, 0
.LBB89_150:
	v_add_f32_e32 v40, v40, v41
	v_add_co_u32 v16, vcc_lo, v50, v16
	v_add_co_ci_u32_e64 v17, null, v51, v17, vcc_lo
	v_add_f32_e32 v40, v40, v42
	global_store_dword v[16:17], v40, off
	s_or_b32 exec_lo, exec_lo, s12
	s_and_b32 s15, s5, s8
	s_and_saveexec_b32 s12, s15
	s_cbranch_execz .LBB89_129
.LBB89_151:
	v_cmp_ne_u32_e32 vcc_lo, 1, v72
	v_lshlrev_b64 v[16:17], 2, v[10:11]
	s_cbranch_vccnz .LBB89_153
; %bb.152:
	v_add_co_u32 v40, vcc_lo, v52, v16
	v_add_co_ci_u32_e64 v41, null, v53, v17, vcc_lo
	global_load_dword v40, v[40:41], off
	s_waitcnt vmcnt(0)
	v_mul_f32_e32 v40, s22, v40
	s_branch .LBB89_154
.LBB89_153:
	v_mov_b32_e32 v40, 0
.LBB89_154:
	v_add_f32_e32 v38, v38, v39
	v_add_co_u32 v16, vcc_lo, v50, v16
	v_add_co_ci_u32_e64 v17, null, v51, v17, vcc_lo
	v_add_f32_e32 v38, v38, v40
	global_store_dword v[16:17], v38, off
	s_or_b32 exec_lo, exec_lo, s12
	s_and_b32 s15, s6, s8
	s_and_saveexec_b32 s12, s15
	s_cbranch_execz .LBB89_130
.LBB89_155:
	v_cmp_ne_u32_e32 vcc_lo, 1, v72
	v_lshlrev_b64 v[16:17], 2, v[12:13]
	s_cbranch_vccnz .LBB89_157
; %bb.156:
	v_add_co_u32 v38, vcc_lo, v52, v16
	v_add_co_ci_u32_e64 v39, null, v53, v17, vcc_lo
	global_load_dword v38, v[38:39], off
	s_waitcnt vmcnt(0)
	v_mul_f32_e32 v38, s22, v38
	s_branch .LBB89_158
.LBB89_157:
	v_mov_b32_e32 v38, 0
.LBB89_158:
	v_add_f32_e32 v36, v36, v37
	v_add_co_u32 v16, vcc_lo, v50, v16
	v_add_co_ci_u32_e64 v17, null, v51, v17, vcc_lo
	v_add_f32_e32 v36, v36, v38
	global_store_dword v[16:17], v36, off
	s_or_b32 exec_lo, exec_lo, s12
	s_and_b32 s12, s7, s8
	s_and_saveexec_b32 s8, s12
	s_cbranch_execz .LBB89_163
.LBB89_159:
	v_cmp_ne_u32_e32 vcc_lo, 1, v72
	v_lshlrev_b64 v[16:17], 2, v[14:15]
	s_cbranch_vccnz .LBB89_161
; %bb.160:
	v_add_co_u32 v36, vcc_lo, v52, v16
	v_add_co_ci_u32_e64 v37, null, v53, v17, vcc_lo
	global_load_dword v36, v[36:37], off
	s_waitcnt vmcnt(0)
	v_mul_f32_e32 v36, s22, v36
	s_branch .LBB89_162
.LBB89_161:
	v_mov_b32_e32 v36, 0
.LBB89_162:
	v_add_f32_e32 v34, v34, v35
	v_add_co_u32 v16, vcc_lo, v50, v16
	v_add_co_ci_u32_e64 v17, null, v51, v17, vcc_lo
	v_add_f32_e32 v34, v34, v36
	global_store_dword v[16:17], v34, off
.LBB89_163:
	s_or_b32 exec_lo, exec_lo, s8
	v_add_nc_u32_e32 v36, 0x60, v73
	v_mad_i64_i32 v[16:17], null, v36, s14, 0
	v_mad_i64_i32 v[34:35], null, v36, s9, 0
	v_cmp_gt_i32_e64 s8, s13, v36
	v_lshlrev_b64 v[16:17], 2, v[16:17]
	s_and_b32 s9, s0, s8
	v_lshlrev_b64 v[36:37], 2, v[34:35]
	v_add_co_u32 v34, vcc_lo, s16, v16
	v_add_co_ci_u32_e64 v35, null, s17, v17, vcc_lo
	v_add_co_u32 v16, vcc_lo, s10, v36
	v_add_co_ci_u32_e64 v17, null, s11, v37, vcc_lo
	s_and_saveexec_b32 s0, s9
	s_cbranch_execnz .LBB89_172
; %bb.164:
	s_or_b32 exec_lo, exec_lo, s0
	s_and_b32 s1, s1, s8
	s_and_saveexec_b32 s0, s1
	s_cbranch_execnz .LBB89_176
.LBB89_165:
	s_or_b32 exec_lo, exec_lo, s0
	s_and_b32 s1, s2, s8
	s_and_saveexec_b32 s0, s1
	s_cbranch_execnz .LBB89_180
.LBB89_166:
	s_or_b32 exec_lo, exec_lo, s0
	s_and_b32 s1, s3, s8
	s_and_saveexec_b32 s0, s1
	s_cbranch_execnz .LBB89_184
.LBB89_167:
	s_or_b32 exec_lo, exec_lo, s0
	s_and_b32 s1, s4, s8
	s_and_saveexec_b32 s0, s1
	s_cbranch_execnz .LBB89_188
.LBB89_168:
	s_or_b32 exec_lo, exec_lo, s0
	s_and_b32 s1, s5, s8
	s_and_saveexec_b32 s0, s1
	s_cbranch_execnz .LBB89_192
.LBB89_169:
	s_or_b32 exec_lo, exec_lo, s0
	s_and_b32 s1, s6, s8
	s_and_saveexec_b32 s0, s1
	s_cbranch_execnz .LBB89_196
.LBB89_170:
	s_or_b32 exec_lo, exec_lo, s0
	s_and_b32 s0, s7, s8
	s_and_saveexec_b32 s1, s0
	s_cbranch_execnz .LBB89_200
.LBB89_171:
	s_endpgm
.LBB89_172:
	v_cmp_ne_u32_e32 vcc_lo, 1, v72
	v_lshlrev_b64 v[0:1], 2, v[0:1]
	s_cbranch_vccnz .LBB89_174
; %bb.173:
	v_add_co_u32 v36, vcc_lo, v34, v0
	v_add_co_ci_u32_e64 v37, null, v35, v1, vcc_lo
	global_load_dword v36, v[36:37], off
	s_waitcnt vmcnt(0)
	v_mul_f32_e32 v36, s22, v36
	s_branch .LBB89_175
.LBB89_174:
	v_mov_b32_e32 v36, 0
.LBB89_175:
	v_add_f32_e32 v32, v32, v33
	v_add_co_u32 v0, vcc_lo, v16, v0
	v_add_co_ci_u32_e64 v1, null, v17, v1, vcc_lo
	v_add_f32_e32 v32, v32, v36
	global_store_dword v[0:1], v32, off
	s_or_b32 exec_lo, exec_lo, s0
	s_and_b32 s1, s1, s8
	s_and_saveexec_b32 s0, s1
	s_cbranch_execz .LBB89_165
.LBB89_176:
	v_cmp_ne_u32_e32 vcc_lo, 1, v72
	v_lshlrev_b64 v[0:1], 2, v[2:3]
	s_cbranch_vccnz .LBB89_178
; %bb.177:
	v_add_co_u32 v2, vcc_lo, v34, v0
	v_add_co_ci_u32_e64 v3, null, v35, v1, vcc_lo
	global_load_dword v2, v[2:3], off
	s_waitcnt vmcnt(0)
	v_mul_f32_e32 v2, s22, v2
	s_branch .LBB89_179
.LBB89_178:
	v_mov_b32_e32 v2, 0
.LBB89_179:
	v_add_f32_e32 v3, v30, v31
	v_add_co_u32 v0, vcc_lo, v16, v0
	v_add_co_ci_u32_e64 v1, null, v17, v1, vcc_lo
	v_add_f32_e32 v2, v3, v2
	global_store_dword v[0:1], v2, off
	s_or_b32 exec_lo, exec_lo, s0
	s_and_b32 s1, s2, s8
	s_and_saveexec_b32 s0, s1
	s_cbranch_execz .LBB89_166
.LBB89_180:
	v_cmp_ne_u32_e32 vcc_lo, 1, v72
	v_lshlrev_b64 v[0:1], 2, v[4:5]
	s_cbranch_vccnz .LBB89_182
; %bb.181:
	v_add_co_u32 v2, vcc_lo, v34, v0
	v_add_co_ci_u32_e64 v3, null, v35, v1, vcc_lo
	global_load_dword v2, v[2:3], off
	s_waitcnt vmcnt(0)
	v_mul_f32_e32 v2, s22, v2
	s_branch .LBB89_183
.LBB89_182:
	v_mov_b32_e32 v2, 0
.LBB89_183:
	v_add_f32_e32 v3, v28, v29
	v_add_co_u32 v0, vcc_lo, v16, v0
	v_add_co_ci_u32_e64 v1, null, v17, v1, vcc_lo
	v_add_f32_e32 v2, v3, v2
	global_store_dword v[0:1], v2, off
	s_or_b32 exec_lo, exec_lo, s0
	s_and_b32 s1, s3, s8
	s_and_saveexec_b32 s0, s1
	s_cbranch_execz .LBB89_167
.LBB89_184:
	v_cmp_ne_u32_e32 vcc_lo, 1, v72
	v_lshlrev_b64 v[0:1], 2, v[6:7]
	s_cbranch_vccnz .LBB89_186
; %bb.185:
	v_add_co_u32 v2, vcc_lo, v34, v0
	v_add_co_ci_u32_e64 v3, null, v35, v1, vcc_lo
	global_load_dword v2, v[2:3], off
	s_waitcnt vmcnt(0)
	v_mul_f32_e32 v2, s22, v2
	s_branch .LBB89_187
.LBB89_186:
	v_mov_b32_e32 v2, 0
.LBB89_187:
	v_add_f32_e32 v3, v26, v27
	v_add_co_u32 v0, vcc_lo, v16, v0
	v_add_co_ci_u32_e64 v1, null, v17, v1, vcc_lo
	v_add_f32_e32 v2, v3, v2
	global_store_dword v[0:1], v2, off
	s_or_b32 exec_lo, exec_lo, s0
	s_and_b32 s1, s4, s8
	s_and_saveexec_b32 s0, s1
	s_cbranch_execz .LBB89_168
.LBB89_188:
	v_cmp_ne_u32_e32 vcc_lo, 1, v72
	v_lshlrev_b64 v[0:1], 2, v[8:9]
	s_cbranch_vccnz .LBB89_190
; %bb.189:
	v_add_co_u32 v2, vcc_lo, v34, v0
	v_add_co_ci_u32_e64 v3, null, v35, v1, vcc_lo
	global_load_dword v2, v[2:3], off
	s_waitcnt vmcnt(0)
	v_mul_f32_e32 v2, s22, v2
	s_branch .LBB89_191
.LBB89_190:
	v_mov_b32_e32 v2, 0
.LBB89_191:
	v_add_f32_e32 v3, v24, v25
	v_add_co_u32 v0, vcc_lo, v16, v0
	v_add_co_ci_u32_e64 v1, null, v17, v1, vcc_lo
	v_add_f32_e32 v2, v3, v2
	global_store_dword v[0:1], v2, off
	s_or_b32 exec_lo, exec_lo, s0
	s_and_b32 s1, s5, s8
	s_and_saveexec_b32 s0, s1
	s_cbranch_execz .LBB89_169
.LBB89_192:
	v_cmp_ne_u32_e32 vcc_lo, 1, v72
	v_lshlrev_b64 v[0:1], 2, v[10:11]
	s_cbranch_vccnz .LBB89_194
; %bb.193:
	v_add_co_u32 v2, vcc_lo, v34, v0
	v_add_co_ci_u32_e64 v3, null, v35, v1, vcc_lo
	global_load_dword v2, v[2:3], off
	s_waitcnt vmcnt(0)
	v_mul_f32_e32 v2, s22, v2
	s_branch .LBB89_195
.LBB89_194:
	v_mov_b32_e32 v2, 0
.LBB89_195:
	v_add_f32_e32 v3, v22, v23
	v_add_co_u32 v0, vcc_lo, v16, v0
	v_add_co_ci_u32_e64 v1, null, v17, v1, vcc_lo
	v_add_f32_e32 v2, v3, v2
	global_store_dword v[0:1], v2, off
	s_or_b32 exec_lo, exec_lo, s0
	s_and_b32 s1, s6, s8
	s_and_saveexec_b32 s0, s1
	s_cbranch_execz .LBB89_170
.LBB89_196:
	v_cmp_ne_u32_e32 vcc_lo, 1, v72
	v_lshlrev_b64 v[0:1], 2, v[12:13]
	s_cbranch_vccnz .LBB89_198
; %bb.197:
	v_add_co_u32 v2, vcc_lo, v34, v0
	v_add_co_ci_u32_e64 v3, null, v35, v1, vcc_lo
	global_load_dword v2, v[2:3], off
	s_waitcnt vmcnt(0)
	v_mul_f32_e32 v2, s22, v2
	s_branch .LBB89_199
.LBB89_198:
	v_mov_b32_e32 v2, 0
.LBB89_199:
	v_add_f32_e32 v3, v20, v21
	v_add_co_u32 v0, vcc_lo, v16, v0
	v_add_co_ci_u32_e64 v1, null, v17, v1, vcc_lo
	v_add_f32_e32 v2, v3, v2
	global_store_dword v[0:1], v2, off
	s_or_b32 exec_lo, exec_lo, s0
	s_and_b32 s0, s7, s8
	s_and_saveexec_b32 s1, s0
	s_cbranch_execz .LBB89_171
.LBB89_200:
	v_cmp_ne_u32_e32 vcc_lo, 1, v72
	v_lshlrev_b64 v[0:1], 2, v[14:15]
	s_cbranch_vccnz .LBB89_202
; %bb.201:
	v_add_co_u32 v2, vcc_lo, v34, v0
	v_add_co_ci_u32_e64 v3, null, v35, v1, vcc_lo
	global_load_dword v2, v[2:3], off
	s_waitcnt vmcnt(0)
	v_mul_f32_e32 v2, s22, v2
	s_branch .LBB89_203
.LBB89_202:
	v_mov_b32_e32 v2, 0
.LBB89_203:
	v_add_f32_e32 v3, v18, v19
	v_add_co_u32 v0, vcc_lo, v16, v0
	v_add_co_ci_u32_e64 v1, null, v17, v1, vcc_lo
	v_add_f32_e32 v2, v3, v2
	global_store_dword v[0:1], v2, off
	s_endpgm
	.section	.rodata,"a",@progbits
	.p2align	6, 0x0
	.amdhsa_kernel _ZN12_GLOBAL__N_120geam_min_plus_kernelIf15HIP_vector_typeIfLj2EES2_Li8ELi32ELi64ELi128ELi4ELi4ELi64ELi4ELi64ELc84ELc78ELb0ELb1ELb0EfKffEEviiiT16_PT17_ilS6_ilS4_S6_ilPT18_ili26rocblas_geam_ex_operation_
		.amdhsa_group_segment_fixed_size 6144
		.amdhsa_private_segment_fixed_size 0
		.amdhsa_kernarg_size 128
		.amdhsa_user_sgpr_count 6
		.amdhsa_user_sgpr_private_segment_buffer 1
		.amdhsa_user_sgpr_dispatch_ptr 0
		.amdhsa_user_sgpr_queue_ptr 0
		.amdhsa_user_sgpr_kernarg_segment_ptr 1
		.amdhsa_user_sgpr_dispatch_id 0
		.amdhsa_user_sgpr_flat_scratch_init 0
		.amdhsa_user_sgpr_private_segment_size 0
		.amdhsa_wavefront_size32 1
		.amdhsa_uses_dynamic_stack 0
		.amdhsa_system_sgpr_private_segment_wavefront_offset 0
		.amdhsa_system_sgpr_workgroup_id_x 1
		.amdhsa_system_sgpr_workgroup_id_y 0
		.amdhsa_system_sgpr_workgroup_id_z 1
		.amdhsa_system_sgpr_workgroup_info 0
		.amdhsa_system_vgpr_workitem_id 1
		.amdhsa_next_free_vgpr 112
		.amdhsa_next_free_sgpr 28
		.amdhsa_reserve_vcc 1
		.amdhsa_reserve_flat_scratch 0
		.amdhsa_float_round_mode_32 0
		.amdhsa_float_round_mode_16_64 0
		.amdhsa_float_denorm_mode_32 3
		.amdhsa_float_denorm_mode_16_64 3
		.amdhsa_dx10_clamp 1
		.amdhsa_ieee_mode 1
		.amdhsa_fp16_overflow 0
		.amdhsa_workgroup_processor_mode 1
		.amdhsa_memory_ordered 1
		.amdhsa_forward_progress 1
		.amdhsa_shared_vgpr_count 0
		.amdhsa_exception_fp_ieee_invalid_op 0
		.amdhsa_exception_fp_denorm_src 0
		.amdhsa_exception_fp_ieee_div_zero 0
		.amdhsa_exception_fp_ieee_overflow 0
		.amdhsa_exception_fp_ieee_underflow 0
		.amdhsa_exception_fp_ieee_inexact 0
		.amdhsa_exception_int_div_zero 0
	.end_amdhsa_kernel
	.section	.text._ZN12_GLOBAL__N_120geam_min_plus_kernelIf15HIP_vector_typeIfLj2EES2_Li8ELi32ELi64ELi128ELi4ELi4ELi64ELi4ELi64ELc84ELc78ELb0ELb1ELb0EfKffEEviiiT16_PT17_ilS6_ilS4_S6_ilPT18_ili26rocblas_geam_ex_operation_,"axG",@progbits,_ZN12_GLOBAL__N_120geam_min_plus_kernelIf15HIP_vector_typeIfLj2EES2_Li8ELi32ELi64ELi128ELi4ELi4ELi64ELi4ELi64ELc84ELc78ELb0ELb1ELb0EfKffEEviiiT16_PT17_ilS6_ilS4_S6_ilPT18_ili26rocblas_geam_ex_operation_,comdat
.Lfunc_end89:
	.size	_ZN12_GLOBAL__N_120geam_min_plus_kernelIf15HIP_vector_typeIfLj2EES2_Li8ELi32ELi64ELi128ELi4ELi4ELi64ELi4ELi64ELc84ELc78ELb0ELb1ELb0EfKffEEviiiT16_PT17_ilS6_ilS4_S6_ilPT18_ili26rocblas_geam_ex_operation_, .Lfunc_end89-_ZN12_GLOBAL__N_120geam_min_plus_kernelIf15HIP_vector_typeIfLj2EES2_Li8ELi32ELi64ELi128ELi4ELi4ELi64ELi4ELi64ELc84ELc78ELb0ELb1ELb0EfKffEEviiiT16_PT17_ilS6_ilS4_S6_ilPT18_ili26rocblas_geam_ex_operation_
                                        ; -- End function
	.set _ZN12_GLOBAL__N_120geam_min_plus_kernelIf15HIP_vector_typeIfLj2EES2_Li8ELi32ELi64ELi128ELi4ELi4ELi64ELi4ELi64ELc84ELc78ELb0ELb1ELb0EfKffEEviiiT16_PT17_ilS6_ilS4_S6_ilPT18_ili26rocblas_geam_ex_operation_.num_vgpr, 112
	.set _ZN12_GLOBAL__N_120geam_min_plus_kernelIf15HIP_vector_typeIfLj2EES2_Li8ELi32ELi64ELi128ELi4ELi4ELi64ELi4ELi64ELc84ELc78ELb0ELb1ELb0EfKffEEviiiT16_PT17_ilS6_ilS4_S6_ilPT18_ili26rocblas_geam_ex_operation_.num_agpr, 0
	.set _ZN12_GLOBAL__N_120geam_min_plus_kernelIf15HIP_vector_typeIfLj2EES2_Li8ELi32ELi64ELi128ELi4ELi4ELi64ELi4ELi64ELc84ELc78ELb0ELb1ELb0EfKffEEviiiT16_PT17_ilS6_ilS4_S6_ilPT18_ili26rocblas_geam_ex_operation_.numbered_sgpr, 28
	.set _ZN12_GLOBAL__N_120geam_min_plus_kernelIf15HIP_vector_typeIfLj2EES2_Li8ELi32ELi64ELi128ELi4ELi4ELi64ELi4ELi64ELc84ELc78ELb0ELb1ELb0EfKffEEviiiT16_PT17_ilS6_ilS4_S6_ilPT18_ili26rocblas_geam_ex_operation_.num_named_barrier, 0
	.set _ZN12_GLOBAL__N_120geam_min_plus_kernelIf15HIP_vector_typeIfLj2EES2_Li8ELi32ELi64ELi128ELi4ELi4ELi64ELi4ELi64ELc84ELc78ELb0ELb1ELb0EfKffEEviiiT16_PT17_ilS6_ilS4_S6_ilPT18_ili26rocblas_geam_ex_operation_.private_seg_size, 0
	.set _ZN12_GLOBAL__N_120geam_min_plus_kernelIf15HIP_vector_typeIfLj2EES2_Li8ELi32ELi64ELi128ELi4ELi4ELi64ELi4ELi64ELc84ELc78ELb0ELb1ELb0EfKffEEviiiT16_PT17_ilS6_ilS4_S6_ilPT18_ili26rocblas_geam_ex_operation_.uses_vcc, 1
	.set _ZN12_GLOBAL__N_120geam_min_plus_kernelIf15HIP_vector_typeIfLj2EES2_Li8ELi32ELi64ELi128ELi4ELi4ELi64ELi4ELi64ELc84ELc78ELb0ELb1ELb0EfKffEEviiiT16_PT17_ilS6_ilS4_S6_ilPT18_ili26rocblas_geam_ex_operation_.uses_flat_scratch, 0
	.set _ZN12_GLOBAL__N_120geam_min_plus_kernelIf15HIP_vector_typeIfLj2EES2_Li8ELi32ELi64ELi128ELi4ELi4ELi64ELi4ELi64ELc84ELc78ELb0ELb1ELb0EfKffEEviiiT16_PT17_ilS6_ilS4_S6_ilPT18_ili26rocblas_geam_ex_operation_.has_dyn_sized_stack, 0
	.set _ZN12_GLOBAL__N_120geam_min_plus_kernelIf15HIP_vector_typeIfLj2EES2_Li8ELi32ELi64ELi128ELi4ELi4ELi64ELi4ELi64ELc84ELc78ELb0ELb1ELb0EfKffEEviiiT16_PT17_ilS6_ilS4_S6_ilPT18_ili26rocblas_geam_ex_operation_.has_recursion, 0
	.set _ZN12_GLOBAL__N_120geam_min_plus_kernelIf15HIP_vector_typeIfLj2EES2_Li8ELi32ELi64ELi128ELi4ELi4ELi64ELi4ELi64ELc84ELc78ELb0ELb1ELb0EfKffEEviiiT16_PT17_ilS6_ilS4_S6_ilPT18_ili26rocblas_geam_ex_operation_.has_indirect_call, 0
	.section	.AMDGPU.csdata,"",@progbits
; Kernel info:
; codeLenInByte = 9044
; TotalNumSgprs: 30
; NumVgprs: 112
; ScratchSize: 0
; MemoryBound: 0
; FloatMode: 240
; IeeeMode: 1
; LDSByteSize: 6144 bytes/workgroup (compile time only)
; SGPRBlocks: 0
; VGPRBlocks: 13
; NumSGPRsForWavesPerEU: 30
; NumVGPRsForWavesPerEU: 112
; Occupancy: 9
; WaveLimiterHint : 0
; COMPUTE_PGM_RSRC2:SCRATCH_EN: 0
; COMPUTE_PGM_RSRC2:USER_SGPR: 6
; COMPUTE_PGM_RSRC2:TRAP_HANDLER: 0
; COMPUTE_PGM_RSRC2:TGID_X_EN: 1
; COMPUTE_PGM_RSRC2:TGID_Y_EN: 0
; COMPUTE_PGM_RSRC2:TGID_Z_EN: 1
; COMPUTE_PGM_RSRC2:TIDIG_COMP_CNT: 1
	.section	.text._ZN12_GLOBAL__N_120geam_min_plus_kernelIf15HIP_vector_typeIfLj2EES2_Li8ELi32ELi64ELi128ELi4ELi64ELi4ELi64ELi4ELc78ELc84ELb0ELb0ELb0EPKfS3_fEEviiiT16_PT17_ilS7_ilS5_S7_ilPT18_ili26rocblas_geam_ex_operation_,"axG",@progbits,_ZN12_GLOBAL__N_120geam_min_plus_kernelIf15HIP_vector_typeIfLj2EES2_Li8ELi32ELi64ELi128ELi4ELi64ELi4ELi64ELi4ELc78ELc84ELb0ELb0ELb0EPKfS3_fEEviiiT16_PT17_ilS7_ilS5_S7_ilPT18_ili26rocblas_geam_ex_operation_,comdat
	.globl	_ZN12_GLOBAL__N_120geam_min_plus_kernelIf15HIP_vector_typeIfLj2EES2_Li8ELi32ELi64ELi128ELi4ELi64ELi4ELi64ELi4ELc78ELc84ELb0ELb0ELb0EPKfS3_fEEviiiT16_PT17_ilS7_ilS5_S7_ilPT18_ili26rocblas_geam_ex_operation_ ; -- Begin function _ZN12_GLOBAL__N_120geam_min_plus_kernelIf15HIP_vector_typeIfLj2EES2_Li8ELi32ELi64ELi128ELi4ELi64ELi4ELi64ELi4ELc78ELc84ELb0ELb0ELb0EPKfS3_fEEviiiT16_PT17_ilS7_ilS5_S7_ilPT18_ili26rocblas_geam_ex_operation_
	.p2align	8
	.type	_ZN12_GLOBAL__N_120geam_min_plus_kernelIf15HIP_vector_typeIfLj2EES2_Li8ELi32ELi64ELi128ELi4ELi64ELi4ELi64ELi4ELc78ELc84ELb0ELb0ELb0EPKfS3_fEEviiiT16_PT17_ilS7_ilS5_S7_ilPT18_ili26rocblas_geam_ex_operation_,@function
_ZN12_GLOBAL__N_120geam_min_plus_kernelIf15HIP_vector_typeIfLj2EES2_Li8ELi32ELi64ELi128ELi4ELi64ELi4ELi64ELi4ELc78ELc84ELb0ELb0ELb0EPKfS3_fEEviiiT16_PT17_ilS7_ilS5_S7_ilPT18_ili26rocblas_geam_ex_operation_: ; @_ZN12_GLOBAL__N_120geam_min_plus_kernelIf15HIP_vector_typeIfLj2EES2_Li8ELi32ELi64ELi128ELi4ELi64ELi4ELi64ELi4ELc78ELc84ELb0ELb0ELb0EPKfS3_fEEviiiT16_PT17_ilS7_ilS5_S7_ilPT18_ili26rocblas_geam_ex_operation_
; %bb.0:
	s_clause 0x1
	s_load_dwordx4 s[0:3], s[4:5], 0x10
	s_load_dwordx4 s[8:11], s[4:5], 0x28
	s_mov_b32 s16, s7
	s_mov_b32 s17, 0
	s_lshl_b64 s[18:19], s[16:17], 2
	s_waitcnt lgkmcnt(0)
	s_add_u32 s0, s0, s18
	s_addc_u32 s1, s1, s19
	s_load_dword s17, s[0:1], 0x0
	s_clause 0x1
	s_load_dwordx4 s[12:15], s[4:5], 0x40
	s_load_dwordx2 s[20:21], s[4:5], 0x50
	s_waitcnt lgkmcnt(0)
	v_cmp_eq_f32_e64 s1, s17, 0
	s_add_u32 s22, s14, s18
	v_cmp_neq_f32_e64 s0, s17, 0
	s_addc_u32 s23, s15, s19
	s_mov_b64 s[14:15], 0
	s_and_b32 s1, exec_lo, s1
	s_mov_b64 s[18:19], 0
	s_mov_b32 vcc_lo, s1
	s_cbranch_vccnz .LBB90_2
; %bb.1:
	s_mul_i32 s7, s9, s16
	s_mul_hi_u32 s9, s8, s16
	s_mul_i32 s8, s8, s16
	s_add_i32 s9, s9, s7
	s_lshl_b64 s[8:9], s[8:9], 2
	s_add_u32 s18, s2, s8
	s_addc_u32 s19, s3, s9
.LBB90_2:
	s_load_dword s3, s[22:23], 0x0
	v_cndmask_b32_e64 v2, 0, 1, s0
	s_andn2_b32 vcc_lo, exec_lo, s0
	v_cmp_ne_u32_e64 s2, 1, v2
	s_cbranch_vccnz .LBB90_4
; %bb.3:
	s_mul_i32 s0, s13, s16
	s_mul_hi_u32 s7, s12, s16
	s_mul_i32 s8, s12, s16
	s_add_i32 s9, s7, s0
	s_lshl_b64 s[8:9], s[8:9], 2
	s_add_u32 s14, s10, s8
	s_addc_u32 s15, s11, s9
.LBB90_4:
	s_load_dwordx4 s[8:11], s[4:5], 0x60
	s_waitcnt lgkmcnt(0)
	v_cmp_eq_f32_e64 s0, s3, 0
	s_and_b32 s0, exec_lo, s0
	s_mov_b32 vcc_lo, s0
	s_cbranch_vccnz .LBB90_6
; %bb.5:
	s_mul_i32 s7, s9, s16
	s_mul_hi_u32 s9, s8, s16
	s_mul_i32 s8, s8, s16
	s_add_i32 s9, s9, s7
	s_lshl_b64 s[8:9], s[8:9], 2
	s_add_u32 s8, s20, s8
	s_addc_u32 s9, s21, s9
	s_branch .LBB90_7
.LBB90_6:
	s_mov_b64 s[8:9], 0
.LBB90_7:
	s_clause 0x2
	s_load_dword s7, s[4:5], 0x0
	s_load_dword s12, s[4:5], 0x20
	;; [unrolled: 1-line block ×3, first 2 shown]
	v_lshl_add_u32 v3, v1, 3, v0
	v_mov_b32_e32 v77, 0
	v_mov_b32_e32 v6, 0
	;; [unrolled: 1-line block ×4, first 2 shown]
	v_and_b32_e32 v76, 63, v3
	v_lshrrev_b32_e32 v12, 6, v3
	s_waitcnt lgkmcnt(0)
	s_add_i32 s7, s7, -1
	s_ashr_i32 s20, s7, 31
	s_ashr_i32 s21, s13, 31
	s_lshr_b32 s20, s20, 26
	s_add_i32 s7, s7, s20
	s_ashr_i32 s7, s7, 6
	s_add_i32 s22, s7, 1
	s_not_b32 s7, s7
	v_cvt_f32_u32_e32 v2, s22
	v_rcp_iflag_f32_e32 v2, v2
	v_mul_f32_e32 v2, 0x4f7ffffe, v2
	v_cvt_u32_f32_e32 v2, v2
	v_readfirstlane_b32 s20, v2
	s_mul_i32 s7, s7, s20
	s_mul_hi_u32 s7, s20, s7
	s_add_i32 s20, s20, s7
	s_mul_hi_u32 s7, s6, s20
	s_ashr_i32 s20, s12, 31
	s_mul_i32 s23, s7, s22
	s_add_i32 s24, s7, 1
	s_sub_i32 s23, s6, s23
	s_sub_i32 s25, s23, s22
	s_cmp_ge_u32 s23, s22
	s_cselect_b32 s7, s24, s7
	s_cselect_b32 s23, s25, s23
	s_add_i32 s24, s7, 1
	s_cmp_ge_u32 s23, s22
	s_cselect_b32 s7, s24, s7
	s_and_b32 vcc_lo, exec_lo, s2
	s_mul_i32 s22, s7, s22
	s_lshl_b32 s7, s7, 7
	s_sub_i32 s6, s6, s22
	v_or_b32_e32 v2, s7, v76
	s_lshl_b32 s6, s6, 6
	v_or_b32_e32 v4, s6, v76
	v_ashrrev_i32_e32 v3, 31, v2
	v_ashrrev_i32_e32 v5, 31, v4
	s_cbranch_vccnz .LBB90_9
; %bb.8:
	v_mad_i64_i32 v[6:7], null, s12, v12, 0
	v_mad_i64_i32 v[8:9], null, s13, v12, 0
	v_lshlrev_b64 v[10:11], 2, v[4:5]
	v_lshlrev_b64 v[13:14], 2, v[2:3]
	;; [unrolled: 1-line block ×4, first 2 shown]
	v_add_co_u32 v6, vcc_lo, s18, v6
	v_add_co_ci_u32_e64 v7, null, s19, v7, vcc_lo
	v_add_co_u32 v8, vcc_lo, s14, v8
	v_add_co_ci_u32_e64 v9, null, s15, v9, vcc_lo
	;; [unrolled: 2-line block ×4, first 2 shown]
	global_load_dword v6, v[6:7], off
	s_clause 0x1
	global_load_dword v7, v[8:9], off
	global_load_dword v9, v[8:9], off offset:256
	s_waitcnt vmcnt(2)
	v_mul_f32_e32 v6, s17, v6
	s_waitcnt vmcnt(1)
	v_mul_f32_e32 v8, s17, v7
	;; [unrolled: 2-line block ×3, first 2 shown]
.LBB90_9:
	v_add_nc_u32_e32 v13, 4, v12
	v_mov_b32_e32 v78, 0
	v_mov_b32_e32 v79, 0
	s_and_b32 vcc_lo, exec_lo, s2
	s_cbranch_vccnz .LBB90_11
; %bb.10:
	v_mad_i64_i32 v[9:10], null, s12, v13, 0
	v_mad_i64_i32 v[14:15], null, s13, v13, 0
	v_lshlrev_b64 v[16:17], 2, v[4:5]
	v_lshlrev_b64 v[18:19], 2, v[2:3]
	;; [unrolled: 1-line block ×4, first 2 shown]
	v_add_co_u32 v9, vcc_lo, s18, v9
	v_add_co_ci_u32_e64 v10, null, s19, v10, vcc_lo
	v_add_co_u32 v11, vcc_lo, s14, v14
	v_add_co_ci_u32_e64 v15, null, s15, v15, vcc_lo
	;; [unrolled: 2-line block ×4, first 2 shown]
	global_load_dword v9, v[9:10], off
	s_clause 0x1
	global_load_dword v10, v[14:15], off
	global_load_dword v11, v[14:15], off offset:256
	s_waitcnt vmcnt(2)
	v_mul_f32_e32 v77, s17, v9
	s_waitcnt vmcnt(1)
	v_mul_f32_e32 v79, s17, v10
	;; [unrolled: 2-line block ×3, first 2 shown]
.LBB90_11:
	v_lshlrev_b32_e32 v9, 4, v76
	v_mov_b32_e32 v70, 0
	v_cmp_neq_f32_e64 s2, s3, 0
	v_lshl_or_b32 v73, v0, 4, 0x1000
	v_lshlrev_b32_e32 v74, 4, v1
	v_lshl_add_u32 v72, v12, 2, v9
	v_mov_b32_e32 v71, v70
	v_mov_b32_e32 v68, v70
	;; [unrolled: 1-line block ×4, first 2 shown]
	v_or_b32_e32 v75, 0x1000, v72
	ds_write_b32 v72, v6 offset:4096
	ds_write2st64_b32 v72, v8, v7 offset1:4
	v_mov_b32_e32 v6, v70
	v_mov_b32_e32 v7, v70
	;; [unrolled: 1-line block ×59, first 2 shown]
	s_mov_b32 s23, 0
	s_mov_b32 s22, -1
	s_waitcnt lgkmcnt(0)
	s_barrier
	buffer_gl0_inv
.LBB90_12:                              ; =>This Inner Loop Header: Depth=1
	s_lshl_b32 s23, s23, 2
	v_cndmask_b32_e64 v80, 0, 1, s22
	v_add_nc_u32_e32 v92, s23, v73
	v_add_nc_u32_e32 v100, s23, v74
	s_mov_b32 s22, 0
	s_mov_b32 s23, 2
	v_cmp_ne_u32_e32 vcc_lo, 1, v80
	ds_read2_b64 v[80:83], v92 offset1:16
	ds_read2_b64 v[84:87], v92 offset0:32 offset1:48
	ds_read2_b64 v[88:91], v92 offset0:64 offset1:80
	ds_read2_b64 v[92:95], v92 offset0:96 offset1:112
	ds_read2st64_b64 v[96:99], v100 offset1:1
	ds_read2st64_b64 v[100:103], v100 offset0:2 offset1:3
	s_and_b32 vcc_lo, exec_lo, vcc_lo
	s_waitcnt lgkmcnt(5)
	v_max_f32_e32 v80, v80, v80
	v_max_f32_e32 v81, v81, v81
	v_max_f32_e32 v82, v82, v82
	v_max_f32_e32 v83, v83, v83
	s_waitcnt lgkmcnt(4)
	v_max_f32_e32 v84, v84, v84
	v_max_f32_e32 v85, v85, v85
	v_max_f32_e32 v86, v86, v86
	v_max_f32_e32 v87, v87, v87
	;; [unrolled: 5-line block ×6, first 2 shown]
	v_min_f32_e32 v104, v80, v96
	v_min_f32_e32 v105, v82, v96
	;; [unrolled: 1-line block ×64, first 2 shown]
	v_add_f32_e32 v71, v102, v71
	v_add_f32_e32 v70, v104, v70
	;; [unrolled: 1-line block ×64, first 2 shown]
	s_cbranch_vccz .LBB90_12
; %bb.13:
	s_load_dword s22, s[4:5], 0x8
	v_lshlrev_b32_e32 v80, 2, v12
	v_lshl_add_u32 v80, v76, 4, v80
	v_lshl_add_u32 v76, v0, 4, 0x1400
	ds_write_b32 v80, v77 offset:5120
	ds_write2st64_b32 v80, v79, v78 offset0:8 offset1:12
	v_lshl_add_u32 v77, v1, 4, 0x800
	s_waitcnt lgkmcnt(0)
	s_barrier
	buffer_gl0_inv
	s_cmp_lt_i32 s22, 9
	s_cbranch_scc1 .LBB90_28
; %bb.14:
	v_lshlrev_b64 v[78:79], 2, v[4:5]
	v_lshlrev_b64 v[2:3], 2, v[2:3]
	v_add_nc_u32_e32 v4, 0x1400, v80
	v_or_b32_e32 v5, 0x800, v80
	v_add_co_u32 v78, vcc_lo, s18, v78
	v_add_co_ci_u32_e64 v79, null, s19, v79, vcc_lo
	v_add_co_u32 v80, vcc_lo, s14, v2
	v_add_co_ci_u32_e64 v81, null, s15, v3, vcc_lo
	s_add_i32 s14, s22, -8
	s_mov_b32 s15, 8
	s_mov_b32 s18, 0
.LBB90_15:                              ; =>This Loop Header: Depth=1
                                        ;     Child Loop BB90_20 Depth 2
                                        ;     Child Loop BB90_26 Depth 2
	s_mov_b32 s19, -1
	s_mov_b32 vcc_lo, s1
                                        ; implicit-def: $vgpr2_vgpr3
	s_cbranch_vccz .LBB90_17
; %bb.16:                               ;   in Loop: Header=BB90_15 Depth=1
	v_mov_b32_e32 v2, 0
	s_mov_b32 s19, 0
.LBB90_17:                              ;   in Loop: Header=BB90_15 Depth=1
	v_mov_b32_e32 v3, 0
	v_mov_b32_e32 v82, 0
	s_andn2_b32 vcc_lo, exec_lo, s19
	s_cbranch_vccnz .LBB90_19
; %bb.18:                               ;   in Loop: Header=BB90_15 Depth=1
	v_add_nc_u32_e32 v86, s15, v12
	v_mad_u64_u32 v[2:3], null, v86, s12, 0
	v_mad_u64_u32 v[82:83], null, v86, s13, 0
	;; [unrolled: 1-line block ×4, first 2 shown]
	v_mov_b32_e32 v3, v84
	v_lshlrev_b64 v[2:3], 2, v[2:3]
	v_mov_b32_e32 v83, v85
	v_add_co_u32 v2, vcc_lo, v78, v2
	v_lshlrev_b64 v[82:83], 2, v[82:83]
	v_add_co_ci_u32_e64 v3, null, v79, v3, vcc_lo
	v_add_co_u32 v82, vcc_lo, v80, v82
	v_add_co_ci_u32_e64 v83, null, v81, v83, vcc_lo
	global_load_dword v2, v[2:3], off
	s_clause 0x1
	global_load_dword v84, v[82:83], off
	global_load_dword v82, v[82:83], off offset:256
	s_waitcnt vmcnt(2)
	v_mul_f32_e32 v3, s17, v2
	s_waitcnt vmcnt(1)
	v_mul_f32_e32 v2, s17, v84
	;; [unrolled: 2-line block ×3, first 2 shown]
.LBB90_19:                              ;   in Loop: Header=BB90_15 Depth=1
	s_mov_b32 s22, 0
	s_mov_b32 s19, -1
.LBB90_20:                              ;   Parent Loop BB90_15 Depth=1
                                        ; =>  This Inner Loop Header: Depth=2
	s_lshl_b32 s22, s22, 2
	v_cndmask_b32_e64 v83, 0, 1, s19
	v_add_nc_u32_e32 v103, s22, v77
	v_add_nc_u32_e32 v99, s22, v76
	s_mov_b32 s19, 0
	s_mov_b32 s22, 2
	v_cmp_ne_u32_e32 vcc_lo, 1, v83
	ds_read2st64_b64 v[83:86], v103 offset1:1
	ds_read2_b64 v[87:90], v99 offset1:16
	ds_read2_b64 v[91:94], v99 offset0:32 offset1:48
	ds_read2_b64 v[95:98], v99 offset0:64 offset1:80
	;; [unrolled: 1-line block ×3, first 2 shown]
	ds_read2st64_b64 v[103:106], v103 offset0:2 offset1:3
	s_and_b32 vcc_lo, exec_lo, vcc_lo
	s_waitcnt lgkmcnt(5)
	v_max_f32_e32 v83, v83, v83
	s_waitcnt lgkmcnt(4)
	v_max_f32_e32 v87, v87, v87
	v_max_f32_e32 v84, v84, v84
	;; [unrolled: 1-line block ×5, first 2 shown]
	s_waitcnt lgkmcnt(3)
	v_max_f32_e32 v91, v91, v91
	v_max_f32_e32 v92, v92, v92
	v_max_f32_e32 v93, v93, v93
	v_max_f32_e32 v94, v94, v94
	s_waitcnt lgkmcnt(2)
	v_max_f32_e32 v95, v95, v95
	v_max_f32_e32 v96, v96, v96
	v_max_f32_e32 v97, v97, v97
	v_max_f32_e32 v98, v98, v98
	;; [unrolled: 5-line block ×3, first 2 shown]
	v_max_f32_e32 v85, v85, v85
	v_max_f32_e32 v86, v86, v86
	s_waitcnt lgkmcnt(0)
	v_max_f32_e32 v103, v103, v103
	v_max_f32_e32 v104, v104, v104
	v_max_f32_e32 v105, v105, v105
	v_max_f32_e32 v106, v106, v106
	v_min_f32_e32 v107, v87, v83
	v_min_f32_e32 v108, v88, v84
	;; [unrolled: 1-line block ×64, first 2 shown]
	v_add_f32_e32 v71, v108, v71
	v_add_f32_e32 v70, v107, v70
	;; [unrolled: 1-line block ×64, first 2 shown]
	s_cbranch_vccz .LBB90_20
; %bb.21:                               ;   in Loop: Header=BB90_15 Depth=1
	s_mov_b32 s19, -1
	s_mov_b32 vcc_lo, s1
	ds_write_b32 v75, v3
	ds_write2st64_b32 v72, v2, v82 offset1:4
	s_waitcnt lgkmcnt(0)
	s_barrier
	buffer_gl0_inv
                                        ; implicit-def: $vgpr2_vgpr3
	s_cbranch_vccz .LBB90_23
; %bb.22:                               ;   in Loop: Header=BB90_15 Depth=1
	v_mov_b32_e32 v2, 0
	s_mov_b32 s19, 0
.LBB90_23:                              ;   in Loop: Header=BB90_15 Depth=1
	v_mov_b32_e32 v3, 0
	v_mov_b32_e32 v82, 0
	s_andn2_b32 vcc_lo, exec_lo, s19
	s_cbranch_vccnz .LBB90_25
; %bb.24:                               ;   in Loop: Header=BB90_15 Depth=1
	v_add_nc_u32_e32 v86, s15, v13
	v_mad_u64_u32 v[2:3], null, v86, s12, 0
	v_mad_u64_u32 v[82:83], null, v86, s13, 0
	;; [unrolled: 1-line block ×4, first 2 shown]
	v_mov_b32_e32 v3, v84
	v_lshlrev_b64 v[2:3], 2, v[2:3]
	v_mov_b32_e32 v83, v85
	v_add_co_u32 v2, vcc_lo, v78, v2
	v_lshlrev_b64 v[82:83], 2, v[82:83]
	v_add_co_ci_u32_e64 v3, null, v79, v3, vcc_lo
	v_add_co_u32 v82, vcc_lo, v80, v82
	v_add_co_ci_u32_e64 v83, null, v81, v83, vcc_lo
	global_load_dword v2, v[2:3], off
	s_clause 0x1
	global_load_dword v84, v[82:83], off
	global_load_dword v82, v[82:83], off offset:256
	s_waitcnt vmcnt(2)
	v_mul_f32_e32 v3, s17, v2
	s_waitcnt vmcnt(1)
	v_mul_f32_e32 v2, s17, v84
	;; [unrolled: 2-line block ×3, first 2 shown]
.LBB90_25:                              ;   in Loop: Header=BB90_15 Depth=1
	s_mov_b32 s22, 0
	s_mov_b32 s19, -1
.LBB90_26:                              ;   Parent Loop BB90_15 Depth=1
                                        ; =>  This Inner Loop Header: Depth=2
	s_lshl_b32 s22, s22, 2
	v_cndmask_b32_e64 v83, 0, 1, s19
	v_add_nc_u32_e32 v103, s22, v74
	v_add_nc_u32_e32 v99, s22, v73
	s_mov_b32 s19, 0
	s_mov_b32 s22, 2
	v_cmp_ne_u32_e32 vcc_lo, 1, v83
	ds_read2st64_b64 v[83:86], v103 offset1:1
	ds_read2_b64 v[87:90], v99 offset1:16
	ds_read2_b64 v[91:94], v99 offset0:32 offset1:48
	ds_read2_b64 v[95:98], v99 offset0:64 offset1:80
	;; [unrolled: 1-line block ×3, first 2 shown]
	ds_read2st64_b64 v[103:106], v103 offset0:2 offset1:3
	s_and_b32 vcc_lo, exec_lo, vcc_lo
	s_waitcnt lgkmcnt(5)
	v_max_f32_e32 v83, v83, v83
	s_waitcnt lgkmcnt(4)
	v_max_f32_e32 v87, v87, v87
	v_max_f32_e32 v84, v84, v84
	;; [unrolled: 1-line block ×5, first 2 shown]
	s_waitcnt lgkmcnt(3)
	v_max_f32_e32 v91, v91, v91
	v_max_f32_e32 v92, v92, v92
	v_max_f32_e32 v93, v93, v93
	v_max_f32_e32 v94, v94, v94
	s_waitcnt lgkmcnt(2)
	v_max_f32_e32 v95, v95, v95
	v_max_f32_e32 v96, v96, v96
	v_max_f32_e32 v97, v97, v97
	v_max_f32_e32 v98, v98, v98
	;; [unrolled: 5-line block ×3, first 2 shown]
	v_max_f32_e32 v85, v85, v85
	v_max_f32_e32 v86, v86, v86
	s_waitcnt lgkmcnt(0)
	v_max_f32_e32 v103, v103, v103
	v_max_f32_e32 v104, v104, v104
	;; [unrolled: 1-line block ×4, first 2 shown]
	v_min_f32_e32 v107, v87, v83
	v_min_f32_e32 v108, v88, v84
	;; [unrolled: 1-line block ×64, first 2 shown]
	v_add_f32_e32 v71, v108, v71
	v_add_f32_e32 v70, v107, v70
	v_add_f32_e32 v69, v110, v69
	v_add_f32_e32 v68, v109, v68
	v_add_f32_e32 v7, v112, v7
	v_add_f32_e32 v6, v111, v6
	v_add_f32_e32 v11, v114, v11
	v_add_f32_e32 v10, v113, v10
	v_add_f32_e32 v15, v116, v15
	v_add_f32_e32 v14, v115, v14
	v_add_f32_e32 v9, v118, v9
	v_add_f32_e32 v8, v117, v8
	v_add_f32_e32 v67, v120, v67
	v_add_f32_e32 v66, v119, v66
	v_add_f32_e32 v65, v84, v65
	v_add_f32_e32 v64, v83, v64
	v_add_f32_e32 v63, v122, v63
	v_add_f32_e32 v62, v121, v62
	v_add_f32_e32 v61, v124, v61
	v_add_f32_e32 v60, v123, v60
	v_add_f32_e32 v59, v126, v59
	v_add_f32_e32 v58, v125, v58
	v_add_f32_e32 v57, v128, v57
	v_add_f32_e32 v56, v127, v56
	v_add_f32_e32 v55, v130, v55
	v_add_f32_e32 v54, v129, v54
	v_add_f32_e32 v53, v132, v53
	v_add_f32_e32 v52, v131, v52
	v_add_f32_e32 v51, v134, v51
	v_add_f32_e32 v50, v133, v50
	v_add_f32_e32 v49, v86, v49
	v_add_f32_e32 v48, v85, v48
	v_add_f32_e32 v47, v136, v47
	v_add_f32_e32 v46, v135, v46
	v_add_f32_e32 v45, v138, v45
	v_add_f32_e32 v44, v137, v44
	v_add_f32_e32 v43, v140, v43
	v_add_f32_e32 v42, v139, v42
	v_add_f32_e32 v41, v142, v41
	v_add_f32_e32 v40, v141, v40
	v_add_f32_e32 v39, v144, v39
	v_add_f32_e32 v38, v143, v38
	v_add_f32_e32 v37, v146, v37
	v_add_f32_e32 v36, v145, v36
	v_add_f32_e32 v35, v148, v35
	v_add_f32_e32 v34, v147, v34
	v_add_f32_e32 v33, v104, v33
	v_add_f32_e32 v32, v103, v32
	v_add_f32_e32 v31, v88, v31
	v_add_f32_e32 v30, v87, v30
	v_add_f32_e32 v29, v90, v29
	v_add_f32_e32 v28, v89, v28
	v_add_f32_e32 v27, v92, v27
	v_add_f32_e32 v26, v91, v26
	v_add_f32_e32 v25, v94, v25
	v_add_f32_e32 v24, v93, v24
	v_add_f32_e32 v23, v96, v23
	v_add_f32_e32 v22, v95, v22
	v_add_f32_e32 v21, v98, v21
	v_add_f32_e32 v20, v97, v20
	v_add_f32_e32 v19, v100, v19
	v_add_f32_e32 v18, v99, v18
	v_add_f32_e32 v17, v102, v17
	v_add_f32_e32 v16, v101, v16
	s_cbranch_vccz .LBB90_26
; %bb.27:                               ;   in Loop: Header=BB90_15 Depth=1
	s_add_i32 s18, s18, 8
	s_add_i32 s15, s15, 8
	s_cmp_ge_i32 s18, s14
	ds_write_b32 v4, v3
	ds_write2st64_b32 v5, v2, v82 offset1:4
	s_waitcnt lgkmcnt(0)
	s_barrier
	buffer_gl0_inv
	s_cbranch_scc0 .LBB90_15
.LBB90_28:
	s_mov_b32 s12, 0
	s_mov_b32 s1, -1
.LBB90_29:                              ; =>This Inner Loop Header: Depth=1
	s_lshl_b32 s12, s12, 2
	v_cndmask_b32_e64 v2, 0, 1, s1
	v_add_nc_u32_e32 v12, s12, v77
	v_add_nc_u32_e32 v13, s12, v76
	s_mov_b32 s1, 0
	s_mov_b32 s12, 2
	v_cmp_ne_u32_e32 vcc_lo, 1, v2
	ds_read2st64_b64 v[2:5], v12 offset1:1
	ds_read2_b64 v[72:75], v13 offset1:16
	ds_read2_b64 v[78:81], v13 offset0:32 offset1:48
	ds_read2_b64 v[82:85], v13 offset0:64 offset1:80
	;; [unrolled: 1-line block ×3, first 2 shown]
	ds_read2st64_b64 v[90:93], v12 offset0:2 offset1:3
	s_and_b32 vcc_lo, exec_lo, vcc_lo
	s_waitcnt lgkmcnt(5)
	v_max_f32_e32 v2, v2, v2
	s_waitcnt lgkmcnt(4)
	v_max_f32_e32 v12, v72, v72
	v_max_f32_e32 v3, v3, v3
	;; [unrolled: 1-line block ×5, first 2 shown]
	s_waitcnt lgkmcnt(3)
	v_max_f32_e32 v74, v78, v78
	v_max_f32_e32 v75, v79, v79
	v_max_f32_e32 v78, v80, v80
	v_max_f32_e32 v79, v81, v81
	s_waitcnt lgkmcnt(2)
	v_max_f32_e32 v80, v82, v82
	v_max_f32_e32 v81, v83, v83
	v_max_f32_e32 v82, v84, v84
	v_max_f32_e32 v83, v85, v85
	;; [unrolled: 5-line block ×3, first 2 shown]
	v_max_f32_e32 v4, v4, v4
	v_max_f32_e32 v5, v5, v5
	s_waitcnt lgkmcnt(0)
	v_max_f32_e32 v88, v90, v90
	v_max_f32_e32 v89, v91, v91
	v_max_f32_e32 v90, v92, v92
	v_max_f32_e32 v91, v93, v93
	v_min_f32_e32 v92, v12, v2
	v_min_f32_e32 v93, v13, v3
	;; [unrolled: 1-line block ×64, first 2 shown]
	v_add_f32_e32 v71, v93, v71
	v_add_f32_e32 v70, v92, v70
	;; [unrolled: 1-line block ×64, first 2 shown]
	s_cbranch_vccz .LBB90_29
; %bb.30:
	s_load_dword s12, s[4:5], 0x58
	v_add_nc_u32_e32 v72, s7, v1
	v_add_nc_u32_e32 v12, s6, v0
	v_cndmask_b32_e64 v0, 0, 1, s2
	v_mov_b32_e32 v4, 0
	v_ashrrev_i32_e32 v13, 31, v12
	v_cmp_ne_u32_e64 s1, 1, v0
	s_waitcnt lgkmcnt(0)
	v_mad_i64_i32 v[1:2], null, v72, s12, 0
	v_lshlrev_b64 v[2:3], 2, v[1:2]
	v_lshlrev_b64 v[0:1], 2, v[12:13]
	v_add_co_u32 v73, vcc_lo, s8, v2
	v_add_co_ci_u32_e64 v74, null, s9, v3, vcc_lo
	v_mov_b32_e32 v2, 0
	s_andn2_b32 vcc_lo, exec_lo, s2
	s_cbranch_vccnz .LBB90_32
; %bb.31:
	v_add_co_u32 v2, vcc_lo, v73, v0
	v_add_co_ci_u32_e64 v3, null, v74, v1, vcc_lo
	global_load_dword v2, v[2:3], off
	s_waitcnt vmcnt(0)
	v_mul_f32_e32 v2, s3, v2
.LBB90_32:
	s_clause 0x1
	s_load_dword s2, s[4:5], 0x70
	s_load_dwordx2 s[4:5], s[4:5], 0x78
	v_add_f32_e32 v3, v70, v71
	v_add_nc_u32_e32 v77, 8, v12
	v_add_f32_e32 v5, v3, v2
	v_ashrrev_i32_e32 v78, 31, v77
	v_lshlrev_b64 v[2:3], 2, v[77:78]
	s_waitcnt lgkmcnt(0)
	v_mad_i64_i32 v[75:76], null, v72, s2, 0
	s_mul_i32 s5, s5, s16
	s_mul_hi_u32 s6, s4, s16
	s_mul_i32 s4, s4, s16
	s_add_i32 s5, s6, s5
	s_lshl_b64 s[4:5], s[4:5], 2
	v_lshlrev_b64 v[70:71], 2, v[75:76]
	s_add_u32 s4, s10, s4
	s_addc_u32 s5, s11, s5
	v_add_co_u32 v70, vcc_lo, s4, v70
	v_add_co_ci_u32_e64 v71, null, s5, v71, vcc_lo
	v_add_co_u32 v75, vcc_lo, v70, v0
	v_add_co_ci_u32_e64 v76, null, v71, v1, vcc_lo
	s_and_b32 vcc_lo, exec_lo, s1
	global_store_dword v[75:76], v5, off
	s_cbranch_vccnz .LBB90_34
; %bb.33:
	v_add_co_u32 v4, vcc_lo, v73, v2
	v_add_co_ci_u32_e64 v5, null, v74, v3, vcc_lo
	global_load_dword v4, v[4:5], off
	s_waitcnt vmcnt(0)
	v_mul_f32_e32 v4, s3, v4
.LBB90_34:
	v_add_nc_u32_e32 v75, 16, v12
	v_add_f32_e32 v5, v68, v69
	v_add_co_u32 v77, vcc_lo, v70, v2
	v_add_co_ci_u32_e64 v78, null, v71, v3, vcc_lo
	v_ashrrev_i32_e32 v76, 31, v75
	v_add_f32_e32 v69, v5, v4
	v_mov_b32_e32 v13, 0
	v_mov_b32_e32 v68, 0
	s_and_b32 vcc_lo, exec_lo, s1
	v_lshlrev_b64 v[4:5], 2, v[75:76]
	global_store_dword v[77:78], v69, off
	s_cbranch_vccnz .LBB90_36
; %bb.35:
	v_add_co_u32 v68, vcc_lo, v73, v4
	v_add_co_ci_u32_e64 v69, null, v74, v5, vcc_lo
	global_load_dword v68, v[68:69], off
	s_waitcnt vmcnt(0)
	v_mul_f32_e32 v68, s3, v68
.LBB90_36:
	v_add_nc_u32_e32 v75, 24, v12
	v_add_f32_e32 v6, v6, v7
	v_ashrrev_i32_e32 v76, 31, v75
	v_add_f32_e32 v77, v6, v68
	v_add_co_u32 v68, vcc_lo, v70, v4
	v_add_co_ci_u32_e64 v69, null, v71, v5, vcc_lo
	v_lshlrev_b64 v[6:7], 2, v[75:76]
	s_and_b32 vcc_lo, exec_lo, s1
	global_store_dword v[68:69], v77, off
	s_cbranch_vccnz .LBB90_38
; %bb.37:
	v_add_co_u32 v68, vcc_lo, v73, v6
	v_add_co_ci_u32_e64 v69, null, v74, v7, vcc_lo
	global_load_dword v13, v[68:69], off
	s_waitcnt vmcnt(0)
	v_mul_f32_e32 v13, s3, v13
.LBB90_38:
	v_add_nc_u32_e32 v68, 32, v12
	v_add_f32_e32 v10, v10, v11
	v_add_co_u32 v75, vcc_lo, v70, v6
	v_add_co_ci_u32_e64 v76, null, v71, v7, vcc_lo
	v_ashrrev_i32_e32 v69, 31, v68
	v_add_f32_e32 v77, v10, v13
	v_mov_b32_e32 v13, 0
	s_and_b32 vcc_lo, exec_lo, s1
	v_lshlrev_b64 v[10:11], 2, v[68:69]
	v_mov_b32_e32 v68, 0
	global_store_dword v[75:76], v77, off
	s_cbranch_vccnz .LBB90_40
; %bb.39:
	v_add_co_u32 v68, vcc_lo, v73, v10
	v_add_co_ci_u32_e64 v69, null, v74, v11, vcc_lo
	global_load_dword v68, v[68:69], off
	s_waitcnt vmcnt(0)
	v_mul_f32_e32 v68, s3, v68
.LBB90_40:
	v_add_nc_u32_e32 v75, 40, v12
	v_add_f32_e32 v14, v14, v15
	v_ashrrev_i32_e32 v76, 31, v75
	v_add_f32_e32 v77, v14, v68
	v_add_co_u32 v68, vcc_lo, v70, v10
	v_add_co_ci_u32_e64 v69, null, v71, v11, vcc_lo
	v_lshlrev_b64 v[14:15], 2, v[75:76]
	s_and_b32 vcc_lo, exec_lo, s1
	global_store_dword v[68:69], v77, off
	s_cbranch_vccnz .LBB90_42
; %bb.41:
	v_add_co_u32 v68, vcc_lo, v73, v14
	v_add_co_ci_u32_e64 v69, null, v74, v15, vcc_lo
	global_load_dword v13, v[68:69], off
	s_waitcnt vmcnt(0)
	v_mul_f32_e32 v13, s3, v13
.LBB90_42:
	v_add_nc_u32_e32 v75, 48, v12
	v_add_f32_e32 v8, v8, v9
	v_add_co_u32 v77, vcc_lo, v70, v14
	v_add_co_ci_u32_e64 v78, null, v71, v15, vcc_lo
	v_ashrrev_i32_e32 v76, 31, v75
	v_add_f32_e32 v69, v8, v13
	v_mov_b32_e32 v68, 0
	v_mov_b32_e32 v13, 0
	s_and_b32 vcc_lo, exec_lo, s1
	v_lshlrev_b64 v[8:9], 2, v[75:76]
	global_store_dword v[77:78], v69, off
	s_cbranch_vccnz .LBB90_44
; %bb.43:
	v_add_co_u32 v75, vcc_lo, v73, v8
	v_add_co_ci_u32_e64 v76, null, v74, v9, vcc_lo
	global_load_dword v13, v[75:76], off
	s_waitcnt vmcnt(0)
	v_mul_f32_e32 v13, s3, v13
.LBB90_44:
	v_add_nc_u32_e32 v75, 56, v12
	v_add_f32_e32 v12, v66, v67
	v_add_co_u32 v66, vcc_lo, v70, v8
	v_add_co_ci_u32_e64 v67, null, v71, v9, vcc_lo
	v_ashrrev_i32_e32 v76, 31, v75
	v_add_f32_e32 v69, v12, v13
	s_and_b32 vcc_lo, exec_lo, s1
	v_lshlrev_b64 v[12:13], 2, v[75:76]
	global_store_dword v[66:67], v69, off
	s_cbranch_vccnz .LBB90_46
; %bb.45:
	v_add_co_u32 v66, vcc_lo, v73, v12
	v_add_co_ci_u32_e64 v67, null, v74, v13, vcc_lo
	global_load_dword v66, v[66:67], off
	s_waitcnt vmcnt(0)
	v_mul_f32_e32 v68, s3, v66
.LBB90_46:
	v_add_nc_u32_e32 v67, 32, v72
	v_add_f32_e32 v75, v64, v65
	v_add_co_u32 v69, vcc_lo, v70, v12
	v_add_co_ci_u32_e64 v70, null, v71, v13, vcc_lo
	v_mad_i64_i32 v[73:74], null, v67, s12, 0
	v_mov_b32_e32 v66, 0
	v_add_f32_e32 v71, v75, v68
	v_mov_b32_e32 v68, 0
	global_store_dword v[69:70], v71, off
	v_lshlrev_b64 v[64:65], 2, v[73:74]
	v_add_co_u32 v64, vcc_lo, s8, v64
	v_add_co_ci_u32_e64 v65, null, s9, v65, vcc_lo
	s_and_b32 vcc_lo, exec_lo, s1
	s_cbranch_vccnz .LBB90_48
; %bb.47:
	v_add_co_u32 v68, vcc_lo, v64, v0
	v_add_co_ci_u32_e64 v69, null, v65, v1, vcc_lo
	global_load_dword v68, v[68:69], off
	s_waitcnt vmcnt(0)
	v_mul_f32_e32 v68, s3, v68
.LBB90_48:
	v_mad_i64_i32 v[69:70], null, v67, s2, 0
	v_add_f32_e32 v67, v62, v63
	v_lshlrev_b64 v[69:70], 2, v[69:70]
	v_add_co_u32 v62, vcc_lo, s4, v69
	v_add_co_ci_u32_e64 v63, null, s5, v70, vcc_lo
	v_add_f32_e32 v69, v67, v68
	v_add_co_u32 v67, vcc_lo, v62, v0
	v_add_co_ci_u32_e64 v68, null, v63, v1, vcc_lo
	s_and_b32 vcc_lo, exec_lo, s1
	global_store_dword v[67:68], v69, off
	s_cbranch_vccnz .LBB90_50
; %bb.49:
	v_add_co_u32 v66, vcc_lo, v64, v2
	v_add_co_ci_u32_e64 v67, null, v65, v3, vcc_lo
	global_load_dword v66, v[66:67], off
	s_waitcnt vmcnt(0)
	v_mul_f32_e32 v66, s3, v66
.LBB90_50:
	v_add_f32_e32 v60, v60, v61
	v_add_co_u32 v67, vcc_lo, v62, v2
	v_add_co_ci_u32_e64 v68, null, v63, v3, vcc_lo
	v_add_f32_e32 v66, v60, v66
	v_mov_b32_e32 v60, 0
	v_mov_b32_e32 v61, 0
	s_and_b32 vcc_lo, exec_lo, s1
	global_store_dword v[67:68], v66, off
	s_cbranch_vccnz .LBB90_52
; %bb.51:
	v_add_co_u32 v66, vcc_lo, v64, v4
	v_add_co_ci_u32_e64 v67, null, v65, v5, vcc_lo
	global_load_dword v61, v[66:67], off
	s_waitcnt vmcnt(0)
	v_mul_f32_e32 v61, s3, v61
.LBB90_52:
	v_add_f32_e32 v58, v58, v59
	v_add_f32_e32 v61, v58, v61
	v_add_co_u32 v58, vcc_lo, v62, v4
	v_add_co_ci_u32_e64 v59, null, v63, v5, vcc_lo
	s_and_b32 vcc_lo, exec_lo, s1
	global_store_dword v[58:59], v61, off
	s_cbranch_vccnz .LBB90_54
; %bb.53:
	v_add_co_u32 v58, vcc_lo, v64, v6
	v_add_co_ci_u32_e64 v59, null, v65, v7, vcc_lo
	global_load_dword v58, v[58:59], off
	s_waitcnt vmcnt(0)
	v_mul_f32_e32 v60, s3, v58
.LBB90_54:
	v_add_f32_e32 v56, v56, v57
	v_add_co_u32 v58, vcc_lo, v62, v6
	v_add_co_ci_u32_e64 v59, null, v63, v7, vcc_lo
	v_add_f32_e32 v60, v56, v60
	v_mov_b32_e32 v56, 0
	v_mov_b32_e32 v57, 0
	s_and_b32 vcc_lo, exec_lo, s1
	global_store_dword v[58:59], v60, off
	s_cbranch_vccnz .LBB90_56
; %bb.55:
	v_add_co_u32 v57, vcc_lo, v64, v10
	v_add_co_ci_u32_e64 v58, null, v65, v11, vcc_lo
	global_load_dword v57, v[57:58], off
	s_waitcnt vmcnt(0)
	v_mul_f32_e32 v57, s3, v57
.LBB90_56:
	v_add_f32_e32 v54, v54, v55
	;; [unrolled: 30-line block ×3, first 2 shown]
	v_add_f32_e32 v53, v50, v53
	v_add_co_u32 v50, vcc_lo, v62, v8
	v_add_co_ci_u32_e64 v51, null, v63, v9, vcc_lo
	s_and_b32 vcc_lo, exec_lo, s1
	global_store_dword v[50:51], v53, off
	s_cbranch_vccnz .LBB90_62
; %bb.61:
	v_add_co_u32 v50, vcc_lo, v64, v12
	v_add_co_ci_u32_e64 v51, null, v65, v13, vcc_lo
	global_load_dword v50, v[50:51], off
	s_waitcnt vmcnt(0)
	v_mul_f32_e32 v52, s3, v50
.LBB90_62:
	v_add_nc_u32_e32 v51, 64, v72
	v_add_f32_e32 v55, v48, v49
	v_mov_b32_e32 v50, 0
	v_mad_i64_i32 v[53:54], null, v51, s12, 0
	v_add_f32_e32 v55, v55, v52
	v_mov_b32_e32 v52, 0
	v_lshlrev_b64 v[48:49], 2, v[53:54]
	v_add_co_u32 v53, vcc_lo, v62, v12
	v_add_co_ci_u32_e64 v54, null, v63, v13, vcc_lo
	v_add_co_u32 v48, vcc_lo, s8, v48
	v_add_co_ci_u32_e64 v49, null, s9, v49, vcc_lo
	s_and_b32 vcc_lo, exec_lo, s1
	global_store_dword v[53:54], v55, off
	s_cbranch_vccnz .LBB90_64
; %bb.63:
	v_add_co_u32 v52, vcc_lo, v48, v0
	v_add_co_ci_u32_e64 v53, null, v49, v1, vcc_lo
	global_load_dword v52, v[52:53], off
	s_waitcnt vmcnt(0)
	v_mul_f32_e32 v52, s3, v52
.LBB90_64:
	v_mad_i64_i32 v[53:54], null, v51, s2, 0
	v_add_f32_e32 v51, v46, v47
	v_lshlrev_b64 v[53:54], 2, v[53:54]
	v_add_co_u32 v46, vcc_lo, s4, v53
	v_add_co_ci_u32_e64 v47, null, s5, v54, vcc_lo
	v_add_f32_e32 v53, v51, v52
	v_add_co_u32 v51, vcc_lo, v46, v0
	v_add_co_ci_u32_e64 v52, null, v47, v1, vcc_lo
	s_and_b32 vcc_lo, exec_lo, s1
	global_store_dword v[51:52], v53, off
	s_cbranch_vccnz .LBB90_66
; %bb.65:
	v_add_co_u32 v50, vcc_lo, v48, v2
	v_add_co_ci_u32_e64 v51, null, v49, v3, vcc_lo
	global_load_dword v50, v[50:51], off
	s_waitcnt vmcnt(0)
	v_mul_f32_e32 v50, s3, v50
.LBB90_66:
	v_add_f32_e32 v44, v44, v45
	v_add_co_u32 v51, vcc_lo, v46, v2
	v_add_co_ci_u32_e64 v52, null, v47, v3, vcc_lo
	v_add_f32_e32 v50, v44, v50
	v_mov_b32_e32 v44, 0
	v_mov_b32_e32 v45, 0
	s_and_b32 vcc_lo, exec_lo, s1
	global_store_dword v[51:52], v50, off
	s_cbranch_vccnz .LBB90_68
; %bb.67:
	v_add_co_u32 v50, vcc_lo, v48, v4
	v_add_co_ci_u32_e64 v51, null, v49, v5, vcc_lo
	global_load_dword v45, v[50:51], off
	s_waitcnt vmcnt(0)
	v_mul_f32_e32 v45, s3, v45
.LBB90_68:
	v_add_f32_e32 v42, v42, v43
	v_add_f32_e32 v45, v42, v45
	v_add_co_u32 v42, vcc_lo, v46, v4
	v_add_co_ci_u32_e64 v43, null, v47, v5, vcc_lo
	s_and_b32 vcc_lo, exec_lo, s1
	global_store_dword v[42:43], v45, off
	s_cbranch_vccnz .LBB90_70
; %bb.69:
	v_add_co_u32 v42, vcc_lo, v48, v6
	v_add_co_ci_u32_e64 v43, null, v49, v7, vcc_lo
	global_load_dword v42, v[42:43], off
	s_waitcnt vmcnt(0)
	v_mul_f32_e32 v44, s3, v42
.LBB90_70:
	v_add_f32_e32 v40, v40, v41
	v_add_co_u32 v42, vcc_lo, v46, v6
	v_add_co_ci_u32_e64 v43, null, v47, v7, vcc_lo
	v_add_f32_e32 v44, v40, v44
	v_mov_b32_e32 v40, 0
	v_mov_b32_e32 v41, 0
	s_and_b32 vcc_lo, exec_lo, s1
	global_store_dword v[42:43], v44, off
	s_cbranch_vccnz .LBB90_72
; %bb.71:
	v_add_co_u32 v41, vcc_lo, v48, v10
	v_add_co_ci_u32_e64 v42, null, v49, v11, vcc_lo
	global_load_dword v41, v[41:42], off
	s_waitcnt vmcnt(0)
	v_mul_f32_e32 v41, s3, v41
.LBB90_72:
	v_add_f32_e32 v38, v38, v39
	;; [unrolled: 30-line block ×3, first 2 shown]
	v_add_f32_e32 v37, v34, v37
	v_add_co_u32 v34, vcc_lo, v46, v8
	v_add_co_ci_u32_e64 v35, null, v47, v9, vcc_lo
	s_and_b32 vcc_lo, exec_lo, s1
	global_store_dword v[34:35], v37, off
	s_cbranch_vccnz .LBB90_78
; %bb.77:
	v_add_co_u32 v34, vcc_lo, v48, v12
	v_add_co_ci_u32_e64 v35, null, v49, v13, vcc_lo
	global_load_dword v34, v[34:35], off
	s_waitcnt vmcnt(0)
	v_mul_f32_e32 v36, s3, v34
.LBB90_78:
	v_add_nc_u32_e32 v35, 0x60, v72
	v_add_f32_e32 v39, v32, v33
	v_mov_b32_e32 v34, 0
	v_mad_i64_i32 v[37:38], null, v35, s12, 0
	v_add_f32_e32 v39, v39, v36
	v_mov_b32_e32 v36, 0
	v_lshlrev_b64 v[32:33], 2, v[37:38]
	v_add_co_u32 v37, vcc_lo, v46, v12
	v_add_co_ci_u32_e64 v38, null, v47, v13, vcc_lo
	v_add_co_u32 v32, vcc_lo, s8, v32
	v_add_co_ci_u32_e64 v33, null, s9, v33, vcc_lo
	s_and_b32 vcc_lo, exec_lo, s1
	global_store_dword v[37:38], v39, off
	s_cbranch_vccnz .LBB90_80
; %bb.79:
	v_add_co_u32 v36, vcc_lo, v32, v0
	v_add_co_ci_u32_e64 v37, null, v33, v1, vcc_lo
	global_load_dword v36, v[36:37], off
	s_waitcnt vmcnt(0)
	v_mul_f32_e32 v36, s3, v36
.LBB90_80:
	v_mad_i64_i32 v[37:38], null, v35, s2, 0
	v_add_f32_e32 v35, v30, v31
	v_add_f32_e32 v35, v35, v36
	v_lshlrev_b64 v[37:38], 2, v[37:38]
	v_add_co_u32 v30, vcc_lo, s4, v37
	v_add_co_ci_u32_e64 v31, null, s5, v38, vcc_lo
	v_add_co_u32 v0, vcc_lo, v30, v0
	v_add_co_ci_u32_e64 v1, null, v31, v1, vcc_lo
	s_and_b32 vcc_lo, exec_lo, s1
	global_store_dword v[0:1], v35, off
	s_cbranch_vccnz .LBB90_82
; %bb.81:
	v_add_co_u32 v0, vcc_lo, v32, v2
	v_add_co_ci_u32_e64 v1, null, v33, v3, vcc_lo
	global_load_dword v0, v[0:1], off
	s_waitcnt vmcnt(0)
	v_mul_f32_e32 v34, s3, v0
.LBB90_82:
	v_add_f32_e32 v0, v28, v29
	v_add_co_u32 v2, vcc_lo, v30, v2
	v_add_co_ci_u32_e64 v3, null, v31, v3, vcc_lo
	v_add_f32_e32 v28, v0, v34
	v_mov_b32_e32 v0, 0
	v_mov_b32_e32 v1, 0
	s_and_b32 vcc_lo, exec_lo, s1
	global_store_dword v[2:3], v28, off
	s_cbranch_vccnz .LBB90_84
; %bb.83:
	v_add_co_u32 v1, vcc_lo, v32, v4
	v_add_co_ci_u32_e64 v2, null, v33, v5, vcc_lo
	global_load_dword v1, v[1:2], off
	s_waitcnt vmcnt(0)
	v_mul_f32_e32 v1, s3, v1
.LBB90_84:
	v_add_f32_e32 v2, v26, v27
	v_add_f32_e32 v3, v2, v1
	v_add_co_u32 v1, vcc_lo, v30, v4
	v_add_co_ci_u32_e64 v2, null, v31, v5, vcc_lo
	s_and_b32 vcc_lo, exec_lo, s1
	global_store_dword v[1:2], v3, off
	s_cbranch_vccnz .LBB90_86
; %bb.85:
	v_add_co_u32 v0, vcc_lo, v32, v6
	v_add_co_ci_u32_e64 v1, null, v33, v7, vcc_lo
	global_load_dword v0, v[0:1], off
	s_waitcnt vmcnt(0)
	v_mul_f32_e32 v0, s3, v0
.LBB90_86:
	v_add_f32_e32 v1, v24, v25
	v_add_co_u32 v2, vcc_lo, v30, v6
	v_add_co_ci_u32_e64 v3, null, v31, v7, vcc_lo
	v_add_f32_e32 v4, v1, v0
	v_mov_b32_e32 v0, 0
	v_mov_b32_e32 v1, 0
	s_and_b32 vcc_lo, exec_lo, s1
	global_store_dword v[2:3], v4, off
	s_cbranch_vccnz .LBB90_88
; %bb.87:
	v_add_co_u32 v1, vcc_lo, v32, v10
	v_add_co_ci_u32_e64 v2, null, v33, v11, vcc_lo
	global_load_dword v1, v[1:2], off
	s_waitcnt vmcnt(0)
	v_mul_f32_e32 v1, s3, v1
.LBB90_88:
	v_add_f32_e32 v2, v22, v23
	v_add_f32_e32 v3, v2, v1
	v_add_co_u32 v1, vcc_lo, v30, v10
	v_add_co_ci_u32_e64 v2, null, v31, v11, vcc_lo
	s_and_b32 vcc_lo, exec_lo, s1
	global_store_dword v[1:2], v3, off
	s_cbranch_vccnz .LBB90_90
; %bb.89:
	v_add_co_u32 v0, vcc_lo, v32, v14
	v_add_co_ci_u32_e64 v1, null, v33, v15, vcc_lo
	global_load_dword v0, v[0:1], off
	s_waitcnt vmcnt(0)
	v_mul_f32_e32 v0, s3, v0
.LBB90_90:
	v_add_f32_e32 v3, v20, v21
	v_add_co_u32 v1, vcc_lo, v30, v14
	v_add_co_ci_u32_e64 v2, null, v31, v15, vcc_lo
	v_add_f32_e32 v3, v3, v0
	v_add_f32_e32 v0, v18, v19
	s_mov_b32 s1, -1
	s_mov_b32 vcc_lo, s0
	global_store_dword v[1:2], v3, off
	s_cbranch_vccz .LBB90_92
; %bb.91:
	v_add_co_u32 v1, vcc_lo, v30, v8
	v_add_f32_e32 v3, 0, v0
	v_add_co_ci_u32_e64 v2, null, v31, v9, vcc_lo
	s_mov_b32 s1, 0
	global_store_dword v[1:2], v3, off
.LBB90_92:
	v_mov_b32_e32 v1, 0
	s_andn2_b32 vcc_lo, exec_lo, s1
	s_cbranch_vccnz .LBB90_94
; %bb.93:
	v_add_co_u32 v1, vcc_lo, v32, v8
	v_add_co_ci_u32_e64 v2, null, v33, v9, vcc_lo
	global_load_dword v3, v[1:2], off
	v_add_co_u32 v1, vcc_lo, v30, v8
	v_add_co_ci_u32_e64 v2, null, v31, v9, vcc_lo
	s_waitcnt vmcnt(0)
	v_fmac_f32_e32 v0, s3, v3
	v_add_co_u32 v3, vcc_lo, v32, v12
	v_add_co_ci_u32_e64 v4, null, v33, v13, vcc_lo
	global_store_dword v[1:2], v0, off
	global_load_dword v0, v[3:4], off
	s_waitcnt vmcnt(0)
	v_mul_f32_e32 v1, s3, v0
.LBB90_94:
	v_add_f32_e32 v0, v16, v17
	v_add_f32_e32 v2, v0, v1
	v_add_co_u32 v0, vcc_lo, v30, v12
	v_add_co_ci_u32_e64 v1, null, v31, v13, vcc_lo
	global_store_dword v[0:1], v2, off
	s_endpgm
	.section	.rodata,"a",@progbits
	.p2align	6, 0x0
	.amdhsa_kernel _ZN12_GLOBAL__N_120geam_min_plus_kernelIf15HIP_vector_typeIfLj2EES2_Li8ELi32ELi64ELi128ELi4ELi64ELi4ELi64ELi4ELc78ELc84ELb0ELb0ELb0EPKfS3_fEEviiiT16_PT17_ilS7_ilS5_S7_ilPT18_ili26rocblas_geam_ex_operation_
		.amdhsa_group_segment_fixed_size 6144
		.amdhsa_private_segment_fixed_size 0
		.amdhsa_kernarg_size 136
		.amdhsa_user_sgpr_count 6
		.amdhsa_user_sgpr_private_segment_buffer 1
		.amdhsa_user_sgpr_dispatch_ptr 0
		.amdhsa_user_sgpr_queue_ptr 0
		.amdhsa_user_sgpr_kernarg_segment_ptr 1
		.amdhsa_user_sgpr_dispatch_id 0
		.amdhsa_user_sgpr_flat_scratch_init 0
		.amdhsa_user_sgpr_private_segment_size 0
		.amdhsa_wavefront_size32 1
		.amdhsa_uses_dynamic_stack 0
		.amdhsa_system_sgpr_private_segment_wavefront_offset 0
		.amdhsa_system_sgpr_workgroup_id_x 1
		.amdhsa_system_sgpr_workgroup_id_y 0
		.amdhsa_system_sgpr_workgroup_id_z 1
		.amdhsa_system_sgpr_workgroup_info 0
		.amdhsa_system_vgpr_workitem_id 1
		.amdhsa_next_free_vgpr 149
		.amdhsa_next_free_sgpr 26
		.amdhsa_reserve_vcc 1
		.amdhsa_reserve_flat_scratch 0
		.amdhsa_float_round_mode_32 0
		.amdhsa_float_round_mode_16_64 0
		.amdhsa_float_denorm_mode_32 3
		.amdhsa_float_denorm_mode_16_64 3
		.amdhsa_dx10_clamp 1
		.amdhsa_ieee_mode 1
		.amdhsa_fp16_overflow 0
		.amdhsa_workgroup_processor_mode 1
		.amdhsa_memory_ordered 1
		.amdhsa_forward_progress 1
		.amdhsa_shared_vgpr_count 0
		.amdhsa_exception_fp_ieee_invalid_op 0
		.amdhsa_exception_fp_denorm_src 0
		.amdhsa_exception_fp_ieee_div_zero 0
		.amdhsa_exception_fp_ieee_overflow 0
		.amdhsa_exception_fp_ieee_underflow 0
		.amdhsa_exception_fp_ieee_inexact 0
		.amdhsa_exception_int_div_zero 0
	.end_amdhsa_kernel
	.section	.text._ZN12_GLOBAL__N_120geam_min_plus_kernelIf15HIP_vector_typeIfLj2EES2_Li8ELi32ELi64ELi128ELi4ELi64ELi4ELi64ELi4ELc78ELc84ELb0ELb0ELb0EPKfS3_fEEviiiT16_PT17_ilS7_ilS5_S7_ilPT18_ili26rocblas_geam_ex_operation_,"axG",@progbits,_ZN12_GLOBAL__N_120geam_min_plus_kernelIf15HIP_vector_typeIfLj2EES2_Li8ELi32ELi64ELi128ELi4ELi64ELi4ELi64ELi4ELc78ELc84ELb0ELb0ELb0EPKfS3_fEEviiiT16_PT17_ilS7_ilS5_S7_ilPT18_ili26rocblas_geam_ex_operation_,comdat
.Lfunc_end90:
	.size	_ZN12_GLOBAL__N_120geam_min_plus_kernelIf15HIP_vector_typeIfLj2EES2_Li8ELi32ELi64ELi128ELi4ELi64ELi4ELi64ELi4ELc78ELc84ELb0ELb0ELb0EPKfS3_fEEviiiT16_PT17_ilS7_ilS5_S7_ilPT18_ili26rocblas_geam_ex_operation_, .Lfunc_end90-_ZN12_GLOBAL__N_120geam_min_plus_kernelIf15HIP_vector_typeIfLj2EES2_Li8ELi32ELi64ELi128ELi4ELi64ELi4ELi64ELi4ELc78ELc84ELb0ELb0ELb0EPKfS3_fEEviiiT16_PT17_ilS7_ilS5_S7_ilPT18_ili26rocblas_geam_ex_operation_
                                        ; -- End function
	.set _ZN12_GLOBAL__N_120geam_min_plus_kernelIf15HIP_vector_typeIfLj2EES2_Li8ELi32ELi64ELi128ELi4ELi64ELi4ELi64ELi4ELc78ELc84ELb0ELb0ELb0EPKfS3_fEEviiiT16_PT17_ilS7_ilS5_S7_ilPT18_ili26rocblas_geam_ex_operation_.num_vgpr, 149
	.set _ZN12_GLOBAL__N_120geam_min_plus_kernelIf15HIP_vector_typeIfLj2EES2_Li8ELi32ELi64ELi128ELi4ELi64ELi4ELi64ELi4ELc78ELc84ELb0ELb0ELb0EPKfS3_fEEviiiT16_PT17_ilS7_ilS5_S7_ilPT18_ili26rocblas_geam_ex_operation_.num_agpr, 0
	.set _ZN12_GLOBAL__N_120geam_min_plus_kernelIf15HIP_vector_typeIfLj2EES2_Li8ELi32ELi64ELi128ELi4ELi64ELi4ELi64ELi4ELc78ELc84ELb0ELb0ELb0EPKfS3_fEEviiiT16_PT17_ilS7_ilS5_S7_ilPT18_ili26rocblas_geam_ex_operation_.numbered_sgpr, 26
	.set _ZN12_GLOBAL__N_120geam_min_plus_kernelIf15HIP_vector_typeIfLj2EES2_Li8ELi32ELi64ELi128ELi4ELi64ELi4ELi64ELi4ELc78ELc84ELb0ELb0ELb0EPKfS3_fEEviiiT16_PT17_ilS7_ilS5_S7_ilPT18_ili26rocblas_geam_ex_operation_.num_named_barrier, 0
	.set _ZN12_GLOBAL__N_120geam_min_plus_kernelIf15HIP_vector_typeIfLj2EES2_Li8ELi32ELi64ELi128ELi4ELi64ELi4ELi64ELi4ELc78ELc84ELb0ELb0ELb0EPKfS3_fEEviiiT16_PT17_ilS7_ilS5_S7_ilPT18_ili26rocblas_geam_ex_operation_.private_seg_size, 0
	.set _ZN12_GLOBAL__N_120geam_min_plus_kernelIf15HIP_vector_typeIfLj2EES2_Li8ELi32ELi64ELi128ELi4ELi64ELi4ELi64ELi4ELc78ELc84ELb0ELb0ELb0EPKfS3_fEEviiiT16_PT17_ilS7_ilS5_S7_ilPT18_ili26rocblas_geam_ex_operation_.uses_vcc, 1
	.set _ZN12_GLOBAL__N_120geam_min_plus_kernelIf15HIP_vector_typeIfLj2EES2_Li8ELi32ELi64ELi128ELi4ELi64ELi4ELi64ELi4ELc78ELc84ELb0ELb0ELb0EPKfS3_fEEviiiT16_PT17_ilS7_ilS5_S7_ilPT18_ili26rocblas_geam_ex_operation_.uses_flat_scratch, 0
	.set _ZN12_GLOBAL__N_120geam_min_plus_kernelIf15HIP_vector_typeIfLj2EES2_Li8ELi32ELi64ELi128ELi4ELi64ELi4ELi64ELi4ELc78ELc84ELb0ELb0ELb0EPKfS3_fEEviiiT16_PT17_ilS7_ilS5_S7_ilPT18_ili26rocblas_geam_ex_operation_.has_dyn_sized_stack, 0
	.set _ZN12_GLOBAL__N_120geam_min_plus_kernelIf15HIP_vector_typeIfLj2EES2_Li8ELi32ELi64ELi128ELi4ELi64ELi4ELi64ELi4ELc78ELc84ELb0ELb0ELb0EPKfS3_fEEviiiT16_PT17_ilS7_ilS5_S7_ilPT18_ili26rocblas_geam_ex_operation_.has_recursion, 0
	.set _ZN12_GLOBAL__N_120geam_min_plus_kernelIf15HIP_vector_typeIfLj2EES2_Li8ELi32ELi64ELi128ELi4ELi64ELi4ELi64ELi4ELc78ELc84ELb0ELb0ELb0EPKfS3_fEEviiiT16_PT17_ilS7_ilS5_S7_ilPT18_ili26rocblas_geam_ex_operation_.has_indirect_call, 0
	.section	.AMDGPU.csdata,"",@progbits
; Kernel info:
; codeLenInByte = 7636
; TotalNumSgprs: 28
; NumVgprs: 149
; ScratchSize: 0
; MemoryBound: 0
; FloatMode: 240
; IeeeMode: 1
; LDSByteSize: 6144 bytes/workgroup (compile time only)
; SGPRBlocks: 0
; VGPRBlocks: 18
; NumSGPRsForWavesPerEU: 28
; NumVGPRsForWavesPerEU: 149
; Occupancy: 6
; WaveLimiterHint : 1
; COMPUTE_PGM_RSRC2:SCRATCH_EN: 0
; COMPUTE_PGM_RSRC2:USER_SGPR: 6
; COMPUTE_PGM_RSRC2:TRAP_HANDLER: 0
; COMPUTE_PGM_RSRC2:TGID_X_EN: 1
; COMPUTE_PGM_RSRC2:TGID_Y_EN: 0
; COMPUTE_PGM_RSRC2:TGID_Z_EN: 1
; COMPUTE_PGM_RSRC2:TIDIG_COMP_CNT: 1
	.section	.text._ZN12_GLOBAL__N_120geam_min_plus_kernelIf15HIP_vector_typeIfLj2EES2_Li8ELi32ELi64ELi128ELi4ELi64ELi4ELi64ELi4ELc78ELc84ELb1ELb0ELb0EfKffEEviiiT16_PT17_ilS6_ilS4_S6_ilPT18_ili26rocblas_geam_ex_operation_,"axG",@progbits,_ZN12_GLOBAL__N_120geam_min_plus_kernelIf15HIP_vector_typeIfLj2EES2_Li8ELi32ELi64ELi128ELi4ELi64ELi4ELi64ELi4ELc78ELc84ELb1ELb0ELb0EfKffEEviiiT16_PT17_ilS6_ilS4_S6_ilPT18_ili26rocblas_geam_ex_operation_,comdat
	.globl	_ZN12_GLOBAL__N_120geam_min_plus_kernelIf15HIP_vector_typeIfLj2EES2_Li8ELi32ELi64ELi128ELi4ELi64ELi4ELi64ELi4ELc78ELc84ELb1ELb0ELb0EfKffEEviiiT16_PT17_ilS6_ilS4_S6_ilPT18_ili26rocblas_geam_ex_operation_ ; -- Begin function _ZN12_GLOBAL__N_120geam_min_plus_kernelIf15HIP_vector_typeIfLj2EES2_Li8ELi32ELi64ELi128ELi4ELi64ELi4ELi64ELi4ELc78ELc84ELb1ELb0ELb0EfKffEEviiiT16_PT17_ilS6_ilS4_S6_ilPT18_ili26rocblas_geam_ex_operation_
	.p2align	8
	.type	_ZN12_GLOBAL__N_120geam_min_plus_kernelIf15HIP_vector_typeIfLj2EES2_Li8ELi32ELi64ELi128ELi4ELi64ELi4ELi64ELi4ELc78ELc84ELb1ELb0ELb0EfKffEEviiiT16_PT17_ilS6_ilS4_S6_ilPT18_ili26rocblas_geam_ex_operation_,@function
_ZN12_GLOBAL__N_120geam_min_plus_kernelIf15HIP_vector_typeIfLj2EES2_Li8ELi32ELi64ELi128ELi4ELi64ELi4ELi64ELi4ELc78ELc84ELb1ELb0ELb0EfKffEEviiiT16_PT17_ilS6_ilS4_S6_ilPT18_ili26rocblas_geam_ex_operation_: ; @_ZN12_GLOBAL__N_120geam_min_plus_kernelIf15HIP_vector_typeIfLj2EES2_Li8ELi32ELi64ELi128ELi4ELi64ELi4ELi64ELi4ELc78ELc84ELb1ELb0ELb0EfKffEEviiiT16_PT17_ilS6_ilS4_S6_ilPT18_ili26rocblas_geam_ex_operation_
; %bb.0:
	s_clause 0x1
	s_load_dwordx2 s[14:15], s[4:5], 0x8
	s_load_dwordx4 s[0:3], s[4:5], 0x20
	s_waitcnt lgkmcnt(0)
	v_cmp_eq_f32_e64 s8, s15, 0
	s_and_b32 vcc_lo, exec_lo, s8
	s_cbranch_vccnz .LBB91_83
; %bb.1:
	s_load_dwordx2 s[10:11], s[4:5], 0x10
	s_mul_i32 s1, s1, s7
	s_mul_hi_u32 s9, s0, s7
	s_mul_i32 s0, s0, s7
	s_add_i32 s1, s9, s1
	s_lshl_b64 s[0:1], s[0:1], 2
	s_waitcnt lgkmcnt(0)
	s_add_u32 s16, s10, s0
	s_addc_u32 s17, s11, s1
	s_andn2_b32 vcc_lo, exec_lo, s8
	s_mov_b32 s0, -1
	s_cbranch_vccnz .LBB91_3
.LBB91_2:
	s_mov_b32 s0, 0
.LBB91_3:
	s_mov_b64 s[12:13], 0
	s_andn2_b32 vcc_lo, exec_lo, s0
	s_mov_b64 s[18:19], 0
	s_cbranch_vccnz .LBB91_5
; %bb.4:
	s_load_dwordx2 s[0:1], s[4:5], 0x38
	s_waitcnt lgkmcnt(0)
	s_mul_i32 s1, s1, s7
	s_mul_hi_u32 s8, s0, s7
	s_mul_i32 s0, s0, s7
	s_add_i32 s1, s8, s1
	s_lshl_b64 s[0:1], s[0:1], 2
	s_add_u32 s18, s2, s0
	s_addc_u32 s19, s3, s1
.LBB91_5:
	s_clause 0x1
	s_load_dword s2, s[4:5], 0x40
	s_load_dwordx4 s[8:11], s[4:5], 0x58
	s_mov_b32 s21, 0
	s_waitcnt lgkmcnt(0)
	v_cmp_eq_f32_e64 s0, s2, 0
	s_and_b32 s0, exec_lo, s0
	s_mov_b32 vcc_lo, s0
	s_cbranch_vccnz .LBB91_7
; %bb.6:
	s_load_dwordx2 s[12:13], s[4:5], 0x48
	s_mul_i32 s1, s9, s7
	s_mul_hi_u32 s3, s8, s7
	s_mul_i32 s8, s8, s7
	s_add_i32 s9, s3, s1
	s_lshl_b64 s[8:9], s[8:9], 2
	s_waitcnt lgkmcnt(0)
	s_add_u32 s12, s12, s8
	s_addc_u32 s13, s13, s9
.LBB91_7:
	s_clause 0x2
	s_load_dword s1, s[4:5], 0x0
	s_load_dword s8, s[4:5], 0x18
	;; [unrolled: 1-line block ×3, first 2 shown]
	v_lshl_add_u32 v3, v1, 3, v0
	v_mov_b32_e32 v70, 0
	v_lshl_or_b32 v72, v0, 4, 0x1000
	v_lshlrev_b32_e32 v73, 4, v1
	v_lshrrev_b32_e32 v12, 6, v3
	v_and_b32_e32 v74, 63, v3
	v_mov_b32_e32 v71, v70
	v_mov_b32_e32 v68, v70
	;; [unrolled: 1-line block ×3, first 2 shown]
	v_add_nc_u32_e32 v13, 4, v12
	v_mov_b32_e32 v66, v70
	v_mov_b32_e32 v67, v70
	;; [unrolled: 1-line block ×6, first 2 shown]
	s_waitcnt lgkmcnt(0)
	s_add_i32 s1, s1, -1
	s_ashr_i32 s15, s8, 31
	s_ashr_i32 s3, s1, 31
	;; [unrolled: 1-line block ×3, first 2 shown]
	s_lshr_b32 s3, s3, 26
	v_mad_i64_i32 v[4:5], null, s9, v12, 0
	s_add_i32 s1, s1, s3
	v_mad_i64_i32 v[6:7], null, s9, v13, 0
	s_ashr_i32 s1, s1, 6
	v_mad_i64_i32 v[8:9], null, s8, v13, 0
	s_add_i32 s3, s1, 1
	s_not_b32 s1, s1
	v_cvt_f32_u32_e32 v2, s3
	v_lshlrev_b64 v[4:5], 2, v[4:5]
	v_lshlrev_b64 v[6:7], 2, v[6:7]
	v_mov_b32_e32 v60, v70
	v_lshlrev_b64 v[8:9], 2, v[8:9]
	v_rcp_iflag_f32_e32 v2, v2
	v_mov_b32_e32 v61, v70
	v_mov_b32_e32 v58, v70
	;; [unrolled: 1-line block ×9, first 2 shown]
	v_mul_f32_e32 v2, 0x4f7ffffe, v2
	v_mov_b32_e32 v50, v70
	v_mov_b32_e32 v51, v70
	;; [unrolled: 1-line block ×4, first 2 shown]
	v_cvt_u32_f32_e32 v2, v2
	v_mov_b32_e32 v46, v70
	v_mov_b32_e32 v47, v70
	;; [unrolled: 1-line block ×4, first 2 shown]
	v_readfirstlane_b32 s22, v2
	v_mad_i64_i32 v[2:3], null, s8, v12, 0
	v_mov_b32_e32 v42, v70
	v_mov_b32_e32 v43, v70
	s_mul_i32 s1, s1, s22
	v_mov_b32_e32 v40, v70
	s_mul_hi_u32 s1, s22, s1
	v_mov_b32_e32 v41, v70
	s_add_i32 s22, s22, s1
	v_lshlrev_b64 v[2:3], 2, v[2:3]
	s_mul_hi_u32 s1, s6, s22
	v_mov_b32_e32 v38, v70
	s_mul_i32 s22, s1, s3
	s_add_i32 s23, s1, 1
	s_sub_i32 s22, s6, s22
	v_add_co_u32 v10, vcc_lo, s16, v2
	s_sub_i32 s24, s22, s3
	s_cmp_ge_u32 s22, s3
	v_add_co_ci_u32_e64 v11, null, s17, v3, vcc_lo
	s_cselect_b32 s1, s23, s1
	s_cselect_b32 s22, s24, s22
	s_add_i32 s23, s1, 1
	s_cmp_ge_u32 s22, s3
	v_add_co_u32 v14, vcc_lo, s18, v4
	s_cselect_b32 s1, s23, s1
	v_add_co_ci_u32_e64 v15, null, s19, v5, vcc_lo
	s_mul_i32 s22, s1, s3
	s_lshl_b32 s3, s1, 7
	s_sub_i32 s1, s6, s22
	v_or_b32_e32 v2, s3, v74
	s_lshl_b32 s1, s1, 6
	v_add_co_u32 v16, vcc_lo, s18, v6
	v_or_b32_e32 v4, s1, v74
	v_ashrrev_i32_e32 v3, 31, v2
	v_add_co_ci_u32_e64 v17, null, s19, v7, vcc_lo
	v_add_co_u32 v18, vcc_lo, s16, v8
	v_ashrrev_i32_e32 v5, 31, v4
	v_lshlrev_b64 v[2:3], 2, v[2:3]
	v_add_co_ci_u32_e64 v19, null, s17, v9, vcc_lo
	v_cmp_neq_f32_e64 s6, s2, 0
	v_lshlrev_b64 v[4:5], 2, v[4:5]
	v_mov_b32_e32 v39, v70
	v_add_co_u32 v6, vcc_lo, v14, v2
	v_add_co_ci_u32_e64 v7, null, v15, v3, vcc_lo
	v_add_co_u32 v8, vcc_lo, v16, v2
	v_add_co_ci_u32_e64 v9, null, v17, v3, vcc_lo
	;; [unrolled: 2-line block ×4, first 2 shown]
	s_clause 0x1
	global_load_dword v75, v[6:7], off
	global_load_dword v81, v[6:7], off offset:256
	global_load_dword v82, v[10:11], off
	s_clause 0x1
	global_load_dword v78, v[8:9], off
	global_load_dword v79, v[8:9], off offset:256
	global_load_dword v80, v[14:15], off
	v_lshlrev_b32_e32 v16, 4, v74
	v_mov_b32_e32 v6, v70
	v_mov_b32_e32 v7, v70
	;; [unrolled: 1-line block ×4, first 2 shown]
	v_lshl_add_u32 v76, v12, 2, v16
	v_mov_b32_e32 v14, v70
	v_mov_b32_e32 v15, v70
	;; [unrolled: 1-line block ×26, first 2 shown]
	v_or_b32_e32 v77, 0x1000, v76
	s_mov_b32 s22, -1
	s_waitcnt vmcnt(4)
	ds_write2st64_b32 v76, v75, v81 offset1:4
	s_waitcnt vmcnt(3)
	ds_write_b32 v76, v82 offset:4096
	s_waitcnt vmcnt(0) lgkmcnt(0)
	s_barrier
	buffer_gl0_inv
.LBB91_8:                               ; =>This Inner Loop Header: Depth=1
	s_lshl_b32 s21, s21, 2
	v_cndmask_b32_e64 v75, 0, 1, s22
	v_add_nc_u32_e32 v93, s21, v72
	v_add_nc_u32_e32 v101, s21, v73
	s_mov_b32 s22, 0
	s_mov_b32 s21, 2
	v_cmp_ne_u32_e32 vcc_lo, 1, v75
	ds_read2_b64 v[81:84], v93 offset1:16
	ds_read2_b64 v[85:88], v93 offset0:32 offset1:48
	ds_read2_b64 v[89:92], v93 offset0:64 offset1:80
	ds_read2_b64 v[93:96], v93 offset0:96 offset1:112
	ds_read2st64_b64 v[97:100], v101 offset1:1
	ds_read2st64_b64 v[101:104], v101 offset0:2 offset1:3
	s_and_b32 vcc_lo, exec_lo, vcc_lo
	s_waitcnt lgkmcnt(5)
	v_max_f32_e32 v75, v81, v81
	v_max_f32_e32 v81, v82, v82
	v_max_f32_e32 v82, v83, v83
	v_max_f32_e32 v83, v84, v84
	s_waitcnt lgkmcnt(4)
	v_max_f32_e32 v84, v85, v85
	v_max_f32_e32 v85, v86, v86
	v_max_f32_e32 v86, v87, v87
	v_max_f32_e32 v87, v88, v88
	;; [unrolled: 5-line block ×6, first 2 shown]
	v_min_f32_e32 v104, v75, v96
	v_min_f32_e32 v105, v82, v96
	;; [unrolled: 1-line block ×64, first 2 shown]
	v_add_f32_e32 v71, v102, v71
	v_add_f32_e32 v70, v104, v70
	;; [unrolled: 1-line block ×64, first 2 shown]
	s_cbranch_vccz .LBB91_8
; %bb.9:
	v_lshlrev_b32_e32 v75, 2, v12
	s_cmp_lt_i32 s14, 9
	v_lshl_add_u32 v81, v74, 4, v75
	v_lshl_add_u32 v74, v0, 4, 0x1400
	;; [unrolled: 1-line block ×3, first 2 shown]
	ds_write_b32 v81, v80 offset:5120
	ds_write2st64_b32 v81, v78, v79 offset0:8 offset1:12
	s_waitcnt lgkmcnt(0)
	s_barrier
	buffer_gl0_inv
	s_cbranch_scc1 .LBB91_16
; %bb.10:
	v_add_co_u32 v4, vcc_lo, s16, v4
	v_add_co_ci_u32_e64 v5, null, s17, v5, vcc_lo
	v_add_co_u32 v2, vcc_lo, s18, v2
	v_add_nc_u32_e32 v78, 0x1400, v81
	v_or_b32_e32 v79, 0x800, v81
	v_add_co_ci_u32_e64 v3, null, s19, v3, vcc_lo
	s_add_i32 s14, s14, -8
	s_mov_b32 s16, 8
	s_mov_b32 s17, 0
.LBB91_11:                              ; =>This Loop Header: Depth=1
                                        ;     Child Loop BB91_12 Depth 2
                                        ;     Child Loop BB91_14 Depth 2
	v_add_nc_u32_e32 v86, s16, v12
	s_mov_b32 s18, -1
	s_mov_b32 s19, 0
	v_mad_u64_u32 v[80:81], null, v86, s8, 0
	v_mad_u64_u32 v[82:83], null, v86, s9, 0
	;; [unrolled: 1-line block ×4, first 2 shown]
	v_mov_b32_e32 v81, v84
	v_lshlrev_b64 v[80:81], 2, v[80:81]
	v_mov_b32_e32 v83, v85
	v_add_co_u32 v80, vcc_lo, v4, v80
	v_lshlrev_b64 v[82:83], 2, v[82:83]
	v_add_co_ci_u32_e64 v81, null, v5, v81, vcc_lo
	v_add_co_u32 v82, vcc_lo, v2, v82
	v_add_co_ci_u32_e64 v83, null, v3, v83, vcc_lo
	global_load_dword v80, v[80:81], off
	s_clause 0x1
	global_load_dword v81, v[82:83], off
	global_load_dword v82, v[82:83], off offset:256
.LBB91_12:                              ;   Parent Loop BB91_11 Depth=1
                                        ; =>  This Inner Loop Header: Depth=2
	s_lshl_b32 s19, s19, 2
	v_cndmask_b32_e64 v83, 0, 1, s18
	v_add_nc_u32_e32 v103, s19, v75
	v_add_nc_u32_e32 v99, s19, v74
	s_mov_b32 s18, 0
	s_mov_b32 s19, 2
	v_cmp_ne_u32_e32 vcc_lo, 1, v83
	ds_read2st64_b64 v[83:86], v103 offset1:1
	ds_read2_b64 v[87:90], v99 offset1:16
	ds_read2_b64 v[91:94], v99 offset0:32 offset1:48
	ds_read2_b64 v[95:98], v99 offset0:64 offset1:80
	;; [unrolled: 1-line block ×3, first 2 shown]
	ds_read2st64_b64 v[103:106], v103 offset0:2 offset1:3
	s_and_b32 vcc_lo, exec_lo, vcc_lo
	s_waitcnt lgkmcnt(5)
	v_max_f32_e32 v83, v83, v83
	s_waitcnt lgkmcnt(4)
	v_max_f32_e32 v87, v87, v87
	v_max_f32_e32 v84, v84, v84
	;; [unrolled: 1-line block ×5, first 2 shown]
	s_waitcnt lgkmcnt(3)
	v_max_f32_e32 v91, v91, v91
	v_max_f32_e32 v92, v92, v92
	v_max_f32_e32 v93, v93, v93
	v_max_f32_e32 v94, v94, v94
	s_waitcnt lgkmcnt(2)
	v_max_f32_e32 v95, v95, v95
	v_max_f32_e32 v96, v96, v96
	v_max_f32_e32 v97, v97, v97
	v_max_f32_e32 v98, v98, v98
	;; [unrolled: 5-line block ×3, first 2 shown]
	v_max_f32_e32 v85, v85, v85
	v_max_f32_e32 v86, v86, v86
	s_waitcnt lgkmcnt(0)
	v_max_f32_e32 v103, v103, v103
	v_max_f32_e32 v104, v104, v104
	;; [unrolled: 1-line block ×4, first 2 shown]
	v_min_f32_e32 v107, v87, v83
	v_min_f32_e32 v108, v88, v84
	v_min_f32_e32 v109, v89, v83
	v_min_f32_e32 v110, v90, v84
	v_min_f32_e32 v111, v91, v83
	v_min_f32_e32 v112, v92, v84
	v_min_f32_e32 v113, v93, v83
	v_min_f32_e32 v114, v94, v84
	v_min_f32_e32 v115, v95, v83
	v_min_f32_e32 v116, v96, v84
	v_min_f32_e32 v117, v97, v83
	v_min_f32_e32 v118, v98, v84
	v_min_f32_e32 v119, v99, v83
	v_min_f32_e32 v120, v100, v84
	v_min_f32_e32 v83, v101, v83
	v_min_f32_e32 v84, v102, v84
	v_min_f32_e32 v121, v87, v85
	v_min_f32_e32 v122, v88, v86
	v_min_f32_e32 v123, v89, v85
	v_min_f32_e32 v124, v90, v86
	v_min_f32_e32 v125, v91, v85
	v_min_f32_e32 v126, v92, v86
	v_min_f32_e32 v127, v93, v85
	v_min_f32_e32 v128, v94, v86
	v_min_f32_e32 v129, v95, v85
	v_min_f32_e32 v130, v96, v86
	v_min_f32_e32 v131, v97, v85
	v_min_f32_e32 v132, v98, v86
	v_min_f32_e32 v133, v99, v85
	v_min_f32_e32 v134, v100, v86
	v_min_f32_e32 v85, v101, v85
	v_min_f32_e32 v86, v102, v86
	v_min_f32_e32 v135, v87, v103
	v_min_f32_e32 v136, v88, v104
	v_min_f32_e32 v137, v89, v103
	v_min_f32_e32 v138, v90, v104
	v_min_f32_e32 v139, v91, v103
	v_min_f32_e32 v140, v92, v104
	v_min_f32_e32 v141, v93, v103
	v_min_f32_e32 v142, v94, v104
	v_min_f32_e32 v143, v95, v103
	v_min_f32_e32 v144, v96, v104
	v_min_f32_e32 v145, v97, v103
	v_min_f32_e32 v146, v98, v104
	v_min_f32_e32 v147, v99, v103
	v_min_f32_e32 v148, v100, v104
	v_min_f32_e32 v103, v101, v103
	v_min_f32_e32 v104, v102, v104
	v_min_f32_e32 v87, v87, v105
	v_min_f32_e32 v88, v88, v106
	v_min_f32_e32 v89, v89, v105
	v_min_f32_e32 v90, v90, v106
	v_min_f32_e32 v91, v91, v105
	v_min_f32_e32 v92, v92, v106
	v_min_f32_e32 v93, v93, v105
	v_min_f32_e32 v94, v94, v106
	v_min_f32_e32 v95, v95, v105
	v_min_f32_e32 v96, v96, v106
	v_min_f32_e32 v97, v97, v105
	v_min_f32_e32 v98, v98, v106
	v_min_f32_e32 v99, v99, v105
	v_min_f32_e32 v100, v100, v106
	v_min_f32_e32 v101, v101, v105
	v_min_f32_e32 v102, v102, v106
	v_add_f32_e32 v71, v108, v71
	v_add_f32_e32 v70, v107, v70
	;; [unrolled: 1-line block ×64, first 2 shown]
	s_cbranch_vccz .LBB91_12
; %bb.13:                               ;   in Loop: Header=BB91_11 Depth=1
	v_add_nc_u32_e32 v89, s16, v13
	s_waitcnt vmcnt(2)
	ds_write_b32 v77, v80
	s_waitcnt vmcnt(0)
	ds_write2st64_b32 v76, v81, v82 offset1:4
	s_waitcnt lgkmcnt(0)
	s_barrier
	buffer_gl0_inv
	v_mad_u64_u32 v[83:84], null, v89, s8, 0
	v_mad_u64_u32 v[85:86], null, v89, s9, 0
	s_mov_b32 s19, 0
	s_mov_b32 s18, -1
	v_mad_u64_u32 v[87:88], null, v89, s15, v[84:85]
	v_mad_u64_u32 v[88:89], null, v89, s20, v[86:87]
	v_mov_b32_e32 v84, v87
	v_lshlrev_b64 v[83:84], 2, v[83:84]
	v_mov_b32_e32 v86, v88
	v_add_co_u32 v82, vcc_lo, v4, v83
	v_lshlrev_b64 v[80:81], 2, v[85:86]
	v_add_co_ci_u32_e64 v83, null, v5, v84, vcc_lo
	v_add_co_u32 v84, vcc_lo, v2, v80
	v_add_co_ci_u32_e64 v85, null, v3, v81, vcc_lo
	global_load_dword v80, v[82:83], off
	s_clause 0x1
	global_load_dword v81, v[84:85], off
	global_load_dword v82, v[84:85], off offset:256
.LBB91_14:                              ;   Parent Loop BB91_11 Depth=1
                                        ; =>  This Inner Loop Header: Depth=2
	s_lshl_b32 s19, s19, 2
	v_cndmask_b32_e64 v83, 0, 1, s18
	v_add_nc_u32_e32 v103, s19, v73
	v_add_nc_u32_e32 v99, s19, v72
	s_mov_b32 s18, 0
	s_mov_b32 s19, 2
	v_cmp_ne_u32_e32 vcc_lo, 1, v83
	ds_read2st64_b64 v[83:86], v103 offset1:1
	ds_read2_b64 v[87:90], v99 offset1:16
	ds_read2_b64 v[91:94], v99 offset0:32 offset1:48
	ds_read2_b64 v[95:98], v99 offset0:64 offset1:80
	ds_read2_b64 v[99:102], v99 offset0:96 offset1:112
	ds_read2st64_b64 v[103:106], v103 offset0:2 offset1:3
	s_and_b32 vcc_lo, exec_lo, vcc_lo
	s_waitcnt lgkmcnt(5)
	v_max_f32_e32 v83, v83, v83
	s_waitcnt lgkmcnt(4)
	v_max_f32_e32 v87, v87, v87
	v_max_f32_e32 v84, v84, v84
	v_max_f32_e32 v88, v88, v88
	v_max_f32_e32 v89, v89, v89
	v_max_f32_e32 v90, v90, v90
	s_waitcnt lgkmcnt(3)
	v_max_f32_e32 v91, v91, v91
	v_max_f32_e32 v92, v92, v92
	v_max_f32_e32 v93, v93, v93
	v_max_f32_e32 v94, v94, v94
	s_waitcnt lgkmcnt(2)
	v_max_f32_e32 v95, v95, v95
	v_max_f32_e32 v96, v96, v96
	v_max_f32_e32 v97, v97, v97
	v_max_f32_e32 v98, v98, v98
	;; [unrolled: 5-line block ×3, first 2 shown]
	v_max_f32_e32 v85, v85, v85
	v_max_f32_e32 v86, v86, v86
	s_waitcnt lgkmcnt(0)
	v_max_f32_e32 v103, v103, v103
	v_max_f32_e32 v104, v104, v104
	;; [unrolled: 1-line block ×4, first 2 shown]
	v_min_f32_e32 v107, v87, v83
	v_min_f32_e32 v108, v88, v84
	;; [unrolled: 1-line block ×64, first 2 shown]
	v_add_f32_e32 v71, v108, v71
	v_add_f32_e32 v70, v107, v70
	;; [unrolled: 1-line block ×64, first 2 shown]
	s_cbranch_vccz .LBB91_14
; %bb.15:                               ;   in Loop: Header=BB91_11 Depth=1
	s_add_i32 s17, s17, 8
	s_add_i32 s16, s16, 8
	s_cmp_ge_i32 s17, s14
	s_waitcnt vmcnt(2)
	ds_write_b32 v78, v80
	s_waitcnt vmcnt(0)
	ds_write2st64_b32 v79, v81, v82 offset1:4
	s_waitcnt lgkmcnt(0)
	s_barrier
	buffer_gl0_inv
	s_cbranch_scc0 .LBB91_11
.LBB91_16:
	s_mov_b32 s9, 0
	s_mov_b32 s8, -1
.LBB91_17:                              ; =>This Inner Loop Header: Depth=1
	s_lshl_b32 s9, s9, 2
	v_cndmask_b32_e64 v2, 0, 1, s8
	v_add_nc_u32_e32 v12, s9, v75
	v_add_nc_u32_e32 v13, s9, v74
	s_mov_b32 s8, 0
	s_mov_b32 s9, 2
	v_cmp_ne_u32_e32 vcc_lo, 1, v2
	ds_read2st64_b64 v[2:5], v12 offset1:1
	ds_read2_b64 v[76:79], v13 offset1:16
	ds_read2_b64 v[80:83], v13 offset0:32 offset1:48
	ds_read2_b64 v[84:87], v13 offset0:64 offset1:80
	;; [unrolled: 1-line block ×3, first 2 shown]
	ds_read2st64_b64 v[92:95], v12 offset0:2 offset1:3
	s_and_b32 vcc_lo, exec_lo, vcc_lo
	s_waitcnt lgkmcnt(5)
	v_max_f32_e32 v2, v2, v2
	s_waitcnt lgkmcnt(4)
	v_max_f32_e32 v12, v76, v76
	v_max_f32_e32 v3, v3, v3
	;; [unrolled: 1-line block ×5, first 2 shown]
	s_waitcnt lgkmcnt(3)
	v_max_f32_e32 v76, v80, v80
	v_max_f32_e32 v77, v81, v81
	v_max_f32_e32 v78, v82, v82
	v_max_f32_e32 v79, v83, v83
	s_waitcnt lgkmcnt(2)
	v_max_f32_e32 v80, v84, v84
	v_max_f32_e32 v81, v85, v85
	v_max_f32_e32 v82, v86, v86
	v_max_f32_e32 v83, v87, v87
	s_waitcnt lgkmcnt(1)
	v_max_f32_e32 v84, v88, v88
	v_max_f32_e32 v85, v89, v89
	v_max_f32_e32 v86, v90, v90
	v_max_f32_e32 v87, v91, v91
	v_max_f32_e32 v4, v4, v4
	v_max_f32_e32 v5, v5, v5
	s_waitcnt lgkmcnt(0)
	v_max_f32_e32 v88, v92, v92
	v_max_f32_e32 v89, v93, v93
	;; [unrolled: 1-line block ×4, first 2 shown]
	v_min_f32_e32 v92, v12, v2
	v_min_f32_e32 v93, v13, v3
	;; [unrolled: 1-line block ×64, first 2 shown]
	v_add_f32_e32 v71, v93, v71
	v_add_f32_e32 v70, v92, v70
	;; [unrolled: 1-line block ×64, first 2 shown]
	s_cbranch_vccz .LBB91_17
; %bb.18:
	s_load_dword s8, s[4:5], 0x50
	v_add_nc_u32_e32 v72, s3, v1
	v_add_nc_u32_e32 v12, s1, v0
	v_cndmask_b32_e64 v0, 0, 1, s6
	v_mov_b32_e32 v4, 0
	v_ashrrev_i32_e32 v13, 31, v12
	v_cmp_ne_u32_e64 s1, 1, v0
	s_waitcnt lgkmcnt(0)
	v_mad_i64_i32 v[1:2], null, v72, s8, 0
	v_lshlrev_b64 v[2:3], 2, v[1:2]
	v_lshlrev_b64 v[0:1], 2, v[12:13]
	v_add_co_u32 v73, vcc_lo, s12, v2
	v_add_co_ci_u32_e64 v74, null, s13, v3, vcc_lo
	v_mov_b32_e32 v2, 0
	s_andn2_b32 vcc_lo, exec_lo, s6
	s_cbranch_vccnz .LBB91_20
; %bb.19:
	v_add_co_u32 v2, vcc_lo, v73, v0
	v_add_co_ci_u32_e64 v3, null, v74, v1, vcc_lo
	global_load_dword v2, v[2:3], off
	s_waitcnt vmcnt(0)
	v_mul_f32_e32 v2, s2, v2
.LBB91_20:
	s_clause 0x1
	s_load_dword s3, s[4:5], 0x68
	s_load_dwordx2 s[4:5], s[4:5], 0x70
	v_add_f32_e32 v3, v70, v71
	v_add_nc_u32_e32 v77, 8, v12
	v_add_f32_e32 v5, v3, v2
	v_ashrrev_i32_e32 v78, 31, v77
	v_lshlrev_b64 v[2:3], 2, v[77:78]
	s_waitcnt lgkmcnt(0)
	v_mad_i64_i32 v[75:76], null, v72, s3, 0
	s_mul_i32 s5, s5, s7
	s_mul_hi_u32 s6, s4, s7
	s_mul_i32 s4, s4, s7
	s_add_i32 s5, s6, s5
	s_lshl_b64 s[4:5], s[4:5], 2
	v_lshlrev_b64 v[70:71], 2, v[75:76]
	s_add_u32 s4, s10, s4
	s_addc_u32 s5, s11, s5
	v_add_co_u32 v70, vcc_lo, s4, v70
	v_add_co_ci_u32_e64 v71, null, s5, v71, vcc_lo
	v_add_co_u32 v75, vcc_lo, v70, v0
	v_add_co_ci_u32_e64 v76, null, v71, v1, vcc_lo
	s_and_b32 vcc_lo, exec_lo, s1
	global_store_dword v[75:76], v5, off
	s_cbranch_vccnz .LBB91_22
; %bb.21:
	v_add_co_u32 v4, vcc_lo, v73, v2
	v_add_co_ci_u32_e64 v5, null, v74, v3, vcc_lo
	global_load_dword v4, v[4:5], off
	s_waitcnt vmcnt(0)
	v_mul_f32_e32 v4, s2, v4
.LBB91_22:
	v_add_nc_u32_e32 v75, 16, v12
	v_add_f32_e32 v5, v68, v69
	v_add_co_u32 v77, vcc_lo, v70, v2
	v_add_co_ci_u32_e64 v78, null, v71, v3, vcc_lo
	v_ashrrev_i32_e32 v76, 31, v75
	v_add_f32_e32 v69, v5, v4
	v_mov_b32_e32 v13, 0
	v_mov_b32_e32 v68, 0
	s_and_b32 vcc_lo, exec_lo, s1
	v_lshlrev_b64 v[4:5], 2, v[75:76]
	global_store_dword v[77:78], v69, off
	s_cbranch_vccnz .LBB91_24
; %bb.23:
	v_add_co_u32 v68, vcc_lo, v73, v4
	v_add_co_ci_u32_e64 v69, null, v74, v5, vcc_lo
	global_load_dword v68, v[68:69], off
	s_waitcnt vmcnt(0)
	v_mul_f32_e32 v68, s2, v68
.LBB91_24:
	v_add_nc_u32_e32 v75, 24, v12
	v_add_f32_e32 v6, v6, v7
	v_ashrrev_i32_e32 v76, 31, v75
	v_add_f32_e32 v77, v6, v68
	v_add_co_u32 v68, vcc_lo, v70, v4
	v_add_co_ci_u32_e64 v69, null, v71, v5, vcc_lo
	v_lshlrev_b64 v[6:7], 2, v[75:76]
	s_and_b32 vcc_lo, exec_lo, s1
	global_store_dword v[68:69], v77, off
	s_cbranch_vccnz .LBB91_26
; %bb.25:
	v_add_co_u32 v68, vcc_lo, v73, v6
	v_add_co_ci_u32_e64 v69, null, v74, v7, vcc_lo
	global_load_dword v13, v[68:69], off
	s_waitcnt vmcnt(0)
	v_mul_f32_e32 v13, s2, v13
.LBB91_26:
	v_add_nc_u32_e32 v68, 32, v12
	v_add_f32_e32 v10, v10, v11
	v_add_co_u32 v75, vcc_lo, v70, v6
	v_add_co_ci_u32_e64 v76, null, v71, v7, vcc_lo
	v_ashrrev_i32_e32 v69, 31, v68
	v_add_f32_e32 v77, v10, v13
	v_mov_b32_e32 v13, 0
	s_and_b32 vcc_lo, exec_lo, s1
	v_lshlrev_b64 v[10:11], 2, v[68:69]
	v_mov_b32_e32 v68, 0
	global_store_dword v[75:76], v77, off
	s_cbranch_vccnz .LBB91_28
; %bb.27:
	v_add_co_u32 v68, vcc_lo, v73, v10
	v_add_co_ci_u32_e64 v69, null, v74, v11, vcc_lo
	global_load_dword v68, v[68:69], off
	s_waitcnt vmcnt(0)
	v_mul_f32_e32 v68, s2, v68
.LBB91_28:
	v_add_nc_u32_e32 v75, 40, v12
	v_add_f32_e32 v14, v14, v15
	v_ashrrev_i32_e32 v76, 31, v75
	v_add_f32_e32 v77, v14, v68
	v_add_co_u32 v68, vcc_lo, v70, v10
	v_add_co_ci_u32_e64 v69, null, v71, v11, vcc_lo
	v_lshlrev_b64 v[14:15], 2, v[75:76]
	s_and_b32 vcc_lo, exec_lo, s1
	global_store_dword v[68:69], v77, off
	s_cbranch_vccnz .LBB91_30
; %bb.29:
	v_add_co_u32 v68, vcc_lo, v73, v14
	v_add_co_ci_u32_e64 v69, null, v74, v15, vcc_lo
	global_load_dword v13, v[68:69], off
	s_waitcnt vmcnt(0)
	v_mul_f32_e32 v13, s2, v13
.LBB91_30:
	v_add_nc_u32_e32 v75, 48, v12
	v_add_f32_e32 v8, v8, v9
	v_add_co_u32 v77, vcc_lo, v70, v14
	v_add_co_ci_u32_e64 v78, null, v71, v15, vcc_lo
	v_ashrrev_i32_e32 v76, 31, v75
	v_add_f32_e32 v69, v8, v13
	v_mov_b32_e32 v68, 0
	v_mov_b32_e32 v13, 0
	s_and_b32 vcc_lo, exec_lo, s1
	v_lshlrev_b64 v[8:9], 2, v[75:76]
	global_store_dword v[77:78], v69, off
	s_cbranch_vccnz .LBB91_32
; %bb.31:
	v_add_co_u32 v75, vcc_lo, v73, v8
	v_add_co_ci_u32_e64 v76, null, v74, v9, vcc_lo
	global_load_dword v13, v[75:76], off
	s_waitcnt vmcnt(0)
	v_mul_f32_e32 v13, s2, v13
.LBB91_32:
	v_add_nc_u32_e32 v75, 56, v12
	v_add_f32_e32 v12, v66, v67
	v_add_co_u32 v66, vcc_lo, v70, v8
	v_add_co_ci_u32_e64 v67, null, v71, v9, vcc_lo
	v_ashrrev_i32_e32 v76, 31, v75
	v_add_f32_e32 v69, v12, v13
	s_and_b32 vcc_lo, exec_lo, s1
	v_lshlrev_b64 v[12:13], 2, v[75:76]
	global_store_dword v[66:67], v69, off
	s_cbranch_vccnz .LBB91_34
; %bb.33:
	v_add_co_u32 v66, vcc_lo, v73, v12
	v_add_co_ci_u32_e64 v67, null, v74, v13, vcc_lo
	global_load_dword v66, v[66:67], off
	s_waitcnt vmcnt(0)
	v_mul_f32_e32 v68, s2, v66
.LBB91_34:
	v_add_nc_u32_e32 v67, 32, v72
	v_add_f32_e32 v75, v64, v65
	v_add_co_u32 v69, vcc_lo, v70, v12
	v_add_co_ci_u32_e64 v70, null, v71, v13, vcc_lo
	v_mad_i64_i32 v[73:74], null, v67, s8, 0
	v_mov_b32_e32 v66, 0
	v_add_f32_e32 v71, v75, v68
	v_mov_b32_e32 v68, 0
	global_store_dword v[69:70], v71, off
	v_lshlrev_b64 v[64:65], 2, v[73:74]
	v_add_co_u32 v64, vcc_lo, s12, v64
	v_add_co_ci_u32_e64 v65, null, s13, v65, vcc_lo
	s_and_b32 vcc_lo, exec_lo, s1
	s_cbranch_vccnz .LBB91_36
; %bb.35:
	v_add_co_u32 v68, vcc_lo, v64, v0
	v_add_co_ci_u32_e64 v69, null, v65, v1, vcc_lo
	global_load_dword v68, v[68:69], off
	s_waitcnt vmcnt(0)
	v_mul_f32_e32 v68, s2, v68
.LBB91_36:
	v_mad_i64_i32 v[69:70], null, v67, s3, 0
	v_add_f32_e32 v67, v62, v63
	v_lshlrev_b64 v[69:70], 2, v[69:70]
	v_add_co_u32 v62, vcc_lo, s4, v69
	v_add_co_ci_u32_e64 v63, null, s5, v70, vcc_lo
	v_add_f32_e32 v69, v67, v68
	v_add_co_u32 v67, vcc_lo, v62, v0
	v_add_co_ci_u32_e64 v68, null, v63, v1, vcc_lo
	s_and_b32 vcc_lo, exec_lo, s1
	global_store_dword v[67:68], v69, off
	s_cbranch_vccnz .LBB91_38
; %bb.37:
	v_add_co_u32 v66, vcc_lo, v64, v2
	v_add_co_ci_u32_e64 v67, null, v65, v3, vcc_lo
	global_load_dword v66, v[66:67], off
	s_waitcnt vmcnt(0)
	v_mul_f32_e32 v66, s2, v66
.LBB91_38:
	v_add_f32_e32 v60, v60, v61
	v_add_co_u32 v67, vcc_lo, v62, v2
	v_add_co_ci_u32_e64 v68, null, v63, v3, vcc_lo
	v_add_f32_e32 v66, v60, v66
	v_mov_b32_e32 v60, 0
	v_mov_b32_e32 v61, 0
	s_and_b32 vcc_lo, exec_lo, s1
	global_store_dword v[67:68], v66, off
	s_cbranch_vccnz .LBB91_40
; %bb.39:
	v_add_co_u32 v66, vcc_lo, v64, v4
	v_add_co_ci_u32_e64 v67, null, v65, v5, vcc_lo
	global_load_dword v61, v[66:67], off
	s_waitcnt vmcnt(0)
	v_mul_f32_e32 v61, s2, v61
.LBB91_40:
	v_add_f32_e32 v58, v58, v59
	v_add_f32_e32 v61, v58, v61
	v_add_co_u32 v58, vcc_lo, v62, v4
	v_add_co_ci_u32_e64 v59, null, v63, v5, vcc_lo
	s_and_b32 vcc_lo, exec_lo, s1
	global_store_dword v[58:59], v61, off
	s_cbranch_vccnz .LBB91_42
; %bb.41:
	v_add_co_u32 v58, vcc_lo, v64, v6
	v_add_co_ci_u32_e64 v59, null, v65, v7, vcc_lo
	global_load_dword v58, v[58:59], off
	s_waitcnt vmcnt(0)
	v_mul_f32_e32 v60, s2, v58
.LBB91_42:
	v_add_f32_e32 v56, v56, v57
	v_add_co_u32 v58, vcc_lo, v62, v6
	v_add_co_ci_u32_e64 v59, null, v63, v7, vcc_lo
	v_add_f32_e32 v60, v56, v60
	v_mov_b32_e32 v56, 0
	v_mov_b32_e32 v57, 0
	s_and_b32 vcc_lo, exec_lo, s1
	global_store_dword v[58:59], v60, off
	s_cbranch_vccnz .LBB91_44
; %bb.43:
	v_add_co_u32 v57, vcc_lo, v64, v10
	v_add_co_ci_u32_e64 v58, null, v65, v11, vcc_lo
	global_load_dword v57, v[57:58], off
	s_waitcnt vmcnt(0)
	v_mul_f32_e32 v57, s2, v57
.LBB91_44:
	v_add_f32_e32 v54, v54, v55
	;; [unrolled: 30-line block ×3, first 2 shown]
	v_add_f32_e32 v53, v50, v53
	v_add_co_u32 v50, vcc_lo, v62, v8
	v_add_co_ci_u32_e64 v51, null, v63, v9, vcc_lo
	s_and_b32 vcc_lo, exec_lo, s1
	global_store_dword v[50:51], v53, off
	s_cbranch_vccnz .LBB91_50
; %bb.49:
	v_add_co_u32 v50, vcc_lo, v64, v12
	v_add_co_ci_u32_e64 v51, null, v65, v13, vcc_lo
	global_load_dword v50, v[50:51], off
	s_waitcnt vmcnt(0)
	v_mul_f32_e32 v52, s2, v50
.LBB91_50:
	v_add_nc_u32_e32 v51, 64, v72
	v_add_f32_e32 v55, v48, v49
	v_mov_b32_e32 v50, 0
	v_mad_i64_i32 v[53:54], null, v51, s8, 0
	v_add_f32_e32 v55, v55, v52
	v_mov_b32_e32 v52, 0
	v_lshlrev_b64 v[48:49], 2, v[53:54]
	v_add_co_u32 v53, vcc_lo, v62, v12
	v_add_co_ci_u32_e64 v54, null, v63, v13, vcc_lo
	v_add_co_u32 v48, vcc_lo, s12, v48
	v_add_co_ci_u32_e64 v49, null, s13, v49, vcc_lo
	s_and_b32 vcc_lo, exec_lo, s1
	global_store_dword v[53:54], v55, off
	s_cbranch_vccnz .LBB91_52
; %bb.51:
	v_add_co_u32 v52, vcc_lo, v48, v0
	v_add_co_ci_u32_e64 v53, null, v49, v1, vcc_lo
	global_load_dword v52, v[52:53], off
	s_waitcnt vmcnt(0)
	v_mul_f32_e32 v52, s2, v52
.LBB91_52:
	v_mad_i64_i32 v[53:54], null, v51, s3, 0
	v_add_f32_e32 v51, v46, v47
	v_lshlrev_b64 v[53:54], 2, v[53:54]
	v_add_co_u32 v46, vcc_lo, s4, v53
	v_add_co_ci_u32_e64 v47, null, s5, v54, vcc_lo
	v_add_f32_e32 v53, v51, v52
	v_add_co_u32 v51, vcc_lo, v46, v0
	v_add_co_ci_u32_e64 v52, null, v47, v1, vcc_lo
	s_and_b32 vcc_lo, exec_lo, s1
	global_store_dword v[51:52], v53, off
	s_cbranch_vccnz .LBB91_54
; %bb.53:
	v_add_co_u32 v50, vcc_lo, v48, v2
	v_add_co_ci_u32_e64 v51, null, v49, v3, vcc_lo
	global_load_dword v50, v[50:51], off
	s_waitcnt vmcnt(0)
	v_mul_f32_e32 v50, s2, v50
.LBB91_54:
	v_add_f32_e32 v44, v44, v45
	v_add_co_u32 v51, vcc_lo, v46, v2
	v_add_co_ci_u32_e64 v52, null, v47, v3, vcc_lo
	v_add_f32_e32 v50, v44, v50
	v_mov_b32_e32 v44, 0
	v_mov_b32_e32 v45, 0
	s_and_b32 vcc_lo, exec_lo, s1
	global_store_dword v[51:52], v50, off
	s_cbranch_vccnz .LBB91_56
; %bb.55:
	v_add_co_u32 v50, vcc_lo, v48, v4
	v_add_co_ci_u32_e64 v51, null, v49, v5, vcc_lo
	global_load_dword v45, v[50:51], off
	s_waitcnt vmcnt(0)
	v_mul_f32_e32 v45, s2, v45
.LBB91_56:
	v_add_f32_e32 v42, v42, v43
	v_add_f32_e32 v45, v42, v45
	v_add_co_u32 v42, vcc_lo, v46, v4
	v_add_co_ci_u32_e64 v43, null, v47, v5, vcc_lo
	s_and_b32 vcc_lo, exec_lo, s1
	global_store_dword v[42:43], v45, off
	s_cbranch_vccnz .LBB91_58
; %bb.57:
	v_add_co_u32 v42, vcc_lo, v48, v6
	v_add_co_ci_u32_e64 v43, null, v49, v7, vcc_lo
	global_load_dword v42, v[42:43], off
	s_waitcnt vmcnt(0)
	v_mul_f32_e32 v44, s2, v42
.LBB91_58:
	v_add_f32_e32 v40, v40, v41
	v_add_co_u32 v42, vcc_lo, v46, v6
	v_add_co_ci_u32_e64 v43, null, v47, v7, vcc_lo
	v_add_f32_e32 v44, v40, v44
	v_mov_b32_e32 v40, 0
	v_mov_b32_e32 v41, 0
	s_and_b32 vcc_lo, exec_lo, s1
	global_store_dword v[42:43], v44, off
	s_cbranch_vccnz .LBB91_60
; %bb.59:
	v_add_co_u32 v41, vcc_lo, v48, v10
	v_add_co_ci_u32_e64 v42, null, v49, v11, vcc_lo
	global_load_dword v41, v[41:42], off
	s_waitcnt vmcnt(0)
	v_mul_f32_e32 v41, s2, v41
.LBB91_60:
	v_add_f32_e32 v38, v38, v39
	;; [unrolled: 30-line block ×3, first 2 shown]
	v_add_f32_e32 v37, v34, v37
	v_add_co_u32 v34, vcc_lo, v46, v8
	v_add_co_ci_u32_e64 v35, null, v47, v9, vcc_lo
	s_and_b32 vcc_lo, exec_lo, s1
	global_store_dword v[34:35], v37, off
	s_cbranch_vccnz .LBB91_66
; %bb.65:
	v_add_co_u32 v34, vcc_lo, v48, v12
	v_add_co_ci_u32_e64 v35, null, v49, v13, vcc_lo
	global_load_dword v34, v[34:35], off
	s_waitcnt vmcnt(0)
	v_mul_f32_e32 v36, s2, v34
.LBB91_66:
	v_add_nc_u32_e32 v35, 0x60, v72
	v_add_f32_e32 v39, v32, v33
	v_mov_b32_e32 v34, 0
	v_mad_i64_i32 v[37:38], null, v35, s8, 0
	v_add_f32_e32 v39, v39, v36
	v_mov_b32_e32 v36, 0
	v_lshlrev_b64 v[32:33], 2, v[37:38]
	v_add_co_u32 v37, vcc_lo, v46, v12
	v_add_co_ci_u32_e64 v38, null, v47, v13, vcc_lo
	v_add_co_u32 v32, vcc_lo, s12, v32
	v_add_co_ci_u32_e64 v33, null, s13, v33, vcc_lo
	s_and_b32 vcc_lo, exec_lo, s1
	global_store_dword v[37:38], v39, off
	s_cbranch_vccnz .LBB91_68
; %bb.67:
	v_add_co_u32 v36, vcc_lo, v32, v0
	v_add_co_ci_u32_e64 v37, null, v33, v1, vcc_lo
	global_load_dword v36, v[36:37], off
	s_waitcnt vmcnt(0)
	v_mul_f32_e32 v36, s2, v36
.LBB91_68:
	v_mad_i64_i32 v[37:38], null, v35, s3, 0
	v_add_f32_e32 v35, v30, v31
	v_add_f32_e32 v35, v35, v36
	v_lshlrev_b64 v[37:38], 2, v[37:38]
	v_add_co_u32 v30, vcc_lo, s4, v37
	v_add_co_ci_u32_e64 v31, null, s5, v38, vcc_lo
	v_add_co_u32 v0, vcc_lo, v30, v0
	v_add_co_ci_u32_e64 v1, null, v31, v1, vcc_lo
	s_and_b32 vcc_lo, exec_lo, s1
	global_store_dword v[0:1], v35, off
	s_cbranch_vccnz .LBB91_70
; %bb.69:
	v_add_co_u32 v0, vcc_lo, v32, v2
	v_add_co_ci_u32_e64 v1, null, v33, v3, vcc_lo
	global_load_dword v0, v[0:1], off
	s_waitcnt vmcnt(0)
	v_mul_f32_e32 v34, s2, v0
.LBB91_70:
	v_add_f32_e32 v0, v28, v29
	v_add_co_u32 v2, vcc_lo, v30, v2
	v_add_co_ci_u32_e64 v3, null, v31, v3, vcc_lo
	v_add_f32_e32 v28, v0, v34
	v_mov_b32_e32 v0, 0
	v_mov_b32_e32 v1, 0
	s_and_b32 vcc_lo, exec_lo, s1
	global_store_dword v[2:3], v28, off
	s_cbranch_vccnz .LBB91_72
; %bb.71:
	v_add_co_u32 v1, vcc_lo, v32, v4
	v_add_co_ci_u32_e64 v2, null, v33, v5, vcc_lo
	global_load_dword v1, v[1:2], off
	s_waitcnt vmcnt(0)
	v_mul_f32_e32 v1, s2, v1
.LBB91_72:
	v_add_f32_e32 v2, v26, v27
	v_add_f32_e32 v3, v2, v1
	v_add_co_u32 v1, vcc_lo, v30, v4
	v_add_co_ci_u32_e64 v2, null, v31, v5, vcc_lo
	s_and_b32 vcc_lo, exec_lo, s1
	global_store_dword v[1:2], v3, off
	s_cbranch_vccnz .LBB91_74
; %bb.73:
	v_add_co_u32 v0, vcc_lo, v32, v6
	v_add_co_ci_u32_e64 v1, null, v33, v7, vcc_lo
	global_load_dword v0, v[0:1], off
	s_waitcnt vmcnt(0)
	v_mul_f32_e32 v0, s2, v0
.LBB91_74:
	v_add_f32_e32 v1, v24, v25
	v_add_co_u32 v2, vcc_lo, v30, v6
	v_add_co_ci_u32_e64 v3, null, v31, v7, vcc_lo
	v_add_f32_e32 v4, v1, v0
	v_mov_b32_e32 v0, 0
	v_mov_b32_e32 v1, 0
	s_and_b32 vcc_lo, exec_lo, s1
	global_store_dword v[2:3], v4, off
	s_cbranch_vccnz .LBB91_76
; %bb.75:
	v_add_co_u32 v1, vcc_lo, v32, v10
	v_add_co_ci_u32_e64 v2, null, v33, v11, vcc_lo
	global_load_dword v1, v[1:2], off
	s_waitcnt vmcnt(0)
	v_mul_f32_e32 v1, s2, v1
.LBB91_76:
	v_add_f32_e32 v2, v22, v23
	v_add_f32_e32 v3, v2, v1
	v_add_co_u32 v1, vcc_lo, v30, v10
	v_add_co_ci_u32_e64 v2, null, v31, v11, vcc_lo
	s_and_b32 vcc_lo, exec_lo, s1
	global_store_dword v[1:2], v3, off
	s_cbranch_vccnz .LBB91_78
; %bb.77:
	v_add_co_u32 v0, vcc_lo, v32, v14
	v_add_co_ci_u32_e64 v1, null, v33, v15, vcc_lo
	global_load_dword v0, v[0:1], off
	s_waitcnt vmcnt(0)
	v_mul_f32_e32 v0, s2, v0
.LBB91_78:
	v_add_f32_e32 v3, v20, v21
	v_add_co_u32 v1, vcc_lo, v30, v14
	v_add_co_ci_u32_e64 v2, null, v31, v15, vcc_lo
	v_add_f32_e32 v3, v3, v0
	v_add_f32_e32 v0, v18, v19
	s_mov_b32 s1, -1
	s_mov_b32 vcc_lo, s0
	global_store_dword v[1:2], v3, off
	s_cbranch_vccz .LBB91_80
; %bb.79:
	v_add_co_u32 v1, vcc_lo, v30, v8
	v_add_f32_e32 v3, 0, v0
	v_add_co_ci_u32_e64 v2, null, v31, v9, vcc_lo
	s_mov_b32 s1, 0
	global_store_dword v[1:2], v3, off
.LBB91_80:
	v_mov_b32_e32 v1, 0
	s_andn2_b32 vcc_lo, exec_lo, s1
	s_cbranch_vccnz .LBB91_82
; %bb.81:
	v_add_co_u32 v1, vcc_lo, v32, v8
	v_add_co_ci_u32_e64 v2, null, v33, v9, vcc_lo
	global_load_dword v3, v[1:2], off
	v_add_co_u32 v1, vcc_lo, v30, v8
	v_add_co_ci_u32_e64 v2, null, v31, v9, vcc_lo
	s_waitcnt vmcnt(0)
	v_fmac_f32_e32 v0, s2, v3
	v_add_co_u32 v3, vcc_lo, v32, v12
	v_add_co_ci_u32_e64 v4, null, v33, v13, vcc_lo
	global_store_dword v[1:2], v0, off
	global_load_dword v0, v[3:4], off
	s_waitcnt vmcnt(0)
	v_mul_f32_e32 v1, s2, v0
.LBB91_82:
	v_add_f32_e32 v0, v16, v17
	v_add_f32_e32 v2, v0, v1
	v_add_co_u32 v0, vcc_lo, v30, v12
	v_add_co_ci_u32_e64 v1, null, v31, v13, vcc_lo
	global_store_dword v[0:1], v2, off
	s_endpgm
.LBB91_83:
	s_mov_b64 s[16:17], 0
	s_andn2_b32 vcc_lo, exec_lo, s8
	s_mov_b32 s0, -1
	s_cbranch_vccz .LBB91_2
	s_branch .LBB91_3
	.section	.rodata,"a",@progbits
	.p2align	6, 0x0
	.amdhsa_kernel _ZN12_GLOBAL__N_120geam_min_plus_kernelIf15HIP_vector_typeIfLj2EES2_Li8ELi32ELi64ELi128ELi4ELi64ELi4ELi64ELi4ELc78ELc84ELb1ELb0ELb0EfKffEEviiiT16_PT17_ilS6_ilS4_S6_ilPT18_ili26rocblas_geam_ex_operation_
		.amdhsa_group_segment_fixed_size 6144
		.amdhsa_private_segment_fixed_size 0
		.amdhsa_kernarg_size 128
		.amdhsa_user_sgpr_count 6
		.amdhsa_user_sgpr_private_segment_buffer 1
		.amdhsa_user_sgpr_dispatch_ptr 0
		.amdhsa_user_sgpr_queue_ptr 0
		.amdhsa_user_sgpr_kernarg_segment_ptr 1
		.amdhsa_user_sgpr_dispatch_id 0
		.amdhsa_user_sgpr_flat_scratch_init 0
		.amdhsa_user_sgpr_private_segment_size 0
		.amdhsa_wavefront_size32 1
		.amdhsa_uses_dynamic_stack 0
		.amdhsa_system_sgpr_private_segment_wavefront_offset 0
		.amdhsa_system_sgpr_workgroup_id_x 1
		.amdhsa_system_sgpr_workgroup_id_y 0
		.amdhsa_system_sgpr_workgroup_id_z 1
		.amdhsa_system_sgpr_workgroup_info 0
		.amdhsa_system_vgpr_workitem_id 1
		.amdhsa_next_free_vgpr 149
		.amdhsa_next_free_sgpr 25
		.amdhsa_reserve_vcc 1
		.amdhsa_reserve_flat_scratch 0
		.amdhsa_float_round_mode_32 0
		.amdhsa_float_round_mode_16_64 0
		.amdhsa_float_denorm_mode_32 3
		.amdhsa_float_denorm_mode_16_64 3
		.amdhsa_dx10_clamp 1
		.amdhsa_ieee_mode 1
		.amdhsa_fp16_overflow 0
		.amdhsa_workgroup_processor_mode 1
		.amdhsa_memory_ordered 1
		.amdhsa_forward_progress 1
		.amdhsa_shared_vgpr_count 0
		.amdhsa_exception_fp_ieee_invalid_op 0
		.amdhsa_exception_fp_denorm_src 0
		.amdhsa_exception_fp_ieee_div_zero 0
		.amdhsa_exception_fp_ieee_overflow 0
		.amdhsa_exception_fp_ieee_underflow 0
		.amdhsa_exception_fp_ieee_inexact 0
		.amdhsa_exception_int_div_zero 0
	.end_amdhsa_kernel
	.section	.text._ZN12_GLOBAL__N_120geam_min_plus_kernelIf15HIP_vector_typeIfLj2EES2_Li8ELi32ELi64ELi128ELi4ELi64ELi4ELi64ELi4ELc78ELc84ELb1ELb0ELb0EfKffEEviiiT16_PT17_ilS6_ilS4_S6_ilPT18_ili26rocblas_geam_ex_operation_,"axG",@progbits,_ZN12_GLOBAL__N_120geam_min_plus_kernelIf15HIP_vector_typeIfLj2EES2_Li8ELi32ELi64ELi128ELi4ELi64ELi4ELi64ELi4ELc78ELc84ELb1ELb0ELb0EfKffEEviiiT16_PT17_ilS6_ilS4_S6_ilPT18_ili26rocblas_geam_ex_operation_,comdat
.Lfunc_end91:
	.size	_ZN12_GLOBAL__N_120geam_min_plus_kernelIf15HIP_vector_typeIfLj2EES2_Li8ELi32ELi64ELi128ELi4ELi64ELi4ELi64ELi4ELc78ELc84ELb1ELb0ELb0EfKffEEviiiT16_PT17_ilS6_ilS4_S6_ilPT18_ili26rocblas_geam_ex_operation_, .Lfunc_end91-_ZN12_GLOBAL__N_120geam_min_plus_kernelIf15HIP_vector_typeIfLj2EES2_Li8ELi32ELi64ELi128ELi4ELi64ELi4ELi64ELi4ELc78ELc84ELb1ELb0ELb0EfKffEEviiiT16_PT17_ilS6_ilS4_S6_ilPT18_ili26rocblas_geam_ex_operation_
                                        ; -- End function
	.set _ZN12_GLOBAL__N_120geam_min_plus_kernelIf15HIP_vector_typeIfLj2EES2_Li8ELi32ELi64ELi128ELi4ELi64ELi4ELi64ELi4ELc78ELc84ELb1ELb0ELb0EfKffEEviiiT16_PT17_ilS6_ilS4_S6_ilPT18_ili26rocblas_geam_ex_operation_.num_vgpr, 149
	.set _ZN12_GLOBAL__N_120geam_min_plus_kernelIf15HIP_vector_typeIfLj2EES2_Li8ELi32ELi64ELi128ELi4ELi64ELi4ELi64ELi4ELc78ELc84ELb1ELb0ELb0EfKffEEviiiT16_PT17_ilS6_ilS4_S6_ilPT18_ili26rocblas_geam_ex_operation_.num_agpr, 0
	.set _ZN12_GLOBAL__N_120geam_min_plus_kernelIf15HIP_vector_typeIfLj2EES2_Li8ELi32ELi64ELi128ELi4ELi64ELi4ELi64ELi4ELc78ELc84ELb1ELb0ELb0EfKffEEviiiT16_PT17_ilS6_ilS4_S6_ilPT18_ili26rocblas_geam_ex_operation_.numbered_sgpr, 25
	.set _ZN12_GLOBAL__N_120geam_min_plus_kernelIf15HIP_vector_typeIfLj2EES2_Li8ELi32ELi64ELi128ELi4ELi64ELi4ELi64ELi4ELc78ELc84ELb1ELb0ELb0EfKffEEviiiT16_PT17_ilS6_ilS4_S6_ilPT18_ili26rocblas_geam_ex_operation_.num_named_barrier, 0
	.set _ZN12_GLOBAL__N_120geam_min_plus_kernelIf15HIP_vector_typeIfLj2EES2_Li8ELi32ELi64ELi128ELi4ELi64ELi4ELi64ELi4ELc78ELc84ELb1ELb0ELb0EfKffEEviiiT16_PT17_ilS6_ilS4_S6_ilPT18_ili26rocblas_geam_ex_operation_.private_seg_size, 0
	.set _ZN12_GLOBAL__N_120geam_min_plus_kernelIf15HIP_vector_typeIfLj2EES2_Li8ELi32ELi64ELi128ELi4ELi64ELi4ELi64ELi4ELc78ELc84ELb1ELb0ELb0EfKffEEviiiT16_PT17_ilS6_ilS4_S6_ilPT18_ili26rocblas_geam_ex_operation_.uses_vcc, 1
	.set _ZN12_GLOBAL__N_120geam_min_plus_kernelIf15HIP_vector_typeIfLj2EES2_Li8ELi32ELi64ELi128ELi4ELi64ELi4ELi64ELi4ELc78ELc84ELb1ELb0ELb0EfKffEEviiiT16_PT17_ilS6_ilS4_S6_ilPT18_ili26rocblas_geam_ex_operation_.uses_flat_scratch, 0
	.set _ZN12_GLOBAL__N_120geam_min_plus_kernelIf15HIP_vector_typeIfLj2EES2_Li8ELi32ELi64ELi128ELi4ELi64ELi4ELi64ELi4ELc78ELc84ELb1ELb0ELb0EfKffEEviiiT16_PT17_ilS6_ilS4_S6_ilPT18_ili26rocblas_geam_ex_operation_.has_dyn_sized_stack, 0
	.set _ZN12_GLOBAL__N_120geam_min_plus_kernelIf15HIP_vector_typeIfLj2EES2_Li8ELi32ELi64ELi128ELi4ELi64ELi4ELi64ELi4ELc78ELc84ELb1ELb0ELb0EfKffEEviiiT16_PT17_ilS6_ilS4_S6_ilPT18_ili26rocblas_geam_ex_operation_.has_recursion, 0
	.set _ZN12_GLOBAL__N_120geam_min_plus_kernelIf15HIP_vector_typeIfLj2EES2_Li8ELi32ELi64ELi128ELi4ELi64ELi4ELi64ELi4ELc78ELc84ELb1ELb0ELb0EfKffEEviiiT16_PT17_ilS6_ilS4_S6_ilPT18_ili26rocblas_geam_ex_operation_.has_indirect_call, 0
	.section	.AMDGPU.csdata,"",@progbits
; Kernel info:
; codeLenInByte = 7392
; TotalNumSgprs: 27
; NumVgprs: 149
; ScratchSize: 0
; MemoryBound: 0
; FloatMode: 240
; IeeeMode: 1
; LDSByteSize: 6144 bytes/workgroup (compile time only)
; SGPRBlocks: 0
; VGPRBlocks: 18
; NumSGPRsForWavesPerEU: 27
; NumVGPRsForWavesPerEU: 149
; Occupancy: 6
; WaveLimiterHint : 1
; COMPUTE_PGM_RSRC2:SCRATCH_EN: 0
; COMPUTE_PGM_RSRC2:USER_SGPR: 6
; COMPUTE_PGM_RSRC2:TRAP_HANDLER: 0
; COMPUTE_PGM_RSRC2:TGID_X_EN: 1
; COMPUTE_PGM_RSRC2:TGID_Y_EN: 0
; COMPUTE_PGM_RSRC2:TGID_Z_EN: 1
; COMPUTE_PGM_RSRC2:TIDIG_COMP_CNT: 1
	.section	.text._ZN12_GLOBAL__N_120geam_min_plus_kernelIf15HIP_vector_typeIfLj2EES2_Li8ELi32ELi64ELi128ELi4ELi64ELi4ELi64ELi4ELc78ELc84ELb0ELb0ELb0EfKffEEviiiT16_PT17_ilS6_ilS4_S6_ilPT18_ili26rocblas_geam_ex_operation_,"axG",@progbits,_ZN12_GLOBAL__N_120geam_min_plus_kernelIf15HIP_vector_typeIfLj2EES2_Li8ELi32ELi64ELi128ELi4ELi64ELi4ELi64ELi4ELc78ELc84ELb0ELb0ELb0EfKffEEviiiT16_PT17_ilS6_ilS4_S6_ilPT18_ili26rocblas_geam_ex_operation_,comdat
	.globl	_ZN12_GLOBAL__N_120geam_min_plus_kernelIf15HIP_vector_typeIfLj2EES2_Li8ELi32ELi64ELi128ELi4ELi64ELi4ELi64ELi4ELc78ELc84ELb0ELb0ELb0EfKffEEviiiT16_PT17_ilS6_ilS4_S6_ilPT18_ili26rocblas_geam_ex_operation_ ; -- Begin function _ZN12_GLOBAL__N_120geam_min_plus_kernelIf15HIP_vector_typeIfLj2EES2_Li8ELi32ELi64ELi128ELi4ELi64ELi4ELi64ELi4ELc78ELc84ELb0ELb0ELb0EfKffEEviiiT16_PT17_ilS6_ilS4_S6_ilPT18_ili26rocblas_geam_ex_operation_
	.p2align	8
	.type	_ZN12_GLOBAL__N_120geam_min_plus_kernelIf15HIP_vector_typeIfLj2EES2_Li8ELi32ELi64ELi128ELi4ELi64ELi4ELi64ELi4ELc78ELc84ELb0ELb0ELb0EfKffEEviiiT16_PT17_ilS6_ilS4_S6_ilPT18_ili26rocblas_geam_ex_operation_,@function
_ZN12_GLOBAL__N_120geam_min_plus_kernelIf15HIP_vector_typeIfLj2EES2_Li8ELi32ELi64ELi128ELi4ELi64ELi4ELi64ELi4ELc78ELc84ELb0ELb0ELb0EfKffEEviiiT16_PT17_ilS6_ilS4_S6_ilPT18_ili26rocblas_geam_ex_operation_: ; @_ZN12_GLOBAL__N_120geam_min_plus_kernelIf15HIP_vector_typeIfLj2EES2_Li8ELi32ELi64ELi128ELi4ELi64ELi4ELi64ELi4ELc78ELc84ELb0ELb0ELb0EfKffEEviiiT16_PT17_ilS6_ilS4_S6_ilPT18_ili26rocblas_geam_ex_operation_
; %bb.0:
	s_clause 0x1
	s_load_dwordx2 s[14:15], s[4:5], 0x8
	s_load_dwordx4 s[8:11], s[4:5], 0x20
	s_waitcnt lgkmcnt(0)
	v_cmp_eq_f32_e64 s0, s15, 0
	s_and_b32 s1, exec_lo, s0
	s_mov_b32 vcc_lo, s1
	s_cbranch_vccnz .LBB92_95
; %bb.1:
	s_load_dwordx2 s[2:3], s[4:5], 0x10
	s_mul_i32 s9, s9, s7
	s_mul_hi_u32 s12, s8, s7
	s_mul_i32 s8, s8, s7
	s_add_i32 s9, s12, s9
	s_lshl_b64 s[8:9], s[8:9], 2
	s_waitcnt lgkmcnt(0)
	s_add_u32 s16, s2, s8
	s_addc_u32 s17, s3, s9
	s_andn2_b32 vcc_lo, exec_lo, s0
	s_mov_b32 s0, -1
	s_cbranch_vccnz .LBB92_3
.LBB92_2:
	s_mov_b32 s0, 0
.LBB92_3:
	s_mov_b64 s[12:13], 0
	s_andn2_b32 vcc_lo, exec_lo, s0
	s_mov_b64 s[18:19], 0
	s_cbranch_vccnz .LBB92_5
; %bb.4:
	s_load_dwordx2 s[2:3], s[4:5], 0x38
	s_waitcnt lgkmcnt(0)
	s_mul_i32 s0, s3, s7
	s_mul_hi_u32 s3, s2, s7
	s_mul_i32 s2, s2, s7
	s_add_i32 s3, s3, s0
	s_lshl_b64 s[2:3], s[2:3], 2
	s_add_u32 s18, s10, s2
	s_addc_u32 s19, s11, s3
.LBB92_5:
	s_clause 0x1
	s_load_dword s3, s[4:5], 0x40
	s_load_dwordx4 s[8:11], s[4:5], 0x58
	v_cmp_neq_f32_e64 s23, s15, 0
	s_waitcnt lgkmcnt(0)
	v_cmp_eq_f32_e64 s0, s3, 0
	s_and_b32 s0, exec_lo, s0
	s_mov_b32 vcc_lo, s0
	s_cbranch_vccnz .LBB92_7
; %bb.6:
	s_load_dwordx2 s[12:13], s[4:5], 0x48
	s_mul_i32 s2, s9, s7
	s_mul_hi_u32 s9, s8, s7
	s_mul_i32 s8, s8, s7
	s_add_i32 s9, s9, s2
	s_lshl_b64 s[8:9], s[8:9], 2
	s_waitcnt lgkmcnt(0)
	s_add_u32 s12, s12, s8
	s_addc_u32 s13, s13, s9
.LBB92_7:
	s_clause 0x2
	s_load_dword s2, s[4:5], 0x0
	s_load_dword s9, s[4:5], 0x18
	;; [unrolled: 1-line block ×3, first 2 shown]
	v_lshl_add_u32 v3, v1, 3, v0
	v_cndmask_b32_e64 v5, 0, 1, s23
	v_mov_b32_e32 v78, 0
	v_mov_b32_e32 v6, 0
	;; [unrolled: 1-line block ×3, first 2 shown]
	v_and_b32_e32 v76, 63, v3
	v_lshrrev_b32_e32 v12, 6, v3
	v_mov_b32_e32 v8, 0
	s_waitcnt lgkmcnt(0)
	s_add_i32 s2, s2, -1
	s_ashr_i32 s8, s2, 31
	s_ashr_i32 s22, s20, 31
	s_lshr_b32 s8, s8, 26
	s_add_i32 s2, s2, s8
	s_ashr_i32 s2, s2, 6
	s_add_i32 s8, s2, 1
	s_not_b32 s2, s2
	v_cvt_f32_u32_e32 v2, s8
	v_rcp_iflag_f32_e32 v2, v2
	v_mul_f32_e32 v2, 0x4f7ffffe, v2
	v_cvt_u32_f32_e32 v2, v2
	v_readfirstlane_b32 s21, v2
	s_mul_i32 s2, s2, s21
	s_mul_hi_u32 s2, s21, s2
	s_add_i32 s21, s21, s2
	s_mul_hi_u32 s2, s6, s21
	s_ashr_i32 s21, s9, 31
	s_mul_i32 s24, s2, s8
	s_add_i32 s25, s2, 1
	s_sub_i32 s24, s6, s24
	s_sub_i32 s26, s24, s8
	s_cmp_ge_u32 s24, s8
	s_cselect_b32 s2, s25, s2
	s_cselect_b32 s24, s26, s24
	s_add_i32 s25, s2, 1
	s_cmp_ge_u32 s24, s8
	s_cselect_b32 s2, s25, s2
	s_andn2_b32 vcc_lo, exec_lo, s23
	s_mul_i32 s8, s2, s8
	s_sub_i32 s6, s6, s8
	s_lshl_b32 s8, s2, 7
	s_lshl_b32 s6, s6, 6
	v_or_b32_e32 v2, s8, v76
	v_or_b32_e32 v4, s6, v76
	v_cmp_ne_u32_e64 s2, 1, v5
	v_ashrrev_i32_e32 v3, 31, v2
	v_ashrrev_i32_e32 v5, 31, v4
	s_cbranch_vccnz .LBB92_9
; %bb.8:
	v_mad_i64_i32 v[6:7], null, s9, v12, 0
	v_mad_i64_i32 v[8:9], null, s20, v12, 0
	v_lshlrev_b64 v[10:11], 2, v[4:5]
	v_lshlrev_b64 v[13:14], 2, v[2:3]
	;; [unrolled: 1-line block ×4, first 2 shown]
	v_add_co_u32 v6, vcc_lo, s16, v6
	v_add_co_ci_u32_e64 v7, null, s17, v7, vcc_lo
	v_add_co_u32 v8, vcc_lo, s18, v8
	v_add_co_ci_u32_e64 v9, null, s19, v9, vcc_lo
	;; [unrolled: 2-line block ×4, first 2 shown]
	global_load_dword v6, v[6:7], off
	s_clause 0x1
	global_load_dword v7, v[8:9], off
	global_load_dword v9, v[8:9], off offset:256
	s_waitcnt vmcnt(2)
	v_mul_f32_e32 v6, s15, v6
	s_waitcnt vmcnt(1)
	v_mul_f32_e32 v8, s15, v7
	;; [unrolled: 2-line block ×3, first 2 shown]
.LBB92_9:
	v_add_nc_u32_e32 v13, 4, v12
	v_mov_b32_e32 v79, 0
	v_mov_b32_e32 v80, 0
	s_and_b32 vcc_lo, exec_lo, s2
	s_cbranch_vccnz .LBB92_11
; %bb.10:
	v_mad_i64_i32 v[9:10], null, s9, v13, 0
	v_mad_i64_i32 v[14:15], null, s20, v13, 0
	v_lshlrev_b64 v[16:17], 2, v[4:5]
	v_lshlrev_b64 v[18:19], 2, v[2:3]
	;; [unrolled: 1-line block ×4, first 2 shown]
	v_add_co_u32 v9, vcc_lo, s16, v9
	v_add_co_ci_u32_e64 v10, null, s17, v10, vcc_lo
	v_add_co_u32 v11, vcc_lo, s18, v14
	v_add_co_ci_u32_e64 v15, null, s19, v15, vcc_lo
	;; [unrolled: 2-line block ×4, first 2 shown]
	global_load_dword v9, v[9:10], off
	s_clause 0x1
	global_load_dword v10, v[14:15], off
	global_load_dword v11, v[14:15], off offset:256
	s_waitcnt vmcnt(2)
	v_mul_f32_e32 v78, s15, v9
	s_waitcnt vmcnt(1)
	v_mul_f32_e32 v80, s15, v10
	;; [unrolled: 2-line block ×3, first 2 shown]
.LBB92_11:
	v_lshlrev_b32_e32 v9, 4, v76
	v_mov_b32_e32 v70, 0
	v_cmp_neq_f32_e64 s2, s3, 0
	v_lshl_or_b32 v73, v0, 4, 0x1000
	v_lshlrev_b32_e32 v74, 4, v1
	v_lshl_add_u32 v72, v12, 2, v9
	v_mov_b32_e32 v71, v70
	v_mov_b32_e32 v68, v70
	;; [unrolled: 1-line block ×4, first 2 shown]
	v_or_b32_e32 v75, 0x1000, v72
	ds_write_b32 v72, v6 offset:4096
	ds_write2st64_b32 v72, v8, v7 offset1:4
	v_mov_b32_e32 v6, v70
	v_mov_b32_e32 v7, v70
	;; [unrolled: 1-line block ×59, first 2 shown]
	s_mov_b32 s24, 0
	s_mov_b32 s23, -1
	s_waitcnt lgkmcnt(0)
	s_barrier
	buffer_gl0_inv
.LBB92_12:                              ; =>This Inner Loop Header: Depth=1
	s_lshl_b32 s24, s24, 2
	v_cndmask_b32_e64 v77, 0, 1, s23
	v_add_nc_u32_e32 v93, s24, v73
	v_add_nc_u32_e32 v101, s24, v74
	s_mov_b32 s23, 0
	s_mov_b32 s24, 2
	v_cmp_ne_u32_e32 vcc_lo, 1, v77
	ds_read2_b64 v[81:84], v93 offset1:16
	ds_read2_b64 v[85:88], v93 offset0:32 offset1:48
	ds_read2_b64 v[89:92], v93 offset0:64 offset1:80
	;; [unrolled: 1-line block ×3, first 2 shown]
	ds_read2st64_b64 v[97:100], v101 offset1:1
	ds_read2st64_b64 v[101:104], v101 offset0:2 offset1:3
	s_and_b32 vcc_lo, exec_lo, vcc_lo
	s_waitcnt lgkmcnt(5)
	v_max_f32_e32 v77, v81, v81
	v_max_f32_e32 v81, v82, v82
	v_max_f32_e32 v82, v83, v83
	v_max_f32_e32 v83, v84, v84
	s_waitcnt lgkmcnt(4)
	v_max_f32_e32 v84, v85, v85
	v_max_f32_e32 v85, v86, v86
	v_max_f32_e32 v86, v87, v87
	v_max_f32_e32 v87, v88, v88
	;; [unrolled: 5-line block ×6, first 2 shown]
	v_min_f32_e32 v104, v77, v96
	v_min_f32_e32 v105, v82, v96
	;; [unrolled: 1-line block ×64, first 2 shown]
	v_add_f32_e32 v71, v102, v71
	v_add_f32_e32 v70, v104, v70
	;; [unrolled: 1-line block ×64, first 2 shown]
	s_cbranch_vccz .LBB92_12
; %bb.13:
	v_lshlrev_b32_e32 v77, 2, v12
	s_cmp_lt_i32 s14, 9
	v_lshl_add_u32 v81, v76, 4, v77
	v_lshl_add_u32 v76, v0, 4, 0x1400
	;; [unrolled: 1-line block ×3, first 2 shown]
	ds_write_b32 v81, v78 offset:5120
	ds_write2st64_b32 v81, v80, v79 offset0:8 offset1:12
	s_waitcnt lgkmcnt(0)
	s_barrier
	buffer_gl0_inv
	s_cbranch_scc1 .LBB92_28
; %bb.14:
	v_lshlrev_b64 v[78:79], 2, v[4:5]
	v_lshlrev_b64 v[2:3], 2, v[2:3]
	v_add_nc_u32_e32 v4, 0x1400, v81
	v_or_b32_e32 v5, 0x800, v81
	s_add_i32 s14, s14, -8
	v_add_co_u32 v78, vcc_lo, s16, v78
	v_add_co_ci_u32_e64 v79, null, s17, v79, vcc_lo
	v_add_co_u32 v80, vcc_lo, s18, v2
	v_add_co_ci_u32_e64 v81, null, s19, v3, vcc_lo
	s_mov_b32 s16, 8
	s_mov_b32 s17, 0
.LBB92_15:                              ; =>This Loop Header: Depth=1
                                        ;     Child Loop BB92_20 Depth 2
                                        ;     Child Loop BB92_26 Depth 2
	s_mov_b32 s18, -1
	s_mov_b32 vcc_lo, s1
                                        ; implicit-def: $vgpr2_vgpr3
	s_cbranch_vccz .LBB92_17
; %bb.16:                               ;   in Loop: Header=BB92_15 Depth=1
	v_mov_b32_e32 v2, 0
	s_mov_b32 s18, 0
.LBB92_17:                              ;   in Loop: Header=BB92_15 Depth=1
	v_mov_b32_e32 v3, 0
	v_mov_b32_e32 v82, 0
	s_andn2_b32 vcc_lo, exec_lo, s18
	s_cbranch_vccnz .LBB92_19
; %bb.18:                               ;   in Loop: Header=BB92_15 Depth=1
	v_add_nc_u32_e32 v86, s16, v12
	v_mad_u64_u32 v[2:3], null, v86, s9, 0
	v_mad_u64_u32 v[82:83], null, v86, s20, 0
	;; [unrolled: 1-line block ×4, first 2 shown]
	v_mov_b32_e32 v3, v84
	v_lshlrev_b64 v[2:3], 2, v[2:3]
	v_mov_b32_e32 v83, v85
	v_add_co_u32 v2, vcc_lo, v78, v2
	v_lshlrev_b64 v[82:83], 2, v[82:83]
	v_add_co_ci_u32_e64 v3, null, v79, v3, vcc_lo
	v_add_co_u32 v82, vcc_lo, v80, v82
	v_add_co_ci_u32_e64 v83, null, v81, v83, vcc_lo
	global_load_dword v2, v[2:3], off
	s_clause 0x1
	global_load_dword v84, v[82:83], off
	global_load_dword v82, v[82:83], off offset:256
	s_waitcnt vmcnt(2)
	v_mul_f32_e32 v3, s15, v2
	s_waitcnt vmcnt(1)
	v_mul_f32_e32 v2, s15, v84
	;; [unrolled: 2-line block ×3, first 2 shown]
.LBB92_19:                              ;   in Loop: Header=BB92_15 Depth=1
	s_mov_b32 s19, 0
	s_mov_b32 s18, -1
.LBB92_20:                              ;   Parent Loop BB92_15 Depth=1
                                        ; =>  This Inner Loop Header: Depth=2
	s_lshl_b32 s19, s19, 2
	v_cndmask_b32_e64 v83, 0, 1, s18
	v_add_nc_u32_e32 v103, s19, v77
	v_add_nc_u32_e32 v99, s19, v76
	s_mov_b32 s18, 0
	s_mov_b32 s19, 2
	v_cmp_ne_u32_e32 vcc_lo, 1, v83
	ds_read2st64_b64 v[83:86], v103 offset1:1
	ds_read2_b64 v[87:90], v99 offset1:16
	ds_read2_b64 v[91:94], v99 offset0:32 offset1:48
	ds_read2_b64 v[95:98], v99 offset0:64 offset1:80
	;; [unrolled: 1-line block ×3, first 2 shown]
	ds_read2st64_b64 v[103:106], v103 offset0:2 offset1:3
	s_and_b32 vcc_lo, exec_lo, vcc_lo
	s_waitcnt lgkmcnt(5)
	v_max_f32_e32 v83, v83, v83
	s_waitcnt lgkmcnt(4)
	v_max_f32_e32 v87, v87, v87
	v_max_f32_e32 v84, v84, v84
	;; [unrolled: 1-line block ×5, first 2 shown]
	s_waitcnt lgkmcnt(3)
	v_max_f32_e32 v91, v91, v91
	v_max_f32_e32 v92, v92, v92
	v_max_f32_e32 v93, v93, v93
	v_max_f32_e32 v94, v94, v94
	s_waitcnt lgkmcnt(2)
	v_max_f32_e32 v95, v95, v95
	v_max_f32_e32 v96, v96, v96
	v_max_f32_e32 v97, v97, v97
	v_max_f32_e32 v98, v98, v98
	;; [unrolled: 5-line block ×3, first 2 shown]
	v_max_f32_e32 v85, v85, v85
	v_max_f32_e32 v86, v86, v86
	s_waitcnt lgkmcnt(0)
	v_max_f32_e32 v103, v103, v103
	v_max_f32_e32 v104, v104, v104
	;; [unrolled: 1-line block ×4, first 2 shown]
	v_min_f32_e32 v107, v87, v83
	v_min_f32_e32 v108, v88, v84
	;; [unrolled: 1-line block ×64, first 2 shown]
	v_add_f32_e32 v71, v108, v71
	v_add_f32_e32 v70, v107, v70
	;; [unrolled: 1-line block ×64, first 2 shown]
	s_cbranch_vccz .LBB92_20
; %bb.21:                               ;   in Loop: Header=BB92_15 Depth=1
	s_mov_b32 s18, -1
	s_mov_b32 vcc_lo, s1
	ds_write_b32 v75, v3
	ds_write2st64_b32 v72, v2, v82 offset1:4
	s_waitcnt lgkmcnt(0)
	s_barrier
	buffer_gl0_inv
                                        ; implicit-def: $vgpr2_vgpr3
	s_cbranch_vccz .LBB92_23
; %bb.22:                               ;   in Loop: Header=BB92_15 Depth=1
	v_mov_b32_e32 v2, 0
	s_mov_b32 s18, 0
.LBB92_23:                              ;   in Loop: Header=BB92_15 Depth=1
	v_mov_b32_e32 v3, 0
	v_mov_b32_e32 v82, 0
	s_andn2_b32 vcc_lo, exec_lo, s18
	s_cbranch_vccnz .LBB92_25
; %bb.24:                               ;   in Loop: Header=BB92_15 Depth=1
	v_add_nc_u32_e32 v86, s16, v13
	v_mad_u64_u32 v[2:3], null, v86, s9, 0
	v_mad_u64_u32 v[82:83], null, v86, s20, 0
	;; [unrolled: 1-line block ×4, first 2 shown]
	v_mov_b32_e32 v3, v84
	v_lshlrev_b64 v[2:3], 2, v[2:3]
	v_mov_b32_e32 v83, v85
	v_add_co_u32 v2, vcc_lo, v78, v2
	v_lshlrev_b64 v[82:83], 2, v[82:83]
	v_add_co_ci_u32_e64 v3, null, v79, v3, vcc_lo
	v_add_co_u32 v82, vcc_lo, v80, v82
	v_add_co_ci_u32_e64 v83, null, v81, v83, vcc_lo
	global_load_dword v2, v[2:3], off
	s_clause 0x1
	global_load_dword v84, v[82:83], off
	global_load_dword v82, v[82:83], off offset:256
	s_waitcnt vmcnt(2)
	v_mul_f32_e32 v3, s15, v2
	s_waitcnt vmcnt(1)
	v_mul_f32_e32 v2, s15, v84
	;; [unrolled: 2-line block ×3, first 2 shown]
.LBB92_25:                              ;   in Loop: Header=BB92_15 Depth=1
	s_mov_b32 s19, 0
	s_mov_b32 s18, -1
.LBB92_26:                              ;   Parent Loop BB92_15 Depth=1
                                        ; =>  This Inner Loop Header: Depth=2
	s_lshl_b32 s19, s19, 2
	v_cndmask_b32_e64 v83, 0, 1, s18
	v_add_nc_u32_e32 v103, s19, v74
	v_add_nc_u32_e32 v99, s19, v73
	s_mov_b32 s18, 0
	s_mov_b32 s19, 2
	v_cmp_ne_u32_e32 vcc_lo, 1, v83
	ds_read2st64_b64 v[83:86], v103 offset1:1
	ds_read2_b64 v[87:90], v99 offset1:16
	ds_read2_b64 v[91:94], v99 offset0:32 offset1:48
	ds_read2_b64 v[95:98], v99 offset0:64 offset1:80
	;; [unrolled: 1-line block ×3, first 2 shown]
	ds_read2st64_b64 v[103:106], v103 offset0:2 offset1:3
	s_and_b32 vcc_lo, exec_lo, vcc_lo
	s_waitcnt lgkmcnt(5)
	v_max_f32_e32 v83, v83, v83
	s_waitcnt lgkmcnt(4)
	v_max_f32_e32 v87, v87, v87
	v_max_f32_e32 v84, v84, v84
	;; [unrolled: 1-line block ×5, first 2 shown]
	s_waitcnt lgkmcnt(3)
	v_max_f32_e32 v91, v91, v91
	v_max_f32_e32 v92, v92, v92
	v_max_f32_e32 v93, v93, v93
	v_max_f32_e32 v94, v94, v94
	s_waitcnt lgkmcnt(2)
	v_max_f32_e32 v95, v95, v95
	v_max_f32_e32 v96, v96, v96
	v_max_f32_e32 v97, v97, v97
	v_max_f32_e32 v98, v98, v98
	;; [unrolled: 5-line block ×3, first 2 shown]
	v_max_f32_e32 v85, v85, v85
	v_max_f32_e32 v86, v86, v86
	s_waitcnt lgkmcnt(0)
	v_max_f32_e32 v103, v103, v103
	v_max_f32_e32 v104, v104, v104
	v_max_f32_e32 v105, v105, v105
	v_max_f32_e32 v106, v106, v106
	v_min_f32_e32 v107, v87, v83
	v_min_f32_e32 v108, v88, v84
	;; [unrolled: 1-line block ×64, first 2 shown]
	v_add_f32_e32 v71, v108, v71
	v_add_f32_e32 v70, v107, v70
	;; [unrolled: 1-line block ×64, first 2 shown]
	s_cbranch_vccz .LBB92_26
; %bb.27:                               ;   in Loop: Header=BB92_15 Depth=1
	s_add_i32 s17, s17, 8
	s_add_i32 s16, s16, 8
	s_cmp_ge_i32 s17, s14
	ds_write_b32 v4, v3
	ds_write2st64_b32 v5, v2, v82 offset1:4
	s_waitcnt lgkmcnt(0)
	s_barrier
	buffer_gl0_inv
	s_cbranch_scc0 .LBB92_15
.LBB92_28:
	s_mov_b32 s9, 0
	s_mov_b32 s1, -1
.LBB92_29:                              ; =>This Inner Loop Header: Depth=1
	s_lshl_b32 s9, s9, 2
	v_cndmask_b32_e64 v2, 0, 1, s1
	v_add_nc_u32_e32 v12, s9, v77
	v_add_nc_u32_e32 v13, s9, v76
	s_mov_b32 s1, 0
	s_mov_b32 s9, 2
	v_cmp_ne_u32_e32 vcc_lo, 1, v2
	ds_read2st64_b64 v[2:5], v12 offset1:1
	ds_read2_b64 v[72:75], v13 offset1:16
	ds_read2_b64 v[78:81], v13 offset0:32 offset1:48
	ds_read2_b64 v[82:85], v13 offset0:64 offset1:80
	;; [unrolled: 1-line block ×3, first 2 shown]
	ds_read2st64_b64 v[90:93], v12 offset0:2 offset1:3
	s_and_b32 vcc_lo, exec_lo, vcc_lo
	s_waitcnt lgkmcnt(5)
	v_max_f32_e32 v2, v2, v2
	s_waitcnt lgkmcnt(4)
	v_max_f32_e32 v12, v72, v72
	v_max_f32_e32 v3, v3, v3
	;; [unrolled: 1-line block ×5, first 2 shown]
	s_waitcnt lgkmcnt(3)
	v_max_f32_e32 v74, v78, v78
	v_max_f32_e32 v75, v79, v79
	v_max_f32_e32 v78, v80, v80
	v_max_f32_e32 v79, v81, v81
	s_waitcnt lgkmcnt(2)
	v_max_f32_e32 v80, v82, v82
	v_max_f32_e32 v81, v83, v83
	v_max_f32_e32 v82, v84, v84
	v_max_f32_e32 v83, v85, v85
	;; [unrolled: 5-line block ×3, first 2 shown]
	v_max_f32_e32 v4, v4, v4
	v_max_f32_e32 v5, v5, v5
	s_waitcnt lgkmcnt(0)
	v_max_f32_e32 v88, v90, v90
	v_max_f32_e32 v89, v91, v91
	;; [unrolled: 1-line block ×4, first 2 shown]
	v_min_f32_e32 v92, v12, v2
	v_min_f32_e32 v93, v13, v3
	;; [unrolled: 1-line block ×64, first 2 shown]
	v_add_f32_e32 v71, v93, v71
	v_add_f32_e32 v70, v92, v70
	v_add_f32_e32 v69, v95, v69
	v_add_f32_e32 v68, v94, v68
	v_add_f32_e32 v7, v97, v7
	v_add_f32_e32 v6, v96, v6
	v_add_f32_e32 v11, v99, v11
	v_add_f32_e32 v10, v98, v10
	v_add_f32_e32 v15, v101, v15
	v_add_f32_e32 v14, v100, v14
	v_add_f32_e32 v9, v103, v9
	v_add_f32_e32 v8, v102, v8
	v_add_f32_e32 v67, v105, v67
	v_add_f32_e32 v66, v104, v66
	v_add_f32_e32 v65, v3, v65
	v_add_f32_e32 v64, v2, v64
	v_add_f32_e32 v63, v107, v63
	v_add_f32_e32 v62, v106, v62
	v_add_f32_e32 v61, v109, v61
	v_add_f32_e32 v60, v108, v60
	v_add_f32_e32 v59, v111, v59
	v_add_f32_e32 v58, v110, v58
	v_add_f32_e32 v57, v113, v57
	v_add_f32_e32 v56, v112, v56
	v_add_f32_e32 v55, v115, v55
	v_add_f32_e32 v54, v114, v54
	v_add_f32_e32 v53, v117, v53
	v_add_f32_e32 v52, v116, v52
	v_add_f32_e32 v51, v119, v51
	v_add_f32_e32 v50, v118, v50
	v_add_f32_e32 v49, v5, v49
	v_add_f32_e32 v48, v4, v48
	v_add_f32_e32 v47, v121, v47
	v_add_f32_e32 v46, v120, v46
	v_add_f32_e32 v45, v123, v45
	v_add_f32_e32 v44, v122, v44
	v_add_f32_e32 v43, v125, v43
	v_add_f32_e32 v42, v124, v42
	v_add_f32_e32 v41, v127, v41
	v_add_f32_e32 v40, v126, v40
	v_add_f32_e32 v39, v129, v39
	v_add_f32_e32 v38, v128, v38
	v_add_f32_e32 v37, v131, v37
	v_add_f32_e32 v36, v130, v36
	v_add_f32_e32 v35, v133, v35
	v_add_f32_e32 v34, v132, v34
	v_add_f32_e32 v33, v89, v33
	v_add_f32_e32 v32, v88, v32
	v_add_f32_e32 v31, v13, v31
	v_add_f32_e32 v30, v12, v30
	v_add_f32_e32 v29, v73, v29
	v_add_f32_e32 v28, v72, v28
	v_add_f32_e32 v27, v75, v27
	v_add_f32_e32 v26, v74, v26
	v_add_f32_e32 v25, v79, v25
	v_add_f32_e32 v24, v78, v24
	v_add_f32_e32 v23, v81, v23
	v_add_f32_e32 v22, v80, v22
	v_add_f32_e32 v21, v83, v21
	v_add_f32_e32 v20, v82, v20
	v_add_f32_e32 v19, v85, v19
	v_add_f32_e32 v18, v84, v18
	v_add_f32_e32 v17, v87, v17
	v_add_f32_e32 v16, v86, v16
	s_cbranch_vccz .LBB92_29
; %bb.30:
	s_load_dword s9, s[4:5], 0x50
	v_add_nc_u32_e32 v72, s8, v1
	v_add_nc_u32_e32 v12, s6, v0
	v_cndmask_b32_e64 v0, 0, 1, s2
	v_mov_b32_e32 v4, 0
	v_ashrrev_i32_e32 v13, 31, v12
	v_cmp_ne_u32_e64 s1, 1, v0
	s_waitcnt lgkmcnt(0)
	v_mad_i64_i32 v[1:2], null, v72, s9, 0
	v_lshlrev_b64 v[2:3], 2, v[1:2]
	v_lshlrev_b64 v[0:1], 2, v[12:13]
	v_add_co_u32 v73, vcc_lo, s12, v2
	v_add_co_ci_u32_e64 v74, null, s13, v3, vcc_lo
	v_mov_b32_e32 v2, 0
	s_andn2_b32 vcc_lo, exec_lo, s2
	s_cbranch_vccnz .LBB92_32
; %bb.31:
	v_add_co_u32 v2, vcc_lo, v73, v0
	v_add_co_ci_u32_e64 v3, null, v74, v1, vcc_lo
	global_load_dword v2, v[2:3], off
	s_waitcnt vmcnt(0)
	v_mul_f32_e32 v2, s3, v2
.LBB92_32:
	s_clause 0x1
	s_load_dword s2, s[4:5], 0x68
	s_load_dwordx2 s[4:5], s[4:5], 0x70
	v_add_f32_e32 v3, v70, v71
	v_add_nc_u32_e32 v77, 8, v12
	v_add_f32_e32 v5, v3, v2
	v_ashrrev_i32_e32 v78, 31, v77
	v_lshlrev_b64 v[2:3], 2, v[77:78]
	s_waitcnt lgkmcnt(0)
	v_mad_i64_i32 v[75:76], null, v72, s2, 0
	s_mul_i32 s5, s5, s7
	s_mul_hi_u32 s6, s4, s7
	s_mul_i32 s4, s4, s7
	s_add_i32 s5, s6, s5
	s_lshl_b64 s[4:5], s[4:5], 2
	v_lshlrev_b64 v[70:71], 2, v[75:76]
	s_add_u32 s4, s10, s4
	s_addc_u32 s5, s11, s5
	v_add_co_u32 v70, vcc_lo, s4, v70
	v_add_co_ci_u32_e64 v71, null, s5, v71, vcc_lo
	v_add_co_u32 v75, vcc_lo, v70, v0
	v_add_co_ci_u32_e64 v76, null, v71, v1, vcc_lo
	s_and_b32 vcc_lo, exec_lo, s1
	global_store_dword v[75:76], v5, off
	s_cbranch_vccnz .LBB92_34
; %bb.33:
	v_add_co_u32 v4, vcc_lo, v73, v2
	v_add_co_ci_u32_e64 v5, null, v74, v3, vcc_lo
	global_load_dword v4, v[4:5], off
	s_waitcnt vmcnt(0)
	v_mul_f32_e32 v4, s3, v4
.LBB92_34:
	v_add_nc_u32_e32 v75, 16, v12
	v_add_f32_e32 v5, v68, v69
	v_add_co_u32 v77, vcc_lo, v70, v2
	v_add_co_ci_u32_e64 v78, null, v71, v3, vcc_lo
	v_ashrrev_i32_e32 v76, 31, v75
	v_add_f32_e32 v69, v5, v4
	v_mov_b32_e32 v13, 0
	v_mov_b32_e32 v68, 0
	s_and_b32 vcc_lo, exec_lo, s1
	v_lshlrev_b64 v[4:5], 2, v[75:76]
	global_store_dword v[77:78], v69, off
	s_cbranch_vccnz .LBB92_36
; %bb.35:
	v_add_co_u32 v68, vcc_lo, v73, v4
	v_add_co_ci_u32_e64 v69, null, v74, v5, vcc_lo
	global_load_dword v68, v[68:69], off
	s_waitcnt vmcnt(0)
	v_mul_f32_e32 v68, s3, v68
.LBB92_36:
	v_add_nc_u32_e32 v75, 24, v12
	v_add_f32_e32 v6, v6, v7
	v_ashrrev_i32_e32 v76, 31, v75
	v_add_f32_e32 v77, v6, v68
	v_add_co_u32 v68, vcc_lo, v70, v4
	v_add_co_ci_u32_e64 v69, null, v71, v5, vcc_lo
	v_lshlrev_b64 v[6:7], 2, v[75:76]
	s_and_b32 vcc_lo, exec_lo, s1
	global_store_dword v[68:69], v77, off
	s_cbranch_vccnz .LBB92_38
; %bb.37:
	v_add_co_u32 v68, vcc_lo, v73, v6
	v_add_co_ci_u32_e64 v69, null, v74, v7, vcc_lo
	global_load_dword v13, v[68:69], off
	s_waitcnt vmcnt(0)
	v_mul_f32_e32 v13, s3, v13
.LBB92_38:
	v_add_nc_u32_e32 v68, 32, v12
	v_add_f32_e32 v10, v10, v11
	v_add_co_u32 v75, vcc_lo, v70, v6
	v_add_co_ci_u32_e64 v76, null, v71, v7, vcc_lo
	v_ashrrev_i32_e32 v69, 31, v68
	v_add_f32_e32 v77, v10, v13
	v_mov_b32_e32 v13, 0
	s_and_b32 vcc_lo, exec_lo, s1
	v_lshlrev_b64 v[10:11], 2, v[68:69]
	v_mov_b32_e32 v68, 0
	global_store_dword v[75:76], v77, off
	s_cbranch_vccnz .LBB92_40
; %bb.39:
	v_add_co_u32 v68, vcc_lo, v73, v10
	v_add_co_ci_u32_e64 v69, null, v74, v11, vcc_lo
	global_load_dword v68, v[68:69], off
	s_waitcnt vmcnt(0)
	v_mul_f32_e32 v68, s3, v68
.LBB92_40:
	v_add_nc_u32_e32 v75, 40, v12
	v_add_f32_e32 v14, v14, v15
	v_ashrrev_i32_e32 v76, 31, v75
	v_add_f32_e32 v77, v14, v68
	v_add_co_u32 v68, vcc_lo, v70, v10
	v_add_co_ci_u32_e64 v69, null, v71, v11, vcc_lo
	v_lshlrev_b64 v[14:15], 2, v[75:76]
	s_and_b32 vcc_lo, exec_lo, s1
	global_store_dword v[68:69], v77, off
	s_cbranch_vccnz .LBB92_42
; %bb.41:
	v_add_co_u32 v68, vcc_lo, v73, v14
	v_add_co_ci_u32_e64 v69, null, v74, v15, vcc_lo
	global_load_dword v13, v[68:69], off
	s_waitcnt vmcnt(0)
	v_mul_f32_e32 v13, s3, v13
.LBB92_42:
	v_add_nc_u32_e32 v75, 48, v12
	v_add_f32_e32 v8, v8, v9
	v_add_co_u32 v77, vcc_lo, v70, v14
	v_add_co_ci_u32_e64 v78, null, v71, v15, vcc_lo
	v_ashrrev_i32_e32 v76, 31, v75
	v_add_f32_e32 v69, v8, v13
	v_mov_b32_e32 v68, 0
	v_mov_b32_e32 v13, 0
	s_and_b32 vcc_lo, exec_lo, s1
	v_lshlrev_b64 v[8:9], 2, v[75:76]
	global_store_dword v[77:78], v69, off
	s_cbranch_vccnz .LBB92_44
; %bb.43:
	v_add_co_u32 v75, vcc_lo, v73, v8
	v_add_co_ci_u32_e64 v76, null, v74, v9, vcc_lo
	global_load_dword v13, v[75:76], off
	s_waitcnt vmcnt(0)
	v_mul_f32_e32 v13, s3, v13
.LBB92_44:
	v_add_nc_u32_e32 v75, 56, v12
	v_add_f32_e32 v12, v66, v67
	v_add_co_u32 v66, vcc_lo, v70, v8
	v_add_co_ci_u32_e64 v67, null, v71, v9, vcc_lo
	v_ashrrev_i32_e32 v76, 31, v75
	v_add_f32_e32 v69, v12, v13
	s_and_b32 vcc_lo, exec_lo, s1
	v_lshlrev_b64 v[12:13], 2, v[75:76]
	global_store_dword v[66:67], v69, off
	s_cbranch_vccnz .LBB92_46
; %bb.45:
	v_add_co_u32 v66, vcc_lo, v73, v12
	v_add_co_ci_u32_e64 v67, null, v74, v13, vcc_lo
	global_load_dword v66, v[66:67], off
	s_waitcnt vmcnt(0)
	v_mul_f32_e32 v68, s3, v66
.LBB92_46:
	v_add_nc_u32_e32 v67, 32, v72
	v_add_f32_e32 v75, v64, v65
	v_add_co_u32 v69, vcc_lo, v70, v12
	v_add_co_ci_u32_e64 v70, null, v71, v13, vcc_lo
	v_mad_i64_i32 v[73:74], null, v67, s9, 0
	v_mov_b32_e32 v66, 0
	v_add_f32_e32 v71, v75, v68
	v_mov_b32_e32 v68, 0
	global_store_dword v[69:70], v71, off
	v_lshlrev_b64 v[64:65], 2, v[73:74]
	v_add_co_u32 v64, vcc_lo, s12, v64
	v_add_co_ci_u32_e64 v65, null, s13, v65, vcc_lo
	s_and_b32 vcc_lo, exec_lo, s1
	s_cbranch_vccnz .LBB92_48
; %bb.47:
	v_add_co_u32 v68, vcc_lo, v64, v0
	v_add_co_ci_u32_e64 v69, null, v65, v1, vcc_lo
	global_load_dword v68, v[68:69], off
	s_waitcnt vmcnt(0)
	v_mul_f32_e32 v68, s3, v68
.LBB92_48:
	v_mad_i64_i32 v[69:70], null, v67, s2, 0
	v_add_f32_e32 v67, v62, v63
	v_lshlrev_b64 v[69:70], 2, v[69:70]
	v_add_co_u32 v62, vcc_lo, s4, v69
	v_add_co_ci_u32_e64 v63, null, s5, v70, vcc_lo
	v_add_f32_e32 v69, v67, v68
	v_add_co_u32 v67, vcc_lo, v62, v0
	v_add_co_ci_u32_e64 v68, null, v63, v1, vcc_lo
	s_and_b32 vcc_lo, exec_lo, s1
	global_store_dword v[67:68], v69, off
	s_cbranch_vccnz .LBB92_50
; %bb.49:
	v_add_co_u32 v66, vcc_lo, v64, v2
	v_add_co_ci_u32_e64 v67, null, v65, v3, vcc_lo
	global_load_dword v66, v[66:67], off
	s_waitcnt vmcnt(0)
	v_mul_f32_e32 v66, s3, v66
.LBB92_50:
	v_add_f32_e32 v60, v60, v61
	v_add_co_u32 v67, vcc_lo, v62, v2
	v_add_co_ci_u32_e64 v68, null, v63, v3, vcc_lo
	v_add_f32_e32 v66, v60, v66
	v_mov_b32_e32 v60, 0
	v_mov_b32_e32 v61, 0
	s_and_b32 vcc_lo, exec_lo, s1
	global_store_dword v[67:68], v66, off
	s_cbranch_vccnz .LBB92_52
; %bb.51:
	v_add_co_u32 v66, vcc_lo, v64, v4
	v_add_co_ci_u32_e64 v67, null, v65, v5, vcc_lo
	global_load_dword v61, v[66:67], off
	s_waitcnt vmcnt(0)
	v_mul_f32_e32 v61, s3, v61
.LBB92_52:
	v_add_f32_e32 v58, v58, v59
	v_add_f32_e32 v61, v58, v61
	v_add_co_u32 v58, vcc_lo, v62, v4
	v_add_co_ci_u32_e64 v59, null, v63, v5, vcc_lo
	s_and_b32 vcc_lo, exec_lo, s1
	global_store_dword v[58:59], v61, off
	s_cbranch_vccnz .LBB92_54
; %bb.53:
	v_add_co_u32 v58, vcc_lo, v64, v6
	v_add_co_ci_u32_e64 v59, null, v65, v7, vcc_lo
	global_load_dword v58, v[58:59], off
	s_waitcnt vmcnt(0)
	v_mul_f32_e32 v60, s3, v58
.LBB92_54:
	v_add_f32_e32 v56, v56, v57
	v_add_co_u32 v58, vcc_lo, v62, v6
	v_add_co_ci_u32_e64 v59, null, v63, v7, vcc_lo
	v_add_f32_e32 v60, v56, v60
	v_mov_b32_e32 v56, 0
	v_mov_b32_e32 v57, 0
	s_and_b32 vcc_lo, exec_lo, s1
	global_store_dword v[58:59], v60, off
	s_cbranch_vccnz .LBB92_56
; %bb.55:
	v_add_co_u32 v57, vcc_lo, v64, v10
	v_add_co_ci_u32_e64 v58, null, v65, v11, vcc_lo
	global_load_dword v57, v[57:58], off
	s_waitcnt vmcnt(0)
	v_mul_f32_e32 v57, s3, v57
.LBB92_56:
	v_add_f32_e32 v54, v54, v55
	v_add_f32_e32 v57, v54, v57
	v_add_co_u32 v54, vcc_lo, v62, v10
	v_add_co_ci_u32_e64 v55, null, v63, v11, vcc_lo
	s_and_b32 vcc_lo, exec_lo, s1
	global_store_dword v[54:55], v57, off
	s_cbranch_vccnz .LBB92_58
; %bb.57:
	v_add_co_u32 v54, vcc_lo, v64, v14
	v_add_co_ci_u32_e64 v55, null, v65, v15, vcc_lo
	global_load_dword v54, v[54:55], off
	s_waitcnt vmcnt(0)
	v_mul_f32_e32 v56, s3, v54
.LBB92_58:
	v_add_f32_e32 v52, v52, v53
	v_add_co_u32 v54, vcc_lo, v62, v14
	v_add_co_ci_u32_e64 v55, null, v63, v15, vcc_lo
	v_add_f32_e32 v56, v52, v56
	v_mov_b32_e32 v52, 0
	v_mov_b32_e32 v53, 0
	s_and_b32 vcc_lo, exec_lo, s1
	global_store_dword v[54:55], v56, off
	s_cbranch_vccnz .LBB92_60
; %bb.59:
	v_add_co_u32 v53, vcc_lo, v64, v8
	v_add_co_ci_u32_e64 v54, null, v65, v9, vcc_lo
	global_load_dword v53, v[53:54], off
	s_waitcnt vmcnt(0)
	v_mul_f32_e32 v53, s3, v53
.LBB92_60:
	v_add_f32_e32 v50, v50, v51
	v_add_f32_e32 v53, v50, v53
	v_add_co_u32 v50, vcc_lo, v62, v8
	v_add_co_ci_u32_e64 v51, null, v63, v9, vcc_lo
	s_and_b32 vcc_lo, exec_lo, s1
	global_store_dword v[50:51], v53, off
	s_cbranch_vccnz .LBB92_62
; %bb.61:
	v_add_co_u32 v50, vcc_lo, v64, v12
	v_add_co_ci_u32_e64 v51, null, v65, v13, vcc_lo
	global_load_dword v50, v[50:51], off
	s_waitcnt vmcnt(0)
	v_mul_f32_e32 v52, s3, v50
.LBB92_62:
	v_add_nc_u32_e32 v51, 64, v72
	v_add_f32_e32 v55, v48, v49
	v_mov_b32_e32 v50, 0
	v_mad_i64_i32 v[53:54], null, v51, s9, 0
	v_add_f32_e32 v55, v55, v52
	v_mov_b32_e32 v52, 0
	v_lshlrev_b64 v[48:49], 2, v[53:54]
	v_add_co_u32 v53, vcc_lo, v62, v12
	v_add_co_ci_u32_e64 v54, null, v63, v13, vcc_lo
	v_add_co_u32 v48, vcc_lo, s12, v48
	v_add_co_ci_u32_e64 v49, null, s13, v49, vcc_lo
	s_and_b32 vcc_lo, exec_lo, s1
	global_store_dword v[53:54], v55, off
	s_cbranch_vccnz .LBB92_64
; %bb.63:
	v_add_co_u32 v52, vcc_lo, v48, v0
	v_add_co_ci_u32_e64 v53, null, v49, v1, vcc_lo
	global_load_dword v52, v[52:53], off
	s_waitcnt vmcnt(0)
	v_mul_f32_e32 v52, s3, v52
.LBB92_64:
	v_mad_i64_i32 v[53:54], null, v51, s2, 0
	v_add_f32_e32 v51, v46, v47
	v_lshlrev_b64 v[53:54], 2, v[53:54]
	v_add_co_u32 v46, vcc_lo, s4, v53
	v_add_co_ci_u32_e64 v47, null, s5, v54, vcc_lo
	v_add_f32_e32 v53, v51, v52
	v_add_co_u32 v51, vcc_lo, v46, v0
	v_add_co_ci_u32_e64 v52, null, v47, v1, vcc_lo
	s_and_b32 vcc_lo, exec_lo, s1
	global_store_dword v[51:52], v53, off
	s_cbranch_vccnz .LBB92_66
; %bb.65:
	v_add_co_u32 v50, vcc_lo, v48, v2
	v_add_co_ci_u32_e64 v51, null, v49, v3, vcc_lo
	global_load_dword v50, v[50:51], off
	s_waitcnt vmcnt(0)
	v_mul_f32_e32 v50, s3, v50
.LBB92_66:
	v_add_f32_e32 v44, v44, v45
	v_add_co_u32 v51, vcc_lo, v46, v2
	v_add_co_ci_u32_e64 v52, null, v47, v3, vcc_lo
	v_add_f32_e32 v50, v44, v50
	v_mov_b32_e32 v44, 0
	v_mov_b32_e32 v45, 0
	s_and_b32 vcc_lo, exec_lo, s1
	global_store_dword v[51:52], v50, off
	s_cbranch_vccnz .LBB92_68
; %bb.67:
	v_add_co_u32 v50, vcc_lo, v48, v4
	v_add_co_ci_u32_e64 v51, null, v49, v5, vcc_lo
	global_load_dword v45, v[50:51], off
	s_waitcnt vmcnt(0)
	v_mul_f32_e32 v45, s3, v45
.LBB92_68:
	v_add_f32_e32 v42, v42, v43
	v_add_f32_e32 v45, v42, v45
	v_add_co_u32 v42, vcc_lo, v46, v4
	v_add_co_ci_u32_e64 v43, null, v47, v5, vcc_lo
	s_and_b32 vcc_lo, exec_lo, s1
	global_store_dword v[42:43], v45, off
	s_cbranch_vccnz .LBB92_70
; %bb.69:
	v_add_co_u32 v42, vcc_lo, v48, v6
	v_add_co_ci_u32_e64 v43, null, v49, v7, vcc_lo
	global_load_dword v42, v[42:43], off
	s_waitcnt vmcnt(0)
	v_mul_f32_e32 v44, s3, v42
.LBB92_70:
	v_add_f32_e32 v40, v40, v41
	v_add_co_u32 v42, vcc_lo, v46, v6
	v_add_co_ci_u32_e64 v43, null, v47, v7, vcc_lo
	v_add_f32_e32 v44, v40, v44
	v_mov_b32_e32 v40, 0
	v_mov_b32_e32 v41, 0
	s_and_b32 vcc_lo, exec_lo, s1
	global_store_dword v[42:43], v44, off
	s_cbranch_vccnz .LBB92_72
; %bb.71:
	v_add_co_u32 v41, vcc_lo, v48, v10
	v_add_co_ci_u32_e64 v42, null, v49, v11, vcc_lo
	global_load_dword v41, v[41:42], off
	s_waitcnt vmcnt(0)
	v_mul_f32_e32 v41, s3, v41
.LBB92_72:
	v_add_f32_e32 v38, v38, v39
	;; [unrolled: 30-line block ×3, first 2 shown]
	v_add_f32_e32 v37, v34, v37
	v_add_co_u32 v34, vcc_lo, v46, v8
	v_add_co_ci_u32_e64 v35, null, v47, v9, vcc_lo
	s_and_b32 vcc_lo, exec_lo, s1
	global_store_dword v[34:35], v37, off
	s_cbranch_vccnz .LBB92_78
; %bb.77:
	v_add_co_u32 v34, vcc_lo, v48, v12
	v_add_co_ci_u32_e64 v35, null, v49, v13, vcc_lo
	global_load_dword v34, v[34:35], off
	s_waitcnt vmcnt(0)
	v_mul_f32_e32 v36, s3, v34
.LBB92_78:
	v_add_nc_u32_e32 v35, 0x60, v72
	v_add_f32_e32 v39, v32, v33
	v_mov_b32_e32 v34, 0
	v_mad_i64_i32 v[37:38], null, v35, s9, 0
	v_add_f32_e32 v39, v39, v36
	v_mov_b32_e32 v36, 0
	v_lshlrev_b64 v[32:33], 2, v[37:38]
	v_add_co_u32 v37, vcc_lo, v46, v12
	v_add_co_ci_u32_e64 v38, null, v47, v13, vcc_lo
	v_add_co_u32 v32, vcc_lo, s12, v32
	v_add_co_ci_u32_e64 v33, null, s13, v33, vcc_lo
	s_and_b32 vcc_lo, exec_lo, s1
	global_store_dword v[37:38], v39, off
	s_cbranch_vccnz .LBB92_80
; %bb.79:
	v_add_co_u32 v36, vcc_lo, v32, v0
	v_add_co_ci_u32_e64 v37, null, v33, v1, vcc_lo
	global_load_dword v36, v[36:37], off
	s_waitcnt vmcnt(0)
	v_mul_f32_e32 v36, s3, v36
.LBB92_80:
	v_mad_i64_i32 v[37:38], null, v35, s2, 0
	v_add_f32_e32 v35, v30, v31
	v_add_f32_e32 v35, v35, v36
	v_lshlrev_b64 v[37:38], 2, v[37:38]
	v_add_co_u32 v30, vcc_lo, s4, v37
	v_add_co_ci_u32_e64 v31, null, s5, v38, vcc_lo
	v_add_co_u32 v0, vcc_lo, v30, v0
	v_add_co_ci_u32_e64 v1, null, v31, v1, vcc_lo
	s_and_b32 vcc_lo, exec_lo, s1
	global_store_dword v[0:1], v35, off
	s_cbranch_vccnz .LBB92_82
; %bb.81:
	v_add_co_u32 v0, vcc_lo, v32, v2
	v_add_co_ci_u32_e64 v1, null, v33, v3, vcc_lo
	global_load_dword v0, v[0:1], off
	s_waitcnt vmcnt(0)
	v_mul_f32_e32 v34, s3, v0
.LBB92_82:
	v_add_f32_e32 v0, v28, v29
	v_add_co_u32 v2, vcc_lo, v30, v2
	v_add_co_ci_u32_e64 v3, null, v31, v3, vcc_lo
	v_add_f32_e32 v28, v0, v34
	v_mov_b32_e32 v0, 0
	v_mov_b32_e32 v1, 0
	s_and_b32 vcc_lo, exec_lo, s1
	global_store_dword v[2:3], v28, off
	s_cbranch_vccnz .LBB92_84
; %bb.83:
	v_add_co_u32 v1, vcc_lo, v32, v4
	v_add_co_ci_u32_e64 v2, null, v33, v5, vcc_lo
	global_load_dword v1, v[1:2], off
	s_waitcnt vmcnt(0)
	v_mul_f32_e32 v1, s3, v1
.LBB92_84:
	v_add_f32_e32 v2, v26, v27
	v_add_f32_e32 v3, v2, v1
	v_add_co_u32 v1, vcc_lo, v30, v4
	v_add_co_ci_u32_e64 v2, null, v31, v5, vcc_lo
	s_and_b32 vcc_lo, exec_lo, s1
	global_store_dword v[1:2], v3, off
	s_cbranch_vccnz .LBB92_86
; %bb.85:
	v_add_co_u32 v0, vcc_lo, v32, v6
	v_add_co_ci_u32_e64 v1, null, v33, v7, vcc_lo
	global_load_dword v0, v[0:1], off
	s_waitcnt vmcnt(0)
	v_mul_f32_e32 v0, s3, v0
.LBB92_86:
	v_add_f32_e32 v1, v24, v25
	v_add_co_u32 v2, vcc_lo, v30, v6
	v_add_co_ci_u32_e64 v3, null, v31, v7, vcc_lo
	v_add_f32_e32 v4, v1, v0
	v_mov_b32_e32 v0, 0
	v_mov_b32_e32 v1, 0
	s_and_b32 vcc_lo, exec_lo, s1
	global_store_dword v[2:3], v4, off
	s_cbranch_vccnz .LBB92_88
; %bb.87:
	v_add_co_u32 v1, vcc_lo, v32, v10
	v_add_co_ci_u32_e64 v2, null, v33, v11, vcc_lo
	global_load_dword v1, v[1:2], off
	s_waitcnt vmcnt(0)
	v_mul_f32_e32 v1, s3, v1
.LBB92_88:
	v_add_f32_e32 v2, v22, v23
	v_add_f32_e32 v3, v2, v1
	v_add_co_u32 v1, vcc_lo, v30, v10
	v_add_co_ci_u32_e64 v2, null, v31, v11, vcc_lo
	s_and_b32 vcc_lo, exec_lo, s1
	global_store_dword v[1:2], v3, off
	s_cbranch_vccnz .LBB92_90
; %bb.89:
	v_add_co_u32 v0, vcc_lo, v32, v14
	v_add_co_ci_u32_e64 v1, null, v33, v15, vcc_lo
	global_load_dword v0, v[0:1], off
	s_waitcnt vmcnt(0)
	v_mul_f32_e32 v0, s3, v0
.LBB92_90:
	v_add_f32_e32 v3, v20, v21
	v_add_co_u32 v1, vcc_lo, v30, v14
	v_add_co_ci_u32_e64 v2, null, v31, v15, vcc_lo
	v_add_f32_e32 v3, v3, v0
	v_add_f32_e32 v0, v18, v19
	s_mov_b32 s1, -1
	s_mov_b32 vcc_lo, s0
	global_store_dword v[1:2], v3, off
	s_cbranch_vccz .LBB92_92
; %bb.91:
	v_add_co_u32 v1, vcc_lo, v30, v8
	v_add_f32_e32 v3, 0, v0
	v_add_co_ci_u32_e64 v2, null, v31, v9, vcc_lo
	s_mov_b32 s1, 0
	global_store_dword v[1:2], v3, off
.LBB92_92:
	v_mov_b32_e32 v1, 0
	s_andn2_b32 vcc_lo, exec_lo, s1
	s_cbranch_vccnz .LBB92_94
; %bb.93:
	v_add_co_u32 v1, vcc_lo, v32, v8
	v_add_co_ci_u32_e64 v2, null, v33, v9, vcc_lo
	global_load_dword v3, v[1:2], off
	v_add_co_u32 v1, vcc_lo, v30, v8
	v_add_co_ci_u32_e64 v2, null, v31, v9, vcc_lo
	s_waitcnt vmcnt(0)
	v_fmac_f32_e32 v0, s3, v3
	v_add_co_u32 v3, vcc_lo, v32, v12
	v_add_co_ci_u32_e64 v4, null, v33, v13, vcc_lo
	global_store_dword v[1:2], v0, off
	global_load_dword v0, v[3:4], off
	s_waitcnt vmcnt(0)
	v_mul_f32_e32 v1, s3, v0
.LBB92_94:
	v_add_f32_e32 v0, v16, v17
	v_add_f32_e32 v2, v0, v1
	v_add_co_u32 v0, vcc_lo, v30, v12
	v_add_co_ci_u32_e64 v1, null, v31, v13, vcc_lo
	global_store_dword v[0:1], v2, off
	s_endpgm
.LBB92_95:
	s_mov_b64 s[16:17], 0
	s_andn2_b32 vcc_lo, exec_lo, s0
	s_mov_b32 s0, -1
	s_cbranch_vccz .LBB92_2
	s_branch .LBB92_3
	.section	.rodata,"a",@progbits
	.p2align	6, 0x0
	.amdhsa_kernel _ZN12_GLOBAL__N_120geam_min_plus_kernelIf15HIP_vector_typeIfLj2EES2_Li8ELi32ELi64ELi128ELi4ELi64ELi4ELi64ELi4ELc78ELc84ELb0ELb0ELb0EfKffEEviiiT16_PT17_ilS6_ilS4_S6_ilPT18_ili26rocblas_geam_ex_operation_
		.amdhsa_group_segment_fixed_size 6144
		.amdhsa_private_segment_fixed_size 0
		.amdhsa_kernarg_size 128
		.amdhsa_user_sgpr_count 6
		.amdhsa_user_sgpr_private_segment_buffer 1
		.amdhsa_user_sgpr_dispatch_ptr 0
		.amdhsa_user_sgpr_queue_ptr 0
		.amdhsa_user_sgpr_kernarg_segment_ptr 1
		.amdhsa_user_sgpr_dispatch_id 0
		.amdhsa_user_sgpr_flat_scratch_init 0
		.amdhsa_user_sgpr_private_segment_size 0
		.amdhsa_wavefront_size32 1
		.amdhsa_uses_dynamic_stack 0
		.amdhsa_system_sgpr_private_segment_wavefront_offset 0
		.amdhsa_system_sgpr_workgroup_id_x 1
		.amdhsa_system_sgpr_workgroup_id_y 0
		.amdhsa_system_sgpr_workgroup_id_z 1
		.amdhsa_system_sgpr_workgroup_info 0
		.amdhsa_system_vgpr_workitem_id 1
		.amdhsa_next_free_vgpr 149
		.amdhsa_next_free_sgpr 27
		.amdhsa_reserve_vcc 1
		.amdhsa_reserve_flat_scratch 0
		.amdhsa_float_round_mode_32 0
		.amdhsa_float_round_mode_16_64 0
		.amdhsa_float_denorm_mode_32 3
		.amdhsa_float_denorm_mode_16_64 3
		.amdhsa_dx10_clamp 1
		.amdhsa_ieee_mode 1
		.amdhsa_fp16_overflow 0
		.amdhsa_workgroup_processor_mode 1
		.amdhsa_memory_ordered 1
		.amdhsa_forward_progress 1
		.amdhsa_shared_vgpr_count 0
		.amdhsa_exception_fp_ieee_invalid_op 0
		.amdhsa_exception_fp_denorm_src 0
		.amdhsa_exception_fp_ieee_div_zero 0
		.amdhsa_exception_fp_ieee_overflow 0
		.amdhsa_exception_fp_ieee_underflow 0
		.amdhsa_exception_fp_ieee_inexact 0
		.amdhsa_exception_int_div_zero 0
	.end_amdhsa_kernel
	.section	.text._ZN12_GLOBAL__N_120geam_min_plus_kernelIf15HIP_vector_typeIfLj2EES2_Li8ELi32ELi64ELi128ELi4ELi64ELi4ELi64ELi4ELc78ELc84ELb0ELb0ELb0EfKffEEviiiT16_PT17_ilS6_ilS4_S6_ilPT18_ili26rocblas_geam_ex_operation_,"axG",@progbits,_ZN12_GLOBAL__N_120geam_min_plus_kernelIf15HIP_vector_typeIfLj2EES2_Li8ELi32ELi64ELi128ELi4ELi64ELi4ELi64ELi4ELc78ELc84ELb0ELb0ELb0EfKffEEviiiT16_PT17_ilS6_ilS4_S6_ilPT18_ili26rocblas_geam_ex_operation_,comdat
.Lfunc_end92:
	.size	_ZN12_GLOBAL__N_120geam_min_plus_kernelIf15HIP_vector_typeIfLj2EES2_Li8ELi32ELi64ELi128ELi4ELi64ELi4ELi64ELi4ELc78ELc84ELb0ELb0ELb0EfKffEEviiiT16_PT17_ilS6_ilS4_S6_ilPT18_ili26rocblas_geam_ex_operation_, .Lfunc_end92-_ZN12_GLOBAL__N_120geam_min_plus_kernelIf15HIP_vector_typeIfLj2EES2_Li8ELi32ELi64ELi128ELi4ELi64ELi4ELi64ELi4ELc78ELc84ELb0ELb0ELb0EfKffEEviiiT16_PT17_ilS6_ilS4_S6_ilPT18_ili26rocblas_geam_ex_operation_
                                        ; -- End function
	.set _ZN12_GLOBAL__N_120geam_min_plus_kernelIf15HIP_vector_typeIfLj2EES2_Li8ELi32ELi64ELi128ELi4ELi64ELi4ELi64ELi4ELc78ELc84ELb0ELb0ELb0EfKffEEviiiT16_PT17_ilS6_ilS4_S6_ilPT18_ili26rocblas_geam_ex_operation_.num_vgpr, 149
	.set _ZN12_GLOBAL__N_120geam_min_plus_kernelIf15HIP_vector_typeIfLj2EES2_Li8ELi32ELi64ELi128ELi4ELi64ELi4ELi64ELi4ELc78ELc84ELb0ELb0ELb0EfKffEEviiiT16_PT17_ilS6_ilS4_S6_ilPT18_ili26rocblas_geam_ex_operation_.num_agpr, 0
	.set _ZN12_GLOBAL__N_120geam_min_plus_kernelIf15HIP_vector_typeIfLj2EES2_Li8ELi32ELi64ELi128ELi4ELi64ELi4ELi64ELi4ELc78ELc84ELb0ELb0ELb0EfKffEEviiiT16_PT17_ilS6_ilS4_S6_ilPT18_ili26rocblas_geam_ex_operation_.numbered_sgpr, 27
	.set _ZN12_GLOBAL__N_120geam_min_plus_kernelIf15HIP_vector_typeIfLj2EES2_Li8ELi32ELi64ELi128ELi4ELi64ELi4ELi64ELi4ELc78ELc84ELb0ELb0ELb0EfKffEEviiiT16_PT17_ilS6_ilS4_S6_ilPT18_ili26rocblas_geam_ex_operation_.num_named_barrier, 0
	.set _ZN12_GLOBAL__N_120geam_min_plus_kernelIf15HIP_vector_typeIfLj2EES2_Li8ELi32ELi64ELi128ELi4ELi64ELi4ELi64ELi4ELc78ELc84ELb0ELb0ELb0EfKffEEviiiT16_PT17_ilS6_ilS4_S6_ilPT18_ili26rocblas_geam_ex_operation_.private_seg_size, 0
	.set _ZN12_GLOBAL__N_120geam_min_plus_kernelIf15HIP_vector_typeIfLj2EES2_Li8ELi32ELi64ELi128ELi4ELi64ELi4ELi64ELi4ELc78ELc84ELb0ELb0ELb0EfKffEEviiiT16_PT17_ilS6_ilS4_S6_ilPT18_ili26rocblas_geam_ex_operation_.uses_vcc, 1
	.set _ZN12_GLOBAL__N_120geam_min_plus_kernelIf15HIP_vector_typeIfLj2EES2_Li8ELi32ELi64ELi128ELi4ELi64ELi4ELi64ELi4ELc78ELc84ELb0ELb0ELb0EfKffEEviiiT16_PT17_ilS6_ilS4_S6_ilPT18_ili26rocblas_geam_ex_operation_.uses_flat_scratch, 0
	.set _ZN12_GLOBAL__N_120geam_min_plus_kernelIf15HIP_vector_typeIfLj2EES2_Li8ELi32ELi64ELi128ELi4ELi64ELi4ELi64ELi4ELc78ELc84ELb0ELb0ELb0EfKffEEviiiT16_PT17_ilS6_ilS4_S6_ilPT18_ili26rocblas_geam_ex_operation_.has_dyn_sized_stack, 0
	.set _ZN12_GLOBAL__N_120geam_min_plus_kernelIf15HIP_vector_typeIfLj2EES2_Li8ELi32ELi64ELi128ELi4ELi64ELi4ELi64ELi4ELc78ELc84ELb0ELb0ELb0EfKffEEviiiT16_PT17_ilS6_ilS4_S6_ilPT18_ili26rocblas_geam_ex_operation_.has_recursion, 0
	.set _ZN12_GLOBAL__N_120geam_min_plus_kernelIf15HIP_vector_typeIfLj2EES2_Li8ELi32ELi64ELi128ELi4ELi64ELi4ELi64ELi4ELc78ELc84ELb0ELb0ELb0EfKffEEviiiT16_PT17_ilS6_ilS4_S6_ilPT18_ili26rocblas_geam_ex_operation_.has_indirect_call, 0
	.section	.AMDGPU.csdata,"",@progbits
; Kernel info:
; codeLenInByte = 7636
; TotalNumSgprs: 29
; NumVgprs: 149
; ScratchSize: 0
; MemoryBound: 0
; FloatMode: 240
; IeeeMode: 1
; LDSByteSize: 6144 bytes/workgroup (compile time only)
; SGPRBlocks: 0
; VGPRBlocks: 18
; NumSGPRsForWavesPerEU: 29
; NumVGPRsForWavesPerEU: 149
; Occupancy: 6
; WaveLimiterHint : 1
; COMPUTE_PGM_RSRC2:SCRATCH_EN: 0
; COMPUTE_PGM_RSRC2:USER_SGPR: 6
; COMPUTE_PGM_RSRC2:TRAP_HANDLER: 0
; COMPUTE_PGM_RSRC2:TGID_X_EN: 1
; COMPUTE_PGM_RSRC2:TGID_Y_EN: 0
; COMPUTE_PGM_RSRC2:TGID_Z_EN: 1
; COMPUTE_PGM_RSRC2:TIDIG_COMP_CNT: 1
	.section	.text._ZN12_GLOBAL__N_120geam_min_plus_kernelIf15HIP_vector_typeIfLj2EES2_Li8ELi32ELi64ELi128ELi4ELi64ELi4ELi64ELi4ELc78ELc84ELb0ELb1ELb0EPKfS3_fEEviiiT16_PT17_ilS7_ilS5_S7_ilPT18_ili26rocblas_geam_ex_operation_,"axG",@progbits,_ZN12_GLOBAL__N_120geam_min_plus_kernelIf15HIP_vector_typeIfLj2EES2_Li8ELi32ELi64ELi128ELi4ELi64ELi4ELi64ELi4ELc78ELc84ELb0ELb1ELb0EPKfS3_fEEviiiT16_PT17_ilS7_ilS5_S7_ilPT18_ili26rocblas_geam_ex_operation_,comdat
	.globl	_ZN12_GLOBAL__N_120geam_min_plus_kernelIf15HIP_vector_typeIfLj2EES2_Li8ELi32ELi64ELi128ELi4ELi64ELi4ELi64ELi4ELc78ELc84ELb0ELb1ELb0EPKfS3_fEEviiiT16_PT17_ilS7_ilS5_S7_ilPT18_ili26rocblas_geam_ex_operation_ ; -- Begin function _ZN12_GLOBAL__N_120geam_min_plus_kernelIf15HIP_vector_typeIfLj2EES2_Li8ELi32ELi64ELi128ELi4ELi64ELi4ELi64ELi4ELc78ELc84ELb0ELb1ELb0EPKfS3_fEEviiiT16_PT17_ilS7_ilS5_S7_ilPT18_ili26rocblas_geam_ex_operation_
	.p2align	8
	.type	_ZN12_GLOBAL__N_120geam_min_plus_kernelIf15HIP_vector_typeIfLj2EES2_Li8ELi32ELi64ELi128ELi4ELi64ELi4ELi64ELi4ELc78ELc84ELb0ELb1ELb0EPKfS3_fEEviiiT16_PT17_ilS7_ilS5_S7_ilPT18_ili26rocblas_geam_ex_operation_,@function
_ZN12_GLOBAL__N_120geam_min_plus_kernelIf15HIP_vector_typeIfLj2EES2_Li8ELi32ELi64ELi128ELi4ELi64ELi4ELi64ELi4ELc78ELc84ELb0ELb1ELb0EPKfS3_fEEviiiT16_PT17_ilS7_ilS5_S7_ilPT18_ili26rocblas_geam_ex_operation_: ; @_ZN12_GLOBAL__N_120geam_min_plus_kernelIf15HIP_vector_typeIfLj2EES2_Li8ELi32ELi64ELi128ELi4ELi64ELi4ELi64ELi4ELc78ELc84ELb0ELb1ELb0EPKfS3_fEEviiiT16_PT17_ilS7_ilS5_S7_ilPT18_ili26rocblas_geam_ex_operation_
; %bb.0:
	s_clause 0x1
	s_load_dwordx4 s[12:15], s[4:5], 0x10
	s_load_dwordx4 s[0:3], s[4:5], 0x28
	s_mov_b32 s18, s7
	s_mov_b32 s19, 0
	s_mov_b64 s[20:21], 0
	s_lshl_b64 s[16:17], s[18:19], 2
	s_mov_b64 s[22:23], 0
	s_waitcnt lgkmcnt(0)
	s_add_u32 s8, s12, s16
	s_addc_u32 s9, s13, s17
	s_load_dword s24, s[8:9], 0x0
	s_clause 0x1
	s_load_dwordx4 s[8:11], s[4:5], 0x40
	s_load_dwordx2 s[12:13], s[4:5], 0x50
	s_waitcnt lgkmcnt(0)
	v_cmp_eq_f32_e64 s7, s24, 0
	v_cmp_neq_f32_e64 s25, s24, 0
	s_add_u32 s10, s10, s16
	s_addc_u32 s11, s11, s17
	s_and_b32 vcc_lo, exec_lo, s7
	s_cbranch_vccnz .LBB93_2
; %bb.1:
	s_mul_i32 s1, s1, s18
	s_mul_hi_u32 s7, s0, s18
	s_mul_i32 s0, s0, s18
	s_add_i32 s1, s7, s1
	s_lshl_b64 s[0:1], s[0:1], 2
	s_add_u32 s22, s14, s0
	s_addc_u32 s23, s15, s1
.LBB93_2:
	s_load_dword s19, s[10:11], 0x0
	s_andn2_b32 vcc_lo, exec_lo, s25
	s_cbranch_vccnz .LBB93_4
; %bb.3:
	s_mul_i32 s0, s9, s18
	s_mul_hi_u32 s1, s8, s18
	s_add_i32 s1, s1, s0
	s_mul_i32 s0, s8, s18
	s_lshl_b64 s[0:1], s[0:1], 2
	s_add_u32 s20, s2, s0
	s_addc_u32 s21, s3, s1
.LBB93_4:
	s_load_dwordx4 s[8:11], s[4:5], 0x60
	s_waitcnt lgkmcnt(0)
	v_cmp_eq_f32_e64 s0, s19, 0
	v_cmp_neq_f32_e64 s7, s19, 0
	s_and_b32 vcc_lo, exec_lo, s0
	s_cbranch_vccnz .LBB93_6
; %bb.5:
	s_mul_i32 s0, s9, s18
	s_mul_hi_u32 s1, s8, s18
	s_add_i32 s1, s1, s0
	s_mul_i32 s0, s8, s18
	s_lshl_b64 s[0:1], s[0:1], 2
	s_add_u32 s16, s12, s0
	s_addc_u32 s17, s13, s1
	s_branch .LBB93_7
.LBB93_6:
	s_mov_b64 s[16:17], 0
.LBB93_7:
	s_clause 0x1
	s_load_dwordx4 s[12:15], s[4:5], 0x0
	s_load_dword s9, s[4:5], 0x20
	v_lshl_add_u32 v3, v1, 3, v0
	v_mov_b32_e32 v7, 0
	v_mov_b32_e32 v8, 0
	v_and_b32_e32 v75, 63, v3
	v_lshrrev_b32_e32 v70, 6, v3
	s_waitcnt lgkmcnt(0)
	s_add_i32 s0, s12, -1
	s_ashr_i32 s15, s9, 31
	s_ashr_i32 s1, s0, 31
	v_cmp_gt_i32_e32 vcc_lo, s14, v70
	s_lshr_b32 s1, s1, 26
	s_add_i32 s0, s0, s1
	s_ashr_i32 s0, s0, 6
	s_add_i32 s2, s0, 1
	s_not_b32 s0, s0
	v_cvt_f32_u32_e32 v2, s2
	v_rcp_iflag_f32_e32 v2, v2
	v_mul_f32_e32 v2, 0x4f7ffffe, v2
	v_cvt_u32_f32_e32 v2, v2
	v_readfirstlane_b32 s1, v2
	s_mul_i32 s0, s0, s1
	s_mul_hi_u32 s0, s1, s0
	s_add_i32 s1, s1, s0
	s_mul_hi_u32 s0, s6, s1
	s_mul_i32 s1, s0, s2
	s_add_i32 s3, s0, 1
	s_sub_i32 s1, s6, s1
	s_sub_i32 s8, s1, s2
	s_cmp_ge_u32 s1, s2
	s_cselect_b32 s0, s3, s0
	s_cselect_b32 s1, s8, s1
	s_add_i32 s3, s0, 1
	s_cmp_ge_u32 s1, s2
	s_cselect_b32 s1, s3, s0
	s_mul_i32 s0, s1, s2
	s_sub_i32 s0, s6, s0
	s_lshl_b32 s6, s0, 6
	v_or_b32_e32 v2, s6, v75
	v_cmp_gt_i32_e64 s0, s12, v2
	v_ashrrev_i32_e32 v3, 31, v2
	s_and_b32 s2, vcc_lo, s0
	s_and_b32 s3, s25, s2
	s_and_saveexec_b32 s2, s3
	s_cbranch_execz .LBB93_9
; %bb.8:
	v_mad_i64_i32 v[4:5], null, s9, v70, 0
	v_lshlrev_b64 v[8:9], 2, v[2:3]
	v_lshlrev_b64 v[4:5], 2, v[4:5]
	v_add_co_u32 v4, vcc_lo, s22, v4
	v_add_co_ci_u32_e64 v5, null, s23, v5, vcc_lo
	v_add_co_u32 v4, vcc_lo, v4, v8
	v_add_co_ci_u32_e64 v5, null, v5, v9, vcc_lo
	global_load_dword v4, v[4:5], off
	s_waitcnt vmcnt(0)
	v_mul_f32_e32 v8, s24, v4
.LBB93_9:
	s_or_b32 exec_lo, exec_lo, s2
	s_load_dword s26, s[4:5], 0x38
	s_add_i32 s27, s14, -1
	s_lshl_b32 s8, s1, 7
	v_min_i32_e32 v4, s27, v70
	v_cmp_le_i32_e32 vcc_lo, s14, v70
	s_xor_b32 s28, s25, -1
	s_waitcnt lgkmcnt(0)
	v_mad_i64_i32 v[5:6], null, s26, v4, 0
	v_or_b32_e32 v4, s8, v75
	v_cmp_le_i32_e64 s1, s13, v4
	v_lshlrev_b64 v[9:10], 2, v[5:6]
	v_ashrrev_i32_e32 v5, 31, v4
	s_or_b32 s3, vcc_lo, s1
	v_add_co_u32 v6, s2, s20, v9
	v_add_co_ci_u32_e64 v10, null, s21, v10, s2
	s_nor_b32 s2, s3, s28
	s_and_saveexec_b32 s3, s2
	s_cbranch_execz .LBB93_11
; %bb.10:
	v_lshlrev_b64 v[11:12], 2, v[4:5]
	v_add_co_u32 v11, s2, v6, v11
	v_add_co_ci_u32_e64 v12, null, v10, v12, s2
	global_load_dword v7, v[11:12], off
	s_waitcnt vmcnt(0)
	v_mul_f32_e32 v7, s24, v7
.LBB93_11:
	s_or_b32 exec_lo, exec_lo, s3
	v_or_b32_e32 v9, 64, v4
	v_mov_b32_e32 v77, 0
	v_cmp_le_i32_e64 s2, s13, v9
	v_mov_b32_e32 v9, 0
	s_or_b32 s3, vcc_lo, s2
	s_nor_b32 s29, s3, s28
	s_and_saveexec_b32 s3, s29
	s_cbranch_execz .LBB93_13
; %bb.12:
	v_lshlrev_b64 v[11:12], 2, v[4:5]
	v_add_co_u32 v9, vcc_lo, v6, v11
	v_add_co_ci_u32_e64 v10, null, v10, v12, vcc_lo
	global_load_dword v6, v[9:10], off offset:256
	s_waitcnt vmcnt(0)
	v_mul_f32_e32 v9, s24, v6
.LBB93_13:
	s_or_b32 exec_lo, exec_lo, s3
	v_add_nc_u32_e32 v6, 4, v70
	v_cmp_gt_i32_e32 vcc_lo, s14, v6
	s_and_b32 s3, s0, vcc_lo
	s_and_b32 s29, s25, s3
	s_and_saveexec_b32 s3, s29
	s_cbranch_execz .LBB93_15
; %bb.14:
	v_mad_u64_u32 v[10:11], null, s9, v6, 0
	v_mad_u64_u32 v[11:12], null, s15, v6, v[11:12]
	v_lshlrev_b64 v[12:13], 2, v[2:3]
	v_lshlrev_b64 v[10:11], 2, v[10:11]
	v_add_co_u32 v10, vcc_lo, s22, v10
	v_add_co_ci_u32_e64 v11, null, s23, v11, vcc_lo
	v_add_co_u32 v10, vcc_lo, v10, v12
	v_add_co_ci_u32_e64 v11, null, v11, v13, vcc_lo
	global_load_dword v10, v[10:11], off
	s_waitcnt vmcnt(0)
	v_mul_f32_e32 v77, s24, v10
.LBB93_15:
	s_or_b32 exec_lo, exec_lo, s3
	v_min_i32_e32 v10, s27, v6
	v_cmp_le_i32_e32 vcc_lo, s14, v6
	v_mov_b32_e32 v78, 0
	v_mov_b32_e32 v79, 0
	v_mad_i64_i32 v[10:11], null, s26, v10, 0
	v_lshlrev_b64 v[10:11], 2, v[10:11]
	v_add_co_u32 v6, s3, s20, v10
	v_add_co_ci_u32_e64 v10, null, s21, v11, s3
	s_or_b32 s3, s1, vcc_lo
	s_nor_b32 s3, s3, s28
	s_and_saveexec_b32 s29, s3
	s_cbranch_execz .LBB93_17
; %bb.16:
	v_lshlrev_b64 v[11:12], 2, v[4:5]
	v_add_co_u32 v11, s3, v6, v11
	v_add_co_ci_u32_e64 v12, null, v10, v12, s3
	global_load_dword v11, v[11:12], off
	s_waitcnt vmcnt(0)
	v_mul_f32_e32 v79, s24, v11
.LBB93_17:
	s_or_b32 exec_lo, exec_lo, s29
	s_or_b32 s3, s2, vcc_lo
	s_nor_b32 s29, s3, s28
	s_and_saveexec_b32 s3, s29
	s_cbranch_execz .LBB93_19
; %bb.18:
	v_lshlrev_b64 v[11:12], 2, v[4:5]
	v_add_co_u32 v11, vcc_lo, v6, v11
	v_add_co_ci_u32_e64 v12, null, v10, v12, vcc_lo
	global_load_dword v6, v[11:12], off offset:256
	s_waitcnt vmcnt(0)
	v_mul_f32_e32 v78, s24, v6
.LBB93_19:
	s_or_b32 exec_lo, exec_lo, s3
	v_lshlrev_b32_e32 v6, 4, v75
	v_mov_b32_e32 v68, 0
	v_lshl_or_b32 v72, v0, 4, 0x1000
	v_lshlrev_b32_e32 v73, 4, v1
	s_mov_b32 s29, 0
	v_lshl_add_u32 v71, v70, 2, v6
	v_mov_b32_e32 v69, v68
	v_mov_b32_e32 v6, v68
	;; [unrolled: 1-line block ×4, first 2 shown]
	v_or_b32_e32 v74, 0x1000, v71
	ds_write_b32 v71, v8 offset:4096
	ds_write2st64_b32 v71, v7, v9 offset1:4
	v_mov_b32_e32 v7, v68
	v_mov_b32_e32 v8, v68
	;; [unrolled: 1-line block ×59, first 2 shown]
	s_mov_b32 s3, -1
	s_waitcnt lgkmcnt(0)
	s_barrier
	buffer_gl0_inv
.LBB93_20:                              ; =>This Inner Loop Header: Depth=1
	s_lshl_b32 s29, s29, 2
	s_andn2_b32 vcc_lo, exec_lo, s3
	v_add_nc_u32_e32 v76, s29, v72
	s_mov_b32 s3, 0
	ds_read2_b64 v[80:83], v76 offset1:16
	ds_read2_b64 v[84:87], v76 offset0:32 offset1:48
	ds_read2_b64 v[88:91], v76 offset0:64 offset1:80
	;; [unrolled: 1-line block ×3, first 2 shown]
	v_add_nc_u32_e32 v76, s29, v73
	s_mov_b32 s29, 2
	ds_read2st64_b64 v[96:99], v76 offset1:1
	ds_read2st64_b64 v[100:103], v76 offset0:2 offset1:3
	s_waitcnt lgkmcnt(5)
	v_max_f32_e32 v80, v80, v80
	v_max_f32_e32 v82, v82, v82
	s_waitcnt lgkmcnt(4)
	v_max_f32_e32 v84, v84, v84
	v_max_f32_e32 v86, v86, v86
	;; [unrolled: 3-line block ×5, first 2 shown]
	v_max_f32_e32 v81, v81, v81
	v_max_f32_e32 v83, v83, v83
	v_max_f32_e32 v85, v85, v85
	v_min_f32_e32 v96, v80, v76
	v_max_f32_e32 v87, v87, v87
	v_min_f32_e32 v104, v81, v97
	v_max_f32_e32 v89, v89, v89
	v_max_f32_e32 v91, v91, v91
	v_add_f32_e32 v68, v68, v96
	v_min_f32_e32 v96, v82, v76
	v_add_f32_e32 v69, v69, v104
	v_min_f32_e32 v104, v83, v97
	v_max_f32_e32 v93, v93, v93
	v_add_f32_e32 v6, v6, v96
	v_min_f32_e32 v96, v84, v76
	v_add_f32_e32 v7, v7, v104
	v_min_f32_e32 v104, v85, v97
	;; [unrolled: 2-line block ×11, first 2 shown]
	v_max_f32_e32 v76, v95, v95
	v_add_f32_e32 v17, v17, v104
	v_add_f32_e32 v66, v66, v96
	v_min_f32_e32 v95, v76, v97
	v_max_f32_e32 v97, v99, v99
	v_add_f32_e32 v67, v67, v95
	v_max_f32_e32 v95, v98, v98
	v_min_f32_e32 v98, v81, v97
	v_min_f32_e32 v96, v80, v95
	v_add_f32_e32 v65, v65, v98
	v_min_f32_e32 v98, v83, v97
	v_add_f32_e32 v64, v64, v96
	;; [unrolled: 2-line block ×12, first 2 shown]
	v_min_f32_e32 v96, v92, v95
	v_min_f32_e32 v95, v94, v95
	v_add_f32_e32 v53, v53, v98
	v_add_f32_e32 v52, v52, v96
	v_min_f32_e32 v96, v76, v97
	v_add_f32_e32 v50, v50, v95
	s_waitcnt lgkmcnt(0)
	v_max_f32_e32 v95, v100, v100
	v_max_f32_e32 v97, v101, v101
	v_add_f32_e32 v51, v51, v96
	v_min_f32_e32 v96, v80, v95
	v_min_f32_e32 v98, v81, v97
	v_add_f32_e32 v48, v48, v96
	v_min_f32_e32 v96, v82, v95
	v_add_f32_e32 v49, v49, v98
	;; [unrolled: 2-line block ×11, first 2 shown]
	v_min_f32_e32 v96, v92, v95
	v_min_f32_e32 v95, v94, v95
	v_add_f32_e32 v39, v39, v98
	v_min_f32_e32 v98, v93, v97
	v_add_f32_e32 v36, v36, v96
	;; [unrolled: 2-line block ×3, first 2 shown]
	v_max_f32_e32 v95, v102, v102
	v_add_f32_e32 v37, v37, v98
	v_add_f32_e32 v35, v35, v96
	v_max_f32_e32 v96, v103, v103
	v_min_f32_e32 v80, v80, v95
	v_min_f32_e32 v81, v81, v96
	v_add_f32_e32 v32, v32, v80
	v_min_f32_e32 v80, v82, v95
	v_min_f32_e32 v76, v76, v96
	v_add_f32_e32 v33, v33, v81
	v_min_f32_e32 v81, v83, v96
	v_add_f32_e32 v30, v30, v80
	;; [unrolled: 2-line block ×3, first 2 shown]
	v_add_f32_e32 v31, v31, v81
	v_min_f32_e32 v81, v85, v96
	v_add_f32_e32 v28, v28, v80
	v_min_f32_e32 v80, v86, v95
	;; [unrolled: 2-line block ×10, first 2 shown]
	v_add_f32_e32 v21, v21, v81
	v_add_f32_e32 v18, v18, v80
	s_cbranch_vccz .LBB93_20
; %bb.21:
	v_lshlrev_b32_e32 v76, 2, v70
	s_cmp_lt_i32 s14, 9
	v_lshl_add_u32 v80, v75, 4, v76
	v_lshl_add_u32 v75, v0, 4, 0x1400
	;; [unrolled: 1-line block ×3, first 2 shown]
	ds_write_b32 v80, v77 offset:5120
	ds_write2st64_b32 v80, v79, v78 offset0:8 offset1:12
	s_waitcnt lgkmcnt(0)
	s_barrier
	buffer_gl0_inv
	s_cbranch_scc1 .LBB93_40
; %bb.22:
	v_lshlrev_b64 v[81:82], 2, v[2:3]
	v_lshlrev_b64 v[2:3], 2, v[4:5]
	v_add_nc_u32_e32 v77, 0x1400, v80
	v_or_b32_e32 v78, 0x800, v80
	s_mov_b32 s29, 0
	v_add_co_u32 v4, vcc_lo, s22, v81
	v_add_co_ci_u32_e64 v5, null, s23, v82, vcc_lo
	s_add_i32 s22, s14, -8
	s_mov_b32 s23, 8
.LBB93_23:                              ; =>This Loop Header: Depth=1
                                        ;     Child Loop BB93_30 Depth 2
                                        ;     Child Loop BB93_38 Depth 2
	v_add_nc_u32_e32 v81, s23, v70
	v_mov_b32_e32 v79, 0
	v_mov_b32_e32 v80, 0
	v_cmp_gt_i32_e32 vcc_lo, s14, v81
	s_and_b32 s3, s0, vcc_lo
	s_and_b32 s30, s25, s3
	s_and_saveexec_b32 s3, s30
	s_cbranch_execz .LBB93_25
; %bb.24:                               ;   in Loop: Header=BB93_23 Depth=1
	v_mad_u64_u32 v[82:83], null, v81, s9, 0
	v_mov_b32_e32 v80, v83
	v_mad_u64_u32 v[83:84], null, v81, s15, v[80:81]
	v_lshlrev_b64 v[82:83], 2, v[82:83]
	v_add_co_u32 v82, vcc_lo, v4, v82
	v_add_co_ci_u32_e64 v83, null, v5, v83, vcc_lo
	global_load_dword v80, v[82:83], off
	s_waitcnt vmcnt(0)
	v_mul_f32_e32 v80, s24, v80
.LBB93_25:                              ;   in Loop: Header=BB93_23 Depth=1
	s_or_b32 exec_lo, exec_lo, s3
	v_min_i32_e32 v82, s27, v81
	v_cmp_le_i32_e32 vcc_lo, s14, v81
	v_mad_i64_i32 v[82:83], null, v82, s26, 0
	v_lshlrev_b64 v[82:83], 2, v[82:83]
	v_add_co_u32 v82, s3, s20, v82
	v_add_co_ci_u32_e64 v83, null, s21, v83, s3
	s_or_b32 s3, s1, vcc_lo
	s_nor_b32 s3, s3, s28
	s_and_saveexec_b32 s30, s3
	s_cbranch_execz .LBB93_27
; %bb.26:                               ;   in Loop: Header=BB93_23 Depth=1
	v_add_co_u32 v84, s3, v82, v2
	v_add_co_ci_u32_e64 v85, null, v83, v3, s3
	global_load_dword v79, v[84:85], off
	s_waitcnt vmcnt(0)
	v_mul_f32_e32 v79, s24, v79
.LBB93_27:                              ;   in Loop: Header=BB93_23 Depth=1
	s_or_b32 exec_lo, exec_lo, s30
	v_mov_b32_e32 v81, 0
	s_or_b32 s3, s2, vcc_lo
	s_nor_b32 s30, s3, s28
	s_and_saveexec_b32 s3, s30
	s_cbranch_execz .LBB93_29
; %bb.28:                               ;   in Loop: Header=BB93_23 Depth=1
	v_add_co_u32 v81, vcc_lo, v82, v2
	v_add_co_ci_u32_e64 v82, null, v83, v3, vcc_lo
	global_load_dword v81, v[81:82], off offset:256
	s_waitcnt vmcnt(0)
	v_mul_f32_e32 v81, s24, v81
.LBB93_29:                              ;   in Loop: Header=BB93_23 Depth=1
	s_or_b32 exec_lo, exec_lo, s3
	s_mov_b32 s30, 0
	s_mov_b32 s3, -1
.LBB93_30:                              ;   Parent Loop BB93_23 Depth=1
                                        ; =>  This Inner Loop Header: Depth=2
	s_lshl_b32 s30, s30, 2
	s_andn2_b32 vcc_lo, exec_lo, s3
	v_add_nc_u32_e32 v94, s30, v75
	v_add_nc_u32_e32 v102, s30, v76
	s_mov_b32 s3, 0
	s_mov_b32 s30, 2
	ds_read2_b64 v[82:85], v94 offset1:16
	ds_read2_b64 v[86:89], v94 offset0:32 offset1:48
	ds_read2_b64 v[90:93], v94 offset0:64 offset1:80
	;; [unrolled: 1-line block ×3, first 2 shown]
	ds_read2st64_b64 v[98:101], v102 offset1:1
	ds_read2st64_b64 v[102:105], v102 offset0:2 offset1:3
	s_waitcnt lgkmcnt(5)
	v_max_f32_e32 v82, v82, v82
	v_max_f32_e32 v83, v83, v83
	;; [unrolled: 1-line block ×3, first 2 shown]
	s_waitcnt lgkmcnt(1)
	v_max_f32_e32 v98, v98, v98
	v_max_f32_e32 v99, v99, v99
	;; [unrolled: 1-line block ×5, first 2 shown]
	v_min_f32_e32 v106, v82, v98
	v_min_f32_e32 v107, v83, v99
	v_max_f32_e32 v88, v88, v88
	v_max_f32_e32 v89, v89, v89
	;; [unrolled: 1-line block ×3, first 2 shown]
	v_add_f32_e32 v68, v68, v106
	v_min_f32_e32 v106, v84, v98
	v_add_f32_e32 v69, v69, v107
	v_min_f32_e32 v107, v85, v99
	v_max_f32_e32 v91, v91, v91
	v_max_f32_e32 v92, v92, v92
	v_add_f32_e32 v6, v6, v106
	v_min_f32_e32 v106, v86, v98
	v_add_f32_e32 v7, v7, v107
	v_min_f32_e32 v107, v87, v99
	v_max_f32_e32 v93, v93, v93
	v_max_f32_e32 v94, v94, v94
	;; [unrolled: 6-line block ×3, first 2 shown]
	v_add_f32_e32 v10, v10, v106
	v_min_f32_e32 v106, v90, v98
	v_add_f32_e32 v11, v11, v107
	v_min_f32_e32 v107, v91, v99
	v_max_f32_e32 v97, v97, v97
	v_add_f32_e32 v12, v12, v106
	v_min_f32_e32 v106, v92, v98
	v_add_f32_e32 v13, v13, v107
	v_min_f32_e32 v107, v93, v99
	;; [unrolled: 2-line block ×3, first 2 shown]
	v_min_f32_e32 v98, v96, v98
	v_add_f32_e32 v15, v15, v107
	v_min_f32_e32 v107, v95, v99
	v_min_f32_e32 v99, v97, v99
	v_add_f32_e32 v16, v16, v106
	v_add_f32_e32 v66, v66, v98
	v_max_f32_e32 v98, v100, v100
	v_max_f32_e32 v100, v101, v101
	v_add_f32_e32 v67, v67, v99
	v_add_f32_e32 v17, v17, v107
	v_min_f32_e32 v99, v82, v98
	v_min_f32_e32 v101, v83, v100
	v_add_f32_e32 v64, v64, v99
	v_min_f32_e32 v99, v84, v98
	v_add_f32_e32 v65, v65, v101
	;; [unrolled: 2-line block ×11, first 2 shown]
	v_min_f32_e32 v99, v94, v98
	v_min_f32_e32 v98, v96, v98
	v_add_f32_e32 v55, v55, v101
	v_min_f32_e32 v101, v95, v100
	v_add_f32_e32 v52, v52, v99
	v_min_f32_e32 v99, v97, v100
	v_add_f32_e32 v50, v50, v98
	s_waitcnt lgkmcnt(0)
	v_max_f32_e32 v98, v102, v102
	v_max_f32_e32 v100, v103, v103
	v_add_f32_e32 v53, v53, v101
	v_add_f32_e32 v51, v51, v99
	v_min_f32_e32 v99, v82, v98
	v_min_f32_e32 v101, v83, v100
	v_add_f32_e32 v48, v48, v99
	v_min_f32_e32 v99, v84, v98
	v_add_f32_e32 v49, v49, v101
	;; [unrolled: 2-line block ×11, first 2 shown]
	v_min_f32_e32 v99, v94, v98
	v_min_f32_e32 v98, v96, v98
	v_add_f32_e32 v39, v39, v101
	v_min_f32_e32 v101, v95, v100
	v_add_f32_e32 v36, v36, v99
	;; [unrolled: 2-line block ×3, first 2 shown]
	v_max_f32_e32 v98, v104, v104
	v_add_f32_e32 v37, v37, v101
	v_add_f32_e32 v35, v35, v99
	v_max_f32_e32 v99, v105, v105
	v_min_f32_e32 v82, v82, v98
	v_min_f32_e32 v83, v83, v99
	v_add_f32_e32 v32, v32, v82
	v_min_f32_e32 v82, v84, v98
	v_add_f32_e32 v33, v33, v83
	;; [unrolled: 2-line block ×15, first 2 shown]
	v_add_f32_e32 v19, v19, v83
	s_cbranch_vccz .LBB93_30
; %bb.31:                               ;   in Loop: Header=BB93_23 Depth=1
	v_add3_u32 v82, v70, s23, 4
	ds_write_b32 v74, v80
	ds_write2st64_b32 v71, v79, v81 offset1:4
	v_mov_b32_e32 v79, 0
	v_mov_b32_e32 v80, 0
	v_cmp_gt_i32_e32 vcc_lo, s14, v82
	s_waitcnt lgkmcnt(0)
	s_barrier
	buffer_gl0_inv
	s_and_b32 s3, s0, vcc_lo
	s_and_b32 s30, s25, s3
	s_and_saveexec_b32 s3, s30
	s_cbranch_execz .LBB93_33
; %bb.32:                               ;   in Loop: Header=BB93_23 Depth=1
	v_mad_u64_u32 v[80:81], null, v82, s9, 0
	v_mad_u64_u32 v[83:84], null, v82, s15, v[81:82]
	v_mov_b32_e32 v81, v83
	v_lshlrev_b64 v[80:81], 2, v[80:81]
	v_add_co_u32 v80, vcc_lo, v4, v80
	v_add_co_ci_u32_e64 v81, null, v5, v81, vcc_lo
	global_load_dword v80, v[80:81], off
	s_waitcnt vmcnt(0)
	v_mul_f32_e32 v80, s24, v80
.LBB93_33:                              ;   in Loop: Header=BB93_23 Depth=1
	s_or_b32 exec_lo, exec_lo, s3
	v_min_i32_e32 v81, s27, v82
	v_cmp_le_i32_e32 vcc_lo, s14, v82
	v_mad_i64_i32 v[83:84], null, v81, s26, 0
	v_lshlrev_b64 v[83:84], 2, v[83:84]
	v_add_co_u32 v82, s3, s20, v83
	v_add_co_ci_u32_e64 v83, null, s21, v84, s3
	s_or_b32 s3, s1, vcc_lo
	s_nor_b32 s3, s3, s28
	s_and_saveexec_b32 s30, s3
	s_cbranch_execz .LBB93_35
; %bb.34:                               ;   in Loop: Header=BB93_23 Depth=1
	v_add_co_u32 v84, s3, v82, v2
	v_add_co_ci_u32_e64 v85, null, v83, v3, s3
	global_load_dword v79, v[84:85], off
	s_waitcnt vmcnt(0)
	v_mul_f32_e32 v79, s24, v79
.LBB93_35:                              ;   in Loop: Header=BB93_23 Depth=1
	s_or_b32 exec_lo, exec_lo, s30
	v_mov_b32_e32 v81, 0
	s_or_b32 s3, s2, vcc_lo
	s_nor_b32 s30, s3, s28
	s_and_saveexec_b32 s3, s30
	s_cbranch_execz .LBB93_37
; %bb.36:                               ;   in Loop: Header=BB93_23 Depth=1
	v_add_co_u32 v81, vcc_lo, v82, v2
	v_add_co_ci_u32_e64 v82, null, v83, v3, vcc_lo
	global_load_dword v81, v[81:82], off offset:256
	s_waitcnt vmcnt(0)
	v_mul_f32_e32 v81, s24, v81
.LBB93_37:                              ;   in Loop: Header=BB93_23 Depth=1
	s_or_b32 exec_lo, exec_lo, s3
	s_mov_b32 s30, 0
	s_mov_b32 s3, -1
.LBB93_38:                              ;   Parent Loop BB93_23 Depth=1
                                        ; =>  This Inner Loop Header: Depth=2
	s_lshl_b32 s30, s30, 2
	s_andn2_b32 vcc_lo, exec_lo, s3
	v_add_nc_u32_e32 v94, s30, v72
	v_add_nc_u32_e32 v102, s30, v73
	s_mov_b32 s3, 0
	s_mov_b32 s30, 2
	ds_read2_b64 v[82:85], v94 offset1:16
	ds_read2_b64 v[86:89], v94 offset0:32 offset1:48
	ds_read2_b64 v[90:93], v94 offset0:64 offset1:80
	;; [unrolled: 1-line block ×3, first 2 shown]
	ds_read2st64_b64 v[98:101], v102 offset1:1
	ds_read2st64_b64 v[102:105], v102 offset0:2 offset1:3
	s_waitcnt lgkmcnt(5)
	v_max_f32_e32 v82, v82, v82
	v_max_f32_e32 v83, v83, v83
	;; [unrolled: 1-line block ×3, first 2 shown]
	s_waitcnt lgkmcnt(1)
	v_max_f32_e32 v98, v98, v98
	v_max_f32_e32 v99, v99, v99
	;; [unrolled: 1-line block ×5, first 2 shown]
	v_min_f32_e32 v106, v82, v98
	v_min_f32_e32 v107, v83, v99
	v_max_f32_e32 v88, v88, v88
	v_max_f32_e32 v89, v89, v89
	v_max_f32_e32 v90, v90, v90
	v_add_f32_e32 v68, v68, v106
	v_min_f32_e32 v106, v84, v98
	v_add_f32_e32 v69, v69, v107
	v_min_f32_e32 v107, v85, v99
	v_max_f32_e32 v91, v91, v91
	v_max_f32_e32 v92, v92, v92
	v_add_f32_e32 v6, v6, v106
	v_min_f32_e32 v106, v86, v98
	v_add_f32_e32 v7, v7, v107
	v_min_f32_e32 v107, v87, v99
	v_max_f32_e32 v93, v93, v93
	v_max_f32_e32 v94, v94, v94
	;; [unrolled: 6-line block ×3, first 2 shown]
	v_add_f32_e32 v10, v10, v106
	v_min_f32_e32 v106, v90, v98
	v_add_f32_e32 v11, v11, v107
	v_min_f32_e32 v107, v91, v99
	v_max_f32_e32 v97, v97, v97
	v_add_f32_e32 v12, v12, v106
	v_min_f32_e32 v106, v92, v98
	v_add_f32_e32 v13, v13, v107
	v_min_f32_e32 v107, v93, v99
	;; [unrolled: 2-line block ×3, first 2 shown]
	v_min_f32_e32 v98, v96, v98
	v_add_f32_e32 v15, v15, v107
	v_min_f32_e32 v107, v95, v99
	v_min_f32_e32 v99, v97, v99
	v_add_f32_e32 v16, v16, v106
	v_add_f32_e32 v66, v66, v98
	v_max_f32_e32 v98, v100, v100
	v_max_f32_e32 v100, v101, v101
	v_add_f32_e32 v67, v67, v99
	v_add_f32_e32 v17, v17, v107
	v_min_f32_e32 v99, v82, v98
	v_min_f32_e32 v101, v83, v100
	v_add_f32_e32 v64, v64, v99
	v_min_f32_e32 v99, v84, v98
	v_add_f32_e32 v65, v65, v101
	;; [unrolled: 2-line block ×11, first 2 shown]
	v_min_f32_e32 v99, v94, v98
	v_min_f32_e32 v98, v96, v98
	v_add_f32_e32 v55, v55, v101
	v_min_f32_e32 v101, v95, v100
	v_add_f32_e32 v52, v52, v99
	;; [unrolled: 2-line block ×3, first 2 shown]
	s_waitcnt lgkmcnt(0)
	v_max_f32_e32 v98, v102, v102
	v_max_f32_e32 v100, v103, v103
	v_add_f32_e32 v53, v53, v101
	v_add_f32_e32 v51, v51, v99
	v_min_f32_e32 v99, v82, v98
	v_min_f32_e32 v101, v83, v100
	v_add_f32_e32 v48, v48, v99
	v_min_f32_e32 v99, v84, v98
	v_add_f32_e32 v49, v49, v101
	;; [unrolled: 2-line block ×11, first 2 shown]
	v_min_f32_e32 v99, v94, v98
	v_min_f32_e32 v98, v96, v98
	v_add_f32_e32 v39, v39, v101
	v_min_f32_e32 v101, v95, v100
	v_add_f32_e32 v36, v36, v99
	;; [unrolled: 2-line block ×3, first 2 shown]
	v_max_f32_e32 v98, v104, v104
	v_add_f32_e32 v37, v37, v101
	v_add_f32_e32 v35, v35, v99
	v_max_f32_e32 v99, v105, v105
	v_min_f32_e32 v82, v82, v98
	v_min_f32_e32 v83, v83, v99
	v_add_f32_e32 v32, v32, v82
	v_min_f32_e32 v82, v84, v98
	v_add_f32_e32 v33, v33, v83
	;; [unrolled: 2-line block ×15, first 2 shown]
	v_add_f32_e32 v19, v19, v83
	s_cbranch_vccz .LBB93_38
; %bb.39:                               ;   in Loop: Header=BB93_23 Depth=1
	s_add_i32 s29, s29, 8
	s_add_i32 s23, s23, 8
	s_cmp_ge_i32 s29, s22
	ds_write_b32 v77, v80
	ds_write2st64_b32 v78, v79, v81 offset1:4
	s_waitcnt lgkmcnt(0)
	s_barrier
	buffer_gl0_inv
	s_cbranch_scc0 .LBB93_23
.LBB93_40:
	s_mov_b32 s1, 0
	s_mov_b32 s0, -1
.LBB93_41:                              ; =>This Inner Loop Header: Depth=1
	s_lshl_b32 s1, s1, 2
	s_andn2_b32 vcc_lo, exec_lo, s0
	v_add_nc_u32_e32 v74, s1, v75
	s_mov_b32 s0, 0
	ds_read2_b64 v[2:5], v74 offset1:16
	ds_read2_b64 v[70:73], v74 offset0:32 offset1:48
	ds_read2_b64 v[77:80], v74 offset0:64 offset1:80
	;; [unrolled: 1-line block ×3, first 2 shown]
	v_add_nc_u32_e32 v74, s1, v76
	s_mov_b32 s1, 2
	ds_read2st64_b64 v[85:88], v74 offset1:1
	ds_read2st64_b64 v[89:92], v74 offset0:2 offset1:3
	s_waitcnt lgkmcnt(5)
	v_max_f32_e32 v2, v2, v2
	v_max_f32_e32 v4, v4, v4
	s_waitcnt lgkmcnt(4)
	v_max_f32_e32 v70, v70, v70
	v_max_f32_e32 v72, v72, v72
	s_waitcnt lgkmcnt(3)
	v_max_f32_e32 v77, v77, v77
	v_max_f32_e32 v79, v79, v79
	s_waitcnt lgkmcnt(2)
	v_max_f32_e32 v81, v81, v81
	v_max_f32_e32 v83, v83, v83
	s_waitcnt lgkmcnt(1)
	v_max_f32_e32 v74, v85, v85
	v_max_f32_e32 v86, v86, v86
	v_max_f32_e32 v84, v84, v84
	v_max_f32_e32 v3, v3, v3
	;; [unrolled: 1-line block ×3, first 2 shown]
	v_min_f32_e32 v85, v2, v74
	v_max_f32_e32 v71, v71, v71
	v_max_f32_e32 v73, v73, v73
	v_min_f32_e32 v93, v3, v86
	v_max_f32_e32 v78, v78, v78
	v_add_f32_e32 v68, v68, v85
	v_min_f32_e32 v85, v4, v74
	v_max_f32_e32 v80, v80, v80
	v_add_f32_e32 v69, v69, v93
	;; [unrolled: 3-line block ×3, first 2 shown]
	v_min_f32_e32 v85, v70, v74
	v_add_f32_e32 v7, v7, v93
	v_min_f32_e32 v93, v71, v86
	v_add_f32_e32 v8, v8, v85
	;; [unrolled: 2-line block ×8, first 2 shown]
	v_min_f32_e32 v85, v81, v74
	v_min_f32_e32 v74, v83, v74
	v_add_f32_e32 v15, v15, v93
	v_min_f32_e32 v93, v82, v86
	v_add_f32_e32 v16, v16, v85
	;; [unrolled: 2-line block ×3, first 2 shown]
	v_max_f32_e32 v74, v87, v87
	v_max_f32_e32 v86, v88, v88
	v_add_f32_e32 v17, v17, v93
	v_add_f32_e32 v67, v67, v85
	v_min_f32_e32 v85, v2, v74
	v_min_f32_e32 v87, v3, v86
	v_add_f32_e32 v64, v64, v85
	v_min_f32_e32 v85, v4, v74
	v_add_f32_e32 v65, v65, v87
	;; [unrolled: 2-line block ×11, first 2 shown]
	v_min_f32_e32 v85, v81, v74
	v_min_f32_e32 v74, v83, v74
	v_add_f32_e32 v55, v55, v87
	v_min_f32_e32 v87, v82, v86
	v_add_f32_e32 v52, v52, v85
	;; [unrolled: 2-line block ×3, first 2 shown]
	s_waitcnt lgkmcnt(0)
	v_max_f32_e32 v74, v89, v89
	v_max_f32_e32 v86, v90, v90
	v_add_f32_e32 v53, v53, v87
	v_add_f32_e32 v51, v51, v85
	v_min_f32_e32 v85, v2, v74
	v_min_f32_e32 v87, v3, v86
	v_add_f32_e32 v48, v48, v85
	v_min_f32_e32 v85, v4, v74
	v_add_f32_e32 v49, v49, v87
	;; [unrolled: 2-line block ×11, first 2 shown]
	v_min_f32_e32 v85, v81, v74
	v_min_f32_e32 v74, v83, v74
	v_add_f32_e32 v39, v39, v87
	v_min_f32_e32 v87, v82, v86
	v_add_f32_e32 v36, v36, v85
	;; [unrolled: 2-line block ×3, first 2 shown]
	v_max_f32_e32 v74, v91, v91
	v_add_f32_e32 v37, v37, v87
	v_add_f32_e32 v35, v35, v85
	v_max_f32_e32 v85, v92, v92
	v_min_f32_e32 v2, v2, v74
	v_min_f32_e32 v3, v3, v85
	v_add_f32_e32 v32, v32, v2
	v_min_f32_e32 v2, v4, v74
	v_add_f32_e32 v33, v33, v3
	;; [unrolled: 2-line block ×15, first 2 shown]
	v_add_f32_e32 v19, v19, v3
	s_cbranch_vccz .LBB93_41
; %bb.42:
	s_clause 0x2
	s_load_dwordx2 s[0:1], s[4:5], 0x78
	s_load_dword s14, s[4:5], 0x58
	s_load_dword s9, s[4:5], 0x70
	v_add_nc_u32_e32 v71, s8, v1
	v_add_nc_u32_e32 v0, s6, v0
	v_cndmask_b32_e64 v70, 0, 1, s7
	v_cmp_gt_i32_e64 s8, s13, v71
	s_waitcnt lgkmcnt(0)
	s_mul_i32 s1, s1, s18
	v_mad_i64_i32 v[1:2], null, v71, s14, 0
	v_mad_i64_i32 v[3:4], null, v71, s9, 0
	s_mul_hi_u32 s3, s0, s18
	s_mul_i32 s2, s0, s18
	s_add_i32 s3, s3, s1
	v_cmp_gt_i32_e64 s0, s12, v0
	v_lshlrev_b64 v[72:73], 2, v[1:2]
	s_lshl_b64 s[2:3], s[2:3], 2
	v_lshlrev_b64 v[2:3], 2, v[3:4]
	s_add_u32 s10, s10, s2
	s_addc_u32 s11, s11, s3
	v_ashrrev_i32_e32 v1, 31, v0
	v_add_co_u32 v74, vcc_lo, s16, v72
	v_add_co_ci_u32_e64 v75, null, s17, v73, vcc_lo
	v_add_co_u32 v72, vcc_lo, s10, v2
	v_add_co_ci_u32_e64 v73, null, s11, v3, vcc_lo
	s_and_b32 s2, s0, s8
	s_and_saveexec_b32 s1, s2
	s_cbranch_execz .LBB93_47
; %bb.43:
	v_lshlrev_b64 v[2:3], 2, v[0:1]
	s_andn2_b32 vcc_lo, exec_lo, s7
	s_cbranch_vccnz .LBB93_45
; %bb.44:
	v_add_co_u32 v4, vcc_lo, v74, v2
	v_add_co_ci_u32_e64 v5, null, v75, v3, vcc_lo
	global_load_dword v4, v[4:5], off
	s_waitcnt vmcnt(0)
	v_mul_f32_e32 v4, s19, v4
	s_branch .LBB93_46
.LBB93_45:
	v_mov_b32_e32 v4, 0
.LBB93_46:
	v_add_f32_e32 v5, v68, v69
	v_add_co_u32 v2, vcc_lo, v72, v2
	v_add_co_ci_u32_e64 v3, null, v73, v3, vcc_lo
	v_add_f32_e32 v4, v5, v4
	global_store_dword v[2:3], v4, off
.LBB93_47:
	s_or_b32 exec_lo, exec_lo, s1
	v_add_nc_u32_e32 v2, 8, v0
	v_cmp_gt_i32_e64 s1, s12, v2
	v_ashrrev_i32_e32 v3, 31, v2
	s_and_b32 s3, s1, s8
	s_and_saveexec_b32 s2, s3
	s_cbranch_execz .LBB93_52
; %bb.48:
	v_cmp_ne_u32_e32 vcc_lo, 1, v70
	v_lshlrev_b64 v[4:5], 2, v[2:3]
	s_cbranch_vccnz .LBB93_50
; %bb.49:
	v_add_co_u32 v68, vcc_lo, v74, v4
	v_add_co_ci_u32_e64 v69, null, v75, v5, vcc_lo
	global_load_dword v68, v[68:69], off
	s_waitcnt vmcnt(0)
	v_mul_f32_e32 v68, s19, v68
	s_branch .LBB93_51
.LBB93_50:
	v_mov_b32_e32 v68, 0
.LBB93_51:
	v_add_f32_e32 v6, v6, v7
	v_add_co_u32 v4, vcc_lo, v72, v4
	v_add_co_ci_u32_e64 v5, null, v73, v5, vcc_lo
	v_add_f32_e32 v6, v6, v68
	global_store_dword v[4:5], v6, off
.LBB93_52:
	s_or_b32 exec_lo, exec_lo, s2
	v_add_nc_u32_e32 v4, 16, v0
	v_cmp_gt_i32_e64 s2, s12, v4
	v_ashrrev_i32_e32 v5, 31, v4
	s_and_b32 s4, s2, s8
	s_and_saveexec_b32 s3, s4
	s_cbranch_execz .LBB93_57
; %bb.53:
	v_cmp_ne_u32_e32 vcc_lo, 1, v70
	v_lshlrev_b64 v[6:7], 2, v[4:5]
	s_cbranch_vccnz .LBB93_55
; %bb.54:
	v_add_co_u32 v68, vcc_lo, v74, v6
	v_add_co_ci_u32_e64 v69, null, v75, v7, vcc_lo
	global_load_dword v68, v[68:69], off
	s_waitcnt vmcnt(0)
	v_mul_f32_e32 v68, s19, v68
	s_branch .LBB93_56
.LBB93_55:
	v_mov_b32_e32 v68, 0
.LBB93_56:
	v_add_f32_e32 v8, v8, v9
	v_add_co_u32 v6, vcc_lo, v72, v6
	v_add_co_ci_u32_e64 v7, null, v73, v7, vcc_lo
	v_add_f32_e32 v8, v8, v68
	global_store_dword v[6:7], v8, off
.LBB93_57:
	;; [unrolled: 27-line block ×7, first 2 shown]
	s_or_b32 exec_lo, exec_lo, s8
	v_add_nc_u32_e32 v68, 32, v71
	v_mad_i64_i32 v[16:17], null, v68, s14, 0
	v_mad_i64_i32 v[66:67], null, v68, s9, 0
	v_cmp_gt_i32_e64 s8, s13, v68
	v_lshlrev_b64 v[16:17], 2, v[16:17]
	s_and_b32 s15, s0, s8
	v_lshlrev_b64 v[66:67], 2, v[66:67]
	v_add_co_u32 v68, vcc_lo, s16, v16
	v_add_co_ci_u32_e64 v69, null, s17, v17, vcc_lo
	v_add_co_u32 v66, vcc_lo, s10, v66
	v_add_co_ci_u32_e64 v67, null, s11, v67, vcc_lo
	s_and_saveexec_b32 s12, s15
	s_cbranch_execnz .LBB93_90
; %bb.83:
	s_or_b32 exec_lo, exec_lo, s12
	s_and_b32 s15, s1, s8
	s_and_saveexec_b32 s12, s15
	s_cbranch_execnz .LBB93_94
.LBB93_84:
	s_or_b32 exec_lo, exec_lo, s12
	s_and_b32 s15, s2, s8
	s_and_saveexec_b32 s12, s15
	s_cbranch_execnz .LBB93_98
.LBB93_85:
	s_or_b32 exec_lo, exec_lo, s12
	s_and_b32 s15, s3, s8
	s_and_saveexec_b32 s12, s15
	s_cbranch_execnz .LBB93_102
.LBB93_86:
	s_or_b32 exec_lo, exec_lo, s12
	s_and_b32 s15, s4, s8
	s_and_saveexec_b32 s12, s15
	s_cbranch_execnz .LBB93_106
.LBB93_87:
	s_or_b32 exec_lo, exec_lo, s12
	s_and_b32 s15, s5, s8
	s_and_saveexec_b32 s12, s15
	s_cbranch_execnz .LBB93_110
.LBB93_88:
	s_or_b32 exec_lo, exec_lo, s12
	s_and_b32 s15, s6, s8
	s_and_saveexec_b32 s12, s15
	s_cbranch_execnz .LBB93_114
.LBB93_89:
	s_or_b32 exec_lo, exec_lo, s12
	s_and_b32 s12, s7, s8
	s_and_saveexec_b32 s8, s12
	s_cbranch_execnz .LBB93_118
	s_branch .LBB93_122
.LBB93_90:
	v_cmp_ne_u32_e32 vcc_lo, 1, v70
	v_lshlrev_b64 v[16:17], 2, v[0:1]
	s_cbranch_vccnz .LBB93_92
; %bb.91:
	v_add_co_u32 v72, vcc_lo, v68, v16
	v_add_co_ci_u32_e64 v73, null, v69, v17, vcc_lo
	global_load_dword v72, v[72:73], off
	s_waitcnt vmcnt(0)
	v_mul_f32_e32 v72, s19, v72
	s_branch .LBB93_93
.LBB93_92:
	v_mov_b32_e32 v72, 0
.LBB93_93:
	v_add_f32_e32 v64, v64, v65
	v_add_co_u32 v16, vcc_lo, v66, v16
	v_add_co_ci_u32_e64 v17, null, v67, v17, vcc_lo
	v_add_f32_e32 v64, v64, v72
	global_store_dword v[16:17], v64, off
	s_or_b32 exec_lo, exec_lo, s12
	s_and_b32 s15, s1, s8
	s_and_saveexec_b32 s12, s15
	s_cbranch_execz .LBB93_84
.LBB93_94:
	v_cmp_ne_u32_e32 vcc_lo, 1, v70
	v_lshlrev_b64 v[16:17], 2, v[2:3]
	s_cbranch_vccnz .LBB93_96
; %bb.95:
	v_add_co_u32 v64, vcc_lo, v68, v16
	v_add_co_ci_u32_e64 v65, null, v69, v17, vcc_lo
	global_load_dword v64, v[64:65], off
	s_waitcnt vmcnt(0)
	v_mul_f32_e32 v64, s19, v64
	s_branch .LBB93_97
.LBB93_96:
	v_mov_b32_e32 v64, 0
.LBB93_97:
	v_add_f32_e32 v62, v62, v63
	v_add_co_u32 v16, vcc_lo, v66, v16
	v_add_co_ci_u32_e64 v17, null, v67, v17, vcc_lo
	v_add_f32_e32 v62, v62, v64
	global_store_dword v[16:17], v62, off
	s_or_b32 exec_lo, exec_lo, s12
	s_and_b32 s15, s2, s8
	s_and_saveexec_b32 s12, s15
	s_cbranch_execz .LBB93_85
.LBB93_98:
	v_cmp_ne_u32_e32 vcc_lo, 1, v70
	v_lshlrev_b64 v[16:17], 2, v[4:5]
	s_cbranch_vccnz .LBB93_100
; %bb.99:
	v_add_co_u32 v62, vcc_lo, v68, v16
	v_add_co_ci_u32_e64 v63, null, v69, v17, vcc_lo
	global_load_dword v62, v[62:63], off
	s_waitcnt vmcnt(0)
	v_mul_f32_e32 v62, s19, v62
	s_branch .LBB93_101
.LBB93_100:
	v_mov_b32_e32 v62, 0
.LBB93_101:
	v_add_f32_e32 v60, v60, v61
	v_add_co_u32 v16, vcc_lo, v66, v16
	v_add_co_ci_u32_e64 v17, null, v67, v17, vcc_lo
	v_add_f32_e32 v60, v60, v62
	global_store_dword v[16:17], v60, off
	s_or_b32 exec_lo, exec_lo, s12
	s_and_b32 s15, s3, s8
	s_and_saveexec_b32 s12, s15
	s_cbranch_execz .LBB93_86
.LBB93_102:
	v_cmp_ne_u32_e32 vcc_lo, 1, v70
	v_lshlrev_b64 v[16:17], 2, v[6:7]
	s_cbranch_vccnz .LBB93_104
; %bb.103:
	v_add_co_u32 v60, vcc_lo, v68, v16
	v_add_co_ci_u32_e64 v61, null, v69, v17, vcc_lo
	global_load_dword v60, v[60:61], off
	s_waitcnt vmcnt(0)
	v_mul_f32_e32 v60, s19, v60
	s_branch .LBB93_105
.LBB93_104:
	v_mov_b32_e32 v60, 0
.LBB93_105:
	v_add_f32_e32 v58, v58, v59
	v_add_co_u32 v16, vcc_lo, v66, v16
	v_add_co_ci_u32_e64 v17, null, v67, v17, vcc_lo
	v_add_f32_e32 v58, v58, v60
	global_store_dword v[16:17], v58, off
	s_or_b32 exec_lo, exec_lo, s12
	s_and_b32 s15, s4, s8
	s_and_saveexec_b32 s12, s15
	s_cbranch_execz .LBB93_87
.LBB93_106:
	v_cmp_ne_u32_e32 vcc_lo, 1, v70
	v_lshlrev_b64 v[16:17], 2, v[8:9]
	s_cbranch_vccnz .LBB93_108
; %bb.107:
	v_add_co_u32 v58, vcc_lo, v68, v16
	v_add_co_ci_u32_e64 v59, null, v69, v17, vcc_lo
	global_load_dword v58, v[58:59], off
	s_waitcnt vmcnt(0)
	v_mul_f32_e32 v58, s19, v58
	s_branch .LBB93_109
.LBB93_108:
	v_mov_b32_e32 v58, 0
.LBB93_109:
	v_add_f32_e32 v56, v56, v57
	v_add_co_u32 v16, vcc_lo, v66, v16
	v_add_co_ci_u32_e64 v17, null, v67, v17, vcc_lo
	v_add_f32_e32 v56, v56, v58
	global_store_dword v[16:17], v56, off
	s_or_b32 exec_lo, exec_lo, s12
	s_and_b32 s15, s5, s8
	s_and_saveexec_b32 s12, s15
	s_cbranch_execz .LBB93_88
.LBB93_110:
	v_cmp_ne_u32_e32 vcc_lo, 1, v70
	v_lshlrev_b64 v[16:17], 2, v[10:11]
	s_cbranch_vccnz .LBB93_112
; %bb.111:
	v_add_co_u32 v56, vcc_lo, v68, v16
	v_add_co_ci_u32_e64 v57, null, v69, v17, vcc_lo
	global_load_dword v56, v[56:57], off
	s_waitcnt vmcnt(0)
	v_mul_f32_e32 v56, s19, v56
	s_branch .LBB93_113
.LBB93_112:
	v_mov_b32_e32 v56, 0
.LBB93_113:
	v_add_f32_e32 v54, v54, v55
	v_add_co_u32 v16, vcc_lo, v66, v16
	v_add_co_ci_u32_e64 v17, null, v67, v17, vcc_lo
	v_add_f32_e32 v54, v54, v56
	global_store_dword v[16:17], v54, off
	s_or_b32 exec_lo, exec_lo, s12
	s_and_b32 s15, s6, s8
	s_and_saveexec_b32 s12, s15
	s_cbranch_execz .LBB93_89
.LBB93_114:
	v_cmp_ne_u32_e32 vcc_lo, 1, v70
	v_lshlrev_b64 v[16:17], 2, v[12:13]
	s_cbranch_vccnz .LBB93_116
; %bb.115:
	v_add_co_u32 v54, vcc_lo, v68, v16
	v_add_co_ci_u32_e64 v55, null, v69, v17, vcc_lo
	global_load_dword v54, v[54:55], off
	s_waitcnt vmcnt(0)
	v_mul_f32_e32 v54, s19, v54
	s_branch .LBB93_117
.LBB93_116:
	v_mov_b32_e32 v54, 0
.LBB93_117:
	v_add_f32_e32 v52, v52, v53
	v_add_co_u32 v16, vcc_lo, v66, v16
	v_add_co_ci_u32_e64 v17, null, v67, v17, vcc_lo
	v_add_f32_e32 v52, v52, v54
	global_store_dword v[16:17], v52, off
	s_or_b32 exec_lo, exec_lo, s12
	s_and_b32 s12, s7, s8
	s_and_saveexec_b32 s8, s12
	s_cbranch_execz .LBB93_122
.LBB93_118:
	v_cmp_ne_u32_e32 vcc_lo, 1, v70
	v_lshlrev_b64 v[16:17], 2, v[14:15]
	s_cbranch_vccnz .LBB93_120
; %bb.119:
	v_add_co_u32 v52, vcc_lo, v68, v16
	v_add_co_ci_u32_e64 v53, null, v69, v17, vcc_lo
	global_load_dword v52, v[52:53], off
	s_waitcnt vmcnt(0)
	v_mul_f32_e32 v52, s19, v52
	s_branch .LBB93_121
.LBB93_120:
	v_mov_b32_e32 v52, 0
.LBB93_121:
	v_add_f32_e32 v50, v50, v51
	v_add_co_u32 v16, vcc_lo, v66, v16
	v_add_co_ci_u32_e64 v17, null, v67, v17, vcc_lo
	v_add_f32_e32 v50, v50, v52
	global_store_dword v[16:17], v50, off
.LBB93_122:
	s_or_b32 exec_lo, exec_lo, s8
	v_add_nc_u32_e32 v52, 64, v71
	v_mad_i64_i32 v[16:17], null, v52, s14, 0
	v_mad_i64_i32 v[50:51], null, v52, s9, 0
	v_cmp_gt_i32_e64 s8, s13, v52
	v_lshlrev_b64 v[16:17], 2, v[16:17]
	s_and_b32 s15, s0, s8
	v_lshlrev_b64 v[50:51], 2, v[50:51]
	v_add_co_u32 v52, vcc_lo, s16, v16
	v_add_co_ci_u32_e64 v53, null, s17, v17, vcc_lo
	v_add_co_u32 v50, vcc_lo, s10, v50
	v_add_co_ci_u32_e64 v51, null, s11, v51, vcc_lo
	s_and_saveexec_b32 s12, s15
	s_cbranch_execnz .LBB93_130
; %bb.123:
	s_or_b32 exec_lo, exec_lo, s12
	s_and_b32 s15, s1, s8
	s_and_saveexec_b32 s12, s15
	s_cbranch_execnz .LBB93_134
.LBB93_124:
	s_or_b32 exec_lo, exec_lo, s12
	s_and_b32 s15, s2, s8
	s_and_saveexec_b32 s12, s15
	s_cbranch_execnz .LBB93_138
.LBB93_125:
	s_or_b32 exec_lo, exec_lo, s12
	s_and_b32 s15, s3, s8
	s_and_saveexec_b32 s12, s15
	s_cbranch_execnz .LBB93_142
.LBB93_126:
	s_or_b32 exec_lo, exec_lo, s12
	s_and_b32 s15, s4, s8
	s_and_saveexec_b32 s12, s15
	s_cbranch_execnz .LBB93_146
.LBB93_127:
	s_or_b32 exec_lo, exec_lo, s12
	s_and_b32 s15, s5, s8
	s_and_saveexec_b32 s12, s15
	s_cbranch_execnz .LBB93_150
.LBB93_128:
	s_or_b32 exec_lo, exec_lo, s12
	s_and_b32 s15, s6, s8
	s_and_saveexec_b32 s12, s15
	s_cbranch_execnz .LBB93_154
.LBB93_129:
	s_or_b32 exec_lo, exec_lo, s12
	s_and_b32 s12, s7, s8
	s_and_saveexec_b32 s8, s12
	s_cbranch_execnz .LBB93_158
	s_branch .LBB93_162
.LBB93_130:
	v_cmp_ne_u32_e32 vcc_lo, 1, v70
	v_lshlrev_b64 v[16:17], 2, v[0:1]
	s_cbranch_vccnz .LBB93_132
; %bb.131:
	v_add_co_u32 v54, vcc_lo, v52, v16
	v_add_co_ci_u32_e64 v55, null, v53, v17, vcc_lo
	global_load_dword v54, v[54:55], off
	s_waitcnt vmcnt(0)
	v_mul_f32_e32 v54, s19, v54
	s_branch .LBB93_133
.LBB93_132:
	v_mov_b32_e32 v54, 0
.LBB93_133:
	v_add_f32_e32 v48, v48, v49
	v_add_co_u32 v16, vcc_lo, v50, v16
	v_add_co_ci_u32_e64 v17, null, v51, v17, vcc_lo
	v_add_f32_e32 v48, v48, v54
	global_store_dword v[16:17], v48, off
	s_or_b32 exec_lo, exec_lo, s12
	s_and_b32 s15, s1, s8
	s_and_saveexec_b32 s12, s15
	s_cbranch_execz .LBB93_124
.LBB93_134:
	v_cmp_ne_u32_e32 vcc_lo, 1, v70
	v_lshlrev_b64 v[16:17], 2, v[2:3]
	s_cbranch_vccnz .LBB93_136
; %bb.135:
	v_add_co_u32 v48, vcc_lo, v52, v16
	v_add_co_ci_u32_e64 v49, null, v53, v17, vcc_lo
	global_load_dword v48, v[48:49], off
	s_waitcnt vmcnt(0)
	v_mul_f32_e32 v48, s19, v48
	s_branch .LBB93_137
.LBB93_136:
	v_mov_b32_e32 v48, 0
.LBB93_137:
	v_add_f32_e32 v46, v46, v47
	v_add_co_u32 v16, vcc_lo, v50, v16
	v_add_co_ci_u32_e64 v17, null, v51, v17, vcc_lo
	v_add_f32_e32 v46, v46, v48
	global_store_dword v[16:17], v46, off
	s_or_b32 exec_lo, exec_lo, s12
	s_and_b32 s15, s2, s8
	s_and_saveexec_b32 s12, s15
	s_cbranch_execz .LBB93_125
.LBB93_138:
	v_cmp_ne_u32_e32 vcc_lo, 1, v70
	v_lshlrev_b64 v[16:17], 2, v[4:5]
	s_cbranch_vccnz .LBB93_140
; %bb.139:
	v_add_co_u32 v46, vcc_lo, v52, v16
	v_add_co_ci_u32_e64 v47, null, v53, v17, vcc_lo
	global_load_dword v46, v[46:47], off
	s_waitcnt vmcnt(0)
	v_mul_f32_e32 v46, s19, v46
	s_branch .LBB93_141
.LBB93_140:
	v_mov_b32_e32 v46, 0
.LBB93_141:
	v_add_f32_e32 v44, v44, v45
	v_add_co_u32 v16, vcc_lo, v50, v16
	v_add_co_ci_u32_e64 v17, null, v51, v17, vcc_lo
	v_add_f32_e32 v44, v44, v46
	global_store_dword v[16:17], v44, off
	s_or_b32 exec_lo, exec_lo, s12
	s_and_b32 s15, s3, s8
	s_and_saveexec_b32 s12, s15
	s_cbranch_execz .LBB93_126
.LBB93_142:
	v_cmp_ne_u32_e32 vcc_lo, 1, v70
	v_lshlrev_b64 v[16:17], 2, v[6:7]
	s_cbranch_vccnz .LBB93_144
; %bb.143:
	v_add_co_u32 v44, vcc_lo, v52, v16
	v_add_co_ci_u32_e64 v45, null, v53, v17, vcc_lo
	global_load_dword v44, v[44:45], off
	s_waitcnt vmcnt(0)
	v_mul_f32_e32 v44, s19, v44
	s_branch .LBB93_145
.LBB93_144:
	v_mov_b32_e32 v44, 0
.LBB93_145:
	v_add_f32_e32 v42, v42, v43
	v_add_co_u32 v16, vcc_lo, v50, v16
	v_add_co_ci_u32_e64 v17, null, v51, v17, vcc_lo
	v_add_f32_e32 v42, v42, v44
	global_store_dword v[16:17], v42, off
	s_or_b32 exec_lo, exec_lo, s12
	s_and_b32 s15, s4, s8
	s_and_saveexec_b32 s12, s15
	s_cbranch_execz .LBB93_127
.LBB93_146:
	v_cmp_ne_u32_e32 vcc_lo, 1, v70
	v_lshlrev_b64 v[16:17], 2, v[8:9]
	s_cbranch_vccnz .LBB93_148
; %bb.147:
	v_add_co_u32 v42, vcc_lo, v52, v16
	v_add_co_ci_u32_e64 v43, null, v53, v17, vcc_lo
	global_load_dword v42, v[42:43], off
	s_waitcnt vmcnt(0)
	v_mul_f32_e32 v42, s19, v42
	s_branch .LBB93_149
.LBB93_148:
	v_mov_b32_e32 v42, 0
.LBB93_149:
	v_add_f32_e32 v40, v40, v41
	v_add_co_u32 v16, vcc_lo, v50, v16
	v_add_co_ci_u32_e64 v17, null, v51, v17, vcc_lo
	v_add_f32_e32 v40, v40, v42
	global_store_dword v[16:17], v40, off
	s_or_b32 exec_lo, exec_lo, s12
	s_and_b32 s15, s5, s8
	s_and_saveexec_b32 s12, s15
	s_cbranch_execz .LBB93_128
.LBB93_150:
	v_cmp_ne_u32_e32 vcc_lo, 1, v70
	v_lshlrev_b64 v[16:17], 2, v[10:11]
	s_cbranch_vccnz .LBB93_152
; %bb.151:
	v_add_co_u32 v40, vcc_lo, v52, v16
	v_add_co_ci_u32_e64 v41, null, v53, v17, vcc_lo
	global_load_dword v40, v[40:41], off
	s_waitcnt vmcnt(0)
	v_mul_f32_e32 v40, s19, v40
	s_branch .LBB93_153
.LBB93_152:
	v_mov_b32_e32 v40, 0
.LBB93_153:
	v_add_f32_e32 v38, v38, v39
	v_add_co_u32 v16, vcc_lo, v50, v16
	v_add_co_ci_u32_e64 v17, null, v51, v17, vcc_lo
	v_add_f32_e32 v38, v38, v40
	global_store_dword v[16:17], v38, off
	s_or_b32 exec_lo, exec_lo, s12
	s_and_b32 s15, s6, s8
	s_and_saveexec_b32 s12, s15
	s_cbranch_execz .LBB93_129
.LBB93_154:
	v_cmp_ne_u32_e32 vcc_lo, 1, v70
	v_lshlrev_b64 v[16:17], 2, v[12:13]
	s_cbranch_vccnz .LBB93_156
; %bb.155:
	v_add_co_u32 v38, vcc_lo, v52, v16
	v_add_co_ci_u32_e64 v39, null, v53, v17, vcc_lo
	global_load_dword v38, v[38:39], off
	s_waitcnt vmcnt(0)
	v_mul_f32_e32 v38, s19, v38
	s_branch .LBB93_157
.LBB93_156:
	v_mov_b32_e32 v38, 0
.LBB93_157:
	v_add_f32_e32 v36, v36, v37
	v_add_co_u32 v16, vcc_lo, v50, v16
	v_add_co_ci_u32_e64 v17, null, v51, v17, vcc_lo
	v_add_f32_e32 v36, v36, v38
	global_store_dword v[16:17], v36, off
	s_or_b32 exec_lo, exec_lo, s12
	s_and_b32 s12, s7, s8
	s_and_saveexec_b32 s8, s12
	s_cbranch_execz .LBB93_162
.LBB93_158:
	v_cmp_ne_u32_e32 vcc_lo, 1, v70
	v_lshlrev_b64 v[16:17], 2, v[14:15]
	s_cbranch_vccnz .LBB93_160
; %bb.159:
	v_add_co_u32 v36, vcc_lo, v52, v16
	v_add_co_ci_u32_e64 v37, null, v53, v17, vcc_lo
	global_load_dword v36, v[36:37], off
	s_waitcnt vmcnt(0)
	v_mul_f32_e32 v36, s19, v36
	s_branch .LBB93_161
.LBB93_160:
	v_mov_b32_e32 v36, 0
.LBB93_161:
	v_add_f32_e32 v34, v34, v35
	v_add_co_u32 v16, vcc_lo, v50, v16
	v_add_co_ci_u32_e64 v17, null, v51, v17, vcc_lo
	v_add_f32_e32 v34, v34, v36
	global_store_dword v[16:17], v34, off
.LBB93_162:
	s_or_b32 exec_lo, exec_lo, s8
	v_add_nc_u32_e32 v36, 0x60, v71
	v_mad_i64_i32 v[16:17], null, v36, s14, 0
	v_mad_i64_i32 v[34:35], null, v36, s9, 0
	v_cmp_gt_i32_e64 s8, s13, v36
	v_lshlrev_b64 v[16:17], 2, v[16:17]
	s_and_b32 s9, s0, s8
	v_lshlrev_b64 v[36:37], 2, v[34:35]
	v_add_co_u32 v34, vcc_lo, s16, v16
	v_add_co_ci_u32_e64 v35, null, s17, v17, vcc_lo
	v_add_co_u32 v16, vcc_lo, s10, v36
	v_add_co_ci_u32_e64 v17, null, s11, v37, vcc_lo
	s_and_saveexec_b32 s0, s9
	s_cbranch_execnz .LBB93_171
; %bb.163:
	s_or_b32 exec_lo, exec_lo, s0
	s_and_b32 s1, s1, s8
	s_and_saveexec_b32 s0, s1
	s_cbranch_execnz .LBB93_175
.LBB93_164:
	s_or_b32 exec_lo, exec_lo, s0
	s_and_b32 s1, s2, s8
	s_and_saveexec_b32 s0, s1
	s_cbranch_execnz .LBB93_179
.LBB93_165:
	s_or_b32 exec_lo, exec_lo, s0
	s_and_b32 s1, s3, s8
	s_and_saveexec_b32 s0, s1
	s_cbranch_execnz .LBB93_183
.LBB93_166:
	s_or_b32 exec_lo, exec_lo, s0
	s_and_b32 s1, s4, s8
	s_and_saveexec_b32 s0, s1
	s_cbranch_execnz .LBB93_187
.LBB93_167:
	s_or_b32 exec_lo, exec_lo, s0
	s_and_b32 s1, s5, s8
	s_and_saveexec_b32 s0, s1
	s_cbranch_execnz .LBB93_191
.LBB93_168:
	s_or_b32 exec_lo, exec_lo, s0
	s_and_b32 s1, s6, s8
	s_and_saveexec_b32 s0, s1
	s_cbranch_execnz .LBB93_195
.LBB93_169:
	s_or_b32 exec_lo, exec_lo, s0
	s_and_b32 s0, s7, s8
	s_and_saveexec_b32 s1, s0
	s_cbranch_execnz .LBB93_199
.LBB93_170:
	s_endpgm
.LBB93_171:
	v_cmp_ne_u32_e32 vcc_lo, 1, v70
	v_lshlrev_b64 v[0:1], 2, v[0:1]
	s_cbranch_vccnz .LBB93_173
; %bb.172:
	v_add_co_u32 v36, vcc_lo, v34, v0
	v_add_co_ci_u32_e64 v37, null, v35, v1, vcc_lo
	global_load_dword v36, v[36:37], off
	s_waitcnt vmcnt(0)
	v_mul_f32_e32 v36, s19, v36
	s_branch .LBB93_174
.LBB93_173:
	v_mov_b32_e32 v36, 0
.LBB93_174:
	v_add_f32_e32 v32, v32, v33
	v_add_co_u32 v0, vcc_lo, v16, v0
	v_add_co_ci_u32_e64 v1, null, v17, v1, vcc_lo
	v_add_f32_e32 v32, v32, v36
	global_store_dword v[0:1], v32, off
	s_or_b32 exec_lo, exec_lo, s0
	s_and_b32 s1, s1, s8
	s_and_saveexec_b32 s0, s1
	s_cbranch_execz .LBB93_164
.LBB93_175:
	v_cmp_ne_u32_e32 vcc_lo, 1, v70
	v_lshlrev_b64 v[0:1], 2, v[2:3]
	s_cbranch_vccnz .LBB93_177
; %bb.176:
	v_add_co_u32 v2, vcc_lo, v34, v0
	v_add_co_ci_u32_e64 v3, null, v35, v1, vcc_lo
	global_load_dword v2, v[2:3], off
	s_waitcnt vmcnt(0)
	v_mul_f32_e32 v2, s19, v2
	s_branch .LBB93_178
.LBB93_177:
	v_mov_b32_e32 v2, 0
.LBB93_178:
	v_add_f32_e32 v3, v30, v31
	v_add_co_u32 v0, vcc_lo, v16, v0
	v_add_co_ci_u32_e64 v1, null, v17, v1, vcc_lo
	v_add_f32_e32 v2, v3, v2
	global_store_dword v[0:1], v2, off
	s_or_b32 exec_lo, exec_lo, s0
	s_and_b32 s1, s2, s8
	s_and_saveexec_b32 s0, s1
	s_cbranch_execz .LBB93_165
.LBB93_179:
	v_cmp_ne_u32_e32 vcc_lo, 1, v70
	v_lshlrev_b64 v[0:1], 2, v[4:5]
	s_cbranch_vccnz .LBB93_181
; %bb.180:
	v_add_co_u32 v2, vcc_lo, v34, v0
	v_add_co_ci_u32_e64 v3, null, v35, v1, vcc_lo
	global_load_dword v2, v[2:3], off
	s_waitcnt vmcnt(0)
	v_mul_f32_e32 v2, s19, v2
	s_branch .LBB93_182
.LBB93_181:
	v_mov_b32_e32 v2, 0
.LBB93_182:
	v_add_f32_e32 v3, v28, v29
	v_add_co_u32 v0, vcc_lo, v16, v0
	v_add_co_ci_u32_e64 v1, null, v17, v1, vcc_lo
	v_add_f32_e32 v2, v3, v2
	global_store_dword v[0:1], v2, off
	s_or_b32 exec_lo, exec_lo, s0
	s_and_b32 s1, s3, s8
	s_and_saveexec_b32 s0, s1
	s_cbranch_execz .LBB93_166
.LBB93_183:
	v_cmp_ne_u32_e32 vcc_lo, 1, v70
	v_lshlrev_b64 v[0:1], 2, v[6:7]
	s_cbranch_vccnz .LBB93_185
; %bb.184:
	v_add_co_u32 v2, vcc_lo, v34, v0
	v_add_co_ci_u32_e64 v3, null, v35, v1, vcc_lo
	global_load_dword v2, v[2:3], off
	s_waitcnt vmcnt(0)
	v_mul_f32_e32 v2, s19, v2
	s_branch .LBB93_186
.LBB93_185:
	v_mov_b32_e32 v2, 0
.LBB93_186:
	v_add_f32_e32 v3, v26, v27
	v_add_co_u32 v0, vcc_lo, v16, v0
	v_add_co_ci_u32_e64 v1, null, v17, v1, vcc_lo
	v_add_f32_e32 v2, v3, v2
	global_store_dword v[0:1], v2, off
	s_or_b32 exec_lo, exec_lo, s0
	s_and_b32 s1, s4, s8
	s_and_saveexec_b32 s0, s1
	s_cbranch_execz .LBB93_167
.LBB93_187:
	v_cmp_ne_u32_e32 vcc_lo, 1, v70
	v_lshlrev_b64 v[0:1], 2, v[8:9]
	s_cbranch_vccnz .LBB93_189
; %bb.188:
	v_add_co_u32 v2, vcc_lo, v34, v0
	v_add_co_ci_u32_e64 v3, null, v35, v1, vcc_lo
	global_load_dword v2, v[2:3], off
	s_waitcnt vmcnt(0)
	v_mul_f32_e32 v2, s19, v2
	s_branch .LBB93_190
.LBB93_189:
	v_mov_b32_e32 v2, 0
.LBB93_190:
	v_add_f32_e32 v3, v24, v25
	v_add_co_u32 v0, vcc_lo, v16, v0
	v_add_co_ci_u32_e64 v1, null, v17, v1, vcc_lo
	v_add_f32_e32 v2, v3, v2
	global_store_dword v[0:1], v2, off
	s_or_b32 exec_lo, exec_lo, s0
	s_and_b32 s1, s5, s8
	s_and_saveexec_b32 s0, s1
	s_cbranch_execz .LBB93_168
.LBB93_191:
	v_cmp_ne_u32_e32 vcc_lo, 1, v70
	v_lshlrev_b64 v[0:1], 2, v[10:11]
	s_cbranch_vccnz .LBB93_193
; %bb.192:
	v_add_co_u32 v2, vcc_lo, v34, v0
	v_add_co_ci_u32_e64 v3, null, v35, v1, vcc_lo
	global_load_dword v2, v[2:3], off
	s_waitcnt vmcnt(0)
	v_mul_f32_e32 v2, s19, v2
	s_branch .LBB93_194
.LBB93_193:
	v_mov_b32_e32 v2, 0
.LBB93_194:
	v_add_f32_e32 v3, v22, v23
	v_add_co_u32 v0, vcc_lo, v16, v0
	v_add_co_ci_u32_e64 v1, null, v17, v1, vcc_lo
	v_add_f32_e32 v2, v3, v2
	global_store_dword v[0:1], v2, off
	s_or_b32 exec_lo, exec_lo, s0
	s_and_b32 s1, s6, s8
	s_and_saveexec_b32 s0, s1
	s_cbranch_execz .LBB93_169
.LBB93_195:
	v_cmp_ne_u32_e32 vcc_lo, 1, v70
	v_lshlrev_b64 v[0:1], 2, v[12:13]
	s_cbranch_vccnz .LBB93_197
; %bb.196:
	v_add_co_u32 v2, vcc_lo, v34, v0
	v_add_co_ci_u32_e64 v3, null, v35, v1, vcc_lo
	global_load_dword v2, v[2:3], off
	s_waitcnt vmcnt(0)
	v_mul_f32_e32 v2, s19, v2
	s_branch .LBB93_198
.LBB93_197:
	v_mov_b32_e32 v2, 0
.LBB93_198:
	v_add_f32_e32 v3, v20, v21
	v_add_co_u32 v0, vcc_lo, v16, v0
	v_add_co_ci_u32_e64 v1, null, v17, v1, vcc_lo
	v_add_f32_e32 v2, v3, v2
	global_store_dword v[0:1], v2, off
	s_or_b32 exec_lo, exec_lo, s0
	s_and_b32 s0, s7, s8
	s_and_saveexec_b32 s1, s0
	s_cbranch_execz .LBB93_170
.LBB93_199:
	v_cmp_ne_u32_e32 vcc_lo, 1, v70
	v_lshlrev_b64 v[0:1], 2, v[14:15]
	s_cbranch_vccnz .LBB93_201
; %bb.200:
	v_add_co_u32 v2, vcc_lo, v34, v0
	v_add_co_ci_u32_e64 v3, null, v35, v1, vcc_lo
	global_load_dword v2, v[2:3], off
	s_waitcnt vmcnt(0)
	v_mul_f32_e32 v2, s19, v2
	s_branch .LBB93_202
.LBB93_201:
	v_mov_b32_e32 v2, 0
.LBB93_202:
	v_add_f32_e32 v3, v18, v19
	v_add_co_u32 v0, vcc_lo, v16, v0
	v_add_co_ci_u32_e64 v1, null, v17, v1, vcc_lo
	v_add_f32_e32 v2, v3, v2
	global_store_dword v[0:1], v2, off
	s_endpgm
	.section	.rodata,"a",@progbits
	.p2align	6, 0x0
	.amdhsa_kernel _ZN12_GLOBAL__N_120geam_min_plus_kernelIf15HIP_vector_typeIfLj2EES2_Li8ELi32ELi64ELi128ELi4ELi64ELi4ELi64ELi4ELc78ELc84ELb0ELb1ELb0EPKfS3_fEEviiiT16_PT17_ilS7_ilS5_S7_ilPT18_ili26rocblas_geam_ex_operation_
		.amdhsa_group_segment_fixed_size 6144
		.amdhsa_private_segment_fixed_size 0
		.amdhsa_kernarg_size 136
		.amdhsa_user_sgpr_count 6
		.amdhsa_user_sgpr_private_segment_buffer 1
		.amdhsa_user_sgpr_dispatch_ptr 0
		.amdhsa_user_sgpr_queue_ptr 0
		.amdhsa_user_sgpr_kernarg_segment_ptr 1
		.amdhsa_user_sgpr_dispatch_id 0
		.amdhsa_user_sgpr_flat_scratch_init 0
		.amdhsa_user_sgpr_private_segment_size 0
		.amdhsa_wavefront_size32 1
		.amdhsa_uses_dynamic_stack 0
		.amdhsa_system_sgpr_private_segment_wavefront_offset 0
		.amdhsa_system_sgpr_workgroup_id_x 1
		.amdhsa_system_sgpr_workgroup_id_y 0
		.amdhsa_system_sgpr_workgroup_id_z 1
		.amdhsa_system_sgpr_workgroup_info 0
		.amdhsa_system_vgpr_workitem_id 1
		.amdhsa_next_free_vgpr 108
		.amdhsa_next_free_sgpr 31
		.amdhsa_reserve_vcc 1
		.amdhsa_reserve_flat_scratch 0
		.amdhsa_float_round_mode_32 0
		.amdhsa_float_round_mode_16_64 0
		.amdhsa_float_denorm_mode_32 3
		.amdhsa_float_denorm_mode_16_64 3
		.amdhsa_dx10_clamp 1
		.amdhsa_ieee_mode 1
		.amdhsa_fp16_overflow 0
		.amdhsa_workgroup_processor_mode 1
		.amdhsa_memory_ordered 1
		.amdhsa_forward_progress 1
		.amdhsa_shared_vgpr_count 0
		.amdhsa_exception_fp_ieee_invalid_op 0
		.amdhsa_exception_fp_denorm_src 0
		.amdhsa_exception_fp_ieee_div_zero 0
		.amdhsa_exception_fp_ieee_overflow 0
		.amdhsa_exception_fp_ieee_underflow 0
		.amdhsa_exception_fp_ieee_inexact 0
		.amdhsa_exception_int_div_zero 0
	.end_amdhsa_kernel
	.section	.text._ZN12_GLOBAL__N_120geam_min_plus_kernelIf15HIP_vector_typeIfLj2EES2_Li8ELi32ELi64ELi128ELi4ELi64ELi4ELi64ELi4ELc78ELc84ELb0ELb1ELb0EPKfS3_fEEviiiT16_PT17_ilS7_ilS5_S7_ilPT18_ili26rocblas_geam_ex_operation_,"axG",@progbits,_ZN12_GLOBAL__N_120geam_min_plus_kernelIf15HIP_vector_typeIfLj2EES2_Li8ELi32ELi64ELi128ELi4ELi64ELi4ELi64ELi4ELc78ELc84ELb0ELb1ELb0EPKfS3_fEEviiiT16_PT17_ilS7_ilS5_S7_ilPT18_ili26rocblas_geam_ex_operation_,comdat
.Lfunc_end93:
	.size	_ZN12_GLOBAL__N_120geam_min_plus_kernelIf15HIP_vector_typeIfLj2EES2_Li8ELi32ELi64ELi128ELi4ELi64ELi4ELi64ELi4ELc78ELc84ELb0ELb1ELb0EPKfS3_fEEviiiT16_PT17_ilS7_ilS5_S7_ilPT18_ili26rocblas_geam_ex_operation_, .Lfunc_end93-_ZN12_GLOBAL__N_120geam_min_plus_kernelIf15HIP_vector_typeIfLj2EES2_Li8ELi32ELi64ELi128ELi4ELi64ELi4ELi64ELi4ELc78ELc84ELb0ELb1ELb0EPKfS3_fEEviiiT16_PT17_ilS7_ilS5_S7_ilPT18_ili26rocblas_geam_ex_operation_
                                        ; -- End function
	.set _ZN12_GLOBAL__N_120geam_min_plus_kernelIf15HIP_vector_typeIfLj2EES2_Li8ELi32ELi64ELi128ELi4ELi64ELi4ELi64ELi4ELc78ELc84ELb0ELb1ELb0EPKfS3_fEEviiiT16_PT17_ilS7_ilS5_S7_ilPT18_ili26rocblas_geam_ex_operation_.num_vgpr, 108
	.set _ZN12_GLOBAL__N_120geam_min_plus_kernelIf15HIP_vector_typeIfLj2EES2_Li8ELi32ELi64ELi128ELi4ELi64ELi4ELi64ELi4ELc78ELc84ELb0ELb1ELb0EPKfS3_fEEviiiT16_PT17_ilS7_ilS5_S7_ilPT18_ili26rocblas_geam_ex_operation_.num_agpr, 0
	.set _ZN12_GLOBAL__N_120geam_min_plus_kernelIf15HIP_vector_typeIfLj2EES2_Li8ELi32ELi64ELi128ELi4ELi64ELi4ELi64ELi4ELc78ELc84ELb0ELb1ELb0EPKfS3_fEEviiiT16_PT17_ilS7_ilS5_S7_ilPT18_ili26rocblas_geam_ex_operation_.numbered_sgpr, 31
	.set _ZN12_GLOBAL__N_120geam_min_plus_kernelIf15HIP_vector_typeIfLj2EES2_Li8ELi32ELi64ELi128ELi4ELi64ELi4ELi64ELi4ELc78ELc84ELb0ELb1ELb0EPKfS3_fEEviiiT16_PT17_ilS7_ilS5_S7_ilPT18_ili26rocblas_geam_ex_operation_.num_named_barrier, 0
	.set _ZN12_GLOBAL__N_120geam_min_plus_kernelIf15HIP_vector_typeIfLj2EES2_Li8ELi32ELi64ELi128ELi4ELi64ELi4ELi64ELi4ELc78ELc84ELb0ELb1ELb0EPKfS3_fEEviiiT16_PT17_ilS7_ilS5_S7_ilPT18_ili26rocblas_geam_ex_operation_.private_seg_size, 0
	.set _ZN12_GLOBAL__N_120geam_min_plus_kernelIf15HIP_vector_typeIfLj2EES2_Li8ELi32ELi64ELi128ELi4ELi64ELi4ELi64ELi4ELc78ELc84ELb0ELb1ELb0EPKfS3_fEEviiiT16_PT17_ilS7_ilS5_S7_ilPT18_ili26rocblas_geam_ex_operation_.uses_vcc, 1
	.set _ZN12_GLOBAL__N_120geam_min_plus_kernelIf15HIP_vector_typeIfLj2EES2_Li8ELi32ELi64ELi128ELi4ELi64ELi4ELi64ELi4ELc78ELc84ELb0ELb1ELb0EPKfS3_fEEviiiT16_PT17_ilS7_ilS5_S7_ilPT18_ili26rocblas_geam_ex_operation_.uses_flat_scratch, 0
	.set _ZN12_GLOBAL__N_120geam_min_plus_kernelIf15HIP_vector_typeIfLj2EES2_Li8ELi32ELi64ELi128ELi4ELi64ELi4ELi64ELi4ELc78ELc84ELb0ELb1ELb0EPKfS3_fEEviiiT16_PT17_ilS7_ilS5_S7_ilPT18_ili26rocblas_geam_ex_operation_.has_dyn_sized_stack, 0
	.set _ZN12_GLOBAL__N_120geam_min_plus_kernelIf15HIP_vector_typeIfLj2EES2_Li8ELi32ELi64ELi128ELi4ELi64ELi4ELi64ELi4ELc78ELc84ELb0ELb1ELb0EPKfS3_fEEviiiT16_PT17_ilS7_ilS5_S7_ilPT18_ili26rocblas_geam_ex_operation_.has_recursion, 0
	.set _ZN12_GLOBAL__N_120geam_min_plus_kernelIf15HIP_vector_typeIfLj2EES2_Li8ELi32ELi64ELi128ELi4ELi64ELi4ELi64ELi4ELc78ELc84ELb0ELb1ELb0EPKfS3_fEEviiiT16_PT17_ilS7_ilS5_S7_ilPT18_ili26rocblas_geam_ex_operation_.has_indirect_call, 0
	.section	.AMDGPU.csdata,"",@progbits
; Kernel info:
; codeLenInByte = 9092
; TotalNumSgprs: 33
; NumVgprs: 108
; ScratchSize: 0
; MemoryBound: 0
; FloatMode: 240
; IeeeMode: 1
; LDSByteSize: 6144 bytes/workgroup (compile time only)
; SGPRBlocks: 0
; VGPRBlocks: 13
; NumSGPRsForWavesPerEU: 33
; NumVGPRsForWavesPerEU: 108
; Occupancy: 9
; WaveLimiterHint : 0
; COMPUTE_PGM_RSRC2:SCRATCH_EN: 0
; COMPUTE_PGM_RSRC2:USER_SGPR: 6
; COMPUTE_PGM_RSRC2:TRAP_HANDLER: 0
; COMPUTE_PGM_RSRC2:TGID_X_EN: 1
; COMPUTE_PGM_RSRC2:TGID_Y_EN: 0
; COMPUTE_PGM_RSRC2:TGID_Z_EN: 1
; COMPUTE_PGM_RSRC2:TIDIG_COMP_CNT: 1
	.section	.text._ZN12_GLOBAL__N_120geam_min_plus_kernelIf15HIP_vector_typeIfLj2EES2_Li8ELi32ELi64ELi128ELi4ELi64ELi4ELi64ELi4ELc78ELc84ELb1ELb1ELb0EfKffEEviiiT16_PT17_ilS6_ilS4_S6_ilPT18_ili26rocblas_geam_ex_operation_,"axG",@progbits,_ZN12_GLOBAL__N_120geam_min_plus_kernelIf15HIP_vector_typeIfLj2EES2_Li8ELi32ELi64ELi128ELi4ELi64ELi4ELi64ELi4ELc78ELc84ELb1ELb1ELb0EfKffEEviiiT16_PT17_ilS6_ilS4_S6_ilPT18_ili26rocblas_geam_ex_operation_,comdat
	.globl	_ZN12_GLOBAL__N_120geam_min_plus_kernelIf15HIP_vector_typeIfLj2EES2_Li8ELi32ELi64ELi128ELi4ELi64ELi4ELi64ELi4ELc78ELc84ELb1ELb1ELb0EfKffEEviiiT16_PT17_ilS6_ilS4_S6_ilPT18_ili26rocblas_geam_ex_operation_ ; -- Begin function _ZN12_GLOBAL__N_120geam_min_plus_kernelIf15HIP_vector_typeIfLj2EES2_Li8ELi32ELi64ELi128ELi4ELi64ELi4ELi64ELi4ELc78ELc84ELb1ELb1ELb0EfKffEEviiiT16_PT17_ilS6_ilS4_S6_ilPT18_ili26rocblas_geam_ex_operation_
	.p2align	8
	.type	_ZN12_GLOBAL__N_120geam_min_plus_kernelIf15HIP_vector_typeIfLj2EES2_Li8ELi32ELi64ELi128ELi4ELi64ELi4ELi64ELi4ELc78ELc84ELb1ELb1ELb0EfKffEEviiiT16_PT17_ilS6_ilS4_S6_ilPT18_ili26rocblas_geam_ex_operation_,@function
_ZN12_GLOBAL__N_120geam_min_plus_kernelIf15HIP_vector_typeIfLj2EES2_Li8ELi32ELi64ELi128ELi4ELi64ELi4ELi64ELi4ELc78ELc84ELb1ELb1ELb0EfKffEEviiiT16_PT17_ilS6_ilS4_S6_ilPT18_ili26rocblas_geam_ex_operation_: ; @_ZN12_GLOBAL__N_120geam_min_plus_kernelIf15HIP_vector_typeIfLj2EES2_Li8ELi32ELi64ELi128ELi4ELi64ELi4ELi64ELi4ELc78ELc84ELb1ELb1ELb0EfKffEEviiiT16_PT17_ilS6_ilS4_S6_ilPT18_ili26rocblas_geam_ex_operation_
; %bb.0:
	s_clause 0x1
	s_load_dwordx4 s[12:15], s[4:5], 0x0
	s_load_dwordx4 s[0:3], s[4:5], 0x20
	s_waitcnt lgkmcnt(0)
	v_cmp_eq_f32_e64 s8, s15, 0
	s_and_b32 vcc_lo, exec_lo, s8
	s_cbranch_vccnz .LBB94_45
; %bb.1:
	s_load_dwordx2 s[10:11], s[4:5], 0x10
	s_mul_i32 s1, s1, s7
	s_mul_hi_u32 s9, s0, s7
	s_mul_i32 s0, s0, s7
	s_add_i32 s1, s9, s1
	s_lshl_b64 s[0:1], s[0:1], 2
	s_waitcnt lgkmcnt(0)
	s_add_u32 s20, s10, s0
	s_addc_u32 s21, s11, s1
	s_andn2_b32 vcc_lo, exec_lo, s8
	s_mov_b32 s0, -1
	s_cbranch_vccnz .LBB94_3
.LBB94_2:
	s_mov_b32 s0, 0
.LBB94_3:
	s_mov_b64 s[16:17], 0
	s_andn2_b32 vcc_lo, exec_lo, s0
	s_mov_b64 s[18:19], 0
	s_cbranch_vccnz .LBB94_5
; %bb.4:
	s_load_dwordx2 s[0:1], s[4:5], 0x38
	s_waitcnt lgkmcnt(0)
	s_mul_i32 s1, s1, s7
	s_mul_hi_u32 s8, s0, s7
	s_mul_i32 s0, s0, s7
	s_add_i32 s1, s8, s1
	s_lshl_b64 s[0:1], s[0:1], 2
	s_add_u32 s18, s2, s0
	s_addc_u32 s19, s3, s1
.LBB94_5:
	s_clause 0x1
	s_load_dword s15, s[4:5], 0x40
	s_load_dwordx4 s[8:11], s[4:5], 0x58
	s_waitcnt lgkmcnt(0)
	v_cmp_eq_f32_e64 s0, s15, 0
	v_cmp_neq_f32_e64 s22, s15, 0
	s_and_b32 vcc_lo, exec_lo, s0
	s_cbranch_vccnz .LBB94_7
; %bb.6:
	s_load_dwordx2 s[0:1], s[4:5], 0x48
	s_mul_i32 s2, s9, s7
	s_mul_hi_u32 s3, s8, s7
	s_add_i32 s3, s3, s2
	s_mul_i32 s2, s8, s7
	s_lshl_b64 s[2:3], s[2:3], 2
	s_waitcnt lgkmcnt(0)
	s_add_u32 s16, s0, s2
	s_addc_u32 s17, s1, s3
.LBB94_7:
	s_add_i32 s0, s12, -1
	s_load_dword s9, s[4:5], 0x18
	s_ashr_i32 s1, s0, 31
	v_mov_b32_e32 v7, 0
	s_lshr_b32 s1, s1, 26
	v_mov_b32_e32 v8, 0
	s_add_i32 s0, s0, s1
	s_ashr_i32 s0, s0, 6
	s_add_i32 s1, s0, 1
	s_not_b32 s0, s0
	v_cvt_f32_u32_e32 v2, s1
	v_rcp_iflag_f32_e32 v2, v2
	s_waitcnt lgkmcnt(0)
	s_ashr_i32 s23, s9, 31
	v_mul_f32_e32 v2, 0x4f7ffffe, v2
	v_cvt_u32_f32_e32 v2, v2
	v_readfirstlane_b32 s2, v2
	v_lshl_add_u32 v2, v1, 3, v0
	s_mul_i32 s0, s0, s2
	v_and_b32_e32 v75, 63, v2
	s_mul_hi_u32 s0, s2, s0
	v_lshrrev_b32_e32 v70, 6, v2
	s_add_i32 s2, s2, s0
	s_mul_hi_u32 s0, s6, s2
	v_cmp_le_i32_e32 vcc_lo, s14, v70
	s_mul_i32 s2, s0, s1
	s_add_i32 s3, s0, 1
	s_sub_i32 s2, s6, s2
	s_sub_i32 s8, s2, s1
	s_cmp_ge_u32 s2, s1
	s_cselect_b32 s0, s3, s0
	s_cselect_b32 s2, s8, s2
	s_add_i32 s3, s0, 1
	s_cmp_ge_u32 s2, s1
	s_cselect_b32 s2, s3, s0
	s_mul_i32 s0, s2, s1
	s_sub_i32 s0, s6, s0
	s_lshl_b32 s6, s0, 6
	v_or_b32_e32 v2, s6, v75
	v_cmp_le_i32_e64 s0, s12, v2
	v_ashrrev_i32_e32 v3, 31, v2
	s_nor_b32 s1, vcc_lo, s0
	s_and_saveexec_b32 s3, s1
	s_cbranch_execz .LBB94_9
; %bb.8:
	v_mad_i64_i32 v[4:5], null, s9, v70, 0
	v_lshlrev_b64 v[8:9], 2, v[2:3]
	v_lshlrev_b64 v[4:5], 2, v[4:5]
	v_add_co_u32 v4, s1, s20, v4
	v_add_co_ci_u32_e64 v5, null, s21, v5, s1
	v_add_co_u32 v4, s1, v4, v8
	v_add_co_ci_u32_e64 v5, null, v5, v9, s1
	global_load_dword v8, v[4:5], off
.LBB94_9:
	s_or_b32 exec_lo, exec_lo, s3
	s_load_dword s24, s[4:5], 0x30
	s_lshl_b32 s8, s2, 7
	v_or_b32_e32 v4, s8, v75
	v_cmp_le_i32_e64 s1, s13, v4
	s_waitcnt lgkmcnt(0)
	v_mad_i64_i32 v[5:6], null, v70, s24, 0
	s_ashr_i32 s25, s24, 31
	v_lshlrev_b64 v[9:10], 2, v[5:6]
	v_ashrrev_i32_e32 v5, 31, v4
	v_add_co_u32 v6, s2, s18, v9
	v_add_co_ci_u32_e64 v10, null, s19, v10, s2
	s_nor_b32 s2, vcc_lo, s1
	s_and_saveexec_b32 s3, s2
	s_cbranch_execz .LBB94_11
; %bb.10:
	v_lshlrev_b64 v[11:12], 2, v[4:5]
	v_add_co_u32 v11, s2, v6, v11
	v_add_co_ci_u32_e64 v12, null, v10, v12, s2
	global_load_dword v7, v[11:12], off
.LBB94_11:
	s_or_b32 exec_lo, exec_lo, s3
	v_or_b32_e32 v9, 64, v4
	v_mov_b32_e32 v77, 0
	v_cmp_le_i32_e64 s2, s13, v9
	v_mov_b32_e32 v9, 0
	s_nor_b32 s26, vcc_lo, s2
	s_and_saveexec_b32 s3, s26
	s_cbranch_execz .LBB94_13
; %bb.12:
	v_lshlrev_b64 v[11:12], 2, v[4:5]
	v_add_co_u32 v9, vcc_lo, v6, v11
	v_add_co_ci_u32_e64 v10, null, v10, v12, vcc_lo
	global_load_dword v9, v[9:10], off offset:256
.LBB94_13:
	s_or_b32 exec_lo, exec_lo, s3
	v_add_nc_u32_e32 v6, 4, v70
	v_cmp_le_i32_e32 vcc_lo, s14, v6
	s_nor_b32 s3, s0, vcc_lo
	s_and_saveexec_b32 s26, s3
	s_cbranch_execz .LBB94_15
; %bb.14:
	v_mad_u64_u32 v[10:11], null, s9, v6, 0
	v_mad_u64_u32 v[11:12], null, s23, v6, v[11:12]
	v_lshlrev_b64 v[12:13], 2, v[2:3]
	v_lshlrev_b64 v[10:11], 2, v[10:11]
	v_add_co_u32 v10, s3, s20, v10
	v_add_co_ci_u32_e64 v11, null, s21, v11, s3
	v_add_co_u32 v10, s3, v10, v12
	v_add_co_ci_u32_e64 v11, null, v11, v13, s3
	global_load_dword v77, v[10:11], off
.LBB94_15:
	s_or_b32 exec_lo, exec_lo, s26
	v_mad_u64_u32 v[10:11], null, v6, s24, 0
	v_mov_b32_e32 v78, 0
	v_mov_b32_e32 v79, 0
	v_mad_u64_u32 v[11:12], null, v6, s25, v[11:12]
	v_lshlrev_b64 v[10:11], 2, v[10:11]
	v_add_co_u32 v6, s3, s18, v10
	v_add_co_ci_u32_e64 v10, null, s19, v11, s3
	s_nor_b32 s3, s1, vcc_lo
	s_and_saveexec_b32 s26, s3
	s_cbranch_execz .LBB94_17
; %bb.16:
	v_lshlrev_b64 v[11:12], 2, v[4:5]
	v_add_co_u32 v11, s3, v6, v11
	v_add_co_ci_u32_e64 v12, null, v10, v12, s3
	global_load_dword v79, v[11:12], off
.LBB94_17:
	s_or_b32 exec_lo, exec_lo, s26
	s_nor_b32 s26, s2, vcc_lo
	s_and_saveexec_b32 s3, s26
	s_cbranch_execz .LBB94_19
; %bb.18:
	v_lshlrev_b64 v[11:12], 2, v[4:5]
	v_add_co_u32 v11, vcc_lo, v6, v11
	v_add_co_ci_u32_e64 v12, null, v10, v12, vcc_lo
	global_load_dword v78, v[11:12], off offset:256
.LBB94_19:
	s_or_b32 exec_lo, exec_lo, s3
	v_lshlrev_b32_e32 v6, 4, v75
	v_mov_b32_e32 v68, 0
	v_lshl_or_b32 v72, v0, 4, 0x1000
	v_lshlrev_b32_e32 v73, 4, v1
	s_mov_b32 s26, 0
	v_lshl_add_u32 v71, v70, 2, v6
	v_mov_b32_e32 v69, v68
	v_mov_b32_e32 v6, v68
	;; [unrolled: 1-line block ×4, first 2 shown]
	v_or_b32_e32 v74, 0x1000, v71
	s_waitcnt vmcnt(0)
	ds_write_b32 v71, v8 offset:4096
	ds_write2st64_b32 v71, v7, v9 offset1:4
	v_mov_b32_e32 v7, v68
	v_mov_b32_e32 v8, v68
	;; [unrolled: 1-line block ×59, first 2 shown]
	s_mov_b32 s3, -1
	s_waitcnt lgkmcnt(0)
	s_barrier
	buffer_gl0_inv
.LBB94_20:                              ; =>This Inner Loop Header: Depth=1
	s_lshl_b32 s26, s26, 2
	s_andn2_b32 vcc_lo, exec_lo, s3
	v_add_nc_u32_e32 v76, s26, v72
	s_mov_b32 s3, 0
	ds_read2_b64 v[80:83], v76 offset1:16
	ds_read2_b64 v[84:87], v76 offset0:32 offset1:48
	ds_read2_b64 v[88:91], v76 offset0:64 offset1:80
	;; [unrolled: 1-line block ×3, first 2 shown]
	v_add_nc_u32_e32 v76, s26, v73
	s_mov_b32 s26, 2
	ds_read2st64_b64 v[96:99], v76 offset1:1
	ds_read2st64_b64 v[100:103], v76 offset0:2 offset1:3
	s_waitcnt lgkmcnt(5)
	v_max_f32_e32 v80, v80, v80
	v_max_f32_e32 v82, v82, v82
	s_waitcnt lgkmcnt(4)
	v_max_f32_e32 v84, v84, v84
	v_max_f32_e32 v86, v86, v86
	;; [unrolled: 3-line block ×5, first 2 shown]
	v_max_f32_e32 v81, v81, v81
	v_max_f32_e32 v83, v83, v83
	;; [unrolled: 1-line block ×3, first 2 shown]
	v_min_f32_e32 v96, v80, v76
	v_max_f32_e32 v87, v87, v87
	v_min_f32_e32 v104, v81, v97
	v_max_f32_e32 v89, v89, v89
	v_max_f32_e32 v91, v91, v91
	v_add_f32_e32 v68, v68, v96
	v_min_f32_e32 v96, v82, v76
	v_add_f32_e32 v69, v69, v104
	v_min_f32_e32 v104, v83, v97
	v_max_f32_e32 v93, v93, v93
	v_add_f32_e32 v6, v6, v96
	v_min_f32_e32 v96, v84, v76
	v_add_f32_e32 v7, v7, v104
	v_min_f32_e32 v104, v85, v97
	;; [unrolled: 2-line block ×11, first 2 shown]
	v_max_f32_e32 v76, v95, v95
	v_add_f32_e32 v17, v17, v104
	v_add_f32_e32 v66, v66, v96
	v_min_f32_e32 v95, v76, v97
	v_max_f32_e32 v97, v99, v99
	v_add_f32_e32 v67, v67, v95
	v_max_f32_e32 v95, v98, v98
	v_min_f32_e32 v98, v81, v97
	v_min_f32_e32 v96, v80, v95
	v_add_f32_e32 v65, v65, v98
	v_min_f32_e32 v98, v83, v97
	v_add_f32_e32 v64, v64, v96
	;; [unrolled: 2-line block ×12, first 2 shown]
	v_min_f32_e32 v96, v92, v95
	v_min_f32_e32 v95, v94, v95
	v_add_f32_e32 v53, v53, v98
	v_add_f32_e32 v52, v52, v96
	v_min_f32_e32 v96, v76, v97
	v_add_f32_e32 v50, v50, v95
	s_waitcnt lgkmcnt(0)
	v_max_f32_e32 v95, v100, v100
	v_max_f32_e32 v97, v101, v101
	v_add_f32_e32 v51, v51, v96
	v_min_f32_e32 v96, v80, v95
	v_min_f32_e32 v98, v81, v97
	v_add_f32_e32 v48, v48, v96
	v_min_f32_e32 v96, v82, v95
	v_add_f32_e32 v49, v49, v98
	;; [unrolled: 2-line block ×11, first 2 shown]
	v_min_f32_e32 v96, v92, v95
	v_min_f32_e32 v95, v94, v95
	v_add_f32_e32 v39, v39, v98
	v_min_f32_e32 v98, v93, v97
	v_add_f32_e32 v36, v36, v96
	;; [unrolled: 2-line block ×3, first 2 shown]
	v_max_f32_e32 v95, v102, v102
	v_add_f32_e32 v37, v37, v98
	v_add_f32_e32 v35, v35, v96
	v_max_f32_e32 v96, v103, v103
	v_min_f32_e32 v80, v80, v95
	v_min_f32_e32 v81, v81, v96
	v_add_f32_e32 v32, v32, v80
	v_min_f32_e32 v80, v82, v95
	v_min_f32_e32 v76, v76, v96
	v_add_f32_e32 v33, v33, v81
	v_min_f32_e32 v81, v83, v96
	v_add_f32_e32 v30, v30, v80
	;; [unrolled: 2-line block ×3, first 2 shown]
	v_add_f32_e32 v31, v31, v81
	v_min_f32_e32 v81, v85, v96
	v_add_f32_e32 v28, v28, v80
	v_min_f32_e32 v80, v86, v95
	;; [unrolled: 2-line block ×10, first 2 shown]
	v_add_f32_e32 v21, v21, v81
	v_add_f32_e32 v18, v18, v80
	s_cbranch_vccz .LBB94_20
; %bb.21:
	v_lshlrev_b32_e32 v76, 2, v70
	s_cmp_lt_i32 s14, 9
	v_lshl_add_u32 v80, v75, 4, v76
	v_lshl_add_u32 v75, v0, 4, 0x1400
	;; [unrolled: 1-line block ×3, first 2 shown]
	ds_write_b32 v80, v77 offset:5120
	ds_write2st64_b32 v80, v79, v78 offset0:8 offset1:12
	s_waitcnt lgkmcnt(0)
	s_barrier
	buffer_gl0_inv
	s_cbranch_scc1 .LBB94_40
; %bb.22:
	v_lshlrev_b64 v[81:82], 2, v[2:3]
	v_lshlrev_b64 v[2:3], 2, v[4:5]
	v_add_nc_u32_e32 v77, 0x1400, v80
	v_or_b32_e32 v78, 0x800, v80
	s_mov_b32 s26, 0
	v_add_co_u32 v4, vcc_lo, s20, v81
	v_add_co_ci_u32_e64 v5, null, s21, v82, vcc_lo
	s_add_i32 s20, s14, -8
	s_mov_b32 s21, 8
.LBB94_23:                              ; =>This Loop Header: Depth=1
                                        ;     Child Loop BB94_30 Depth 2
                                        ;     Child Loop BB94_38 Depth 2
	v_add_nc_u32_e32 v80, s21, v70
	v_mov_b32_e32 v79, 0
	v_cmp_le_i32_e32 vcc_lo, s14, v80
	s_nor_b32 s3, s0, vcc_lo
	s_and_saveexec_b32 s27, s3
	s_cbranch_execz .LBB94_25
; %bb.24:                               ;   in Loop: Header=BB94_23 Depth=1
	v_mad_u64_u32 v[81:82], null, v80, s9, 0
	v_mov_b32_e32 v79, v82
	v_mad_u64_u32 v[82:83], null, v80, s23, v[79:80]
	v_lshlrev_b64 v[81:82], 2, v[81:82]
	v_add_co_u32 v81, s3, v4, v81
	v_add_co_ci_u32_e64 v82, null, v5, v82, s3
	global_load_dword v79, v[81:82], off
.LBB94_25:                              ;   in Loop: Header=BB94_23 Depth=1
	s_or_b32 exec_lo, exec_lo, s27
	v_mad_u64_u32 v[81:82], null, v80, s24, 0
	v_mad_u64_u32 v[82:83], null, v80, s25, v[82:83]
	v_mov_b32_e32 v80, 0
	v_lshlrev_b64 v[82:83], 2, v[81:82]
	v_mov_b32_e32 v81, 0
	v_add_co_u32 v82, s3, s18, v82
	v_add_co_ci_u32_e64 v83, null, s19, v83, s3
	s_nor_b32 s3, s1, vcc_lo
	s_and_saveexec_b32 s27, s3
	s_cbranch_execz .LBB94_27
; %bb.26:                               ;   in Loop: Header=BB94_23 Depth=1
	v_add_co_u32 v84, s3, v82, v2
	v_add_co_ci_u32_e64 v85, null, v83, v3, s3
	global_load_dword v81, v[84:85], off
.LBB94_27:                              ;   in Loop: Header=BB94_23 Depth=1
	s_or_b32 exec_lo, exec_lo, s27
	s_nor_b32 s27, s2, vcc_lo
	s_and_saveexec_b32 s3, s27
	s_cbranch_execz .LBB94_29
; %bb.28:                               ;   in Loop: Header=BB94_23 Depth=1
	v_add_co_u32 v82, vcc_lo, v82, v2
	v_add_co_ci_u32_e64 v83, null, v83, v3, vcc_lo
	global_load_dword v80, v[82:83], off offset:256
.LBB94_29:                              ;   in Loop: Header=BB94_23 Depth=1
	s_or_b32 exec_lo, exec_lo, s3
	s_mov_b32 s27, 0
	s_mov_b32 s3, -1
.LBB94_30:                              ;   Parent Loop BB94_23 Depth=1
                                        ; =>  This Inner Loop Header: Depth=2
	s_lshl_b32 s27, s27, 2
	s_andn2_b32 vcc_lo, exec_lo, s3
	v_add_nc_u32_e32 v94, s27, v75
	v_add_nc_u32_e32 v102, s27, v76
	s_mov_b32 s3, 0
	s_mov_b32 s27, 2
	ds_read2_b64 v[82:85], v94 offset1:16
	ds_read2_b64 v[86:89], v94 offset0:32 offset1:48
	ds_read2_b64 v[90:93], v94 offset0:64 offset1:80
	;; [unrolled: 1-line block ×3, first 2 shown]
	ds_read2st64_b64 v[98:101], v102 offset1:1
	ds_read2st64_b64 v[102:105], v102 offset0:2 offset1:3
	s_waitcnt lgkmcnt(5)
	v_max_f32_e32 v82, v82, v82
	v_max_f32_e32 v83, v83, v83
	;; [unrolled: 1-line block ×3, first 2 shown]
	s_waitcnt lgkmcnt(1)
	v_max_f32_e32 v98, v98, v98
	v_max_f32_e32 v99, v99, v99
	;; [unrolled: 1-line block ×5, first 2 shown]
	v_min_f32_e32 v106, v82, v98
	v_min_f32_e32 v107, v83, v99
	v_max_f32_e32 v88, v88, v88
	v_max_f32_e32 v89, v89, v89
	;; [unrolled: 1-line block ×3, first 2 shown]
	v_add_f32_e32 v68, v68, v106
	v_min_f32_e32 v106, v84, v98
	v_add_f32_e32 v69, v69, v107
	v_min_f32_e32 v107, v85, v99
	v_max_f32_e32 v91, v91, v91
	v_max_f32_e32 v92, v92, v92
	v_add_f32_e32 v6, v6, v106
	v_min_f32_e32 v106, v86, v98
	v_add_f32_e32 v7, v7, v107
	v_min_f32_e32 v107, v87, v99
	v_max_f32_e32 v93, v93, v93
	v_max_f32_e32 v94, v94, v94
	;; [unrolled: 6-line block ×3, first 2 shown]
	v_add_f32_e32 v10, v10, v106
	v_min_f32_e32 v106, v90, v98
	v_add_f32_e32 v11, v11, v107
	v_min_f32_e32 v107, v91, v99
	v_max_f32_e32 v97, v97, v97
	v_add_f32_e32 v12, v12, v106
	v_min_f32_e32 v106, v92, v98
	v_add_f32_e32 v13, v13, v107
	v_min_f32_e32 v107, v93, v99
	;; [unrolled: 2-line block ×3, first 2 shown]
	v_min_f32_e32 v98, v96, v98
	v_add_f32_e32 v15, v15, v107
	v_min_f32_e32 v107, v95, v99
	v_min_f32_e32 v99, v97, v99
	v_add_f32_e32 v16, v16, v106
	v_add_f32_e32 v66, v66, v98
	v_max_f32_e32 v98, v100, v100
	v_max_f32_e32 v100, v101, v101
	v_add_f32_e32 v67, v67, v99
	v_add_f32_e32 v17, v17, v107
	v_min_f32_e32 v99, v82, v98
	v_min_f32_e32 v101, v83, v100
	v_add_f32_e32 v64, v64, v99
	v_min_f32_e32 v99, v84, v98
	v_add_f32_e32 v65, v65, v101
	;; [unrolled: 2-line block ×11, first 2 shown]
	v_min_f32_e32 v99, v94, v98
	v_min_f32_e32 v98, v96, v98
	v_add_f32_e32 v55, v55, v101
	v_min_f32_e32 v101, v95, v100
	v_add_f32_e32 v52, v52, v99
	;; [unrolled: 2-line block ×3, first 2 shown]
	s_waitcnt lgkmcnt(0)
	v_max_f32_e32 v98, v102, v102
	v_max_f32_e32 v100, v103, v103
	v_add_f32_e32 v53, v53, v101
	v_add_f32_e32 v51, v51, v99
	v_min_f32_e32 v99, v82, v98
	v_min_f32_e32 v101, v83, v100
	v_add_f32_e32 v48, v48, v99
	v_min_f32_e32 v99, v84, v98
	v_add_f32_e32 v49, v49, v101
	v_min_f32_e32 v101, v85, v100
	v_add_f32_e32 v46, v46, v99
	v_min_f32_e32 v99, v86, v98
	v_add_f32_e32 v47, v47, v101
	v_min_f32_e32 v101, v87, v100
	v_add_f32_e32 v44, v44, v99
	v_min_f32_e32 v99, v88, v98
	v_add_f32_e32 v45, v45, v101
	v_min_f32_e32 v101, v89, v100
	v_add_f32_e32 v42, v42, v99
	v_min_f32_e32 v99, v90, v98
	v_add_f32_e32 v43, v43, v101
	v_min_f32_e32 v101, v91, v100
	v_add_f32_e32 v40, v40, v99
	v_min_f32_e32 v99, v92, v98
	v_add_f32_e32 v41, v41, v101
	v_min_f32_e32 v101, v93, v100
	v_add_f32_e32 v38, v38, v99
	v_min_f32_e32 v99, v94, v98
	v_min_f32_e32 v98, v96, v98
	v_add_f32_e32 v39, v39, v101
	v_min_f32_e32 v101, v95, v100
	v_add_f32_e32 v36, v36, v99
	;; [unrolled: 2-line block ×3, first 2 shown]
	v_max_f32_e32 v98, v104, v104
	v_add_f32_e32 v37, v37, v101
	v_add_f32_e32 v35, v35, v99
	v_max_f32_e32 v99, v105, v105
	v_min_f32_e32 v82, v82, v98
	v_min_f32_e32 v83, v83, v99
	v_add_f32_e32 v32, v32, v82
	v_min_f32_e32 v82, v84, v98
	v_add_f32_e32 v33, v33, v83
	;; [unrolled: 2-line block ×15, first 2 shown]
	v_add_f32_e32 v19, v19, v83
	s_cbranch_vccz .LBB94_30
; %bb.31:                               ;   in Loop: Header=BB94_23 Depth=1
	v_add3_u32 v82, v70, s21, 4
	s_waitcnt vmcnt(0)
	ds_write_b32 v74, v79
	ds_write2st64_b32 v71, v81, v80 offset1:4
	v_mov_b32_e32 v79, 0
	v_mov_b32_e32 v80, 0
	s_waitcnt lgkmcnt(0)
	v_cmp_le_i32_e32 vcc_lo, s14, v82
	s_barrier
	buffer_gl0_inv
	s_nor_b32 s3, s0, vcc_lo
	s_and_saveexec_b32 s27, s3
	s_cbranch_execz .LBB94_33
; %bb.32:                               ;   in Loop: Header=BB94_23 Depth=1
	v_mad_u64_u32 v[80:81], null, v82, s9, 0
	v_mad_u64_u32 v[83:84], null, v82, s23, v[81:82]
	v_mov_b32_e32 v81, v83
	v_lshlrev_b64 v[80:81], 2, v[80:81]
	v_add_co_u32 v80, s3, v4, v80
	v_add_co_ci_u32_e64 v81, null, v5, v81, s3
	global_load_dword v80, v[80:81], off
.LBB94_33:                              ;   in Loop: Header=BB94_23 Depth=1
	s_or_b32 exec_lo, exec_lo, s27
	v_mad_u64_u32 v[83:84], null, v82, s24, 0
	v_mov_b32_e32 v81, v84
	v_mad_u64_u32 v[81:82], null, v82, s25, v[81:82]
	v_mov_b32_e32 v84, v81
	v_lshlrev_b64 v[82:83], 2, v[83:84]
	v_add_co_u32 v82, s3, s18, v82
	v_add_co_ci_u32_e64 v83, null, s19, v83, s3
	s_nor_b32 s3, s1, vcc_lo
	s_and_saveexec_b32 s27, s3
	s_cbranch_execz .LBB94_35
; %bb.34:                               ;   in Loop: Header=BB94_23 Depth=1
	v_add_co_u32 v84, s3, v82, v2
	v_add_co_ci_u32_e64 v85, null, v83, v3, s3
	global_load_dword v79, v[84:85], off
.LBB94_35:                              ;   in Loop: Header=BB94_23 Depth=1
	s_or_b32 exec_lo, exec_lo, s27
	v_mov_b32_e32 v81, 0
	s_nor_b32 s27, s2, vcc_lo
	s_and_saveexec_b32 s3, s27
	s_cbranch_execz .LBB94_37
; %bb.36:                               ;   in Loop: Header=BB94_23 Depth=1
	v_add_co_u32 v81, vcc_lo, v82, v2
	v_add_co_ci_u32_e64 v82, null, v83, v3, vcc_lo
	global_load_dword v81, v[81:82], off offset:256
.LBB94_37:                              ;   in Loop: Header=BB94_23 Depth=1
	s_or_b32 exec_lo, exec_lo, s3
	s_mov_b32 s27, 0
	s_mov_b32 s3, -1
.LBB94_38:                              ;   Parent Loop BB94_23 Depth=1
                                        ; =>  This Inner Loop Header: Depth=2
	s_lshl_b32 s27, s27, 2
	s_andn2_b32 vcc_lo, exec_lo, s3
	v_add_nc_u32_e32 v94, s27, v72
	v_add_nc_u32_e32 v102, s27, v73
	s_mov_b32 s3, 0
	s_mov_b32 s27, 2
	ds_read2_b64 v[82:85], v94 offset1:16
	ds_read2_b64 v[86:89], v94 offset0:32 offset1:48
	ds_read2_b64 v[90:93], v94 offset0:64 offset1:80
	;; [unrolled: 1-line block ×3, first 2 shown]
	ds_read2st64_b64 v[98:101], v102 offset1:1
	ds_read2st64_b64 v[102:105], v102 offset0:2 offset1:3
	s_waitcnt lgkmcnt(5)
	v_max_f32_e32 v82, v82, v82
	v_max_f32_e32 v83, v83, v83
	;; [unrolled: 1-line block ×3, first 2 shown]
	s_waitcnt lgkmcnt(1)
	v_max_f32_e32 v98, v98, v98
	v_max_f32_e32 v99, v99, v99
	;; [unrolled: 1-line block ×5, first 2 shown]
	v_min_f32_e32 v106, v82, v98
	v_min_f32_e32 v107, v83, v99
	v_max_f32_e32 v88, v88, v88
	v_max_f32_e32 v89, v89, v89
	;; [unrolled: 1-line block ×3, first 2 shown]
	v_add_f32_e32 v68, v68, v106
	v_min_f32_e32 v106, v84, v98
	v_add_f32_e32 v69, v69, v107
	v_min_f32_e32 v107, v85, v99
	v_max_f32_e32 v91, v91, v91
	v_max_f32_e32 v92, v92, v92
	v_add_f32_e32 v6, v6, v106
	v_min_f32_e32 v106, v86, v98
	v_add_f32_e32 v7, v7, v107
	v_min_f32_e32 v107, v87, v99
	v_max_f32_e32 v93, v93, v93
	v_max_f32_e32 v94, v94, v94
	;; [unrolled: 6-line block ×3, first 2 shown]
	v_add_f32_e32 v10, v10, v106
	v_min_f32_e32 v106, v90, v98
	v_add_f32_e32 v11, v11, v107
	v_min_f32_e32 v107, v91, v99
	v_max_f32_e32 v97, v97, v97
	v_add_f32_e32 v12, v12, v106
	v_min_f32_e32 v106, v92, v98
	v_add_f32_e32 v13, v13, v107
	v_min_f32_e32 v107, v93, v99
	;; [unrolled: 2-line block ×3, first 2 shown]
	v_min_f32_e32 v98, v96, v98
	v_add_f32_e32 v15, v15, v107
	v_min_f32_e32 v107, v95, v99
	v_min_f32_e32 v99, v97, v99
	v_add_f32_e32 v16, v16, v106
	v_add_f32_e32 v66, v66, v98
	v_max_f32_e32 v98, v100, v100
	v_max_f32_e32 v100, v101, v101
	v_add_f32_e32 v67, v67, v99
	v_add_f32_e32 v17, v17, v107
	v_min_f32_e32 v99, v82, v98
	v_min_f32_e32 v101, v83, v100
	v_add_f32_e32 v64, v64, v99
	v_min_f32_e32 v99, v84, v98
	v_add_f32_e32 v65, v65, v101
	;; [unrolled: 2-line block ×11, first 2 shown]
	v_min_f32_e32 v99, v94, v98
	v_min_f32_e32 v98, v96, v98
	v_add_f32_e32 v55, v55, v101
	v_min_f32_e32 v101, v95, v100
	v_add_f32_e32 v52, v52, v99
	;; [unrolled: 2-line block ×3, first 2 shown]
	s_waitcnt lgkmcnt(0)
	v_max_f32_e32 v98, v102, v102
	v_max_f32_e32 v100, v103, v103
	v_add_f32_e32 v53, v53, v101
	v_add_f32_e32 v51, v51, v99
	v_min_f32_e32 v99, v82, v98
	v_min_f32_e32 v101, v83, v100
	v_add_f32_e32 v48, v48, v99
	v_min_f32_e32 v99, v84, v98
	v_add_f32_e32 v49, v49, v101
	;; [unrolled: 2-line block ×11, first 2 shown]
	v_min_f32_e32 v99, v94, v98
	v_min_f32_e32 v98, v96, v98
	v_add_f32_e32 v39, v39, v101
	v_min_f32_e32 v101, v95, v100
	v_add_f32_e32 v36, v36, v99
	;; [unrolled: 2-line block ×3, first 2 shown]
	v_max_f32_e32 v98, v104, v104
	v_add_f32_e32 v37, v37, v101
	v_add_f32_e32 v35, v35, v99
	v_max_f32_e32 v99, v105, v105
	v_min_f32_e32 v82, v82, v98
	v_min_f32_e32 v83, v83, v99
	v_add_f32_e32 v32, v32, v82
	v_min_f32_e32 v82, v84, v98
	v_add_f32_e32 v33, v33, v83
	;; [unrolled: 2-line block ×15, first 2 shown]
	v_add_f32_e32 v19, v19, v83
	s_cbranch_vccz .LBB94_38
; %bb.39:                               ;   in Loop: Header=BB94_23 Depth=1
	s_add_i32 s26, s26, 8
	s_add_i32 s21, s21, 8
	s_cmp_ge_i32 s26, s20
	s_waitcnt vmcnt(0)
	ds_write_b32 v77, v80
	ds_write2st64_b32 v78, v79, v81 offset1:4
	s_waitcnt lgkmcnt(0)
	s_barrier
	buffer_gl0_inv
	s_cbranch_scc0 .LBB94_23
.LBB94_40:
	s_mov_b32 s1, 0
	s_mov_b32 s0, -1
.LBB94_41:                              ; =>This Inner Loop Header: Depth=1
	s_lshl_b32 s1, s1, 2
	s_andn2_b32 vcc_lo, exec_lo, s0
	v_add_nc_u32_e32 v74, s1, v75
	s_mov_b32 s0, 0
	ds_read2_b64 v[2:5], v74 offset1:16
	ds_read2_b64 v[70:73], v74 offset0:32 offset1:48
	ds_read2_b64 v[77:80], v74 offset0:64 offset1:80
	;; [unrolled: 1-line block ×3, first 2 shown]
	v_add_nc_u32_e32 v74, s1, v76
	s_mov_b32 s1, 2
	ds_read2st64_b64 v[85:88], v74 offset1:1
	ds_read2st64_b64 v[89:92], v74 offset0:2 offset1:3
	s_waitcnt lgkmcnt(5)
	v_max_f32_e32 v2, v2, v2
	v_max_f32_e32 v4, v4, v4
	s_waitcnt lgkmcnt(4)
	v_max_f32_e32 v70, v70, v70
	v_max_f32_e32 v72, v72, v72
	;; [unrolled: 3-line block ×5, first 2 shown]
	v_max_f32_e32 v84, v84, v84
	v_max_f32_e32 v3, v3, v3
	;; [unrolled: 1-line block ×3, first 2 shown]
	v_min_f32_e32 v85, v2, v74
	v_max_f32_e32 v71, v71, v71
	v_max_f32_e32 v73, v73, v73
	v_min_f32_e32 v93, v3, v86
	v_max_f32_e32 v78, v78, v78
	v_add_f32_e32 v68, v68, v85
	v_min_f32_e32 v85, v4, v74
	v_max_f32_e32 v80, v80, v80
	v_add_f32_e32 v69, v69, v93
	;; [unrolled: 3-line block ×3, first 2 shown]
	v_min_f32_e32 v85, v70, v74
	v_add_f32_e32 v7, v7, v93
	v_min_f32_e32 v93, v71, v86
	v_add_f32_e32 v8, v8, v85
	;; [unrolled: 2-line block ×8, first 2 shown]
	v_min_f32_e32 v85, v81, v74
	v_min_f32_e32 v74, v83, v74
	v_add_f32_e32 v15, v15, v93
	v_min_f32_e32 v93, v82, v86
	v_add_f32_e32 v16, v16, v85
	;; [unrolled: 2-line block ×3, first 2 shown]
	v_max_f32_e32 v74, v87, v87
	v_max_f32_e32 v86, v88, v88
	v_add_f32_e32 v17, v17, v93
	v_add_f32_e32 v67, v67, v85
	v_min_f32_e32 v85, v2, v74
	v_min_f32_e32 v87, v3, v86
	v_add_f32_e32 v64, v64, v85
	v_min_f32_e32 v85, v4, v74
	v_add_f32_e32 v65, v65, v87
	;; [unrolled: 2-line block ×11, first 2 shown]
	v_min_f32_e32 v85, v81, v74
	v_min_f32_e32 v74, v83, v74
	v_add_f32_e32 v55, v55, v87
	v_min_f32_e32 v87, v82, v86
	v_add_f32_e32 v52, v52, v85
	;; [unrolled: 2-line block ×3, first 2 shown]
	s_waitcnt lgkmcnt(0)
	v_max_f32_e32 v74, v89, v89
	v_max_f32_e32 v86, v90, v90
	v_add_f32_e32 v53, v53, v87
	v_add_f32_e32 v51, v51, v85
	v_min_f32_e32 v85, v2, v74
	v_min_f32_e32 v87, v3, v86
	v_add_f32_e32 v48, v48, v85
	v_min_f32_e32 v85, v4, v74
	v_add_f32_e32 v49, v49, v87
	;; [unrolled: 2-line block ×11, first 2 shown]
	v_min_f32_e32 v85, v81, v74
	v_min_f32_e32 v74, v83, v74
	v_add_f32_e32 v39, v39, v87
	v_min_f32_e32 v87, v82, v86
	v_add_f32_e32 v36, v36, v85
	v_min_f32_e32 v85, v84, v86
	v_add_f32_e32 v34, v34, v74
	v_max_f32_e32 v74, v91, v91
	v_add_f32_e32 v37, v37, v87
	v_add_f32_e32 v35, v35, v85
	v_max_f32_e32 v85, v92, v92
	v_min_f32_e32 v2, v2, v74
	v_min_f32_e32 v3, v3, v85
	v_add_f32_e32 v32, v32, v2
	v_min_f32_e32 v2, v4, v74
	v_add_f32_e32 v33, v33, v3
	;; [unrolled: 2-line block ×15, first 2 shown]
	v_add_f32_e32 v19, v19, v3
	s_cbranch_vccz .LBB94_41
; %bb.42:
	s_clause 0x2
	s_load_dwordx2 s[0:1], s[4:5], 0x70
	s_load_dword s14, s[4:5], 0x50
	s_load_dword s9, s[4:5], 0x68
	v_add_nc_u32_e32 v71, s8, v1
	v_add_nc_u32_e32 v0, s6, v0
	v_cndmask_b32_e64 v70, 0, 1, s22
	v_cmp_gt_i32_e64 s8, s13, v71
	s_waitcnt lgkmcnt(0)
	s_mul_i32 s1, s1, s7
	v_mad_i64_i32 v[1:2], null, v71, s14, 0
	v_mad_i64_i32 v[3:4], null, v71, s9, 0
	s_mul_hi_u32 s3, s0, s7
	s_mul_i32 s2, s0, s7
	s_add_i32 s3, s3, s1
	v_cmp_gt_i32_e64 s0, s12, v0
	v_lshlrev_b64 v[72:73], 2, v[1:2]
	s_lshl_b64 s[2:3], s[2:3], 2
	v_lshlrev_b64 v[2:3], 2, v[3:4]
	s_add_u32 s10, s10, s2
	s_addc_u32 s11, s11, s3
	v_ashrrev_i32_e32 v1, 31, v0
	v_add_co_u32 v74, vcc_lo, s16, v72
	v_add_co_ci_u32_e64 v75, null, s17, v73, vcc_lo
	v_add_co_u32 v72, vcc_lo, s10, v2
	v_add_co_ci_u32_e64 v73, null, s11, v3, vcc_lo
	s_and_b32 s2, s0, s8
	s_and_saveexec_b32 s1, s2
	s_cbranch_execz .LBB94_48
; %bb.43:
	v_lshlrev_b64 v[2:3], 2, v[0:1]
	s_andn2_b32 vcc_lo, exec_lo, s22
	s_cbranch_vccnz .LBB94_46
; %bb.44:
	v_add_co_u32 v4, vcc_lo, v74, v2
	v_add_co_ci_u32_e64 v5, null, v75, v3, vcc_lo
	global_load_dword v4, v[4:5], off
	s_waitcnt vmcnt(0)
	v_mul_f32_e32 v4, s15, v4
	s_branch .LBB94_47
.LBB94_45:
	s_mov_b64 s[20:21], 0
	s_andn2_b32 vcc_lo, exec_lo, s8
	s_mov_b32 s0, -1
	s_cbranch_vccz .LBB94_2
	s_branch .LBB94_3
.LBB94_46:
	v_mov_b32_e32 v4, 0
.LBB94_47:
	v_add_f32_e32 v5, v68, v69
	v_add_co_u32 v2, vcc_lo, v72, v2
	v_add_co_ci_u32_e64 v3, null, v73, v3, vcc_lo
	v_add_f32_e32 v4, v5, v4
	global_store_dword v[2:3], v4, off
.LBB94_48:
	s_or_b32 exec_lo, exec_lo, s1
	v_add_nc_u32_e32 v2, 8, v0
	v_cmp_gt_i32_e64 s1, s12, v2
	v_ashrrev_i32_e32 v3, 31, v2
	s_and_b32 s3, s1, s8
	s_and_saveexec_b32 s2, s3
	s_cbranch_execz .LBB94_53
; %bb.49:
	v_cmp_ne_u32_e32 vcc_lo, 1, v70
	v_lshlrev_b64 v[4:5], 2, v[2:3]
	s_cbranch_vccnz .LBB94_51
; %bb.50:
	v_add_co_u32 v68, vcc_lo, v74, v4
	v_add_co_ci_u32_e64 v69, null, v75, v5, vcc_lo
	global_load_dword v68, v[68:69], off
	s_waitcnt vmcnt(0)
	v_mul_f32_e32 v68, s15, v68
	s_branch .LBB94_52
.LBB94_51:
	v_mov_b32_e32 v68, 0
.LBB94_52:
	v_add_f32_e32 v6, v6, v7
	v_add_co_u32 v4, vcc_lo, v72, v4
	v_add_co_ci_u32_e64 v5, null, v73, v5, vcc_lo
	v_add_f32_e32 v6, v6, v68
	global_store_dword v[4:5], v6, off
.LBB94_53:
	s_or_b32 exec_lo, exec_lo, s2
	v_add_nc_u32_e32 v4, 16, v0
	v_cmp_gt_i32_e64 s2, s12, v4
	v_ashrrev_i32_e32 v5, 31, v4
	s_and_b32 s4, s2, s8
	s_and_saveexec_b32 s3, s4
	s_cbranch_execz .LBB94_58
; %bb.54:
	v_cmp_ne_u32_e32 vcc_lo, 1, v70
	v_lshlrev_b64 v[6:7], 2, v[4:5]
	s_cbranch_vccnz .LBB94_56
; %bb.55:
	v_add_co_u32 v68, vcc_lo, v74, v6
	v_add_co_ci_u32_e64 v69, null, v75, v7, vcc_lo
	global_load_dword v68, v[68:69], off
	s_waitcnt vmcnt(0)
	v_mul_f32_e32 v68, s15, v68
	s_branch .LBB94_57
.LBB94_56:
	v_mov_b32_e32 v68, 0
.LBB94_57:
	v_add_f32_e32 v8, v8, v9
	v_add_co_u32 v6, vcc_lo, v72, v6
	v_add_co_ci_u32_e64 v7, null, v73, v7, vcc_lo
	v_add_f32_e32 v8, v8, v68
	global_store_dword v[6:7], v8, off
.LBB94_58:
	;; [unrolled: 27-line block ×7, first 2 shown]
	s_or_b32 exec_lo, exec_lo, s8
	v_add_nc_u32_e32 v68, 32, v71
	v_mad_i64_i32 v[16:17], null, v68, s14, 0
	v_mad_i64_i32 v[66:67], null, v68, s9, 0
	v_cmp_gt_i32_e64 s8, s13, v68
	v_lshlrev_b64 v[16:17], 2, v[16:17]
	s_and_b32 s18, s0, s8
	v_lshlrev_b64 v[66:67], 2, v[66:67]
	v_add_co_u32 v68, vcc_lo, s16, v16
	v_add_co_ci_u32_e64 v69, null, s17, v17, vcc_lo
	v_add_co_u32 v66, vcc_lo, s10, v66
	v_add_co_ci_u32_e64 v67, null, s11, v67, vcc_lo
	s_and_saveexec_b32 s12, s18
	s_cbranch_execnz .LBB94_91
; %bb.84:
	s_or_b32 exec_lo, exec_lo, s12
	s_and_b32 s18, s1, s8
	s_and_saveexec_b32 s12, s18
	s_cbranch_execnz .LBB94_95
.LBB94_85:
	s_or_b32 exec_lo, exec_lo, s12
	s_and_b32 s18, s2, s8
	s_and_saveexec_b32 s12, s18
	s_cbranch_execnz .LBB94_99
.LBB94_86:
	s_or_b32 exec_lo, exec_lo, s12
	s_and_b32 s18, s3, s8
	s_and_saveexec_b32 s12, s18
	s_cbranch_execnz .LBB94_103
.LBB94_87:
	s_or_b32 exec_lo, exec_lo, s12
	s_and_b32 s18, s4, s8
	s_and_saveexec_b32 s12, s18
	s_cbranch_execnz .LBB94_107
.LBB94_88:
	s_or_b32 exec_lo, exec_lo, s12
	s_and_b32 s18, s5, s8
	s_and_saveexec_b32 s12, s18
	s_cbranch_execnz .LBB94_111
.LBB94_89:
	s_or_b32 exec_lo, exec_lo, s12
	s_and_b32 s18, s6, s8
	s_and_saveexec_b32 s12, s18
	s_cbranch_execnz .LBB94_115
.LBB94_90:
	s_or_b32 exec_lo, exec_lo, s12
	s_and_b32 s12, s7, s8
	s_and_saveexec_b32 s8, s12
	s_cbranch_execnz .LBB94_119
	s_branch .LBB94_123
.LBB94_91:
	v_cmp_ne_u32_e32 vcc_lo, 1, v70
	v_lshlrev_b64 v[16:17], 2, v[0:1]
	s_cbranch_vccnz .LBB94_93
; %bb.92:
	v_add_co_u32 v72, vcc_lo, v68, v16
	v_add_co_ci_u32_e64 v73, null, v69, v17, vcc_lo
	global_load_dword v72, v[72:73], off
	s_waitcnt vmcnt(0)
	v_mul_f32_e32 v72, s15, v72
	s_branch .LBB94_94
.LBB94_93:
	v_mov_b32_e32 v72, 0
.LBB94_94:
	v_add_f32_e32 v64, v64, v65
	v_add_co_u32 v16, vcc_lo, v66, v16
	v_add_co_ci_u32_e64 v17, null, v67, v17, vcc_lo
	v_add_f32_e32 v64, v64, v72
	global_store_dword v[16:17], v64, off
	s_or_b32 exec_lo, exec_lo, s12
	s_and_b32 s18, s1, s8
	s_and_saveexec_b32 s12, s18
	s_cbranch_execz .LBB94_85
.LBB94_95:
	v_cmp_ne_u32_e32 vcc_lo, 1, v70
	v_lshlrev_b64 v[16:17], 2, v[2:3]
	s_cbranch_vccnz .LBB94_97
; %bb.96:
	v_add_co_u32 v64, vcc_lo, v68, v16
	v_add_co_ci_u32_e64 v65, null, v69, v17, vcc_lo
	global_load_dword v64, v[64:65], off
	s_waitcnt vmcnt(0)
	v_mul_f32_e32 v64, s15, v64
	s_branch .LBB94_98
.LBB94_97:
	v_mov_b32_e32 v64, 0
.LBB94_98:
	v_add_f32_e32 v62, v62, v63
	v_add_co_u32 v16, vcc_lo, v66, v16
	v_add_co_ci_u32_e64 v17, null, v67, v17, vcc_lo
	v_add_f32_e32 v62, v62, v64
	global_store_dword v[16:17], v62, off
	s_or_b32 exec_lo, exec_lo, s12
	s_and_b32 s18, s2, s8
	s_and_saveexec_b32 s12, s18
	s_cbranch_execz .LBB94_86
.LBB94_99:
	v_cmp_ne_u32_e32 vcc_lo, 1, v70
	v_lshlrev_b64 v[16:17], 2, v[4:5]
	s_cbranch_vccnz .LBB94_101
; %bb.100:
	v_add_co_u32 v62, vcc_lo, v68, v16
	v_add_co_ci_u32_e64 v63, null, v69, v17, vcc_lo
	global_load_dword v62, v[62:63], off
	s_waitcnt vmcnt(0)
	v_mul_f32_e32 v62, s15, v62
	s_branch .LBB94_102
.LBB94_101:
	v_mov_b32_e32 v62, 0
.LBB94_102:
	v_add_f32_e32 v60, v60, v61
	v_add_co_u32 v16, vcc_lo, v66, v16
	v_add_co_ci_u32_e64 v17, null, v67, v17, vcc_lo
	v_add_f32_e32 v60, v60, v62
	global_store_dword v[16:17], v60, off
	s_or_b32 exec_lo, exec_lo, s12
	s_and_b32 s18, s3, s8
	s_and_saveexec_b32 s12, s18
	s_cbranch_execz .LBB94_87
.LBB94_103:
	v_cmp_ne_u32_e32 vcc_lo, 1, v70
	v_lshlrev_b64 v[16:17], 2, v[6:7]
	s_cbranch_vccnz .LBB94_105
; %bb.104:
	v_add_co_u32 v60, vcc_lo, v68, v16
	v_add_co_ci_u32_e64 v61, null, v69, v17, vcc_lo
	global_load_dword v60, v[60:61], off
	s_waitcnt vmcnt(0)
	v_mul_f32_e32 v60, s15, v60
	s_branch .LBB94_106
.LBB94_105:
	v_mov_b32_e32 v60, 0
.LBB94_106:
	v_add_f32_e32 v58, v58, v59
	v_add_co_u32 v16, vcc_lo, v66, v16
	v_add_co_ci_u32_e64 v17, null, v67, v17, vcc_lo
	v_add_f32_e32 v58, v58, v60
	global_store_dword v[16:17], v58, off
	s_or_b32 exec_lo, exec_lo, s12
	s_and_b32 s18, s4, s8
	s_and_saveexec_b32 s12, s18
	s_cbranch_execz .LBB94_88
.LBB94_107:
	v_cmp_ne_u32_e32 vcc_lo, 1, v70
	v_lshlrev_b64 v[16:17], 2, v[8:9]
	s_cbranch_vccnz .LBB94_109
; %bb.108:
	v_add_co_u32 v58, vcc_lo, v68, v16
	v_add_co_ci_u32_e64 v59, null, v69, v17, vcc_lo
	global_load_dword v58, v[58:59], off
	s_waitcnt vmcnt(0)
	v_mul_f32_e32 v58, s15, v58
	s_branch .LBB94_110
.LBB94_109:
	v_mov_b32_e32 v58, 0
.LBB94_110:
	v_add_f32_e32 v56, v56, v57
	v_add_co_u32 v16, vcc_lo, v66, v16
	v_add_co_ci_u32_e64 v17, null, v67, v17, vcc_lo
	v_add_f32_e32 v56, v56, v58
	global_store_dword v[16:17], v56, off
	s_or_b32 exec_lo, exec_lo, s12
	s_and_b32 s18, s5, s8
	s_and_saveexec_b32 s12, s18
	s_cbranch_execz .LBB94_89
.LBB94_111:
	v_cmp_ne_u32_e32 vcc_lo, 1, v70
	v_lshlrev_b64 v[16:17], 2, v[10:11]
	s_cbranch_vccnz .LBB94_113
; %bb.112:
	v_add_co_u32 v56, vcc_lo, v68, v16
	v_add_co_ci_u32_e64 v57, null, v69, v17, vcc_lo
	global_load_dword v56, v[56:57], off
	s_waitcnt vmcnt(0)
	v_mul_f32_e32 v56, s15, v56
	s_branch .LBB94_114
.LBB94_113:
	v_mov_b32_e32 v56, 0
.LBB94_114:
	v_add_f32_e32 v54, v54, v55
	v_add_co_u32 v16, vcc_lo, v66, v16
	v_add_co_ci_u32_e64 v17, null, v67, v17, vcc_lo
	v_add_f32_e32 v54, v54, v56
	global_store_dword v[16:17], v54, off
	s_or_b32 exec_lo, exec_lo, s12
	s_and_b32 s18, s6, s8
	s_and_saveexec_b32 s12, s18
	s_cbranch_execz .LBB94_90
.LBB94_115:
	v_cmp_ne_u32_e32 vcc_lo, 1, v70
	v_lshlrev_b64 v[16:17], 2, v[12:13]
	s_cbranch_vccnz .LBB94_117
; %bb.116:
	v_add_co_u32 v54, vcc_lo, v68, v16
	v_add_co_ci_u32_e64 v55, null, v69, v17, vcc_lo
	global_load_dword v54, v[54:55], off
	s_waitcnt vmcnt(0)
	v_mul_f32_e32 v54, s15, v54
	s_branch .LBB94_118
.LBB94_117:
	v_mov_b32_e32 v54, 0
.LBB94_118:
	v_add_f32_e32 v52, v52, v53
	v_add_co_u32 v16, vcc_lo, v66, v16
	v_add_co_ci_u32_e64 v17, null, v67, v17, vcc_lo
	v_add_f32_e32 v52, v52, v54
	global_store_dword v[16:17], v52, off
	s_or_b32 exec_lo, exec_lo, s12
	s_and_b32 s12, s7, s8
	s_and_saveexec_b32 s8, s12
	s_cbranch_execz .LBB94_123
.LBB94_119:
	v_cmp_ne_u32_e32 vcc_lo, 1, v70
	v_lshlrev_b64 v[16:17], 2, v[14:15]
	s_cbranch_vccnz .LBB94_121
; %bb.120:
	v_add_co_u32 v52, vcc_lo, v68, v16
	v_add_co_ci_u32_e64 v53, null, v69, v17, vcc_lo
	global_load_dword v52, v[52:53], off
	s_waitcnt vmcnt(0)
	v_mul_f32_e32 v52, s15, v52
	s_branch .LBB94_122
.LBB94_121:
	v_mov_b32_e32 v52, 0
.LBB94_122:
	v_add_f32_e32 v50, v50, v51
	v_add_co_u32 v16, vcc_lo, v66, v16
	v_add_co_ci_u32_e64 v17, null, v67, v17, vcc_lo
	v_add_f32_e32 v50, v50, v52
	global_store_dword v[16:17], v50, off
.LBB94_123:
	s_or_b32 exec_lo, exec_lo, s8
	v_add_nc_u32_e32 v52, 64, v71
	v_mad_i64_i32 v[16:17], null, v52, s14, 0
	v_mad_i64_i32 v[50:51], null, v52, s9, 0
	v_cmp_gt_i32_e64 s8, s13, v52
	v_lshlrev_b64 v[16:17], 2, v[16:17]
	s_and_b32 s18, s0, s8
	v_lshlrev_b64 v[50:51], 2, v[50:51]
	v_add_co_u32 v52, vcc_lo, s16, v16
	v_add_co_ci_u32_e64 v53, null, s17, v17, vcc_lo
	v_add_co_u32 v50, vcc_lo, s10, v50
	v_add_co_ci_u32_e64 v51, null, s11, v51, vcc_lo
	s_and_saveexec_b32 s12, s18
	s_cbranch_execnz .LBB94_131
; %bb.124:
	s_or_b32 exec_lo, exec_lo, s12
	s_and_b32 s18, s1, s8
	s_and_saveexec_b32 s12, s18
	s_cbranch_execnz .LBB94_135
.LBB94_125:
	s_or_b32 exec_lo, exec_lo, s12
	s_and_b32 s18, s2, s8
	s_and_saveexec_b32 s12, s18
	s_cbranch_execnz .LBB94_139
.LBB94_126:
	s_or_b32 exec_lo, exec_lo, s12
	s_and_b32 s18, s3, s8
	s_and_saveexec_b32 s12, s18
	s_cbranch_execnz .LBB94_143
.LBB94_127:
	s_or_b32 exec_lo, exec_lo, s12
	s_and_b32 s18, s4, s8
	s_and_saveexec_b32 s12, s18
	s_cbranch_execnz .LBB94_147
.LBB94_128:
	s_or_b32 exec_lo, exec_lo, s12
	s_and_b32 s18, s5, s8
	s_and_saveexec_b32 s12, s18
	s_cbranch_execnz .LBB94_151
.LBB94_129:
	s_or_b32 exec_lo, exec_lo, s12
	s_and_b32 s18, s6, s8
	s_and_saveexec_b32 s12, s18
	s_cbranch_execnz .LBB94_155
.LBB94_130:
	s_or_b32 exec_lo, exec_lo, s12
	s_and_b32 s12, s7, s8
	s_and_saveexec_b32 s8, s12
	s_cbranch_execnz .LBB94_159
	s_branch .LBB94_163
.LBB94_131:
	v_cmp_ne_u32_e32 vcc_lo, 1, v70
	v_lshlrev_b64 v[16:17], 2, v[0:1]
	s_cbranch_vccnz .LBB94_133
; %bb.132:
	v_add_co_u32 v54, vcc_lo, v52, v16
	v_add_co_ci_u32_e64 v55, null, v53, v17, vcc_lo
	global_load_dword v54, v[54:55], off
	s_waitcnt vmcnt(0)
	v_mul_f32_e32 v54, s15, v54
	s_branch .LBB94_134
.LBB94_133:
	v_mov_b32_e32 v54, 0
.LBB94_134:
	v_add_f32_e32 v48, v48, v49
	v_add_co_u32 v16, vcc_lo, v50, v16
	v_add_co_ci_u32_e64 v17, null, v51, v17, vcc_lo
	v_add_f32_e32 v48, v48, v54
	global_store_dword v[16:17], v48, off
	s_or_b32 exec_lo, exec_lo, s12
	s_and_b32 s18, s1, s8
	s_and_saveexec_b32 s12, s18
	s_cbranch_execz .LBB94_125
.LBB94_135:
	v_cmp_ne_u32_e32 vcc_lo, 1, v70
	v_lshlrev_b64 v[16:17], 2, v[2:3]
	s_cbranch_vccnz .LBB94_137
; %bb.136:
	v_add_co_u32 v48, vcc_lo, v52, v16
	v_add_co_ci_u32_e64 v49, null, v53, v17, vcc_lo
	global_load_dword v48, v[48:49], off
	s_waitcnt vmcnt(0)
	v_mul_f32_e32 v48, s15, v48
	s_branch .LBB94_138
.LBB94_137:
	v_mov_b32_e32 v48, 0
.LBB94_138:
	v_add_f32_e32 v46, v46, v47
	v_add_co_u32 v16, vcc_lo, v50, v16
	v_add_co_ci_u32_e64 v17, null, v51, v17, vcc_lo
	v_add_f32_e32 v46, v46, v48
	global_store_dword v[16:17], v46, off
	s_or_b32 exec_lo, exec_lo, s12
	s_and_b32 s18, s2, s8
	s_and_saveexec_b32 s12, s18
	s_cbranch_execz .LBB94_126
.LBB94_139:
	v_cmp_ne_u32_e32 vcc_lo, 1, v70
	v_lshlrev_b64 v[16:17], 2, v[4:5]
	s_cbranch_vccnz .LBB94_141
; %bb.140:
	v_add_co_u32 v46, vcc_lo, v52, v16
	v_add_co_ci_u32_e64 v47, null, v53, v17, vcc_lo
	global_load_dword v46, v[46:47], off
	s_waitcnt vmcnt(0)
	v_mul_f32_e32 v46, s15, v46
	s_branch .LBB94_142
.LBB94_141:
	v_mov_b32_e32 v46, 0
.LBB94_142:
	v_add_f32_e32 v44, v44, v45
	v_add_co_u32 v16, vcc_lo, v50, v16
	v_add_co_ci_u32_e64 v17, null, v51, v17, vcc_lo
	v_add_f32_e32 v44, v44, v46
	global_store_dword v[16:17], v44, off
	s_or_b32 exec_lo, exec_lo, s12
	s_and_b32 s18, s3, s8
	s_and_saveexec_b32 s12, s18
	s_cbranch_execz .LBB94_127
.LBB94_143:
	v_cmp_ne_u32_e32 vcc_lo, 1, v70
	v_lshlrev_b64 v[16:17], 2, v[6:7]
	s_cbranch_vccnz .LBB94_145
; %bb.144:
	v_add_co_u32 v44, vcc_lo, v52, v16
	v_add_co_ci_u32_e64 v45, null, v53, v17, vcc_lo
	global_load_dword v44, v[44:45], off
	s_waitcnt vmcnt(0)
	v_mul_f32_e32 v44, s15, v44
	s_branch .LBB94_146
.LBB94_145:
	v_mov_b32_e32 v44, 0
.LBB94_146:
	v_add_f32_e32 v42, v42, v43
	v_add_co_u32 v16, vcc_lo, v50, v16
	v_add_co_ci_u32_e64 v17, null, v51, v17, vcc_lo
	v_add_f32_e32 v42, v42, v44
	global_store_dword v[16:17], v42, off
	s_or_b32 exec_lo, exec_lo, s12
	s_and_b32 s18, s4, s8
	s_and_saveexec_b32 s12, s18
	s_cbranch_execz .LBB94_128
.LBB94_147:
	v_cmp_ne_u32_e32 vcc_lo, 1, v70
	v_lshlrev_b64 v[16:17], 2, v[8:9]
	s_cbranch_vccnz .LBB94_149
; %bb.148:
	v_add_co_u32 v42, vcc_lo, v52, v16
	v_add_co_ci_u32_e64 v43, null, v53, v17, vcc_lo
	global_load_dword v42, v[42:43], off
	s_waitcnt vmcnt(0)
	v_mul_f32_e32 v42, s15, v42
	s_branch .LBB94_150
.LBB94_149:
	v_mov_b32_e32 v42, 0
.LBB94_150:
	v_add_f32_e32 v40, v40, v41
	v_add_co_u32 v16, vcc_lo, v50, v16
	v_add_co_ci_u32_e64 v17, null, v51, v17, vcc_lo
	v_add_f32_e32 v40, v40, v42
	global_store_dword v[16:17], v40, off
	s_or_b32 exec_lo, exec_lo, s12
	s_and_b32 s18, s5, s8
	s_and_saveexec_b32 s12, s18
	s_cbranch_execz .LBB94_129
.LBB94_151:
	v_cmp_ne_u32_e32 vcc_lo, 1, v70
	v_lshlrev_b64 v[16:17], 2, v[10:11]
	s_cbranch_vccnz .LBB94_153
; %bb.152:
	v_add_co_u32 v40, vcc_lo, v52, v16
	v_add_co_ci_u32_e64 v41, null, v53, v17, vcc_lo
	global_load_dword v40, v[40:41], off
	s_waitcnt vmcnt(0)
	v_mul_f32_e32 v40, s15, v40
	s_branch .LBB94_154
.LBB94_153:
	v_mov_b32_e32 v40, 0
.LBB94_154:
	v_add_f32_e32 v38, v38, v39
	v_add_co_u32 v16, vcc_lo, v50, v16
	v_add_co_ci_u32_e64 v17, null, v51, v17, vcc_lo
	v_add_f32_e32 v38, v38, v40
	global_store_dword v[16:17], v38, off
	s_or_b32 exec_lo, exec_lo, s12
	s_and_b32 s18, s6, s8
	s_and_saveexec_b32 s12, s18
	s_cbranch_execz .LBB94_130
.LBB94_155:
	v_cmp_ne_u32_e32 vcc_lo, 1, v70
	v_lshlrev_b64 v[16:17], 2, v[12:13]
	s_cbranch_vccnz .LBB94_157
; %bb.156:
	v_add_co_u32 v38, vcc_lo, v52, v16
	v_add_co_ci_u32_e64 v39, null, v53, v17, vcc_lo
	global_load_dword v38, v[38:39], off
	s_waitcnt vmcnt(0)
	v_mul_f32_e32 v38, s15, v38
	s_branch .LBB94_158
.LBB94_157:
	v_mov_b32_e32 v38, 0
.LBB94_158:
	v_add_f32_e32 v36, v36, v37
	v_add_co_u32 v16, vcc_lo, v50, v16
	v_add_co_ci_u32_e64 v17, null, v51, v17, vcc_lo
	v_add_f32_e32 v36, v36, v38
	global_store_dword v[16:17], v36, off
	s_or_b32 exec_lo, exec_lo, s12
	s_and_b32 s12, s7, s8
	s_and_saveexec_b32 s8, s12
	s_cbranch_execz .LBB94_163
.LBB94_159:
	v_cmp_ne_u32_e32 vcc_lo, 1, v70
	v_lshlrev_b64 v[16:17], 2, v[14:15]
	s_cbranch_vccnz .LBB94_161
; %bb.160:
	v_add_co_u32 v36, vcc_lo, v52, v16
	v_add_co_ci_u32_e64 v37, null, v53, v17, vcc_lo
	global_load_dword v36, v[36:37], off
	s_waitcnt vmcnt(0)
	v_mul_f32_e32 v36, s15, v36
	s_branch .LBB94_162
.LBB94_161:
	v_mov_b32_e32 v36, 0
.LBB94_162:
	v_add_f32_e32 v34, v34, v35
	v_add_co_u32 v16, vcc_lo, v50, v16
	v_add_co_ci_u32_e64 v17, null, v51, v17, vcc_lo
	v_add_f32_e32 v34, v34, v36
	global_store_dword v[16:17], v34, off
.LBB94_163:
	s_or_b32 exec_lo, exec_lo, s8
	v_add_nc_u32_e32 v36, 0x60, v71
	v_mad_i64_i32 v[16:17], null, v36, s14, 0
	v_mad_i64_i32 v[34:35], null, v36, s9, 0
	v_cmp_gt_i32_e64 s8, s13, v36
	v_lshlrev_b64 v[16:17], 2, v[16:17]
	s_and_b32 s9, s0, s8
	v_lshlrev_b64 v[36:37], 2, v[34:35]
	v_add_co_u32 v34, vcc_lo, s16, v16
	v_add_co_ci_u32_e64 v35, null, s17, v17, vcc_lo
	v_add_co_u32 v16, vcc_lo, s10, v36
	v_add_co_ci_u32_e64 v17, null, s11, v37, vcc_lo
	s_and_saveexec_b32 s0, s9
	s_cbranch_execnz .LBB94_172
; %bb.164:
	s_or_b32 exec_lo, exec_lo, s0
	s_and_b32 s1, s1, s8
	s_and_saveexec_b32 s0, s1
	s_cbranch_execnz .LBB94_176
.LBB94_165:
	s_or_b32 exec_lo, exec_lo, s0
	s_and_b32 s1, s2, s8
	s_and_saveexec_b32 s0, s1
	s_cbranch_execnz .LBB94_180
.LBB94_166:
	s_or_b32 exec_lo, exec_lo, s0
	s_and_b32 s1, s3, s8
	s_and_saveexec_b32 s0, s1
	s_cbranch_execnz .LBB94_184
.LBB94_167:
	s_or_b32 exec_lo, exec_lo, s0
	s_and_b32 s1, s4, s8
	s_and_saveexec_b32 s0, s1
	s_cbranch_execnz .LBB94_188
.LBB94_168:
	s_or_b32 exec_lo, exec_lo, s0
	s_and_b32 s1, s5, s8
	s_and_saveexec_b32 s0, s1
	s_cbranch_execnz .LBB94_192
.LBB94_169:
	s_or_b32 exec_lo, exec_lo, s0
	s_and_b32 s1, s6, s8
	s_and_saveexec_b32 s0, s1
	s_cbranch_execnz .LBB94_196
.LBB94_170:
	s_or_b32 exec_lo, exec_lo, s0
	s_and_b32 s0, s7, s8
	s_and_saveexec_b32 s1, s0
	s_cbranch_execnz .LBB94_200
.LBB94_171:
	s_endpgm
.LBB94_172:
	v_cmp_ne_u32_e32 vcc_lo, 1, v70
	v_lshlrev_b64 v[0:1], 2, v[0:1]
	s_cbranch_vccnz .LBB94_174
; %bb.173:
	v_add_co_u32 v36, vcc_lo, v34, v0
	v_add_co_ci_u32_e64 v37, null, v35, v1, vcc_lo
	global_load_dword v36, v[36:37], off
	s_waitcnt vmcnt(0)
	v_mul_f32_e32 v36, s15, v36
	s_branch .LBB94_175
.LBB94_174:
	v_mov_b32_e32 v36, 0
.LBB94_175:
	v_add_f32_e32 v32, v32, v33
	v_add_co_u32 v0, vcc_lo, v16, v0
	v_add_co_ci_u32_e64 v1, null, v17, v1, vcc_lo
	v_add_f32_e32 v32, v32, v36
	global_store_dword v[0:1], v32, off
	s_or_b32 exec_lo, exec_lo, s0
	s_and_b32 s1, s1, s8
	s_and_saveexec_b32 s0, s1
	s_cbranch_execz .LBB94_165
.LBB94_176:
	v_cmp_ne_u32_e32 vcc_lo, 1, v70
	v_lshlrev_b64 v[0:1], 2, v[2:3]
	s_cbranch_vccnz .LBB94_178
; %bb.177:
	v_add_co_u32 v2, vcc_lo, v34, v0
	v_add_co_ci_u32_e64 v3, null, v35, v1, vcc_lo
	global_load_dword v2, v[2:3], off
	s_waitcnt vmcnt(0)
	v_mul_f32_e32 v2, s15, v2
	s_branch .LBB94_179
.LBB94_178:
	v_mov_b32_e32 v2, 0
.LBB94_179:
	v_add_f32_e32 v3, v30, v31
	v_add_co_u32 v0, vcc_lo, v16, v0
	v_add_co_ci_u32_e64 v1, null, v17, v1, vcc_lo
	v_add_f32_e32 v2, v3, v2
	global_store_dword v[0:1], v2, off
	s_or_b32 exec_lo, exec_lo, s0
	s_and_b32 s1, s2, s8
	s_and_saveexec_b32 s0, s1
	s_cbranch_execz .LBB94_166
.LBB94_180:
	v_cmp_ne_u32_e32 vcc_lo, 1, v70
	v_lshlrev_b64 v[0:1], 2, v[4:5]
	s_cbranch_vccnz .LBB94_182
; %bb.181:
	v_add_co_u32 v2, vcc_lo, v34, v0
	v_add_co_ci_u32_e64 v3, null, v35, v1, vcc_lo
	global_load_dword v2, v[2:3], off
	s_waitcnt vmcnt(0)
	v_mul_f32_e32 v2, s15, v2
	s_branch .LBB94_183
.LBB94_182:
	v_mov_b32_e32 v2, 0
.LBB94_183:
	v_add_f32_e32 v3, v28, v29
	v_add_co_u32 v0, vcc_lo, v16, v0
	v_add_co_ci_u32_e64 v1, null, v17, v1, vcc_lo
	v_add_f32_e32 v2, v3, v2
	global_store_dword v[0:1], v2, off
	s_or_b32 exec_lo, exec_lo, s0
	s_and_b32 s1, s3, s8
	s_and_saveexec_b32 s0, s1
	s_cbranch_execz .LBB94_167
.LBB94_184:
	v_cmp_ne_u32_e32 vcc_lo, 1, v70
	v_lshlrev_b64 v[0:1], 2, v[6:7]
	s_cbranch_vccnz .LBB94_186
; %bb.185:
	v_add_co_u32 v2, vcc_lo, v34, v0
	v_add_co_ci_u32_e64 v3, null, v35, v1, vcc_lo
	global_load_dword v2, v[2:3], off
	s_waitcnt vmcnt(0)
	v_mul_f32_e32 v2, s15, v2
	s_branch .LBB94_187
.LBB94_186:
	v_mov_b32_e32 v2, 0
.LBB94_187:
	v_add_f32_e32 v3, v26, v27
	v_add_co_u32 v0, vcc_lo, v16, v0
	v_add_co_ci_u32_e64 v1, null, v17, v1, vcc_lo
	v_add_f32_e32 v2, v3, v2
	global_store_dword v[0:1], v2, off
	s_or_b32 exec_lo, exec_lo, s0
	s_and_b32 s1, s4, s8
	s_and_saveexec_b32 s0, s1
	s_cbranch_execz .LBB94_168
.LBB94_188:
	v_cmp_ne_u32_e32 vcc_lo, 1, v70
	v_lshlrev_b64 v[0:1], 2, v[8:9]
	s_cbranch_vccnz .LBB94_190
; %bb.189:
	v_add_co_u32 v2, vcc_lo, v34, v0
	v_add_co_ci_u32_e64 v3, null, v35, v1, vcc_lo
	global_load_dword v2, v[2:3], off
	s_waitcnt vmcnt(0)
	v_mul_f32_e32 v2, s15, v2
	s_branch .LBB94_191
.LBB94_190:
	v_mov_b32_e32 v2, 0
.LBB94_191:
	v_add_f32_e32 v3, v24, v25
	v_add_co_u32 v0, vcc_lo, v16, v0
	v_add_co_ci_u32_e64 v1, null, v17, v1, vcc_lo
	v_add_f32_e32 v2, v3, v2
	global_store_dword v[0:1], v2, off
	s_or_b32 exec_lo, exec_lo, s0
	s_and_b32 s1, s5, s8
	s_and_saveexec_b32 s0, s1
	s_cbranch_execz .LBB94_169
.LBB94_192:
	v_cmp_ne_u32_e32 vcc_lo, 1, v70
	v_lshlrev_b64 v[0:1], 2, v[10:11]
	s_cbranch_vccnz .LBB94_194
; %bb.193:
	v_add_co_u32 v2, vcc_lo, v34, v0
	v_add_co_ci_u32_e64 v3, null, v35, v1, vcc_lo
	global_load_dword v2, v[2:3], off
	s_waitcnt vmcnt(0)
	v_mul_f32_e32 v2, s15, v2
	s_branch .LBB94_195
.LBB94_194:
	v_mov_b32_e32 v2, 0
.LBB94_195:
	v_add_f32_e32 v3, v22, v23
	v_add_co_u32 v0, vcc_lo, v16, v0
	v_add_co_ci_u32_e64 v1, null, v17, v1, vcc_lo
	v_add_f32_e32 v2, v3, v2
	global_store_dword v[0:1], v2, off
	s_or_b32 exec_lo, exec_lo, s0
	s_and_b32 s1, s6, s8
	s_and_saveexec_b32 s0, s1
	s_cbranch_execz .LBB94_170
.LBB94_196:
	v_cmp_ne_u32_e32 vcc_lo, 1, v70
	v_lshlrev_b64 v[0:1], 2, v[12:13]
	s_cbranch_vccnz .LBB94_198
; %bb.197:
	v_add_co_u32 v2, vcc_lo, v34, v0
	v_add_co_ci_u32_e64 v3, null, v35, v1, vcc_lo
	global_load_dword v2, v[2:3], off
	s_waitcnt vmcnt(0)
	v_mul_f32_e32 v2, s15, v2
	s_branch .LBB94_199
.LBB94_198:
	v_mov_b32_e32 v2, 0
.LBB94_199:
	v_add_f32_e32 v3, v20, v21
	v_add_co_u32 v0, vcc_lo, v16, v0
	v_add_co_ci_u32_e64 v1, null, v17, v1, vcc_lo
	v_add_f32_e32 v2, v3, v2
	global_store_dword v[0:1], v2, off
	s_or_b32 exec_lo, exec_lo, s0
	s_and_b32 s0, s7, s8
	s_and_saveexec_b32 s1, s0
	s_cbranch_execz .LBB94_171
.LBB94_200:
	v_cmp_ne_u32_e32 vcc_lo, 1, v70
	v_lshlrev_b64 v[0:1], 2, v[14:15]
	s_cbranch_vccnz .LBB94_202
; %bb.201:
	v_add_co_u32 v2, vcc_lo, v34, v0
	v_add_co_ci_u32_e64 v3, null, v35, v1, vcc_lo
	global_load_dword v2, v[2:3], off
	s_waitcnt vmcnt(0)
	v_mul_f32_e32 v2, s15, v2
	s_branch .LBB94_203
.LBB94_202:
	v_mov_b32_e32 v2, 0
.LBB94_203:
	v_add_f32_e32 v3, v18, v19
	v_add_co_u32 v0, vcc_lo, v16, v0
	v_add_co_ci_u32_e64 v1, null, v17, v1, vcc_lo
	v_add_f32_e32 v2, v3, v2
	global_store_dword v[0:1], v2, off
	s_endpgm
	.section	.rodata,"a",@progbits
	.p2align	6, 0x0
	.amdhsa_kernel _ZN12_GLOBAL__N_120geam_min_plus_kernelIf15HIP_vector_typeIfLj2EES2_Li8ELi32ELi64ELi128ELi4ELi64ELi4ELi64ELi4ELc78ELc84ELb1ELb1ELb0EfKffEEviiiT16_PT17_ilS6_ilS4_S6_ilPT18_ili26rocblas_geam_ex_operation_
		.amdhsa_group_segment_fixed_size 6144
		.amdhsa_private_segment_fixed_size 0
		.amdhsa_kernarg_size 128
		.amdhsa_user_sgpr_count 6
		.amdhsa_user_sgpr_private_segment_buffer 1
		.amdhsa_user_sgpr_dispatch_ptr 0
		.amdhsa_user_sgpr_queue_ptr 0
		.amdhsa_user_sgpr_kernarg_segment_ptr 1
		.amdhsa_user_sgpr_dispatch_id 0
		.amdhsa_user_sgpr_flat_scratch_init 0
		.amdhsa_user_sgpr_private_segment_size 0
		.amdhsa_wavefront_size32 1
		.amdhsa_uses_dynamic_stack 0
		.amdhsa_system_sgpr_private_segment_wavefront_offset 0
		.amdhsa_system_sgpr_workgroup_id_x 1
		.amdhsa_system_sgpr_workgroup_id_y 0
		.amdhsa_system_sgpr_workgroup_id_z 1
		.amdhsa_system_sgpr_workgroup_info 0
		.amdhsa_system_vgpr_workitem_id 1
		.amdhsa_next_free_vgpr 108
		.amdhsa_next_free_sgpr 28
		.amdhsa_reserve_vcc 1
		.amdhsa_reserve_flat_scratch 0
		.amdhsa_float_round_mode_32 0
		.amdhsa_float_round_mode_16_64 0
		.amdhsa_float_denorm_mode_32 3
		.amdhsa_float_denorm_mode_16_64 3
		.amdhsa_dx10_clamp 1
		.amdhsa_ieee_mode 1
		.amdhsa_fp16_overflow 0
		.amdhsa_workgroup_processor_mode 1
		.amdhsa_memory_ordered 1
		.amdhsa_forward_progress 1
		.amdhsa_shared_vgpr_count 0
		.amdhsa_exception_fp_ieee_invalid_op 0
		.amdhsa_exception_fp_denorm_src 0
		.amdhsa_exception_fp_ieee_div_zero 0
		.amdhsa_exception_fp_ieee_overflow 0
		.amdhsa_exception_fp_ieee_underflow 0
		.amdhsa_exception_fp_ieee_inexact 0
		.amdhsa_exception_int_div_zero 0
	.end_amdhsa_kernel
	.section	.text._ZN12_GLOBAL__N_120geam_min_plus_kernelIf15HIP_vector_typeIfLj2EES2_Li8ELi32ELi64ELi128ELi4ELi64ELi4ELi64ELi4ELc78ELc84ELb1ELb1ELb0EfKffEEviiiT16_PT17_ilS6_ilS4_S6_ilPT18_ili26rocblas_geam_ex_operation_,"axG",@progbits,_ZN12_GLOBAL__N_120geam_min_plus_kernelIf15HIP_vector_typeIfLj2EES2_Li8ELi32ELi64ELi128ELi4ELi64ELi4ELi64ELi4ELc78ELc84ELb1ELb1ELb0EfKffEEviiiT16_PT17_ilS6_ilS4_S6_ilPT18_ili26rocblas_geam_ex_operation_,comdat
.Lfunc_end94:
	.size	_ZN12_GLOBAL__N_120geam_min_plus_kernelIf15HIP_vector_typeIfLj2EES2_Li8ELi32ELi64ELi128ELi4ELi64ELi4ELi64ELi4ELc78ELc84ELb1ELb1ELb0EfKffEEviiiT16_PT17_ilS6_ilS4_S6_ilPT18_ili26rocblas_geam_ex_operation_, .Lfunc_end94-_ZN12_GLOBAL__N_120geam_min_plus_kernelIf15HIP_vector_typeIfLj2EES2_Li8ELi32ELi64ELi128ELi4ELi64ELi4ELi64ELi4ELc78ELc84ELb1ELb1ELb0EfKffEEviiiT16_PT17_ilS6_ilS4_S6_ilPT18_ili26rocblas_geam_ex_operation_
                                        ; -- End function
	.set _ZN12_GLOBAL__N_120geam_min_plus_kernelIf15HIP_vector_typeIfLj2EES2_Li8ELi32ELi64ELi128ELi4ELi64ELi4ELi64ELi4ELc78ELc84ELb1ELb1ELb0EfKffEEviiiT16_PT17_ilS6_ilS4_S6_ilPT18_ili26rocblas_geam_ex_operation_.num_vgpr, 108
	.set _ZN12_GLOBAL__N_120geam_min_plus_kernelIf15HIP_vector_typeIfLj2EES2_Li8ELi32ELi64ELi128ELi4ELi64ELi4ELi64ELi4ELc78ELc84ELb1ELb1ELb0EfKffEEviiiT16_PT17_ilS6_ilS4_S6_ilPT18_ili26rocblas_geam_ex_operation_.num_agpr, 0
	.set _ZN12_GLOBAL__N_120geam_min_plus_kernelIf15HIP_vector_typeIfLj2EES2_Li8ELi32ELi64ELi128ELi4ELi64ELi4ELi64ELi4ELc78ELc84ELb1ELb1ELb0EfKffEEviiiT16_PT17_ilS6_ilS4_S6_ilPT18_ili26rocblas_geam_ex_operation_.numbered_sgpr, 28
	.set _ZN12_GLOBAL__N_120geam_min_plus_kernelIf15HIP_vector_typeIfLj2EES2_Li8ELi32ELi64ELi128ELi4ELi64ELi4ELi64ELi4ELc78ELc84ELb1ELb1ELb0EfKffEEviiiT16_PT17_ilS6_ilS4_S6_ilPT18_ili26rocblas_geam_ex_operation_.num_named_barrier, 0
	.set _ZN12_GLOBAL__N_120geam_min_plus_kernelIf15HIP_vector_typeIfLj2EES2_Li8ELi32ELi64ELi128ELi4ELi64ELi4ELi64ELi4ELc78ELc84ELb1ELb1ELb0EfKffEEviiiT16_PT17_ilS6_ilS4_S6_ilPT18_ili26rocblas_geam_ex_operation_.private_seg_size, 0
	.set _ZN12_GLOBAL__N_120geam_min_plus_kernelIf15HIP_vector_typeIfLj2EES2_Li8ELi32ELi64ELi128ELi4ELi64ELi4ELi64ELi4ELc78ELc84ELb1ELb1ELb0EfKffEEviiiT16_PT17_ilS6_ilS4_S6_ilPT18_ili26rocblas_geam_ex_operation_.uses_vcc, 1
	.set _ZN12_GLOBAL__N_120geam_min_plus_kernelIf15HIP_vector_typeIfLj2EES2_Li8ELi32ELi64ELi128ELi4ELi64ELi4ELi64ELi4ELc78ELc84ELb1ELb1ELb0EfKffEEviiiT16_PT17_ilS6_ilS4_S6_ilPT18_ili26rocblas_geam_ex_operation_.uses_flat_scratch, 0
	.set _ZN12_GLOBAL__N_120geam_min_plus_kernelIf15HIP_vector_typeIfLj2EES2_Li8ELi32ELi64ELi128ELi4ELi64ELi4ELi64ELi4ELc78ELc84ELb1ELb1ELb0EfKffEEviiiT16_PT17_ilS6_ilS4_S6_ilPT18_ili26rocblas_geam_ex_operation_.has_dyn_sized_stack, 0
	.set _ZN12_GLOBAL__N_120geam_min_plus_kernelIf15HIP_vector_typeIfLj2EES2_Li8ELi32ELi64ELi128ELi4ELi64ELi4ELi64ELi4ELc78ELc84ELb1ELb1ELb0EfKffEEviiiT16_PT17_ilS6_ilS4_S6_ilPT18_ili26rocblas_geam_ex_operation_.has_recursion, 0
	.set _ZN12_GLOBAL__N_120geam_min_plus_kernelIf15HIP_vector_typeIfLj2EES2_Li8ELi32ELi64ELi128ELi4ELi64ELi4ELi64ELi4ELc78ELc84ELb1ELb1ELb0EfKffEEviiiT16_PT17_ilS6_ilS4_S6_ilPT18_ili26rocblas_geam_ex_operation_.has_indirect_call, 0
	.section	.AMDGPU.csdata,"",@progbits
; Kernel info:
; codeLenInByte = 8944
; TotalNumSgprs: 30
; NumVgprs: 108
; ScratchSize: 0
; MemoryBound: 0
; FloatMode: 240
; IeeeMode: 1
; LDSByteSize: 6144 bytes/workgroup (compile time only)
; SGPRBlocks: 0
; VGPRBlocks: 13
; NumSGPRsForWavesPerEU: 30
; NumVGPRsForWavesPerEU: 108
; Occupancy: 9
; WaveLimiterHint : 0
; COMPUTE_PGM_RSRC2:SCRATCH_EN: 0
; COMPUTE_PGM_RSRC2:USER_SGPR: 6
; COMPUTE_PGM_RSRC2:TRAP_HANDLER: 0
; COMPUTE_PGM_RSRC2:TGID_X_EN: 1
; COMPUTE_PGM_RSRC2:TGID_Y_EN: 0
; COMPUTE_PGM_RSRC2:TGID_Z_EN: 1
; COMPUTE_PGM_RSRC2:TIDIG_COMP_CNT: 1
	.section	.text._ZN12_GLOBAL__N_120geam_min_plus_kernelIf15HIP_vector_typeIfLj2EES2_Li8ELi32ELi64ELi128ELi4ELi64ELi4ELi64ELi4ELc78ELc84ELb0ELb1ELb0EfKffEEviiiT16_PT17_ilS6_ilS4_S6_ilPT18_ili26rocblas_geam_ex_operation_,"axG",@progbits,_ZN12_GLOBAL__N_120geam_min_plus_kernelIf15HIP_vector_typeIfLj2EES2_Li8ELi32ELi64ELi128ELi4ELi64ELi4ELi64ELi4ELc78ELc84ELb0ELb1ELb0EfKffEEviiiT16_PT17_ilS6_ilS4_S6_ilPT18_ili26rocblas_geam_ex_operation_,comdat
	.globl	_ZN12_GLOBAL__N_120geam_min_plus_kernelIf15HIP_vector_typeIfLj2EES2_Li8ELi32ELi64ELi128ELi4ELi64ELi4ELi64ELi4ELc78ELc84ELb0ELb1ELb0EfKffEEviiiT16_PT17_ilS6_ilS4_S6_ilPT18_ili26rocblas_geam_ex_operation_ ; -- Begin function _ZN12_GLOBAL__N_120geam_min_plus_kernelIf15HIP_vector_typeIfLj2EES2_Li8ELi32ELi64ELi128ELi4ELi64ELi4ELi64ELi4ELc78ELc84ELb0ELb1ELb0EfKffEEviiiT16_PT17_ilS6_ilS4_S6_ilPT18_ili26rocblas_geam_ex_operation_
	.p2align	8
	.type	_ZN12_GLOBAL__N_120geam_min_plus_kernelIf15HIP_vector_typeIfLj2EES2_Li8ELi32ELi64ELi128ELi4ELi64ELi4ELi64ELi4ELc78ELc84ELb0ELb1ELb0EfKffEEviiiT16_PT17_ilS6_ilS4_S6_ilPT18_ili26rocblas_geam_ex_operation_,@function
_ZN12_GLOBAL__N_120geam_min_plus_kernelIf15HIP_vector_typeIfLj2EES2_Li8ELi32ELi64ELi128ELi4ELi64ELi4ELi64ELi4ELc78ELc84ELb0ELb1ELb0EfKffEEviiiT16_PT17_ilS6_ilS4_S6_ilPT18_ili26rocblas_geam_ex_operation_: ; @_ZN12_GLOBAL__N_120geam_min_plus_kernelIf15HIP_vector_typeIfLj2EES2_Li8ELi32ELi64ELi128ELi4ELi64ELi4ELi64ELi4ELc78ELc84ELb0ELb1ELb0EfKffEEviiiT16_PT17_ilS6_ilS4_S6_ilPT18_ili26rocblas_geam_ex_operation_
; %bb.0:
	s_clause 0x1
	s_load_dwordx4 s[12:15], s[4:5], 0x0
	s_load_dwordx4 s[0:3], s[4:5], 0x20
	s_waitcnt lgkmcnt(0)
	v_cmp_eq_f32_e64 s8, s15, 0
	v_cmp_neq_f32_e64 s24, s15, 0
	s_and_b32 vcc_lo, exec_lo, s8
	s_cbranch_vccnz .LBB95_45
; %bb.1:
	s_load_dwordx2 s[10:11], s[4:5], 0x10
	s_mul_i32 s1, s1, s7
	s_mul_hi_u32 s9, s0, s7
	s_mul_i32 s0, s0, s7
	s_add_i32 s1, s9, s1
	s_lshl_b64 s[0:1], s[0:1], 2
	s_waitcnt lgkmcnt(0)
	s_add_u32 s20, s10, s0
	s_addc_u32 s21, s11, s1
	s_andn2_b32 vcc_lo, exec_lo, s8
	s_mov_b32 s0, -1
	s_cbranch_vccnz .LBB95_3
.LBB95_2:
	s_mov_b32 s0, 0
.LBB95_3:
	s_mov_b64 s[16:17], 0
	s_andn2_b32 vcc_lo, exec_lo, s0
	s_mov_b64 s[18:19], 0
	s_cbranch_vccnz .LBB95_5
; %bb.4:
	s_load_dwordx2 s[0:1], s[4:5], 0x38
	s_waitcnt lgkmcnt(0)
	s_mul_i32 s1, s1, s7
	s_mul_hi_u32 s8, s0, s7
	s_mul_i32 s0, s0, s7
	s_add_i32 s1, s8, s1
	s_lshl_b64 s[0:1], s[0:1], 2
	s_add_u32 s18, s2, s0
	s_addc_u32 s19, s3, s1
.LBB95_5:
	s_clause 0x1
	s_load_dword s22, s[4:5], 0x40
	s_load_dwordx4 s[8:11], s[4:5], 0x58
	s_waitcnt lgkmcnt(0)
	v_cmp_eq_f32_e64 s0, s22, 0
	v_cmp_neq_f32_e64 s23, s22, 0
	s_and_b32 vcc_lo, exec_lo, s0
	s_cbranch_vccnz .LBB95_7
; %bb.6:
	s_load_dwordx2 s[0:1], s[4:5], 0x48
	s_mul_i32 s2, s9, s7
	s_mul_hi_u32 s3, s8, s7
	s_add_i32 s3, s3, s2
	s_mul_i32 s2, s8, s7
	s_lshl_b64 s[2:3], s[2:3], 2
	s_waitcnt lgkmcnt(0)
	s_add_u32 s16, s0, s2
	s_addc_u32 s17, s1, s3
.LBB95_7:
	s_add_i32 s0, s12, -1
	s_load_dword s9, s[4:5], 0x18
	s_ashr_i32 s1, s0, 31
	v_lshl_add_u32 v3, v1, 3, v0
	s_lshr_b32 s1, s1, 26
	v_mov_b32_e32 v7, 0
	s_add_i32 s0, s0, s1
	v_mov_b32_e32 v8, 0
	s_ashr_i32 s0, s0, 6
	v_and_b32_e32 v75, 63, v3
	s_add_i32 s2, s0, 1
	s_not_b32 s0, s0
	v_cvt_f32_u32_e32 v2, s2
	v_lshrrev_b32_e32 v70, 6, v3
	v_rcp_iflag_f32_e32 v2, v2
	v_cmp_gt_i32_e32 vcc_lo, s14, v70
	s_waitcnt lgkmcnt(0)
	s_ashr_i32 s25, s9, 31
	v_mul_f32_e32 v2, 0x4f7ffffe, v2
	v_cvt_u32_f32_e32 v2, v2
	v_readfirstlane_b32 s1, v2
	s_mul_i32 s0, s0, s1
	s_mul_hi_u32 s0, s1, s0
	s_add_i32 s1, s1, s0
	s_mul_hi_u32 s0, s6, s1
	s_mul_i32 s1, s0, s2
	s_add_i32 s3, s0, 1
	s_sub_i32 s1, s6, s1
	s_sub_i32 s8, s1, s2
	s_cmp_ge_u32 s1, s2
	s_cselect_b32 s0, s3, s0
	s_cselect_b32 s1, s8, s1
	s_add_i32 s3, s0, 1
	s_cmp_ge_u32 s1, s2
	s_cselect_b32 s1, s3, s0
	s_mul_i32 s0, s1, s2
	s_sub_i32 s0, s6, s0
	s_lshl_b32 s6, s0, 6
	v_or_b32_e32 v2, s6, v75
	v_cmp_gt_i32_e64 s0, s12, v2
	v_ashrrev_i32_e32 v3, 31, v2
	s_and_b32 s2, vcc_lo, s0
	s_and_b32 s3, s24, s2
	s_and_saveexec_b32 s2, s3
	s_cbranch_execz .LBB95_9
; %bb.8:
	v_mad_i64_i32 v[4:5], null, s9, v70, 0
	v_lshlrev_b64 v[8:9], 2, v[2:3]
	v_lshlrev_b64 v[4:5], 2, v[4:5]
	v_add_co_u32 v4, vcc_lo, s20, v4
	v_add_co_ci_u32_e64 v5, null, s21, v5, vcc_lo
	v_add_co_u32 v4, vcc_lo, v4, v8
	v_add_co_ci_u32_e64 v5, null, v5, v9, vcc_lo
	global_load_dword v4, v[4:5], off
	s_waitcnt vmcnt(0)
	v_mul_f32_e32 v8, s15, v4
.LBB95_9:
	s_or_b32 exec_lo, exec_lo, s2
	s_load_dword s26, s[4:5], 0x30
	s_add_i32 s27, s14, -1
	s_lshl_b32 s8, s1, 7
	v_min_i32_e32 v4, s27, v70
	v_cmp_le_i32_e32 vcc_lo, s14, v70
	s_xor_b32 s28, s24, -1
	s_waitcnt lgkmcnt(0)
	v_mad_i64_i32 v[5:6], null, s26, v4, 0
	v_or_b32_e32 v4, s8, v75
	v_cmp_le_i32_e64 s1, s13, v4
	v_lshlrev_b64 v[9:10], 2, v[5:6]
	v_ashrrev_i32_e32 v5, 31, v4
	s_or_b32 s3, vcc_lo, s1
	v_add_co_u32 v6, s2, s18, v9
	v_add_co_ci_u32_e64 v10, null, s19, v10, s2
	s_nor_b32 s2, s3, s28
	s_and_saveexec_b32 s3, s2
	s_cbranch_execz .LBB95_11
; %bb.10:
	v_lshlrev_b64 v[11:12], 2, v[4:5]
	v_add_co_u32 v11, s2, v6, v11
	v_add_co_ci_u32_e64 v12, null, v10, v12, s2
	global_load_dword v7, v[11:12], off
	s_waitcnt vmcnt(0)
	v_mul_f32_e32 v7, s15, v7
.LBB95_11:
	s_or_b32 exec_lo, exec_lo, s3
	v_or_b32_e32 v9, 64, v4
	v_mov_b32_e32 v77, 0
	v_cmp_le_i32_e64 s2, s13, v9
	v_mov_b32_e32 v9, 0
	s_or_b32 s3, vcc_lo, s2
	s_nor_b32 s29, s3, s28
	s_and_saveexec_b32 s3, s29
	s_cbranch_execz .LBB95_13
; %bb.12:
	v_lshlrev_b64 v[11:12], 2, v[4:5]
	v_add_co_u32 v9, vcc_lo, v6, v11
	v_add_co_ci_u32_e64 v10, null, v10, v12, vcc_lo
	global_load_dword v6, v[9:10], off offset:256
	s_waitcnt vmcnt(0)
	v_mul_f32_e32 v9, s15, v6
.LBB95_13:
	s_or_b32 exec_lo, exec_lo, s3
	v_add_nc_u32_e32 v6, 4, v70
	v_cmp_gt_i32_e32 vcc_lo, s14, v6
	s_and_b32 s3, s0, vcc_lo
	s_and_b32 s29, s24, s3
	s_and_saveexec_b32 s3, s29
	s_cbranch_execz .LBB95_15
; %bb.14:
	v_mad_u64_u32 v[10:11], null, s9, v6, 0
	v_mad_u64_u32 v[11:12], null, s25, v6, v[11:12]
	v_lshlrev_b64 v[12:13], 2, v[2:3]
	v_lshlrev_b64 v[10:11], 2, v[10:11]
	v_add_co_u32 v10, vcc_lo, s20, v10
	v_add_co_ci_u32_e64 v11, null, s21, v11, vcc_lo
	v_add_co_u32 v10, vcc_lo, v10, v12
	v_add_co_ci_u32_e64 v11, null, v11, v13, vcc_lo
	global_load_dword v10, v[10:11], off
	s_waitcnt vmcnt(0)
	v_mul_f32_e32 v77, s15, v10
.LBB95_15:
	s_or_b32 exec_lo, exec_lo, s3
	v_min_i32_e32 v10, s27, v6
	v_cmp_le_i32_e32 vcc_lo, s14, v6
	v_mov_b32_e32 v78, 0
	v_mov_b32_e32 v79, 0
	v_mad_i64_i32 v[10:11], null, s26, v10, 0
	v_lshlrev_b64 v[10:11], 2, v[10:11]
	v_add_co_u32 v6, s3, s18, v10
	v_add_co_ci_u32_e64 v10, null, s19, v11, s3
	s_or_b32 s3, s1, vcc_lo
	s_nor_b32 s3, s3, s28
	s_and_saveexec_b32 s29, s3
	s_cbranch_execz .LBB95_17
; %bb.16:
	v_lshlrev_b64 v[11:12], 2, v[4:5]
	v_add_co_u32 v11, s3, v6, v11
	v_add_co_ci_u32_e64 v12, null, v10, v12, s3
	global_load_dword v11, v[11:12], off
	s_waitcnt vmcnt(0)
	v_mul_f32_e32 v79, s15, v11
.LBB95_17:
	s_or_b32 exec_lo, exec_lo, s29
	s_or_b32 s3, s2, vcc_lo
	s_nor_b32 s29, s3, s28
	s_and_saveexec_b32 s3, s29
	s_cbranch_execz .LBB95_19
; %bb.18:
	v_lshlrev_b64 v[11:12], 2, v[4:5]
	v_add_co_u32 v11, vcc_lo, v6, v11
	v_add_co_ci_u32_e64 v12, null, v10, v12, vcc_lo
	global_load_dword v6, v[11:12], off offset:256
	s_waitcnt vmcnt(0)
	v_mul_f32_e32 v78, s15, v6
.LBB95_19:
	s_or_b32 exec_lo, exec_lo, s3
	v_lshlrev_b32_e32 v6, 4, v75
	v_mov_b32_e32 v68, 0
	v_lshl_or_b32 v72, v0, 4, 0x1000
	v_lshlrev_b32_e32 v73, 4, v1
	s_mov_b32 s29, 0
	v_lshl_add_u32 v71, v70, 2, v6
	v_mov_b32_e32 v69, v68
	v_mov_b32_e32 v6, v68
	;; [unrolled: 1-line block ×4, first 2 shown]
	v_or_b32_e32 v74, 0x1000, v71
	ds_write_b32 v71, v8 offset:4096
	ds_write2st64_b32 v71, v7, v9 offset1:4
	v_mov_b32_e32 v7, v68
	v_mov_b32_e32 v8, v68
	;; [unrolled: 1-line block ×59, first 2 shown]
	s_mov_b32 s3, -1
	s_waitcnt lgkmcnt(0)
	s_barrier
	buffer_gl0_inv
.LBB95_20:                              ; =>This Inner Loop Header: Depth=1
	s_lshl_b32 s29, s29, 2
	s_andn2_b32 vcc_lo, exec_lo, s3
	v_add_nc_u32_e32 v76, s29, v72
	s_mov_b32 s3, 0
	ds_read2_b64 v[80:83], v76 offset1:16
	ds_read2_b64 v[84:87], v76 offset0:32 offset1:48
	ds_read2_b64 v[88:91], v76 offset0:64 offset1:80
	;; [unrolled: 1-line block ×3, first 2 shown]
	v_add_nc_u32_e32 v76, s29, v73
	s_mov_b32 s29, 2
	ds_read2st64_b64 v[96:99], v76 offset1:1
	ds_read2st64_b64 v[100:103], v76 offset0:2 offset1:3
	s_waitcnt lgkmcnt(5)
	v_max_f32_e32 v80, v80, v80
	v_max_f32_e32 v82, v82, v82
	s_waitcnt lgkmcnt(4)
	v_max_f32_e32 v84, v84, v84
	v_max_f32_e32 v86, v86, v86
	;; [unrolled: 3-line block ×5, first 2 shown]
	v_max_f32_e32 v81, v81, v81
	v_max_f32_e32 v83, v83, v83
	;; [unrolled: 1-line block ×3, first 2 shown]
	v_min_f32_e32 v96, v80, v76
	v_max_f32_e32 v87, v87, v87
	v_min_f32_e32 v104, v81, v97
	v_max_f32_e32 v89, v89, v89
	v_max_f32_e32 v91, v91, v91
	v_add_f32_e32 v68, v68, v96
	v_min_f32_e32 v96, v82, v76
	v_add_f32_e32 v69, v69, v104
	v_min_f32_e32 v104, v83, v97
	v_max_f32_e32 v93, v93, v93
	v_add_f32_e32 v6, v6, v96
	v_min_f32_e32 v96, v84, v76
	v_add_f32_e32 v7, v7, v104
	v_min_f32_e32 v104, v85, v97
	;; [unrolled: 2-line block ×11, first 2 shown]
	v_max_f32_e32 v76, v95, v95
	v_add_f32_e32 v17, v17, v104
	v_add_f32_e32 v66, v66, v96
	v_min_f32_e32 v95, v76, v97
	v_max_f32_e32 v97, v99, v99
	v_add_f32_e32 v67, v67, v95
	v_max_f32_e32 v95, v98, v98
	v_min_f32_e32 v98, v81, v97
	v_min_f32_e32 v96, v80, v95
	v_add_f32_e32 v65, v65, v98
	v_min_f32_e32 v98, v83, v97
	v_add_f32_e32 v64, v64, v96
	;; [unrolled: 2-line block ×12, first 2 shown]
	v_min_f32_e32 v96, v92, v95
	v_min_f32_e32 v95, v94, v95
	v_add_f32_e32 v53, v53, v98
	v_add_f32_e32 v52, v52, v96
	v_min_f32_e32 v96, v76, v97
	v_add_f32_e32 v50, v50, v95
	s_waitcnt lgkmcnt(0)
	v_max_f32_e32 v95, v100, v100
	v_max_f32_e32 v97, v101, v101
	v_add_f32_e32 v51, v51, v96
	v_min_f32_e32 v96, v80, v95
	v_min_f32_e32 v98, v81, v97
	v_add_f32_e32 v48, v48, v96
	v_min_f32_e32 v96, v82, v95
	v_add_f32_e32 v49, v49, v98
	;; [unrolled: 2-line block ×11, first 2 shown]
	v_min_f32_e32 v96, v92, v95
	v_min_f32_e32 v95, v94, v95
	v_add_f32_e32 v39, v39, v98
	v_min_f32_e32 v98, v93, v97
	v_add_f32_e32 v36, v36, v96
	;; [unrolled: 2-line block ×3, first 2 shown]
	v_max_f32_e32 v95, v102, v102
	v_add_f32_e32 v37, v37, v98
	v_add_f32_e32 v35, v35, v96
	v_max_f32_e32 v96, v103, v103
	v_min_f32_e32 v80, v80, v95
	v_min_f32_e32 v81, v81, v96
	v_add_f32_e32 v32, v32, v80
	v_min_f32_e32 v80, v82, v95
	v_min_f32_e32 v76, v76, v96
	v_add_f32_e32 v33, v33, v81
	v_min_f32_e32 v81, v83, v96
	v_add_f32_e32 v30, v30, v80
	;; [unrolled: 2-line block ×3, first 2 shown]
	v_add_f32_e32 v31, v31, v81
	v_min_f32_e32 v81, v85, v96
	v_add_f32_e32 v28, v28, v80
	v_min_f32_e32 v80, v86, v95
	;; [unrolled: 2-line block ×10, first 2 shown]
	v_add_f32_e32 v21, v21, v81
	v_add_f32_e32 v18, v18, v80
	s_cbranch_vccz .LBB95_20
; %bb.21:
	v_lshlrev_b32_e32 v76, 2, v70
	s_cmp_lt_i32 s14, 9
	v_lshl_add_u32 v80, v75, 4, v76
	v_lshl_add_u32 v75, v0, 4, 0x1400
	;; [unrolled: 1-line block ×3, first 2 shown]
	ds_write_b32 v80, v77 offset:5120
	ds_write2st64_b32 v80, v79, v78 offset0:8 offset1:12
	s_waitcnt lgkmcnt(0)
	s_barrier
	buffer_gl0_inv
	s_cbranch_scc1 .LBB95_40
; %bb.22:
	v_lshlrev_b64 v[81:82], 2, v[2:3]
	v_lshlrev_b64 v[2:3], 2, v[4:5]
	v_add_nc_u32_e32 v77, 0x1400, v80
	v_or_b32_e32 v78, 0x800, v80
	s_mov_b32 s29, 0
	v_add_co_u32 v4, vcc_lo, s20, v81
	v_add_co_ci_u32_e64 v5, null, s21, v82, vcc_lo
	s_add_i32 s20, s14, -8
	s_mov_b32 s21, 8
.LBB95_23:                              ; =>This Loop Header: Depth=1
                                        ;     Child Loop BB95_30 Depth 2
                                        ;     Child Loop BB95_38 Depth 2
	v_add_nc_u32_e32 v81, s21, v70
	v_mov_b32_e32 v79, 0
	v_mov_b32_e32 v80, 0
	v_cmp_gt_i32_e32 vcc_lo, s14, v81
	s_and_b32 s3, s0, vcc_lo
	s_and_b32 s30, s24, s3
	s_and_saveexec_b32 s3, s30
	s_cbranch_execz .LBB95_25
; %bb.24:                               ;   in Loop: Header=BB95_23 Depth=1
	v_mad_u64_u32 v[82:83], null, v81, s9, 0
	v_mov_b32_e32 v80, v83
	v_mad_u64_u32 v[83:84], null, v81, s25, v[80:81]
	v_lshlrev_b64 v[82:83], 2, v[82:83]
	v_add_co_u32 v82, vcc_lo, v4, v82
	v_add_co_ci_u32_e64 v83, null, v5, v83, vcc_lo
	global_load_dword v80, v[82:83], off
	s_waitcnt vmcnt(0)
	v_mul_f32_e32 v80, s15, v80
.LBB95_25:                              ;   in Loop: Header=BB95_23 Depth=1
	s_or_b32 exec_lo, exec_lo, s3
	v_min_i32_e32 v82, s27, v81
	v_cmp_le_i32_e32 vcc_lo, s14, v81
	v_mad_i64_i32 v[82:83], null, v82, s26, 0
	v_lshlrev_b64 v[82:83], 2, v[82:83]
	v_add_co_u32 v82, s3, s18, v82
	v_add_co_ci_u32_e64 v83, null, s19, v83, s3
	s_or_b32 s3, s1, vcc_lo
	s_nor_b32 s3, s3, s28
	s_and_saveexec_b32 s30, s3
	s_cbranch_execz .LBB95_27
; %bb.26:                               ;   in Loop: Header=BB95_23 Depth=1
	v_add_co_u32 v84, s3, v82, v2
	v_add_co_ci_u32_e64 v85, null, v83, v3, s3
	global_load_dword v79, v[84:85], off
	s_waitcnt vmcnt(0)
	v_mul_f32_e32 v79, s15, v79
.LBB95_27:                              ;   in Loop: Header=BB95_23 Depth=1
	s_or_b32 exec_lo, exec_lo, s30
	v_mov_b32_e32 v81, 0
	s_or_b32 s3, s2, vcc_lo
	s_nor_b32 s30, s3, s28
	s_and_saveexec_b32 s3, s30
	s_cbranch_execz .LBB95_29
; %bb.28:                               ;   in Loop: Header=BB95_23 Depth=1
	v_add_co_u32 v81, vcc_lo, v82, v2
	v_add_co_ci_u32_e64 v82, null, v83, v3, vcc_lo
	global_load_dword v81, v[81:82], off offset:256
	s_waitcnt vmcnt(0)
	v_mul_f32_e32 v81, s15, v81
.LBB95_29:                              ;   in Loop: Header=BB95_23 Depth=1
	s_or_b32 exec_lo, exec_lo, s3
	s_mov_b32 s30, 0
	s_mov_b32 s3, -1
.LBB95_30:                              ;   Parent Loop BB95_23 Depth=1
                                        ; =>  This Inner Loop Header: Depth=2
	s_lshl_b32 s30, s30, 2
	s_andn2_b32 vcc_lo, exec_lo, s3
	v_add_nc_u32_e32 v94, s30, v75
	v_add_nc_u32_e32 v102, s30, v76
	s_mov_b32 s3, 0
	s_mov_b32 s30, 2
	ds_read2_b64 v[82:85], v94 offset1:16
	ds_read2_b64 v[86:89], v94 offset0:32 offset1:48
	ds_read2_b64 v[90:93], v94 offset0:64 offset1:80
	;; [unrolled: 1-line block ×3, first 2 shown]
	ds_read2st64_b64 v[98:101], v102 offset1:1
	ds_read2st64_b64 v[102:105], v102 offset0:2 offset1:3
	s_waitcnt lgkmcnt(5)
	v_max_f32_e32 v82, v82, v82
	v_max_f32_e32 v83, v83, v83
	;; [unrolled: 1-line block ×3, first 2 shown]
	s_waitcnt lgkmcnt(1)
	v_max_f32_e32 v98, v98, v98
	v_max_f32_e32 v99, v99, v99
	;; [unrolled: 1-line block ×5, first 2 shown]
	v_min_f32_e32 v106, v82, v98
	v_min_f32_e32 v107, v83, v99
	v_max_f32_e32 v88, v88, v88
	v_max_f32_e32 v89, v89, v89
	v_max_f32_e32 v90, v90, v90
	v_add_f32_e32 v68, v68, v106
	v_min_f32_e32 v106, v84, v98
	v_add_f32_e32 v69, v69, v107
	v_min_f32_e32 v107, v85, v99
	v_max_f32_e32 v91, v91, v91
	v_max_f32_e32 v92, v92, v92
	v_add_f32_e32 v6, v6, v106
	v_min_f32_e32 v106, v86, v98
	v_add_f32_e32 v7, v7, v107
	v_min_f32_e32 v107, v87, v99
	v_max_f32_e32 v93, v93, v93
	v_max_f32_e32 v94, v94, v94
	;; [unrolled: 6-line block ×3, first 2 shown]
	v_add_f32_e32 v10, v10, v106
	v_min_f32_e32 v106, v90, v98
	v_add_f32_e32 v11, v11, v107
	v_min_f32_e32 v107, v91, v99
	v_max_f32_e32 v97, v97, v97
	v_add_f32_e32 v12, v12, v106
	v_min_f32_e32 v106, v92, v98
	v_add_f32_e32 v13, v13, v107
	v_min_f32_e32 v107, v93, v99
	;; [unrolled: 2-line block ×3, first 2 shown]
	v_min_f32_e32 v98, v96, v98
	v_add_f32_e32 v15, v15, v107
	v_min_f32_e32 v107, v95, v99
	v_min_f32_e32 v99, v97, v99
	v_add_f32_e32 v16, v16, v106
	v_add_f32_e32 v66, v66, v98
	v_max_f32_e32 v98, v100, v100
	v_max_f32_e32 v100, v101, v101
	v_add_f32_e32 v67, v67, v99
	v_add_f32_e32 v17, v17, v107
	v_min_f32_e32 v99, v82, v98
	v_min_f32_e32 v101, v83, v100
	v_add_f32_e32 v64, v64, v99
	v_min_f32_e32 v99, v84, v98
	v_add_f32_e32 v65, v65, v101
	;; [unrolled: 2-line block ×11, first 2 shown]
	v_min_f32_e32 v99, v94, v98
	v_min_f32_e32 v98, v96, v98
	v_add_f32_e32 v55, v55, v101
	v_min_f32_e32 v101, v95, v100
	v_add_f32_e32 v52, v52, v99
	;; [unrolled: 2-line block ×3, first 2 shown]
	s_waitcnt lgkmcnt(0)
	v_max_f32_e32 v98, v102, v102
	v_max_f32_e32 v100, v103, v103
	v_add_f32_e32 v53, v53, v101
	v_add_f32_e32 v51, v51, v99
	v_min_f32_e32 v99, v82, v98
	v_min_f32_e32 v101, v83, v100
	v_add_f32_e32 v48, v48, v99
	v_min_f32_e32 v99, v84, v98
	v_add_f32_e32 v49, v49, v101
	;; [unrolled: 2-line block ×11, first 2 shown]
	v_min_f32_e32 v99, v94, v98
	v_min_f32_e32 v98, v96, v98
	v_add_f32_e32 v39, v39, v101
	v_min_f32_e32 v101, v95, v100
	v_add_f32_e32 v36, v36, v99
	;; [unrolled: 2-line block ×3, first 2 shown]
	v_max_f32_e32 v98, v104, v104
	v_add_f32_e32 v37, v37, v101
	v_add_f32_e32 v35, v35, v99
	v_max_f32_e32 v99, v105, v105
	v_min_f32_e32 v82, v82, v98
	v_min_f32_e32 v83, v83, v99
	v_add_f32_e32 v32, v32, v82
	v_min_f32_e32 v82, v84, v98
	v_add_f32_e32 v33, v33, v83
	;; [unrolled: 2-line block ×15, first 2 shown]
	v_add_f32_e32 v19, v19, v83
	s_cbranch_vccz .LBB95_30
; %bb.31:                               ;   in Loop: Header=BB95_23 Depth=1
	v_add3_u32 v82, v70, s21, 4
	ds_write_b32 v74, v80
	ds_write2st64_b32 v71, v79, v81 offset1:4
	v_mov_b32_e32 v79, 0
	v_mov_b32_e32 v80, 0
	v_cmp_gt_i32_e32 vcc_lo, s14, v82
	s_waitcnt lgkmcnt(0)
	s_barrier
	buffer_gl0_inv
	s_and_b32 s3, s0, vcc_lo
	s_and_b32 s30, s24, s3
	s_and_saveexec_b32 s3, s30
	s_cbranch_execz .LBB95_33
; %bb.32:                               ;   in Loop: Header=BB95_23 Depth=1
	v_mad_u64_u32 v[80:81], null, v82, s9, 0
	v_mad_u64_u32 v[83:84], null, v82, s25, v[81:82]
	v_mov_b32_e32 v81, v83
	v_lshlrev_b64 v[80:81], 2, v[80:81]
	v_add_co_u32 v80, vcc_lo, v4, v80
	v_add_co_ci_u32_e64 v81, null, v5, v81, vcc_lo
	global_load_dword v80, v[80:81], off
	s_waitcnt vmcnt(0)
	v_mul_f32_e32 v80, s15, v80
.LBB95_33:                              ;   in Loop: Header=BB95_23 Depth=1
	s_or_b32 exec_lo, exec_lo, s3
	v_min_i32_e32 v81, s27, v82
	v_cmp_le_i32_e32 vcc_lo, s14, v82
	v_mad_i64_i32 v[83:84], null, v81, s26, 0
	v_lshlrev_b64 v[83:84], 2, v[83:84]
	v_add_co_u32 v82, s3, s18, v83
	v_add_co_ci_u32_e64 v83, null, s19, v84, s3
	s_or_b32 s3, s1, vcc_lo
	s_nor_b32 s3, s3, s28
	s_and_saveexec_b32 s30, s3
	s_cbranch_execz .LBB95_35
; %bb.34:                               ;   in Loop: Header=BB95_23 Depth=1
	v_add_co_u32 v84, s3, v82, v2
	v_add_co_ci_u32_e64 v85, null, v83, v3, s3
	global_load_dword v79, v[84:85], off
	s_waitcnt vmcnt(0)
	v_mul_f32_e32 v79, s15, v79
.LBB95_35:                              ;   in Loop: Header=BB95_23 Depth=1
	s_or_b32 exec_lo, exec_lo, s30
	v_mov_b32_e32 v81, 0
	s_or_b32 s3, s2, vcc_lo
	s_nor_b32 s30, s3, s28
	s_and_saveexec_b32 s3, s30
	s_cbranch_execz .LBB95_37
; %bb.36:                               ;   in Loop: Header=BB95_23 Depth=1
	v_add_co_u32 v81, vcc_lo, v82, v2
	v_add_co_ci_u32_e64 v82, null, v83, v3, vcc_lo
	global_load_dword v81, v[81:82], off offset:256
	s_waitcnt vmcnt(0)
	v_mul_f32_e32 v81, s15, v81
.LBB95_37:                              ;   in Loop: Header=BB95_23 Depth=1
	s_or_b32 exec_lo, exec_lo, s3
	s_mov_b32 s30, 0
	s_mov_b32 s3, -1
.LBB95_38:                              ;   Parent Loop BB95_23 Depth=1
                                        ; =>  This Inner Loop Header: Depth=2
	s_lshl_b32 s30, s30, 2
	s_andn2_b32 vcc_lo, exec_lo, s3
	v_add_nc_u32_e32 v94, s30, v72
	v_add_nc_u32_e32 v102, s30, v73
	s_mov_b32 s3, 0
	s_mov_b32 s30, 2
	ds_read2_b64 v[82:85], v94 offset1:16
	ds_read2_b64 v[86:89], v94 offset0:32 offset1:48
	ds_read2_b64 v[90:93], v94 offset0:64 offset1:80
	;; [unrolled: 1-line block ×3, first 2 shown]
	ds_read2st64_b64 v[98:101], v102 offset1:1
	ds_read2st64_b64 v[102:105], v102 offset0:2 offset1:3
	s_waitcnt lgkmcnt(5)
	v_max_f32_e32 v82, v82, v82
	v_max_f32_e32 v83, v83, v83
	;; [unrolled: 1-line block ×3, first 2 shown]
	s_waitcnt lgkmcnt(1)
	v_max_f32_e32 v98, v98, v98
	v_max_f32_e32 v99, v99, v99
	;; [unrolled: 1-line block ×5, first 2 shown]
	v_min_f32_e32 v106, v82, v98
	v_min_f32_e32 v107, v83, v99
	v_max_f32_e32 v88, v88, v88
	v_max_f32_e32 v89, v89, v89
	;; [unrolled: 1-line block ×3, first 2 shown]
	v_add_f32_e32 v68, v68, v106
	v_min_f32_e32 v106, v84, v98
	v_add_f32_e32 v69, v69, v107
	v_min_f32_e32 v107, v85, v99
	v_max_f32_e32 v91, v91, v91
	v_max_f32_e32 v92, v92, v92
	v_add_f32_e32 v6, v6, v106
	v_min_f32_e32 v106, v86, v98
	v_add_f32_e32 v7, v7, v107
	v_min_f32_e32 v107, v87, v99
	v_max_f32_e32 v93, v93, v93
	v_max_f32_e32 v94, v94, v94
	;; [unrolled: 6-line block ×3, first 2 shown]
	v_add_f32_e32 v10, v10, v106
	v_min_f32_e32 v106, v90, v98
	v_add_f32_e32 v11, v11, v107
	v_min_f32_e32 v107, v91, v99
	v_max_f32_e32 v97, v97, v97
	v_add_f32_e32 v12, v12, v106
	v_min_f32_e32 v106, v92, v98
	v_add_f32_e32 v13, v13, v107
	v_min_f32_e32 v107, v93, v99
	;; [unrolled: 2-line block ×3, first 2 shown]
	v_min_f32_e32 v98, v96, v98
	v_add_f32_e32 v15, v15, v107
	v_min_f32_e32 v107, v95, v99
	v_min_f32_e32 v99, v97, v99
	v_add_f32_e32 v16, v16, v106
	v_add_f32_e32 v66, v66, v98
	v_max_f32_e32 v98, v100, v100
	v_max_f32_e32 v100, v101, v101
	v_add_f32_e32 v67, v67, v99
	v_add_f32_e32 v17, v17, v107
	v_min_f32_e32 v99, v82, v98
	v_min_f32_e32 v101, v83, v100
	v_add_f32_e32 v64, v64, v99
	v_min_f32_e32 v99, v84, v98
	v_add_f32_e32 v65, v65, v101
	;; [unrolled: 2-line block ×11, first 2 shown]
	v_min_f32_e32 v99, v94, v98
	v_min_f32_e32 v98, v96, v98
	v_add_f32_e32 v55, v55, v101
	v_min_f32_e32 v101, v95, v100
	v_add_f32_e32 v52, v52, v99
	;; [unrolled: 2-line block ×3, first 2 shown]
	s_waitcnt lgkmcnt(0)
	v_max_f32_e32 v98, v102, v102
	v_max_f32_e32 v100, v103, v103
	v_add_f32_e32 v53, v53, v101
	v_add_f32_e32 v51, v51, v99
	v_min_f32_e32 v99, v82, v98
	v_min_f32_e32 v101, v83, v100
	v_add_f32_e32 v48, v48, v99
	v_min_f32_e32 v99, v84, v98
	v_add_f32_e32 v49, v49, v101
	v_min_f32_e32 v101, v85, v100
	v_add_f32_e32 v46, v46, v99
	v_min_f32_e32 v99, v86, v98
	v_add_f32_e32 v47, v47, v101
	v_min_f32_e32 v101, v87, v100
	v_add_f32_e32 v44, v44, v99
	v_min_f32_e32 v99, v88, v98
	v_add_f32_e32 v45, v45, v101
	v_min_f32_e32 v101, v89, v100
	v_add_f32_e32 v42, v42, v99
	v_min_f32_e32 v99, v90, v98
	v_add_f32_e32 v43, v43, v101
	v_min_f32_e32 v101, v91, v100
	v_add_f32_e32 v40, v40, v99
	v_min_f32_e32 v99, v92, v98
	v_add_f32_e32 v41, v41, v101
	v_min_f32_e32 v101, v93, v100
	v_add_f32_e32 v38, v38, v99
	v_min_f32_e32 v99, v94, v98
	v_min_f32_e32 v98, v96, v98
	v_add_f32_e32 v39, v39, v101
	v_min_f32_e32 v101, v95, v100
	v_add_f32_e32 v36, v36, v99
	;; [unrolled: 2-line block ×3, first 2 shown]
	v_max_f32_e32 v98, v104, v104
	v_add_f32_e32 v37, v37, v101
	v_add_f32_e32 v35, v35, v99
	v_max_f32_e32 v99, v105, v105
	v_min_f32_e32 v82, v82, v98
	v_min_f32_e32 v83, v83, v99
	v_add_f32_e32 v32, v32, v82
	v_min_f32_e32 v82, v84, v98
	v_add_f32_e32 v33, v33, v83
	;; [unrolled: 2-line block ×15, first 2 shown]
	v_add_f32_e32 v19, v19, v83
	s_cbranch_vccz .LBB95_38
; %bb.39:                               ;   in Loop: Header=BB95_23 Depth=1
	s_add_i32 s29, s29, 8
	s_add_i32 s21, s21, 8
	s_cmp_ge_i32 s29, s20
	ds_write_b32 v77, v80
	ds_write2st64_b32 v78, v79, v81 offset1:4
	s_waitcnt lgkmcnt(0)
	s_barrier
	buffer_gl0_inv
	s_cbranch_scc0 .LBB95_23
.LBB95_40:
	s_mov_b32 s1, 0
	s_mov_b32 s0, -1
.LBB95_41:                              ; =>This Inner Loop Header: Depth=1
	s_lshl_b32 s1, s1, 2
	s_andn2_b32 vcc_lo, exec_lo, s0
	v_add_nc_u32_e32 v74, s1, v75
	s_mov_b32 s0, 0
	ds_read2_b64 v[2:5], v74 offset1:16
	ds_read2_b64 v[70:73], v74 offset0:32 offset1:48
	ds_read2_b64 v[77:80], v74 offset0:64 offset1:80
	;; [unrolled: 1-line block ×3, first 2 shown]
	v_add_nc_u32_e32 v74, s1, v76
	s_mov_b32 s1, 2
	ds_read2st64_b64 v[85:88], v74 offset1:1
	ds_read2st64_b64 v[89:92], v74 offset0:2 offset1:3
	s_waitcnt lgkmcnt(5)
	v_max_f32_e32 v2, v2, v2
	v_max_f32_e32 v4, v4, v4
	s_waitcnt lgkmcnt(4)
	v_max_f32_e32 v70, v70, v70
	v_max_f32_e32 v72, v72, v72
	;; [unrolled: 3-line block ×5, first 2 shown]
	v_max_f32_e32 v84, v84, v84
	v_max_f32_e32 v3, v3, v3
	;; [unrolled: 1-line block ×3, first 2 shown]
	v_min_f32_e32 v85, v2, v74
	v_max_f32_e32 v71, v71, v71
	v_max_f32_e32 v73, v73, v73
	v_min_f32_e32 v93, v3, v86
	v_max_f32_e32 v78, v78, v78
	v_add_f32_e32 v68, v68, v85
	v_min_f32_e32 v85, v4, v74
	v_max_f32_e32 v80, v80, v80
	v_add_f32_e32 v69, v69, v93
	;; [unrolled: 3-line block ×3, first 2 shown]
	v_min_f32_e32 v85, v70, v74
	v_add_f32_e32 v7, v7, v93
	v_min_f32_e32 v93, v71, v86
	v_add_f32_e32 v8, v8, v85
	;; [unrolled: 2-line block ×8, first 2 shown]
	v_min_f32_e32 v85, v81, v74
	v_min_f32_e32 v74, v83, v74
	v_add_f32_e32 v15, v15, v93
	v_min_f32_e32 v93, v82, v86
	v_add_f32_e32 v16, v16, v85
	;; [unrolled: 2-line block ×3, first 2 shown]
	v_max_f32_e32 v74, v87, v87
	v_max_f32_e32 v86, v88, v88
	v_add_f32_e32 v17, v17, v93
	v_add_f32_e32 v67, v67, v85
	v_min_f32_e32 v85, v2, v74
	v_min_f32_e32 v87, v3, v86
	v_add_f32_e32 v64, v64, v85
	v_min_f32_e32 v85, v4, v74
	v_add_f32_e32 v65, v65, v87
	;; [unrolled: 2-line block ×11, first 2 shown]
	v_min_f32_e32 v85, v81, v74
	v_min_f32_e32 v74, v83, v74
	v_add_f32_e32 v55, v55, v87
	v_min_f32_e32 v87, v82, v86
	v_add_f32_e32 v52, v52, v85
	;; [unrolled: 2-line block ×3, first 2 shown]
	s_waitcnt lgkmcnt(0)
	v_max_f32_e32 v74, v89, v89
	v_max_f32_e32 v86, v90, v90
	v_add_f32_e32 v53, v53, v87
	v_add_f32_e32 v51, v51, v85
	v_min_f32_e32 v85, v2, v74
	v_min_f32_e32 v87, v3, v86
	v_add_f32_e32 v48, v48, v85
	v_min_f32_e32 v85, v4, v74
	v_add_f32_e32 v49, v49, v87
	v_min_f32_e32 v87, v5, v86
	v_add_f32_e32 v46, v46, v85
	v_min_f32_e32 v85, v70, v74
	v_add_f32_e32 v47, v47, v87
	v_min_f32_e32 v87, v71, v86
	v_add_f32_e32 v44, v44, v85
	v_min_f32_e32 v85, v72, v74
	v_add_f32_e32 v45, v45, v87
	v_min_f32_e32 v87, v73, v86
	v_add_f32_e32 v42, v42, v85
	v_min_f32_e32 v85, v77, v74
	v_add_f32_e32 v43, v43, v87
	v_min_f32_e32 v87, v78, v86
	v_add_f32_e32 v40, v40, v85
	v_min_f32_e32 v85, v79, v74
	v_add_f32_e32 v41, v41, v87
	v_min_f32_e32 v87, v80, v86
	v_add_f32_e32 v38, v38, v85
	v_min_f32_e32 v85, v81, v74
	v_min_f32_e32 v74, v83, v74
	v_add_f32_e32 v39, v39, v87
	v_min_f32_e32 v87, v82, v86
	v_add_f32_e32 v36, v36, v85
	;; [unrolled: 2-line block ×3, first 2 shown]
	v_max_f32_e32 v74, v91, v91
	v_add_f32_e32 v37, v37, v87
	v_add_f32_e32 v35, v35, v85
	v_max_f32_e32 v85, v92, v92
	v_min_f32_e32 v2, v2, v74
	v_min_f32_e32 v3, v3, v85
	v_add_f32_e32 v32, v32, v2
	v_min_f32_e32 v2, v4, v74
	v_add_f32_e32 v33, v33, v3
	;; [unrolled: 2-line block ×15, first 2 shown]
	v_add_f32_e32 v19, v19, v3
	s_cbranch_vccz .LBB95_41
; %bb.42:
	s_clause 0x2
	s_load_dwordx2 s[0:1], s[4:5], 0x70
	s_load_dword s14, s[4:5], 0x50
	s_load_dword s9, s[4:5], 0x68
	v_add_nc_u32_e32 v71, s8, v1
	v_add_nc_u32_e32 v0, s6, v0
	v_cndmask_b32_e64 v70, 0, 1, s23
	v_cmp_gt_i32_e64 s8, s13, v71
	s_waitcnt lgkmcnt(0)
	s_mul_i32 s1, s1, s7
	v_mad_i64_i32 v[1:2], null, v71, s14, 0
	v_mad_i64_i32 v[3:4], null, v71, s9, 0
	s_mul_hi_u32 s3, s0, s7
	s_mul_i32 s2, s0, s7
	s_add_i32 s3, s3, s1
	v_cmp_gt_i32_e64 s0, s12, v0
	v_lshlrev_b64 v[72:73], 2, v[1:2]
	s_lshl_b64 s[2:3], s[2:3], 2
	v_lshlrev_b64 v[2:3], 2, v[3:4]
	s_add_u32 s10, s10, s2
	s_addc_u32 s11, s11, s3
	v_ashrrev_i32_e32 v1, 31, v0
	v_add_co_u32 v74, vcc_lo, s16, v72
	v_add_co_ci_u32_e64 v75, null, s17, v73, vcc_lo
	v_add_co_u32 v72, vcc_lo, s10, v2
	v_add_co_ci_u32_e64 v73, null, s11, v3, vcc_lo
	s_and_b32 s2, s0, s8
	s_and_saveexec_b32 s1, s2
	s_cbranch_execz .LBB95_48
; %bb.43:
	v_lshlrev_b64 v[2:3], 2, v[0:1]
	s_andn2_b32 vcc_lo, exec_lo, s23
	s_cbranch_vccnz .LBB95_46
; %bb.44:
	v_add_co_u32 v4, vcc_lo, v74, v2
	v_add_co_ci_u32_e64 v5, null, v75, v3, vcc_lo
	global_load_dword v4, v[4:5], off
	s_waitcnt vmcnt(0)
	v_mul_f32_e32 v4, s22, v4
	s_branch .LBB95_47
.LBB95_45:
	s_mov_b64 s[20:21], 0
	s_andn2_b32 vcc_lo, exec_lo, s8
	s_mov_b32 s0, -1
	s_cbranch_vccz .LBB95_2
	s_branch .LBB95_3
.LBB95_46:
	v_mov_b32_e32 v4, 0
.LBB95_47:
	v_add_f32_e32 v5, v68, v69
	v_add_co_u32 v2, vcc_lo, v72, v2
	v_add_co_ci_u32_e64 v3, null, v73, v3, vcc_lo
	v_add_f32_e32 v4, v5, v4
	global_store_dword v[2:3], v4, off
.LBB95_48:
	s_or_b32 exec_lo, exec_lo, s1
	v_add_nc_u32_e32 v2, 8, v0
	v_cmp_gt_i32_e64 s1, s12, v2
	v_ashrrev_i32_e32 v3, 31, v2
	s_and_b32 s3, s1, s8
	s_and_saveexec_b32 s2, s3
	s_cbranch_execz .LBB95_53
; %bb.49:
	v_cmp_ne_u32_e32 vcc_lo, 1, v70
	v_lshlrev_b64 v[4:5], 2, v[2:3]
	s_cbranch_vccnz .LBB95_51
; %bb.50:
	v_add_co_u32 v68, vcc_lo, v74, v4
	v_add_co_ci_u32_e64 v69, null, v75, v5, vcc_lo
	global_load_dword v68, v[68:69], off
	s_waitcnt vmcnt(0)
	v_mul_f32_e32 v68, s22, v68
	s_branch .LBB95_52
.LBB95_51:
	v_mov_b32_e32 v68, 0
.LBB95_52:
	v_add_f32_e32 v6, v6, v7
	v_add_co_u32 v4, vcc_lo, v72, v4
	v_add_co_ci_u32_e64 v5, null, v73, v5, vcc_lo
	v_add_f32_e32 v6, v6, v68
	global_store_dword v[4:5], v6, off
.LBB95_53:
	s_or_b32 exec_lo, exec_lo, s2
	v_add_nc_u32_e32 v4, 16, v0
	v_cmp_gt_i32_e64 s2, s12, v4
	v_ashrrev_i32_e32 v5, 31, v4
	s_and_b32 s4, s2, s8
	s_and_saveexec_b32 s3, s4
	s_cbranch_execz .LBB95_58
; %bb.54:
	v_cmp_ne_u32_e32 vcc_lo, 1, v70
	v_lshlrev_b64 v[6:7], 2, v[4:5]
	s_cbranch_vccnz .LBB95_56
; %bb.55:
	v_add_co_u32 v68, vcc_lo, v74, v6
	v_add_co_ci_u32_e64 v69, null, v75, v7, vcc_lo
	global_load_dword v68, v[68:69], off
	s_waitcnt vmcnt(0)
	v_mul_f32_e32 v68, s22, v68
	s_branch .LBB95_57
.LBB95_56:
	v_mov_b32_e32 v68, 0
.LBB95_57:
	v_add_f32_e32 v8, v8, v9
	v_add_co_u32 v6, vcc_lo, v72, v6
	v_add_co_ci_u32_e64 v7, null, v73, v7, vcc_lo
	v_add_f32_e32 v8, v8, v68
	global_store_dword v[6:7], v8, off
.LBB95_58:
	;; [unrolled: 27-line block ×7, first 2 shown]
	s_or_b32 exec_lo, exec_lo, s8
	v_add_nc_u32_e32 v68, 32, v71
	v_mad_i64_i32 v[16:17], null, v68, s14, 0
	v_mad_i64_i32 v[66:67], null, v68, s9, 0
	v_cmp_gt_i32_e64 s8, s13, v68
	v_lshlrev_b64 v[16:17], 2, v[16:17]
	s_and_b32 s15, s0, s8
	v_lshlrev_b64 v[66:67], 2, v[66:67]
	v_add_co_u32 v68, vcc_lo, s16, v16
	v_add_co_ci_u32_e64 v69, null, s17, v17, vcc_lo
	v_add_co_u32 v66, vcc_lo, s10, v66
	v_add_co_ci_u32_e64 v67, null, s11, v67, vcc_lo
	s_and_saveexec_b32 s12, s15
	s_cbranch_execnz .LBB95_91
; %bb.84:
	s_or_b32 exec_lo, exec_lo, s12
	s_and_b32 s15, s1, s8
	s_and_saveexec_b32 s12, s15
	s_cbranch_execnz .LBB95_95
.LBB95_85:
	s_or_b32 exec_lo, exec_lo, s12
	s_and_b32 s15, s2, s8
	s_and_saveexec_b32 s12, s15
	s_cbranch_execnz .LBB95_99
.LBB95_86:
	s_or_b32 exec_lo, exec_lo, s12
	s_and_b32 s15, s3, s8
	s_and_saveexec_b32 s12, s15
	s_cbranch_execnz .LBB95_103
.LBB95_87:
	s_or_b32 exec_lo, exec_lo, s12
	s_and_b32 s15, s4, s8
	s_and_saveexec_b32 s12, s15
	s_cbranch_execnz .LBB95_107
.LBB95_88:
	s_or_b32 exec_lo, exec_lo, s12
	s_and_b32 s15, s5, s8
	s_and_saveexec_b32 s12, s15
	s_cbranch_execnz .LBB95_111
.LBB95_89:
	s_or_b32 exec_lo, exec_lo, s12
	s_and_b32 s15, s6, s8
	s_and_saveexec_b32 s12, s15
	s_cbranch_execnz .LBB95_115
.LBB95_90:
	s_or_b32 exec_lo, exec_lo, s12
	s_and_b32 s12, s7, s8
	s_and_saveexec_b32 s8, s12
	s_cbranch_execnz .LBB95_119
	s_branch .LBB95_123
.LBB95_91:
	v_cmp_ne_u32_e32 vcc_lo, 1, v70
	v_lshlrev_b64 v[16:17], 2, v[0:1]
	s_cbranch_vccnz .LBB95_93
; %bb.92:
	v_add_co_u32 v72, vcc_lo, v68, v16
	v_add_co_ci_u32_e64 v73, null, v69, v17, vcc_lo
	global_load_dword v72, v[72:73], off
	s_waitcnt vmcnt(0)
	v_mul_f32_e32 v72, s22, v72
	s_branch .LBB95_94
.LBB95_93:
	v_mov_b32_e32 v72, 0
.LBB95_94:
	v_add_f32_e32 v64, v64, v65
	v_add_co_u32 v16, vcc_lo, v66, v16
	v_add_co_ci_u32_e64 v17, null, v67, v17, vcc_lo
	v_add_f32_e32 v64, v64, v72
	global_store_dword v[16:17], v64, off
	s_or_b32 exec_lo, exec_lo, s12
	s_and_b32 s15, s1, s8
	s_and_saveexec_b32 s12, s15
	s_cbranch_execz .LBB95_85
.LBB95_95:
	v_cmp_ne_u32_e32 vcc_lo, 1, v70
	v_lshlrev_b64 v[16:17], 2, v[2:3]
	s_cbranch_vccnz .LBB95_97
; %bb.96:
	v_add_co_u32 v64, vcc_lo, v68, v16
	v_add_co_ci_u32_e64 v65, null, v69, v17, vcc_lo
	global_load_dword v64, v[64:65], off
	s_waitcnt vmcnt(0)
	v_mul_f32_e32 v64, s22, v64
	s_branch .LBB95_98
.LBB95_97:
	v_mov_b32_e32 v64, 0
.LBB95_98:
	v_add_f32_e32 v62, v62, v63
	v_add_co_u32 v16, vcc_lo, v66, v16
	v_add_co_ci_u32_e64 v17, null, v67, v17, vcc_lo
	v_add_f32_e32 v62, v62, v64
	global_store_dword v[16:17], v62, off
	s_or_b32 exec_lo, exec_lo, s12
	s_and_b32 s15, s2, s8
	s_and_saveexec_b32 s12, s15
	s_cbranch_execz .LBB95_86
.LBB95_99:
	v_cmp_ne_u32_e32 vcc_lo, 1, v70
	v_lshlrev_b64 v[16:17], 2, v[4:5]
	s_cbranch_vccnz .LBB95_101
; %bb.100:
	v_add_co_u32 v62, vcc_lo, v68, v16
	v_add_co_ci_u32_e64 v63, null, v69, v17, vcc_lo
	global_load_dword v62, v[62:63], off
	s_waitcnt vmcnt(0)
	v_mul_f32_e32 v62, s22, v62
	s_branch .LBB95_102
.LBB95_101:
	v_mov_b32_e32 v62, 0
.LBB95_102:
	v_add_f32_e32 v60, v60, v61
	v_add_co_u32 v16, vcc_lo, v66, v16
	v_add_co_ci_u32_e64 v17, null, v67, v17, vcc_lo
	v_add_f32_e32 v60, v60, v62
	global_store_dword v[16:17], v60, off
	s_or_b32 exec_lo, exec_lo, s12
	s_and_b32 s15, s3, s8
	s_and_saveexec_b32 s12, s15
	s_cbranch_execz .LBB95_87
.LBB95_103:
	v_cmp_ne_u32_e32 vcc_lo, 1, v70
	v_lshlrev_b64 v[16:17], 2, v[6:7]
	s_cbranch_vccnz .LBB95_105
; %bb.104:
	v_add_co_u32 v60, vcc_lo, v68, v16
	v_add_co_ci_u32_e64 v61, null, v69, v17, vcc_lo
	global_load_dword v60, v[60:61], off
	s_waitcnt vmcnt(0)
	v_mul_f32_e32 v60, s22, v60
	s_branch .LBB95_106
.LBB95_105:
	v_mov_b32_e32 v60, 0
.LBB95_106:
	v_add_f32_e32 v58, v58, v59
	v_add_co_u32 v16, vcc_lo, v66, v16
	v_add_co_ci_u32_e64 v17, null, v67, v17, vcc_lo
	v_add_f32_e32 v58, v58, v60
	global_store_dword v[16:17], v58, off
	s_or_b32 exec_lo, exec_lo, s12
	s_and_b32 s15, s4, s8
	s_and_saveexec_b32 s12, s15
	s_cbranch_execz .LBB95_88
.LBB95_107:
	v_cmp_ne_u32_e32 vcc_lo, 1, v70
	v_lshlrev_b64 v[16:17], 2, v[8:9]
	s_cbranch_vccnz .LBB95_109
; %bb.108:
	v_add_co_u32 v58, vcc_lo, v68, v16
	v_add_co_ci_u32_e64 v59, null, v69, v17, vcc_lo
	global_load_dword v58, v[58:59], off
	s_waitcnt vmcnt(0)
	v_mul_f32_e32 v58, s22, v58
	s_branch .LBB95_110
.LBB95_109:
	v_mov_b32_e32 v58, 0
.LBB95_110:
	v_add_f32_e32 v56, v56, v57
	v_add_co_u32 v16, vcc_lo, v66, v16
	v_add_co_ci_u32_e64 v17, null, v67, v17, vcc_lo
	v_add_f32_e32 v56, v56, v58
	global_store_dword v[16:17], v56, off
	s_or_b32 exec_lo, exec_lo, s12
	s_and_b32 s15, s5, s8
	s_and_saveexec_b32 s12, s15
	s_cbranch_execz .LBB95_89
.LBB95_111:
	v_cmp_ne_u32_e32 vcc_lo, 1, v70
	v_lshlrev_b64 v[16:17], 2, v[10:11]
	s_cbranch_vccnz .LBB95_113
; %bb.112:
	v_add_co_u32 v56, vcc_lo, v68, v16
	v_add_co_ci_u32_e64 v57, null, v69, v17, vcc_lo
	global_load_dword v56, v[56:57], off
	s_waitcnt vmcnt(0)
	v_mul_f32_e32 v56, s22, v56
	s_branch .LBB95_114
.LBB95_113:
	v_mov_b32_e32 v56, 0
.LBB95_114:
	v_add_f32_e32 v54, v54, v55
	v_add_co_u32 v16, vcc_lo, v66, v16
	v_add_co_ci_u32_e64 v17, null, v67, v17, vcc_lo
	v_add_f32_e32 v54, v54, v56
	global_store_dword v[16:17], v54, off
	s_or_b32 exec_lo, exec_lo, s12
	s_and_b32 s15, s6, s8
	s_and_saveexec_b32 s12, s15
	s_cbranch_execz .LBB95_90
.LBB95_115:
	v_cmp_ne_u32_e32 vcc_lo, 1, v70
	v_lshlrev_b64 v[16:17], 2, v[12:13]
	s_cbranch_vccnz .LBB95_117
; %bb.116:
	v_add_co_u32 v54, vcc_lo, v68, v16
	v_add_co_ci_u32_e64 v55, null, v69, v17, vcc_lo
	global_load_dword v54, v[54:55], off
	s_waitcnt vmcnt(0)
	v_mul_f32_e32 v54, s22, v54
	s_branch .LBB95_118
.LBB95_117:
	v_mov_b32_e32 v54, 0
.LBB95_118:
	v_add_f32_e32 v52, v52, v53
	v_add_co_u32 v16, vcc_lo, v66, v16
	v_add_co_ci_u32_e64 v17, null, v67, v17, vcc_lo
	v_add_f32_e32 v52, v52, v54
	global_store_dword v[16:17], v52, off
	s_or_b32 exec_lo, exec_lo, s12
	s_and_b32 s12, s7, s8
	s_and_saveexec_b32 s8, s12
	s_cbranch_execz .LBB95_123
.LBB95_119:
	v_cmp_ne_u32_e32 vcc_lo, 1, v70
	v_lshlrev_b64 v[16:17], 2, v[14:15]
	s_cbranch_vccnz .LBB95_121
; %bb.120:
	v_add_co_u32 v52, vcc_lo, v68, v16
	v_add_co_ci_u32_e64 v53, null, v69, v17, vcc_lo
	global_load_dword v52, v[52:53], off
	s_waitcnt vmcnt(0)
	v_mul_f32_e32 v52, s22, v52
	s_branch .LBB95_122
.LBB95_121:
	v_mov_b32_e32 v52, 0
.LBB95_122:
	v_add_f32_e32 v50, v50, v51
	v_add_co_u32 v16, vcc_lo, v66, v16
	v_add_co_ci_u32_e64 v17, null, v67, v17, vcc_lo
	v_add_f32_e32 v50, v50, v52
	global_store_dword v[16:17], v50, off
.LBB95_123:
	s_or_b32 exec_lo, exec_lo, s8
	v_add_nc_u32_e32 v52, 64, v71
	v_mad_i64_i32 v[16:17], null, v52, s14, 0
	v_mad_i64_i32 v[50:51], null, v52, s9, 0
	v_cmp_gt_i32_e64 s8, s13, v52
	v_lshlrev_b64 v[16:17], 2, v[16:17]
	s_and_b32 s15, s0, s8
	v_lshlrev_b64 v[50:51], 2, v[50:51]
	v_add_co_u32 v52, vcc_lo, s16, v16
	v_add_co_ci_u32_e64 v53, null, s17, v17, vcc_lo
	v_add_co_u32 v50, vcc_lo, s10, v50
	v_add_co_ci_u32_e64 v51, null, s11, v51, vcc_lo
	s_and_saveexec_b32 s12, s15
	s_cbranch_execnz .LBB95_131
; %bb.124:
	s_or_b32 exec_lo, exec_lo, s12
	s_and_b32 s15, s1, s8
	s_and_saveexec_b32 s12, s15
	s_cbranch_execnz .LBB95_135
.LBB95_125:
	s_or_b32 exec_lo, exec_lo, s12
	s_and_b32 s15, s2, s8
	s_and_saveexec_b32 s12, s15
	s_cbranch_execnz .LBB95_139
.LBB95_126:
	s_or_b32 exec_lo, exec_lo, s12
	s_and_b32 s15, s3, s8
	s_and_saveexec_b32 s12, s15
	s_cbranch_execnz .LBB95_143
.LBB95_127:
	s_or_b32 exec_lo, exec_lo, s12
	s_and_b32 s15, s4, s8
	s_and_saveexec_b32 s12, s15
	s_cbranch_execnz .LBB95_147
.LBB95_128:
	s_or_b32 exec_lo, exec_lo, s12
	s_and_b32 s15, s5, s8
	s_and_saveexec_b32 s12, s15
	s_cbranch_execnz .LBB95_151
.LBB95_129:
	s_or_b32 exec_lo, exec_lo, s12
	s_and_b32 s15, s6, s8
	s_and_saveexec_b32 s12, s15
	s_cbranch_execnz .LBB95_155
.LBB95_130:
	s_or_b32 exec_lo, exec_lo, s12
	s_and_b32 s12, s7, s8
	s_and_saveexec_b32 s8, s12
	s_cbranch_execnz .LBB95_159
	s_branch .LBB95_163
.LBB95_131:
	v_cmp_ne_u32_e32 vcc_lo, 1, v70
	v_lshlrev_b64 v[16:17], 2, v[0:1]
	s_cbranch_vccnz .LBB95_133
; %bb.132:
	v_add_co_u32 v54, vcc_lo, v52, v16
	v_add_co_ci_u32_e64 v55, null, v53, v17, vcc_lo
	global_load_dword v54, v[54:55], off
	s_waitcnt vmcnt(0)
	v_mul_f32_e32 v54, s22, v54
	s_branch .LBB95_134
.LBB95_133:
	v_mov_b32_e32 v54, 0
.LBB95_134:
	v_add_f32_e32 v48, v48, v49
	v_add_co_u32 v16, vcc_lo, v50, v16
	v_add_co_ci_u32_e64 v17, null, v51, v17, vcc_lo
	v_add_f32_e32 v48, v48, v54
	global_store_dword v[16:17], v48, off
	s_or_b32 exec_lo, exec_lo, s12
	s_and_b32 s15, s1, s8
	s_and_saveexec_b32 s12, s15
	s_cbranch_execz .LBB95_125
.LBB95_135:
	v_cmp_ne_u32_e32 vcc_lo, 1, v70
	v_lshlrev_b64 v[16:17], 2, v[2:3]
	s_cbranch_vccnz .LBB95_137
; %bb.136:
	v_add_co_u32 v48, vcc_lo, v52, v16
	v_add_co_ci_u32_e64 v49, null, v53, v17, vcc_lo
	global_load_dword v48, v[48:49], off
	s_waitcnt vmcnt(0)
	v_mul_f32_e32 v48, s22, v48
	s_branch .LBB95_138
.LBB95_137:
	v_mov_b32_e32 v48, 0
.LBB95_138:
	v_add_f32_e32 v46, v46, v47
	v_add_co_u32 v16, vcc_lo, v50, v16
	v_add_co_ci_u32_e64 v17, null, v51, v17, vcc_lo
	v_add_f32_e32 v46, v46, v48
	global_store_dword v[16:17], v46, off
	s_or_b32 exec_lo, exec_lo, s12
	s_and_b32 s15, s2, s8
	s_and_saveexec_b32 s12, s15
	s_cbranch_execz .LBB95_126
.LBB95_139:
	v_cmp_ne_u32_e32 vcc_lo, 1, v70
	v_lshlrev_b64 v[16:17], 2, v[4:5]
	s_cbranch_vccnz .LBB95_141
; %bb.140:
	v_add_co_u32 v46, vcc_lo, v52, v16
	v_add_co_ci_u32_e64 v47, null, v53, v17, vcc_lo
	global_load_dword v46, v[46:47], off
	s_waitcnt vmcnt(0)
	v_mul_f32_e32 v46, s22, v46
	s_branch .LBB95_142
.LBB95_141:
	v_mov_b32_e32 v46, 0
.LBB95_142:
	v_add_f32_e32 v44, v44, v45
	v_add_co_u32 v16, vcc_lo, v50, v16
	v_add_co_ci_u32_e64 v17, null, v51, v17, vcc_lo
	v_add_f32_e32 v44, v44, v46
	global_store_dword v[16:17], v44, off
	s_or_b32 exec_lo, exec_lo, s12
	s_and_b32 s15, s3, s8
	s_and_saveexec_b32 s12, s15
	s_cbranch_execz .LBB95_127
.LBB95_143:
	v_cmp_ne_u32_e32 vcc_lo, 1, v70
	v_lshlrev_b64 v[16:17], 2, v[6:7]
	s_cbranch_vccnz .LBB95_145
; %bb.144:
	v_add_co_u32 v44, vcc_lo, v52, v16
	v_add_co_ci_u32_e64 v45, null, v53, v17, vcc_lo
	global_load_dword v44, v[44:45], off
	s_waitcnt vmcnt(0)
	v_mul_f32_e32 v44, s22, v44
	s_branch .LBB95_146
.LBB95_145:
	v_mov_b32_e32 v44, 0
.LBB95_146:
	v_add_f32_e32 v42, v42, v43
	v_add_co_u32 v16, vcc_lo, v50, v16
	v_add_co_ci_u32_e64 v17, null, v51, v17, vcc_lo
	v_add_f32_e32 v42, v42, v44
	global_store_dword v[16:17], v42, off
	s_or_b32 exec_lo, exec_lo, s12
	s_and_b32 s15, s4, s8
	s_and_saveexec_b32 s12, s15
	s_cbranch_execz .LBB95_128
.LBB95_147:
	v_cmp_ne_u32_e32 vcc_lo, 1, v70
	v_lshlrev_b64 v[16:17], 2, v[8:9]
	s_cbranch_vccnz .LBB95_149
; %bb.148:
	v_add_co_u32 v42, vcc_lo, v52, v16
	v_add_co_ci_u32_e64 v43, null, v53, v17, vcc_lo
	global_load_dword v42, v[42:43], off
	s_waitcnt vmcnt(0)
	v_mul_f32_e32 v42, s22, v42
	s_branch .LBB95_150
.LBB95_149:
	v_mov_b32_e32 v42, 0
.LBB95_150:
	v_add_f32_e32 v40, v40, v41
	v_add_co_u32 v16, vcc_lo, v50, v16
	v_add_co_ci_u32_e64 v17, null, v51, v17, vcc_lo
	v_add_f32_e32 v40, v40, v42
	global_store_dword v[16:17], v40, off
	s_or_b32 exec_lo, exec_lo, s12
	s_and_b32 s15, s5, s8
	s_and_saveexec_b32 s12, s15
	s_cbranch_execz .LBB95_129
.LBB95_151:
	v_cmp_ne_u32_e32 vcc_lo, 1, v70
	v_lshlrev_b64 v[16:17], 2, v[10:11]
	s_cbranch_vccnz .LBB95_153
; %bb.152:
	v_add_co_u32 v40, vcc_lo, v52, v16
	v_add_co_ci_u32_e64 v41, null, v53, v17, vcc_lo
	global_load_dword v40, v[40:41], off
	s_waitcnt vmcnt(0)
	v_mul_f32_e32 v40, s22, v40
	s_branch .LBB95_154
.LBB95_153:
	v_mov_b32_e32 v40, 0
.LBB95_154:
	v_add_f32_e32 v38, v38, v39
	v_add_co_u32 v16, vcc_lo, v50, v16
	v_add_co_ci_u32_e64 v17, null, v51, v17, vcc_lo
	v_add_f32_e32 v38, v38, v40
	global_store_dword v[16:17], v38, off
	s_or_b32 exec_lo, exec_lo, s12
	s_and_b32 s15, s6, s8
	s_and_saveexec_b32 s12, s15
	s_cbranch_execz .LBB95_130
.LBB95_155:
	v_cmp_ne_u32_e32 vcc_lo, 1, v70
	v_lshlrev_b64 v[16:17], 2, v[12:13]
	s_cbranch_vccnz .LBB95_157
; %bb.156:
	v_add_co_u32 v38, vcc_lo, v52, v16
	v_add_co_ci_u32_e64 v39, null, v53, v17, vcc_lo
	global_load_dword v38, v[38:39], off
	s_waitcnt vmcnt(0)
	v_mul_f32_e32 v38, s22, v38
	s_branch .LBB95_158
.LBB95_157:
	v_mov_b32_e32 v38, 0
.LBB95_158:
	v_add_f32_e32 v36, v36, v37
	v_add_co_u32 v16, vcc_lo, v50, v16
	v_add_co_ci_u32_e64 v17, null, v51, v17, vcc_lo
	v_add_f32_e32 v36, v36, v38
	global_store_dword v[16:17], v36, off
	s_or_b32 exec_lo, exec_lo, s12
	s_and_b32 s12, s7, s8
	s_and_saveexec_b32 s8, s12
	s_cbranch_execz .LBB95_163
.LBB95_159:
	v_cmp_ne_u32_e32 vcc_lo, 1, v70
	v_lshlrev_b64 v[16:17], 2, v[14:15]
	s_cbranch_vccnz .LBB95_161
; %bb.160:
	v_add_co_u32 v36, vcc_lo, v52, v16
	v_add_co_ci_u32_e64 v37, null, v53, v17, vcc_lo
	global_load_dword v36, v[36:37], off
	s_waitcnt vmcnt(0)
	v_mul_f32_e32 v36, s22, v36
	s_branch .LBB95_162
.LBB95_161:
	v_mov_b32_e32 v36, 0
.LBB95_162:
	v_add_f32_e32 v34, v34, v35
	v_add_co_u32 v16, vcc_lo, v50, v16
	v_add_co_ci_u32_e64 v17, null, v51, v17, vcc_lo
	v_add_f32_e32 v34, v34, v36
	global_store_dword v[16:17], v34, off
.LBB95_163:
	s_or_b32 exec_lo, exec_lo, s8
	v_add_nc_u32_e32 v36, 0x60, v71
	v_mad_i64_i32 v[16:17], null, v36, s14, 0
	v_mad_i64_i32 v[34:35], null, v36, s9, 0
	v_cmp_gt_i32_e64 s8, s13, v36
	v_lshlrev_b64 v[16:17], 2, v[16:17]
	s_and_b32 s9, s0, s8
	v_lshlrev_b64 v[36:37], 2, v[34:35]
	v_add_co_u32 v34, vcc_lo, s16, v16
	v_add_co_ci_u32_e64 v35, null, s17, v17, vcc_lo
	v_add_co_u32 v16, vcc_lo, s10, v36
	v_add_co_ci_u32_e64 v17, null, s11, v37, vcc_lo
	s_and_saveexec_b32 s0, s9
	s_cbranch_execnz .LBB95_172
; %bb.164:
	s_or_b32 exec_lo, exec_lo, s0
	s_and_b32 s1, s1, s8
	s_and_saveexec_b32 s0, s1
	s_cbranch_execnz .LBB95_176
.LBB95_165:
	s_or_b32 exec_lo, exec_lo, s0
	s_and_b32 s1, s2, s8
	s_and_saveexec_b32 s0, s1
	s_cbranch_execnz .LBB95_180
.LBB95_166:
	s_or_b32 exec_lo, exec_lo, s0
	s_and_b32 s1, s3, s8
	s_and_saveexec_b32 s0, s1
	s_cbranch_execnz .LBB95_184
.LBB95_167:
	s_or_b32 exec_lo, exec_lo, s0
	s_and_b32 s1, s4, s8
	s_and_saveexec_b32 s0, s1
	s_cbranch_execnz .LBB95_188
.LBB95_168:
	s_or_b32 exec_lo, exec_lo, s0
	s_and_b32 s1, s5, s8
	s_and_saveexec_b32 s0, s1
	s_cbranch_execnz .LBB95_192
.LBB95_169:
	s_or_b32 exec_lo, exec_lo, s0
	s_and_b32 s1, s6, s8
	s_and_saveexec_b32 s0, s1
	s_cbranch_execnz .LBB95_196
.LBB95_170:
	s_or_b32 exec_lo, exec_lo, s0
	s_and_b32 s0, s7, s8
	s_and_saveexec_b32 s1, s0
	s_cbranch_execnz .LBB95_200
.LBB95_171:
	s_endpgm
.LBB95_172:
	v_cmp_ne_u32_e32 vcc_lo, 1, v70
	v_lshlrev_b64 v[0:1], 2, v[0:1]
	s_cbranch_vccnz .LBB95_174
; %bb.173:
	v_add_co_u32 v36, vcc_lo, v34, v0
	v_add_co_ci_u32_e64 v37, null, v35, v1, vcc_lo
	global_load_dword v36, v[36:37], off
	s_waitcnt vmcnt(0)
	v_mul_f32_e32 v36, s22, v36
	s_branch .LBB95_175
.LBB95_174:
	v_mov_b32_e32 v36, 0
.LBB95_175:
	v_add_f32_e32 v32, v32, v33
	v_add_co_u32 v0, vcc_lo, v16, v0
	v_add_co_ci_u32_e64 v1, null, v17, v1, vcc_lo
	v_add_f32_e32 v32, v32, v36
	global_store_dword v[0:1], v32, off
	s_or_b32 exec_lo, exec_lo, s0
	s_and_b32 s1, s1, s8
	s_and_saveexec_b32 s0, s1
	s_cbranch_execz .LBB95_165
.LBB95_176:
	v_cmp_ne_u32_e32 vcc_lo, 1, v70
	v_lshlrev_b64 v[0:1], 2, v[2:3]
	s_cbranch_vccnz .LBB95_178
; %bb.177:
	v_add_co_u32 v2, vcc_lo, v34, v0
	v_add_co_ci_u32_e64 v3, null, v35, v1, vcc_lo
	global_load_dword v2, v[2:3], off
	s_waitcnt vmcnt(0)
	v_mul_f32_e32 v2, s22, v2
	s_branch .LBB95_179
.LBB95_178:
	v_mov_b32_e32 v2, 0
.LBB95_179:
	v_add_f32_e32 v3, v30, v31
	v_add_co_u32 v0, vcc_lo, v16, v0
	v_add_co_ci_u32_e64 v1, null, v17, v1, vcc_lo
	v_add_f32_e32 v2, v3, v2
	global_store_dword v[0:1], v2, off
	s_or_b32 exec_lo, exec_lo, s0
	s_and_b32 s1, s2, s8
	s_and_saveexec_b32 s0, s1
	s_cbranch_execz .LBB95_166
.LBB95_180:
	v_cmp_ne_u32_e32 vcc_lo, 1, v70
	v_lshlrev_b64 v[0:1], 2, v[4:5]
	s_cbranch_vccnz .LBB95_182
; %bb.181:
	v_add_co_u32 v2, vcc_lo, v34, v0
	v_add_co_ci_u32_e64 v3, null, v35, v1, vcc_lo
	global_load_dword v2, v[2:3], off
	s_waitcnt vmcnt(0)
	v_mul_f32_e32 v2, s22, v2
	s_branch .LBB95_183
.LBB95_182:
	v_mov_b32_e32 v2, 0
.LBB95_183:
	v_add_f32_e32 v3, v28, v29
	v_add_co_u32 v0, vcc_lo, v16, v0
	v_add_co_ci_u32_e64 v1, null, v17, v1, vcc_lo
	v_add_f32_e32 v2, v3, v2
	global_store_dword v[0:1], v2, off
	s_or_b32 exec_lo, exec_lo, s0
	s_and_b32 s1, s3, s8
	s_and_saveexec_b32 s0, s1
	s_cbranch_execz .LBB95_167
.LBB95_184:
	v_cmp_ne_u32_e32 vcc_lo, 1, v70
	v_lshlrev_b64 v[0:1], 2, v[6:7]
	s_cbranch_vccnz .LBB95_186
; %bb.185:
	v_add_co_u32 v2, vcc_lo, v34, v0
	v_add_co_ci_u32_e64 v3, null, v35, v1, vcc_lo
	global_load_dword v2, v[2:3], off
	s_waitcnt vmcnt(0)
	v_mul_f32_e32 v2, s22, v2
	s_branch .LBB95_187
.LBB95_186:
	v_mov_b32_e32 v2, 0
.LBB95_187:
	v_add_f32_e32 v3, v26, v27
	v_add_co_u32 v0, vcc_lo, v16, v0
	v_add_co_ci_u32_e64 v1, null, v17, v1, vcc_lo
	v_add_f32_e32 v2, v3, v2
	global_store_dword v[0:1], v2, off
	s_or_b32 exec_lo, exec_lo, s0
	s_and_b32 s1, s4, s8
	s_and_saveexec_b32 s0, s1
	s_cbranch_execz .LBB95_168
.LBB95_188:
	v_cmp_ne_u32_e32 vcc_lo, 1, v70
	v_lshlrev_b64 v[0:1], 2, v[8:9]
	s_cbranch_vccnz .LBB95_190
; %bb.189:
	v_add_co_u32 v2, vcc_lo, v34, v0
	v_add_co_ci_u32_e64 v3, null, v35, v1, vcc_lo
	global_load_dword v2, v[2:3], off
	s_waitcnt vmcnt(0)
	v_mul_f32_e32 v2, s22, v2
	s_branch .LBB95_191
.LBB95_190:
	v_mov_b32_e32 v2, 0
.LBB95_191:
	v_add_f32_e32 v3, v24, v25
	v_add_co_u32 v0, vcc_lo, v16, v0
	v_add_co_ci_u32_e64 v1, null, v17, v1, vcc_lo
	v_add_f32_e32 v2, v3, v2
	global_store_dword v[0:1], v2, off
	s_or_b32 exec_lo, exec_lo, s0
	s_and_b32 s1, s5, s8
	s_and_saveexec_b32 s0, s1
	s_cbranch_execz .LBB95_169
.LBB95_192:
	v_cmp_ne_u32_e32 vcc_lo, 1, v70
	v_lshlrev_b64 v[0:1], 2, v[10:11]
	s_cbranch_vccnz .LBB95_194
; %bb.193:
	v_add_co_u32 v2, vcc_lo, v34, v0
	v_add_co_ci_u32_e64 v3, null, v35, v1, vcc_lo
	global_load_dword v2, v[2:3], off
	s_waitcnt vmcnt(0)
	v_mul_f32_e32 v2, s22, v2
	s_branch .LBB95_195
.LBB95_194:
	v_mov_b32_e32 v2, 0
.LBB95_195:
	v_add_f32_e32 v3, v22, v23
	v_add_co_u32 v0, vcc_lo, v16, v0
	v_add_co_ci_u32_e64 v1, null, v17, v1, vcc_lo
	v_add_f32_e32 v2, v3, v2
	global_store_dword v[0:1], v2, off
	s_or_b32 exec_lo, exec_lo, s0
	s_and_b32 s1, s6, s8
	s_and_saveexec_b32 s0, s1
	s_cbranch_execz .LBB95_170
.LBB95_196:
	v_cmp_ne_u32_e32 vcc_lo, 1, v70
	v_lshlrev_b64 v[0:1], 2, v[12:13]
	s_cbranch_vccnz .LBB95_198
; %bb.197:
	v_add_co_u32 v2, vcc_lo, v34, v0
	v_add_co_ci_u32_e64 v3, null, v35, v1, vcc_lo
	global_load_dword v2, v[2:3], off
	s_waitcnt vmcnt(0)
	v_mul_f32_e32 v2, s22, v2
	s_branch .LBB95_199
.LBB95_198:
	v_mov_b32_e32 v2, 0
.LBB95_199:
	v_add_f32_e32 v3, v20, v21
	v_add_co_u32 v0, vcc_lo, v16, v0
	v_add_co_ci_u32_e64 v1, null, v17, v1, vcc_lo
	v_add_f32_e32 v2, v3, v2
	global_store_dword v[0:1], v2, off
	s_or_b32 exec_lo, exec_lo, s0
	s_and_b32 s0, s7, s8
	s_and_saveexec_b32 s1, s0
	s_cbranch_execz .LBB95_171
.LBB95_200:
	v_cmp_ne_u32_e32 vcc_lo, 1, v70
	v_lshlrev_b64 v[0:1], 2, v[14:15]
	s_cbranch_vccnz .LBB95_202
; %bb.201:
	v_add_co_u32 v2, vcc_lo, v34, v0
	v_add_co_ci_u32_e64 v3, null, v35, v1, vcc_lo
	global_load_dword v2, v[2:3], off
	s_waitcnt vmcnt(0)
	v_mul_f32_e32 v2, s22, v2
	s_branch .LBB95_203
.LBB95_202:
	v_mov_b32_e32 v2, 0
.LBB95_203:
	v_add_f32_e32 v3, v18, v19
	v_add_co_u32 v0, vcc_lo, v16, v0
	v_add_co_ci_u32_e64 v1, null, v17, v1, vcc_lo
	v_add_f32_e32 v2, v3, v2
	global_store_dword v[0:1], v2, off
	s_endpgm
	.section	.rodata,"a",@progbits
	.p2align	6, 0x0
	.amdhsa_kernel _ZN12_GLOBAL__N_120geam_min_plus_kernelIf15HIP_vector_typeIfLj2EES2_Li8ELi32ELi64ELi128ELi4ELi64ELi4ELi64ELi4ELc78ELc84ELb0ELb1ELb0EfKffEEviiiT16_PT17_ilS6_ilS4_S6_ilPT18_ili26rocblas_geam_ex_operation_
		.amdhsa_group_segment_fixed_size 6144
		.amdhsa_private_segment_fixed_size 0
		.amdhsa_kernarg_size 128
		.amdhsa_user_sgpr_count 6
		.amdhsa_user_sgpr_private_segment_buffer 1
		.amdhsa_user_sgpr_dispatch_ptr 0
		.amdhsa_user_sgpr_queue_ptr 0
		.amdhsa_user_sgpr_kernarg_segment_ptr 1
		.amdhsa_user_sgpr_dispatch_id 0
		.amdhsa_user_sgpr_flat_scratch_init 0
		.amdhsa_user_sgpr_private_segment_size 0
		.amdhsa_wavefront_size32 1
		.amdhsa_uses_dynamic_stack 0
		.amdhsa_system_sgpr_private_segment_wavefront_offset 0
		.amdhsa_system_sgpr_workgroup_id_x 1
		.amdhsa_system_sgpr_workgroup_id_y 0
		.amdhsa_system_sgpr_workgroup_id_z 1
		.amdhsa_system_sgpr_workgroup_info 0
		.amdhsa_system_vgpr_workitem_id 1
		.amdhsa_next_free_vgpr 108
		.amdhsa_next_free_sgpr 31
		.amdhsa_reserve_vcc 1
		.amdhsa_reserve_flat_scratch 0
		.amdhsa_float_round_mode_32 0
		.amdhsa_float_round_mode_16_64 0
		.amdhsa_float_denorm_mode_32 3
		.amdhsa_float_denorm_mode_16_64 3
		.amdhsa_dx10_clamp 1
		.amdhsa_ieee_mode 1
		.amdhsa_fp16_overflow 0
		.amdhsa_workgroup_processor_mode 1
		.amdhsa_memory_ordered 1
		.amdhsa_forward_progress 1
		.amdhsa_shared_vgpr_count 0
		.amdhsa_exception_fp_ieee_invalid_op 0
		.amdhsa_exception_fp_denorm_src 0
		.amdhsa_exception_fp_ieee_div_zero 0
		.amdhsa_exception_fp_ieee_overflow 0
		.amdhsa_exception_fp_ieee_underflow 0
		.amdhsa_exception_fp_ieee_inexact 0
		.amdhsa_exception_int_div_zero 0
	.end_amdhsa_kernel
	.section	.text._ZN12_GLOBAL__N_120geam_min_plus_kernelIf15HIP_vector_typeIfLj2EES2_Li8ELi32ELi64ELi128ELi4ELi64ELi4ELi64ELi4ELc78ELc84ELb0ELb1ELb0EfKffEEviiiT16_PT17_ilS6_ilS4_S6_ilPT18_ili26rocblas_geam_ex_operation_,"axG",@progbits,_ZN12_GLOBAL__N_120geam_min_plus_kernelIf15HIP_vector_typeIfLj2EES2_Li8ELi32ELi64ELi128ELi4ELi64ELi4ELi64ELi4ELc78ELc84ELb0ELb1ELb0EfKffEEviiiT16_PT17_ilS6_ilS4_S6_ilPT18_ili26rocblas_geam_ex_operation_,comdat
.Lfunc_end95:
	.size	_ZN12_GLOBAL__N_120geam_min_plus_kernelIf15HIP_vector_typeIfLj2EES2_Li8ELi32ELi64ELi128ELi4ELi64ELi4ELi64ELi4ELc78ELc84ELb0ELb1ELb0EfKffEEviiiT16_PT17_ilS6_ilS4_S6_ilPT18_ili26rocblas_geam_ex_operation_, .Lfunc_end95-_ZN12_GLOBAL__N_120geam_min_plus_kernelIf15HIP_vector_typeIfLj2EES2_Li8ELi32ELi64ELi128ELi4ELi64ELi4ELi64ELi4ELc78ELc84ELb0ELb1ELb0EfKffEEviiiT16_PT17_ilS6_ilS4_S6_ilPT18_ili26rocblas_geam_ex_operation_
                                        ; -- End function
	.set _ZN12_GLOBAL__N_120geam_min_plus_kernelIf15HIP_vector_typeIfLj2EES2_Li8ELi32ELi64ELi128ELi4ELi64ELi4ELi64ELi4ELc78ELc84ELb0ELb1ELb0EfKffEEviiiT16_PT17_ilS6_ilS4_S6_ilPT18_ili26rocblas_geam_ex_operation_.num_vgpr, 108
	.set _ZN12_GLOBAL__N_120geam_min_plus_kernelIf15HIP_vector_typeIfLj2EES2_Li8ELi32ELi64ELi128ELi4ELi64ELi4ELi64ELi4ELc78ELc84ELb0ELb1ELb0EfKffEEviiiT16_PT17_ilS6_ilS4_S6_ilPT18_ili26rocblas_geam_ex_operation_.num_agpr, 0
	.set _ZN12_GLOBAL__N_120geam_min_plus_kernelIf15HIP_vector_typeIfLj2EES2_Li8ELi32ELi64ELi128ELi4ELi64ELi4ELi64ELi4ELc78ELc84ELb0ELb1ELb0EfKffEEviiiT16_PT17_ilS6_ilS4_S6_ilPT18_ili26rocblas_geam_ex_operation_.numbered_sgpr, 31
	.set _ZN12_GLOBAL__N_120geam_min_plus_kernelIf15HIP_vector_typeIfLj2EES2_Li8ELi32ELi64ELi128ELi4ELi64ELi4ELi64ELi4ELc78ELc84ELb0ELb1ELb0EfKffEEviiiT16_PT17_ilS6_ilS4_S6_ilPT18_ili26rocblas_geam_ex_operation_.num_named_barrier, 0
	.set _ZN12_GLOBAL__N_120geam_min_plus_kernelIf15HIP_vector_typeIfLj2EES2_Li8ELi32ELi64ELi128ELi4ELi64ELi4ELi64ELi4ELc78ELc84ELb0ELb1ELb0EfKffEEviiiT16_PT17_ilS6_ilS4_S6_ilPT18_ili26rocblas_geam_ex_operation_.private_seg_size, 0
	.set _ZN12_GLOBAL__N_120geam_min_plus_kernelIf15HIP_vector_typeIfLj2EES2_Li8ELi32ELi64ELi128ELi4ELi64ELi4ELi64ELi4ELc78ELc84ELb0ELb1ELb0EfKffEEviiiT16_PT17_ilS6_ilS4_S6_ilPT18_ili26rocblas_geam_ex_operation_.uses_vcc, 1
	.set _ZN12_GLOBAL__N_120geam_min_plus_kernelIf15HIP_vector_typeIfLj2EES2_Li8ELi32ELi64ELi128ELi4ELi64ELi4ELi64ELi4ELc78ELc84ELb0ELb1ELb0EfKffEEviiiT16_PT17_ilS6_ilS4_S6_ilPT18_ili26rocblas_geam_ex_operation_.uses_flat_scratch, 0
	.set _ZN12_GLOBAL__N_120geam_min_plus_kernelIf15HIP_vector_typeIfLj2EES2_Li8ELi32ELi64ELi128ELi4ELi64ELi4ELi64ELi4ELc78ELc84ELb0ELb1ELb0EfKffEEviiiT16_PT17_ilS6_ilS4_S6_ilPT18_ili26rocblas_geam_ex_operation_.has_dyn_sized_stack, 0
	.set _ZN12_GLOBAL__N_120geam_min_plus_kernelIf15HIP_vector_typeIfLj2EES2_Li8ELi32ELi64ELi128ELi4ELi64ELi4ELi64ELi4ELc78ELc84ELb0ELb1ELb0EfKffEEviiiT16_PT17_ilS6_ilS4_S6_ilPT18_ili26rocblas_geam_ex_operation_.has_recursion, 0
	.set _ZN12_GLOBAL__N_120geam_min_plus_kernelIf15HIP_vector_typeIfLj2EES2_Li8ELi32ELi64ELi128ELi4ELi64ELi4ELi64ELi4ELc78ELc84ELb0ELb1ELb0EfKffEEviiiT16_PT17_ilS6_ilS4_S6_ilPT18_ili26rocblas_geam_ex_operation_.has_indirect_call, 0
	.section	.AMDGPU.csdata,"",@progbits
; Kernel info:
; codeLenInByte = 9088
; TotalNumSgprs: 33
; NumVgprs: 108
; ScratchSize: 0
; MemoryBound: 0
; FloatMode: 240
; IeeeMode: 1
; LDSByteSize: 6144 bytes/workgroup (compile time only)
; SGPRBlocks: 0
; VGPRBlocks: 13
; NumSGPRsForWavesPerEU: 33
; NumVGPRsForWavesPerEU: 108
; Occupancy: 9
; WaveLimiterHint : 0
; COMPUTE_PGM_RSRC2:SCRATCH_EN: 0
; COMPUTE_PGM_RSRC2:USER_SGPR: 6
; COMPUTE_PGM_RSRC2:TRAP_HANDLER: 0
; COMPUTE_PGM_RSRC2:TGID_X_EN: 1
; COMPUTE_PGM_RSRC2:TGID_Y_EN: 0
; COMPUTE_PGM_RSRC2:TGID_Z_EN: 1
; COMPUTE_PGM_RSRC2:TIDIG_COMP_CNT: 1
	.section	.text._ZN12_GLOBAL__N_120geam_min_plus_kernelIf15HIP_vector_typeIfLj2EES2_Li8ELi32ELi64ELi128ELi4ELi4ELi64ELi64ELi4ELc84ELc84ELb0ELb0ELb0EPKfS3_fEEviiiT16_PT17_ilS7_ilS5_S7_ilPT18_ili26rocblas_geam_ex_operation_,"axG",@progbits,_ZN12_GLOBAL__N_120geam_min_plus_kernelIf15HIP_vector_typeIfLj2EES2_Li8ELi32ELi64ELi128ELi4ELi4ELi64ELi64ELi4ELc84ELc84ELb0ELb0ELb0EPKfS3_fEEviiiT16_PT17_ilS7_ilS5_S7_ilPT18_ili26rocblas_geam_ex_operation_,comdat
	.globl	_ZN12_GLOBAL__N_120geam_min_plus_kernelIf15HIP_vector_typeIfLj2EES2_Li8ELi32ELi64ELi128ELi4ELi4ELi64ELi64ELi4ELc84ELc84ELb0ELb0ELb0EPKfS3_fEEviiiT16_PT17_ilS7_ilS5_S7_ilPT18_ili26rocblas_geam_ex_operation_ ; -- Begin function _ZN12_GLOBAL__N_120geam_min_plus_kernelIf15HIP_vector_typeIfLj2EES2_Li8ELi32ELi64ELi128ELi4ELi4ELi64ELi64ELi4ELc84ELc84ELb0ELb0ELb0EPKfS3_fEEviiiT16_PT17_ilS7_ilS5_S7_ilPT18_ili26rocblas_geam_ex_operation_
	.p2align	8
	.type	_ZN12_GLOBAL__N_120geam_min_plus_kernelIf15HIP_vector_typeIfLj2EES2_Li8ELi32ELi64ELi128ELi4ELi4ELi64ELi64ELi4ELc84ELc84ELb0ELb0ELb0EPKfS3_fEEviiiT16_PT17_ilS7_ilS5_S7_ilPT18_ili26rocblas_geam_ex_operation_,@function
_ZN12_GLOBAL__N_120geam_min_plus_kernelIf15HIP_vector_typeIfLj2EES2_Li8ELi32ELi64ELi128ELi4ELi4ELi64ELi64ELi4ELc84ELc84ELb0ELb0ELb0EPKfS3_fEEviiiT16_PT17_ilS7_ilS5_S7_ilPT18_ili26rocblas_geam_ex_operation_: ; @_ZN12_GLOBAL__N_120geam_min_plus_kernelIf15HIP_vector_typeIfLj2EES2_Li8ELi32ELi64ELi128ELi4ELi4ELi64ELi64ELi4ELc84ELc84ELb0ELb0ELb0EPKfS3_fEEviiiT16_PT17_ilS7_ilS5_S7_ilPT18_ili26rocblas_geam_ex_operation_
; %bb.0:
	s_clause 0x1
	s_load_dwordx4 s[0:3], s[4:5], 0x10
	s_load_dwordx4 s[8:11], s[4:5], 0x28
	s_mov_b32 s16, s7
	s_mov_b32 s17, 0
	s_lshl_b64 s[18:19], s[16:17], 2
	s_waitcnt lgkmcnt(0)
	s_add_u32 s0, s0, s18
	s_addc_u32 s1, s1, s19
	s_load_dword s17, s[0:1], 0x0
	s_clause 0x1
	s_load_dwordx4 s[12:15], s[4:5], 0x40
	s_load_dwordx2 s[20:21], s[4:5], 0x50
	s_waitcnt lgkmcnt(0)
	v_cmp_eq_f32_e64 s1, s17, 0
	s_add_u32 s22, s14, s18
	v_cmp_neq_f32_e64 s0, s17, 0
	s_addc_u32 s23, s15, s19
	s_mov_b64 s[14:15], 0
	s_and_b32 s1, exec_lo, s1
	s_mov_b64 s[18:19], 0
	s_mov_b32 vcc_lo, s1
	s_cbranch_vccnz .LBB96_2
; %bb.1:
	s_mul_i32 s7, s9, s16
	s_mul_hi_u32 s9, s8, s16
	s_mul_i32 s8, s8, s16
	s_add_i32 s9, s9, s7
	s_lshl_b64 s[8:9], s[8:9], 2
	s_add_u32 s18, s2, s8
	s_addc_u32 s19, s3, s9
.LBB96_2:
	s_load_dword s3, s[22:23], 0x0
	v_cndmask_b32_e64 v2, 0, 1, s0
	s_andn2_b32 vcc_lo, exec_lo, s0
	v_cmp_ne_u32_e64 s2, 1, v2
	s_cbranch_vccnz .LBB96_4
; %bb.3:
	s_mul_i32 s0, s13, s16
	s_mul_hi_u32 s7, s12, s16
	s_mul_i32 s8, s12, s16
	s_add_i32 s9, s7, s0
	s_lshl_b64 s[8:9], s[8:9], 2
	s_add_u32 s14, s10, s8
	s_addc_u32 s15, s11, s9
.LBB96_4:
	s_load_dwordx4 s[8:11], s[4:5], 0x60
	s_waitcnt lgkmcnt(0)
	v_cmp_eq_f32_e64 s0, s3, 0
	s_and_b32 s0, exec_lo, s0
	s_mov_b32 vcc_lo, s0
	s_cbranch_vccnz .LBB96_6
; %bb.5:
	s_mul_i32 s7, s9, s16
	s_mul_hi_u32 s9, s8, s16
	s_mul_i32 s8, s8, s16
	s_add_i32 s9, s9, s7
	s_lshl_b64 s[8:9], s[8:9], 2
	s_add_u32 s8, s20, s8
	s_addc_u32 s9, s21, s9
	s_branch .LBB96_7
.LBB96_6:
	s_mov_b64 s[8:9], 0
.LBB96_7:
	s_clause 0x2
	s_load_dword s7, s[4:5], 0x0
	s_load_dword s20, s[4:5], 0x20
	;; [unrolled: 1-line block ×3, first 2 shown]
	v_lshl_add_u32 v3, v1, 3, v0
	v_and_b32_e32 v12, 3, v0
	v_mov_b32_e32 v77, 0
	v_mov_b32_e32 v7, 0
	;; [unrolled: 1-line block ×3, first 2 shown]
	v_and_b32_e32 v5, 63, v3
	v_lshrrev_b32_e32 v6, 2, v3
	v_lshrrev_b32_e32 v13, 6, v3
	v_lshlrev_b32_e32 v8, 2, v12
	v_mov_b32_e32 v10, 0
	s_waitcnt lgkmcnt(0)
	s_add_i32 s7, s7, -1
	s_ashr_i32 s13, s7, 31
	s_lshr_b32 s13, s13, 26
	s_add_i32 s7, s7, s13
	s_ashr_i32 s7, s7, 6
	s_add_i32 s21, s7, 1
	s_not_b32 s7, s7
	v_cvt_f32_u32_e32 v2, s21
	v_rcp_iflag_f32_e32 v2, v2
	v_mul_f32_e32 v2, 0x4f7ffffe, v2
	v_cvt_u32_f32_e32 v2, v2
	v_readfirstlane_b32 s13, v2
	s_mul_i32 s7, s7, s13
	s_mul_hi_u32 s7, s13, s7
	s_add_i32 s13, s13, s7
	s_mul_hi_u32 s7, s6, s13
	s_ashr_i32 s13, s12, 31
	s_mul_i32 s22, s7, s21
	s_add_i32 s23, s7, 1
	s_sub_i32 s22, s6, s22
	s_sub_i32 s24, s22, s21
	s_cmp_ge_u32 s22, s21
	s_cselect_b32 s7, s23, s7
	s_cselect_b32 s22, s24, s22
	s_add_i32 s23, s7, 1
	s_cmp_ge_u32 s22, s21
	s_cselect_b32 s7, s23, s7
	s_and_b32 vcc_lo, exec_lo, s2
	s_mul_i32 s21, s7, s21
	s_lshl_b32 s7, s7, 7
	s_sub_i32 s6, s6, s21
	v_or_b32_e32 v2, s7, v5
	s_lshl_b32 s6, s6, 6
	v_add_nc_u32_e32 v4, s6, v6
	v_ashrrev_i32_e32 v3, 31, v2
	s_cbranch_vccnz .LBB96_9
; %bb.8:
	v_mad_i64_i32 v[9:10], null, v4, s20, 0
	v_mad_i64_i32 v[14:15], null, s12, v13, 0
	v_lshlrev_b64 v[16:17], 2, v[2:3]
	v_lshlrev_b64 v[9:10], 2, v[9:10]
	;; [unrolled: 1-line block ×3, first 2 shown]
	v_add_co_u32 v7, vcc_lo, s18, v9
	v_add_co_ci_u32_e64 v10, null, s19, v10, vcc_lo
	v_add_co_u32 v11, vcc_lo, s14, v14
	v_add_co_ci_u32_e64 v15, null, s15, v15, vcc_lo
	;; [unrolled: 2-line block ×4, first 2 shown]
	global_load_dword v7, v[9:10], off
	s_clause 0x1
	global_load_dword v9, v[14:15], off
	global_load_dword v11, v[14:15], off offset:256
	s_waitcnt vmcnt(2)
	v_mul_f32_e32 v7, s17, v7
	s_waitcnt vmcnt(1)
	v_mul_f32_e32 v10, s17, v9
	;; [unrolled: 2-line block ×3, first 2 shown]
.LBB96_9:
	v_add_nc_u32_e32 v72, 4, v13
	v_mov_b32_e32 v78, 0
	v_mov_b32_e32 v80, 0
	s_and_b32 vcc_lo, exec_lo, s2
	s_cbranch_vccnz .LBB96_11
; %bb.10:
	v_mad_i64_i32 v[14:15], null, v4, s20, 0
	v_mad_i64_i32 v[16:17], null, s12, v72, 0
	v_lshlrev_b64 v[18:19], 2, v[2:3]
	v_lshlrev_b64 v[14:15], 2, v[14:15]
	;; [unrolled: 1-line block ×3, first 2 shown]
	v_add_co_u32 v11, vcc_lo, s18, v14
	v_add_co_ci_u32_e64 v15, null, s19, v15, vcc_lo
	v_add_co_u32 v16, vcc_lo, s14, v16
	v_add_co_ci_u32_e64 v17, null, s15, v17, vcc_lo
	;; [unrolled: 2-line block ×4, first 2 shown]
	global_load_dword v11, v[14:15], off offset:16
	s_clause 0x1
	global_load_dword v14, v[16:17], off
	global_load_dword v15, v[16:17], off offset:256
	s_waitcnt vmcnt(2)
	v_mul_f32_e32 v77, s17, v11
	s_waitcnt vmcnt(1)
	v_mul_f32_e32 v80, s17, v14
	;; [unrolled: 2-line block ×3, first 2 shown]
.LBB96_11:
	v_lshlrev_b32_e32 v11, 4, v5
	v_lshl_or_b32 v79, v6, 4, v8
	v_mov_b32_e32 v70, 0
	v_cmp_neq_f32_e64 s2, s3, 0
	v_lshl_or_b32 v74, v0, 4, 0x1000
	v_lshl_add_u32 v73, v13, 2, v11
	v_lshlrev_b32_e32 v75, 4, v1
	v_add_nc_u32_e32 v76, 0x1000, v79
	v_mov_b32_e32 v71, v70
	ds_write_b32 v79, v7 offset:4096
	ds_write2st64_b32 v73, v10, v9 offset1:4
	v_mov_b32_e32 v68, v70
	v_mov_b32_e32 v69, v70
	;; [unrolled: 1-line block ×62, first 2 shown]
	s_mov_b32 s22, 0
	s_mov_b32 s21, -1
	s_waitcnt lgkmcnt(0)
	s_barrier
	buffer_gl0_inv
.LBB96_12:                              ; =>This Inner Loop Header: Depth=1
	s_lshl_b32 s22, s22, 2
	v_cndmask_b32_e64 v81, 0, 1, s21
	v_add_nc_u32_e32 v93, s22, v74
	v_add_nc_u32_e32 v101, s22, v75
	s_mov_b32 s21, 0
	s_mov_b32 s22, 2
	v_cmp_ne_u32_e32 vcc_lo, 1, v81
	ds_read2_b64 v[81:84], v93 offset1:16
	ds_read2_b64 v[85:88], v93 offset0:32 offset1:48
	ds_read2_b64 v[89:92], v93 offset0:64 offset1:80
	ds_read2_b64 v[93:96], v93 offset0:96 offset1:112
	ds_read2st64_b64 v[97:100], v101 offset1:1
	ds_read2st64_b64 v[101:104], v101 offset0:2 offset1:3
	s_and_b32 vcc_lo, exec_lo, vcc_lo
	s_waitcnt lgkmcnt(5)
	v_max_f32_e32 v81, v81, v81
	v_max_f32_e32 v82, v82, v82
	v_max_f32_e32 v83, v83, v83
	v_max_f32_e32 v84, v84, v84
	s_waitcnt lgkmcnt(4)
	v_max_f32_e32 v85, v85, v85
	v_max_f32_e32 v86, v86, v86
	v_max_f32_e32 v87, v87, v87
	v_max_f32_e32 v88, v88, v88
	;; [unrolled: 5-line block ×6, first 2 shown]
	v_min_f32_e32 v105, v81, v97
	v_min_f32_e32 v106, v83, v97
	;; [unrolled: 1-line block ×64, first 2 shown]
	v_add_f32_e32 v71, v103, v71
	v_add_f32_e32 v70, v105, v70
	;; [unrolled: 1-line block ×64, first 2 shown]
	s_cbranch_vccz .LBB96_12
; %bb.13:
	s_load_dword s21, s[4:5], 0x8
	v_lshlrev_b32_e32 v81, 2, v13
	v_lshl_add_u32 v5, v5, 4, v81
	ds_write_b32 v79, v77 offset:5120
	ds_write2st64_b32 v5, v80, v78 offset0:8 offset1:12
	v_lshl_add_u32 v77, v0, 4, 0x1400
	v_lshl_add_u32 v78, v1, 4, 0x800
	s_waitcnt lgkmcnt(0)
	s_barrier
	buffer_gl0_inv
	s_cmp_lt_i32 s21, 9
	s_cbranch_scc1 .LBB96_28
; %bb.14:
	v_mad_i64_i32 v[81:82], null, v4, s20, 0
	v_lshlrev_b64 v[2:3], 2, v[2:3]
	v_or_b32_e32 v80, 0x800, v5
	v_add_nc_u32_e32 v79, 0x1400, v79
	v_lshlrev_b64 v[4:5], 2, v[81:82]
	v_add_co_u32 v81, vcc_lo, s14, v2
	v_add_co_ci_u32_e64 v82, null, s15, v3, vcc_lo
	v_mov_b32_e32 v3, 0
	v_add_co_u32 v83, vcc_lo, s18, v4
	v_add_co_ci_u32_e64 v84, null, s19, v5, vcc_lo
	s_add_i32 s14, s21, -8
	s_mov_b32 s15, 8
	s_mov_b32 s18, 0
.LBB96_15:                              ; =>This Loop Header: Depth=1
                                        ;     Child Loop BB96_20 Depth 2
                                        ;     Child Loop BB96_26 Depth 2
	s_mov_b32 s19, -1
	s_mov_b32 vcc_lo, s1
                                        ; implicit-def: $vgpr4_vgpr5
	s_cbranch_vccz .LBB96_17
; %bb.16:                               ;   in Loop: Header=BB96_15 Depth=1
	v_mov_b32_e32 v4, v3
	s_mov_b32 s19, 0
.LBB96_17:                              ;   in Loop: Header=BB96_15 Depth=1
	v_mov_b32_e32 v2, 0
	v_mov_b32_e32 v5, 0
	s_andn2_b32 vcc_lo, exec_lo, s19
	s_cbranch_vccnz .LBB96_19
; %bb.18:                               ;   in Loop: Header=BB96_15 Depth=1
	v_add_nc_u32_e32 v85, s15, v13
	v_mad_u64_u32 v[4:5], null, v85, s12, 0
	v_mov_b32_e32 v2, v5
	v_mad_u64_u32 v[85:86], null, v85, s13, v[2:3]
	v_or_b32_e32 v2, s15, v12
	v_mov_b32_e32 v5, v85
	v_lshlrev_b64 v[85:86], 2, v[2:3]
	v_lshlrev_b64 v[4:5], 2, v[4:5]
	v_add_co_u32 v85, vcc_lo, v83, v85
	v_add_co_ci_u32_e64 v86, null, v84, v86, vcc_lo
	v_add_co_u32 v4, vcc_lo, v81, v4
	v_add_co_ci_u32_e64 v5, null, v82, v5, vcc_lo
	global_load_dword v2, v[85:86], off
	s_clause 0x1
	global_load_dword v85, v[4:5], off
	global_load_dword v5, v[4:5], off offset:256
	s_waitcnt vmcnt(2)
	v_mul_f32_e32 v2, s17, v2
	s_waitcnt vmcnt(1)
	v_mul_f32_e32 v4, s17, v85
	;; [unrolled: 2-line block ×3, first 2 shown]
.LBB96_19:                              ;   in Loop: Header=BB96_15 Depth=1
	s_mov_b32 s20, 0
	s_mov_b32 s19, -1
.LBB96_20:                              ;   Parent Loop BB96_15 Depth=1
                                        ; =>  This Inner Loop Header: Depth=2
	s_lshl_b32 s20, s20, 2
	v_cndmask_b32_e64 v85, 0, 1, s19
	v_add_nc_u32_e32 v105, s20, v78
	v_add_nc_u32_e32 v101, s20, v77
	s_mov_b32 s19, 0
	s_mov_b32 s20, 2
	v_cmp_ne_u32_e32 vcc_lo, 1, v85
	ds_read2st64_b64 v[85:88], v105 offset1:1
	ds_read2_b64 v[89:92], v101 offset1:16
	ds_read2_b64 v[93:96], v101 offset0:32 offset1:48
	ds_read2_b64 v[97:100], v101 offset0:64 offset1:80
	ds_read2_b64 v[101:104], v101 offset0:96 offset1:112
	ds_read2st64_b64 v[105:108], v105 offset0:2 offset1:3
	s_and_b32 vcc_lo, exec_lo, vcc_lo
	s_waitcnt lgkmcnt(5)
	v_max_f32_e32 v85, v85, v85
	s_waitcnt lgkmcnt(4)
	v_max_f32_e32 v89, v89, v89
	v_max_f32_e32 v86, v86, v86
	;; [unrolled: 1-line block ×5, first 2 shown]
	s_waitcnt lgkmcnt(3)
	v_max_f32_e32 v93, v93, v93
	v_max_f32_e32 v94, v94, v94
	v_max_f32_e32 v95, v95, v95
	v_max_f32_e32 v96, v96, v96
	s_waitcnt lgkmcnt(2)
	v_max_f32_e32 v97, v97, v97
	v_max_f32_e32 v98, v98, v98
	v_max_f32_e32 v99, v99, v99
	v_max_f32_e32 v100, v100, v100
	;; [unrolled: 5-line block ×3, first 2 shown]
	v_max_f32_e32 v87, v87, v87
	v_max_f32_e32 v88, v88, v88
	s_waitcnt lgkmcnt(0)
	v_max_f32_e32 v105, v105, v105
	v_max_f32_e32 v106, v106, v106
	;; [unrolled: 1-line block ×4, first 2 shown]
	v_min_f32_e32 v109, v89, v85
	v_min_f32_e32 v110, v90, v86
	;; [unrolled: 1-line block ×64, first 2 shown]
	v_add_f32_e32 v71, v110, v71
	v_add_f32_e32 v70, v109, v70
	;; [unrolled: 1-line block ×64, first 2 shown]
	s_cbranch_vccz .LBB96_20
; %bb.21:                               ;   in Loop: Header=BB96_15 Depth=1
	s_mov_b32 s19, -1
	s_mov_b32 vcc_lo, s1
	ds_write_b32 v76, v2
	ds_write2st64_b32 v73, v4, v5 offset1:4
	s_waitcnt lgkmcnt(0)
	s_barrier
	buffer_gl0_inv
                                        ; implicit-def: $vgpr4_vgpr5
	s_cbranch_vccz .LBB96_23
; %bb.22:                               ;   in Loop: Header=BB96_15 Depth=1
	v_mov_b32_e32 v4, v3
	s_mov_b32 s19, 0
.LBB96_23:                              ;   in Loop: Header=BB96_15 Depth=1
	v_mov_b32_e32 v2, 0
	v_mov_b32_e32 v5, 0
	s_andn2_b32 vcc_lo, exec_lo, s19
	s_cbranch_vccnz .LBB96_25
; %bb.24:                               ;   in Loop: Header=BB96_15 Depth=1
	v_add_nc_u32_e32 v85, s15, v72
	v_mad_u64_u32 v[4:5], null, v85, s12, 0
	v_mov_b32_e32 v2, v5
	v_mad_u64_u32 v[85:86], null, v85, s13, v[2:3]
	v_or_b32_e32 v2, s15, v12
	v_mov_b32_e32 v5, v85
	v_lshlrev_b64 v[85:86], 2, v[2:3]
	v_lshlrev_b64 v[4:5], 2, v[4:5]
	v_add_co_u32 v85, vcc_lo, v83, v85
	v_add_co_ci_u32_e64 v86, null, v84, v86, vcc_lo
	v_add_co_u32 v4, vcc_lo, v81, v4
	v_add_co_ci_u32_e64 v5, null, v82, v5, vcc_lo
	global_load_dword v2, v[85:86], off offset:16
	s_clause 0x1
	global_load_dword v85, v[4:5], off
	global_load_dword v5, v[4:5], off offset:256
	s_waitcnt vmcnt(2)
	v_mul_f32_e32 v2, s17, v2
	s_waitcnt vmcnt(1)
	v_mul_f32_e32 v4, s17, v85
	s_waitcnt vmcnt(0)
	v_mul_f32_e32 v5, s17, v5
.LBB96_25:                              ;   in Loop: Header=BB96_15 Depth=1
	s_mov_b32 s20, 0
	s_mov_b32 s19, -1
.LBB96_26:                              ;   Parent Loop BB96_15 Depth=1
                                        ; =>  This Inner Loop Header: Depth=2
	s_lshl_b32 s20, s20, 2
	v_cndmask_b32_e64 v85, 0, 1, s19
	v_add_nc_u32_e32 v105, s20, v75
	v_add_nc_u32_e32 v101, s20, v74
	s_mov_b32 s19, 0
	s_mov_b32 s20, 2
	v_cmp_ne_u32_e32 vcc_lo, 1, v85
	ds_read2st64_b64 v[85:88], v105 offset1:1
	ds_read2_b64 v[89:92], v101 offset1:16
	ds_read2_b64 v[93:96], v101 offset0:32 offset1:48
	ds_read2_b64 v[97:100], v101 offset0:64 offset1:80
	ds_read2_b64 v[101:104], v101 offset0:96 offset1:112
	ds_read2st64_b64 v[105:108], v105 offset0:2 offset1:3
	s_and_b32 vcc_lo, exec_lo, vcc_lo
	s_waitcnt lgkmcnt(5)
	v_max_f32_e32 v85, v85, v85
	s_waitcnt lgkmcnt(4)
	v_max_f32_e32 v89, v89, v89
	v_max_f32_e32 v86, v86, v86
	;; [unrolled: 1-line block ×5, first 2 shown]
	s_waitcnt lgkmcnt(3)
	v_max_f32_e32 v93, v93, v93
	v_max_f32_e32 v94, v94, v94
	v_max_f32_e32 v95, v95, v95
	v_max_f32_e32 v96, v96, v96
	s_waitcnt lgkmcnt(2)
	v_max_f32_e32 v97, v97, v97
	v_max_f32_e32 v98, v98, v98
	v_max_f32_e32 v99, v99, v99
	v_max_f32_e32 v100, v100, v100
	;; [unrolled: 5-line block ×3, first 2 shown]
	v_max_f32_e32 v87, v87, v87
	v_max_f32_e32 v88, v88, v88
	s_waitcnt lgkmcnt(0)
	v_max_f32_e32 v105, v105, v105
	v_max_f32_e32 v106, v106, v106
	;; [unrolled: 1-line block ×4, first 2 shown]
	v_min_f32_e32 v109, v89, v85
	v_min_f32_e32 v110, v90, v86
	;; [unrolled: 1-line block ×64, first 2 shown]
	v_add_f32_e32 v71, v110, v71
	v_add_f32_e32 v70, v109, v70
	;; [unrolled: 1-line block ×64, first 2 shown]
	s_cbranch_vccz .LBB96_26
; %bb.27:                               ;   in Loop: Header=BB96_15 Depth=1
	s_add_i32 s18, s18, 8
	s_add_i32 s15, s15, 8
	s_cmp_ge_i32 s18, s14
	ds_write_b32 v79, v2
	ds_write2st64_b32 v80, v4, v5 offset1:4
	s_waitcnt lgkmcnt(0)
	s_barrier
	buffer_gl0_inv
	s_cbranch_scc0 .LBB96_15
.LBB96_28:
	s_mov_b32 s12, 0
	s_mov_b32 s1, -1
.LBB96_29:                              ; =>This Inner Loop Header: Depth=1
	s_lshl_b32 s12, s12, 2
	v_cndmask_b32_e64 v2, 0, 1, s1
	v_add_nc_u32_e32 v12, s12, v78
	v_add_nc_u32_e32 v13, s12, v77
	s_mov_b32 s1, 0
	s_mov_b32 s12, 2
	v_cmp_ne_u32_e32 vcc_lo, 1, v2
	ds_read2st64_b64 v[2:5], v12 offset1:1
	ds_read2_b64 v[72:75], v13 offset1:16
	ds_read2_b64 v[79:82], v13 offset0:32 offset1:48
	ds_read2_b64 v[83:86], v13 offset0:64 offset1:80
	;; [unrolled: 1-line block ×3, first 2 shown]
	ds_read2st64_b64 v[91:94], v12 offset0:2 offset1:3
	s_and_b32 vcc_lo, exec_lo, vcc_lo
	s_waitcnt lgkmcnt(5)
	v_max_f32_e32 v2, v2, v2
	s_waitcnt lgkmcnt(4)
	v_max_f32_e32 v12, v72, v72
	v_max_f32_e32 v3, v3, v3
	;; [unrolled: 1-line block ×5, first 2 shown]
	s_waitcnt lgkmcnt(3)
	v_max_f32_e32 v74, v79, v79
	v_max_f32_e32 v75, v80, v80
	v_max_f32_e32 v76, v81, v81
	v_max_f32_e32 v79, v82, v82
	s_waitcnt lgkmcnt(2)
	v_max_f32_e32 v80, v83, v83
	v_max_f32_e32 v81, v84, v84
	v_max_f32_e32 v82, v85, v85
	v_max_f32_e32 v83, v86, v86
	;; [unrolled: 5-line block ×3, first 2 shown]
	v_max_f32_e32 v4, v4, v4
	v_max_f32_e32 v5, v5, v5
	s_waitcnt lgkmcnt(0)
	v_max_f32_e32 v88, v91, v91
	v_max_f32_e32 v89, v92, v92
	;; [unrolled: 1-line block ×4, first 2 shown]
	v_min_f32_e32 v92, v12, v2
	v_min_f32_e32 v93, v13, v3
	;; [unrolled: 1-line block ×64, first 2 shown]
	v_add_f32_e32 v71, v93, v71
	v_add_f32_e32 v70, v92, v70
	;; [unrolled: 1-line block ×64, first 2 shown]
	s_cbranch_vccz .LBB96_29
; %bb.30:
	s_load_dword s12, s[4:5], 0x58
	v_add_nc_u32_e32 v72, s7, v1
	v_add_nc_u32_e32 v12, s6, v0
	v_cndmask_b32_e64 v0, 0, 1, s2
	v_mov_b32_e32 v4, 0
	v_ashrrev_i32_e32 v13, 31, v12
	v_cmp_ne_u32_e64 s1, 1, v0
	s_waitcnt lgkmcnt(0)
	v_mad_i64_i32 v[1:2], null, v72, s12, 0
	v_lshlrev_b64 v[2:3], 2, v[1:2]
	v_lshlrev_b64 v[0:1], 2, v[12:13]
	v_add_co_u32 v73, vcc_lo, s8, v2
	v_add_co_ci_u32_e64 v74, null, s9, v3, vcc_lo
	v_mov_b32_e32 v2, 0
	s_andn2_b32 vcc_lo, exec_lo, s2
	s_cbranch_vccnz .LBB96_32
; %bb.31:
	v_add_co_u32 v2, vcc_lo, v73, v0
	v_add_co_ci_u32_e64 v3, null, v74, v1, vcc_lo
	global_load_dword v2, v[2:3], off
	s_waitcnt vmcnt(0)
	v_mul_f32_e32 v2, s3, v2
.LBB96_32:
	s_clause 0x1
	s_load_dword s2, s[4:5], 0x70
	s_load_dwordx2 s[4:5], s[4:5], 0x78
	v_add_f32_e32 v3, v70, v71
	v_add_nc_u32_e32 v77, 8, v12
	v_add_f32_e32 v5, v3, v2
	v_ashrrev_i32_e32 v78, 31, v77
	v_lshlrev_b64 v[2:3], 2, v[77:78]
	s_waitcnt lgkmcnt(0)
	v_mad_i64_i32 v[75:76], null, v72, s2, 0
	s_mul_i32 s5, s5, s16
	s_mul_hi_u32 s6, s4, s16
	s_mul_i32 s4, s4, s16
	s_add_i32 s5, s6, s5
	s_lshl_b64 s[4:5], s[4:5], 2
	v_lshlrev_b64 v[70:71], 2, v[75:76]
	s_add_u32 s4, s10, s4
	s_addc_u32 s5, s11, s5
	v_add_co_u32 v70, vcc_lo, s4, v70
	v_add_co_ci_u32_e64 v71, null, s5, v71, vcc_lo
	v_add_co_u32 v75, vcc_lo, v70, v0
	v_add_co_ci_u32_e64 v76, null, v71, v1, vcc_lo
	s_and_b32 vcc_lo, exec_lo, s1
	global_store_dword v[75:76], v5, off
	s_cbranch_vccnz .LBB96_34
; %bb.33:
	v_add_co_u32 v4, vcc_lo, v73, v2
	v_add_co_ci_u32_e64 v5, null, v74, v3, vcc_lo
	global_load_dword v4, v[4:5], off
	s_waitcnt vmcnt(0)
	v_mul_f32_e32 v4, s3, v4
.LBB96_34:
	v_add_nc_u32_e32 v75, 16, v12
	v_add_f32_e32 v5, v68, v69
	v_add_co_u32 v77, vcc_lo, v70, v2
	v_add_co_ci_u32_e64 v78, null, v71, v3, vcc_lo
	v_ashrrev_i32_e32 v76, 31, v75
	v_add_f32_e32 v69, v5, v4
	v_mov_b32_e32 v13, 0
	v_mov_b32_e32 v68, 0
	s_and_b32 vcc_lo, exec_lo, s1
	v_lshlrev_b64 v[4:5], 2, v[75:76]
	global_store_dword v[77:78], v69, off
	s_cbranch_vccnz .LBB96_36
; %bb.35:
	v_add_co_u32 v68, vcc_lo, v73, v4
	v_add_co_ci_u32_e64 v69, null, v74, v5, vcc_lo
	global_load_dword v68, v[68:69], off
	s_waitcnt vmcnt(0)
	v_mul_f32_e32 v68, s3, v68
.LBB96_36:
	v_add_nc_u32_e32 v75, 24, v12
	v_add_f32_e32 v6, v6, v7
	v_ashrrev_i32_e32 v76, 31, v75
	v_add_f32_e32 v77, v6, v68
	v_add_co_u32 v68, vcc_lo, v70, v4
	v_add_co_ci_u32_e64 v69, null, v71, v5, vcc_lo
	v_lshlrev_b64 v[6:7], 2, v[75:76]
	s_and_b32 vcc_lo, exec_lo, s1
	global_store_dword v[68:69], v77, off
	s_cbranch_vccnz .LBB96_38
; %bb.37:
	v_add_co_u32 v68, vcc_lo, v73, v6
	v_add_co_ci_u32_e64 v69, null, v74, v7, vcc_lo
	global_load_dword v13, v[68:69], off
	s_waitcnt vmcnt(0)
	v_mul_f32_e32 v13, s3, v13
.LBB96_38:
	v_add_nc_u32_e32 v68, 32, v12
	v_add_f32_e32 v10, v10, v11
	v_add_co_u32 v75, vcc_lo, v70, v6
	v_add_co_ci_u32_e64 v76, null, v71, v7, vcc_lo
	v_ashrrev_i32_e32 v69, 31, v68
	v_add_f32_e32 v77, v10, v13
	v_mov_b32_e32 v13, 0
	s_and_b32 vcc_lo, exec_lo, s1
	v_lshlrev_b64 v[10:11], 2, v[68:69]
	v_mov_b32_e32 v68, 0
	global_store_dword v[75:76], v77, off
	s_cbranch_vccnz .LBB96_40
; %bb.39:
	v_add_co_u32 v68, vcc_lo, v73, v10
	v_add_co_ci_u32_e64 v69, null, v74, v11, vcc_lo
	global_load_dword v68, v[68:69], off
	s_waitcnt vmcnt(0)
	v_mul_f32_e32 v68, s3, v68
.LBB96_40:
	v_add_nc_u32_e32 v75, 40, v12
	v_add_f32_e32 v14, v14, v15
	v_ashrrev_i32_e32 v76, 31, v75
	v_add_f32_e32 v77, v14, v68
	v_add_co_u32 v68, vcc_lo, v70, v10
	v_add_co_ci_u32_e64 v69, null, v71, v11, vcc_lo
	v_lshlrev_b64 v[14:15], 2, v[75:76]
	s_and_b32 vcc_lo, exec_lo, s1
	global_store_dword v[68:69], v77, off
	s_cbranch_vccnz .LBB96_42
; %bb.41:
	v_add_co_u32 v68, vcc_lo, v73, v14
	v_add_co_ci_u32_e64 v69, null, v74, v15, vcc_lo
	global_load_dword v13, v[68:69], off
	s_waitcnt vmcnt(0)
	v_mul_f32_e32 v13, s3, v13
.LBB96_42:
	v_add_nc_u32_e32 v75, 48, v12
	v_add_f32_e32 v8, v8, v9
	v_add_co_u32 v77, vcc_lo, v70, v14
	v_add_co_ci_u32_e64 v78, null, v71, v15, vcc_lo
	v_ashrrev_i32_e32 v76, 31, v75
	v_add_f32_e32 v69, v8, v13
	v_mov_b32_e32 v68, 0
	v_mov_b32_e32 v13, 0
	s_and_b32 vcc_lo, exec_lo, s1
	v_lshlrev_b64 v[8:9], 2, v[75:76]
	global_store_dword v[77:78], v69, off
	s_cbranch_vccnz .LBB96_44
; %bb.43:
	v_add_co_u32 v75, vcc_lo, v73, v8
	v_add_co_ci_u32_e64 v76, null, v74, v9, vcc_lo
	global_load_dword v13, v[75:76], off
	s_waitcnt vmcnt(0)
	v_mul_f32_e32 v13, s3, v13
.LBB96_44:
	v_add_nc_u32_e32 v75, 56, v12
	v_add_f32_e32 v12, v66, v67
	v_add_co_u32 v66, vcc_lo, v70, v8
	v_add_co_ci_u32_e64 v67, null, v71, v9, vcc_lo
	v_ashrrev_i32_e32 v76, 31, v75
	v_add_f32_e32 v69, v12, v13
	s_and_b32 vcc_lo, exec_lo, s1
	v_lshlrev_b64 v[12:13], 2, v[75:76]
	global_store_dword v[66:67], v69, off
	s_cbranch_vccnz .LBB96_46
; %bb.45:
	v_add_co_u32 v66, vcc_lo, v73, v12
	v_add_co_ci_u32_e64 v67, null, v74, v13, vcc_lo
	global_load_dword v66, v[66:67], off
	s_waitcnt vmcnt(0)
	v_mul_f32_e32 v68, s3, v66
.LBB96_46:
	v_add_nc_u32_e32 v67, 32, v72
	v_add_f32_e32 v75, v64, v65
	v_add_co_u32 v69, vcc_lo, v70, v12
	v_add_co_ci_u32_e64 v70, null, v71, v13, vcc_lo
	v_mad_i64_i32 v[73:74], null, v67, s12, 0
	v_mov_b32_e32 v66, 0
	v_add_f32_e32 v71, v75, v68
	v_mov_b32_e32 v68, 0
	global_store_dword v[69:70], v71, off
	v_lshlrev_b64 v[64:65], 2, v[73:74]
	v_add_co_u32 v64, vcc_lo, s8, v64
	v_add_co_ci_u32_e64 v65, null, s9, v65, vcc_lo
	s_and_b32 vcc_lo, exec_lo, s1
	s_cbranch_vccnz .LBB96_48
; %bb.47:
	v_add_co_u32 v68, vcc_lo, v64, v0
	v_add_co_ci_u32_e64 v69, null, v65, v1, vcc_lo
	global_load_dword v68, v[68:69], off
	s_waitcnt vmcnt(0)
	v_mul_f32_e32 v68, s3, v68
.LBB96_48:
	v_mad_i64_i32 v[69:70], null, v67, s2, 0
	v_add_f32_e32 v67, v62, v63
	v_lshlrev_b64 v[69:70], 2, v[69:70]
	v_add_co_u32 v62, vcc_lo, s4, v69
	v_add_co_ci_u32_e64 v63, null, s5, v70, vcc_lo
	v_add_f32_e32 v69, v67, v68
	v_add_co_u32 v67, vcc_lo, v62, v0
	v_add_co_ci_u32_e64 v68, null, v63, v1, vcc_lo
	s_and_b32 vcc_lo, exec_lo, s1
	global_store_dword v[67:68], v69, off
	s_cbranch_vccnz .LBB96_50
; %bb.49:
	v_add_co_u32 v66, vcc_lo, v64, v2
	v_add_co_ci_u32_e64 v67, null, v65, v3, vcc_lo
	global_load_dword v66, v[66:67], off
	s_waitcnt vmcnt(0)
	v_mul_f32_e32 v66, s3, v66
.LBB96_50:
	v_add_f32_e32 v60, v60, v61
	v_add_co_u32 v67, vcc_lo, v62, v2
	v_add_co_ci_u32_e64 v68, null, v63, v3, vcc_lo
	v_add_f32_e32 v66, v60, v66
	v_mov_b32_e32 v60, 0
	v_mov_b32_e32 v61, 0
	s_and_b32 vcc_lo, exec_lo, s1
	global_store_dword v[67:68], v66, off
	s_cbranch_vccnz .LBB96_52
; %bb.51:
	v_add_co_u32 v66, vcc_lo, v64, v4
	v_add_co_ci_u32_e64 v67, null, v65, v5, vcc_lo
	global_load_dword v61, v[66:67], off
	s_waitcnt vmcnt(0)
	v_mul_f32_e32 v61, s3, v61
.LBB96_52:
	v_add_f32_e32 v58, v58, v59
	v_add_f32_e32 v61, v58, v61
	v_add_co_u32 v58, vcc_lo, v62, v4
	v_add_co_ci_u32_e64 v59, null, v63, v5, vcc_lo
	s_and_b32 vcc_lo, exec_lo, s1
	global_store_dword v[58:59], v61, off
	s_cbranch_vccnz .LBB96_54
; %bb.53:
	v_add_co_u32 v58, vcc_lo, v64, v6
	v_add_co_ci_u32_e64 v59, null, v65, v7, vcc_lo
	global_load_dword v58, v[58:59], off
	s_waitcnt vmcnt(0)
	v_mul_f32_e32 v60, s3, v58
.LBB96_54:
	v_add_f32_e32 v56, v56, v57
	v_add_co_u32 v58, vcc_lo, v62, v6
	v_add_co_ci_u32_e64 v59, null, v63, v7, vcc_lo
	v_add_f32_e32 v60, v56, v60
	v_mov_b32_e32 v56, 0
	v_mov_b32_e32 v57, 0
	s_and_b32 vcc_lo, exec_lo, s1
	global_store_dword v[58:59], v60, off
	s_cbranch_vccnz .LBB96_56
; %bb.55:
	v_add_co_u32 v57, vcc_lo, v64, v10
	v_add_co_ci_u32_e64 v58, null, v65, v11, vcc_lo
	global_load_dword v57, v[57:58], off
	s_waitcnt vmcnt(0)
	v_mul_f32_e32 v57, s3, v57
.LBB96_56:
	v_add_f32_e32 v54, v54, v55
	;; [unrolled: 30-line block ×3, first 2 shown]
	v_add_f32_e32 v53, v50, v53
	v_add_co_u32 v50, vcc_lo, v62, v8
	v_add_co_ci_u32_e64 v51, null, v63, v9, vcc_lo
	s_and_b32 vcc_lo, exec_lo, s1
	global_store_dword v[50:51], v53, off
	s_cbranch_vccnz .LBB96_62
; %bb.61:
	v_add_co_u32 v50, vcc_lo, v64, v12
	v_add_co_ci_u32_e64 v51, null, v65, v13, vcc_lo
	global_load_dword v50, v[50:51], off
	s_waitcnt vmcnt(0)
	v_mul_f32_e32 v52, s3, v50
.LBB96_62:
	v_add_nc_u32_e32 v51, 64, v72
	v_add_f32_e32 v55, v48, v49
	v_mov_b32_e32 v50, 0
	v_mad_i64_i32 v[53:54], null, v51, s12, 0
	v_add_f32_e32 v55, v55, v52
	v_mov_b32_e32 v52, 0
	v_lshlrev_b64 v[48:49], 2, v[53:54]
	v_add_co_u32 v53, vcc_lo, v62, v12
	v_add_co_ci_u32_e64 v54, null, v63, v13, vcc_lo
	v_add_co_u32 v48, vcc_lo, s8, v48
	v_add_co_ci_u32_e64 v49, null, s9, v49, vcc_lo
	s_and_b32 vcc_lo, exec_lo, s1
	global_store_dword v[53:54], v55, off
	s_cbranch_vccnz .LBB96_64
; %bb.63:
	v_add_co_u32 v52, vcc_lo, v48, v0
	v_add_co_ci_u32_e64 v53, null, v49, v1, vcc_lo
	global_load_dword v52, v[52:53], off
	s_waitcnt vmcnt(0)
	v_mul_f32_e32 v52, s3, v52
.LBB96_64:
	v_mad_i64_i32 v[53:54], null, v51, s2, 0
	v_add_f32_e32 v51, v46, v47
	v_lshlrev_b64 v[53:54], 2, v[53:54]
	v_add_co_u32 v46, vcc_lo, s4, v53
	v_add_co_ci_u32_e64 v47, null, s5, v54, vcc_lo
	v_add_f32_e32 v53, v51, v52
	v_add_co_u32 v51, vcc_lo, v46, v0
	v_add_co_ci_u32_e64 v52, null, v47, v1, vcc_lo
	s_and_b32 vcc_lo, exec_lo, s1
	global_store_dword v[51:52], v53, off
	s_cbranch_vccnz .LBB96_66
; %bb.65:
	v_add_co_u32 v50, vcc_lo, v48, v2
	v_add_co_ci_u32_e64 v51, null, v49, v3, vcc_lo
	global_load_dword v50, v[50:51], off
	s_waitcnt vmcnt(0)
	v_mul_f32_e32 v50, s3, v50
.LBB96_66:
	v_add_f32_e32 v44, v44, v45
	v_add_co_u32 v51, vcc_lo, v46, v2
	v_add_co_ci_u32_e64 v52, null, v47, v3, vcc_lo
	v_add_f32_e32 v50, v44, v50
	v_mov_b32_e32 v44, 0
	v_mov_b32_e32 v45, 0
	s_and_b32 vcc_lo, exec_lo, s1
	global_store_dword v[51:52], v50, off
	s_cbranch_vccnz .LBB96_68
; %bb.67:
	v_add_co_u32 v50, vcc_lo, v48, v4
	v_add_co_ci_u32_e64 v51, null, v49, v5, vcc_lo
	global_load_dword v45, v[50:51], off
	s_waitcnt vmcnt(0)
	v_mul_f32_e32 v45, s3, v45
.LBB96_68:
	v_add_f32_e32 v42, v42, v43
	v_add_f32_e32 v45, v42, v45
	v_add_co_u32 v42, vcc_lo, v46, v4
	v_add_co_ci_u32_e64 v43, null, v47, v5, vcc_lo
	s_and_b32 vcc_lo, exec_lo, s1
	global_store_dword v[42:43], v45, off
	s_cbranch_vccnz .LBB96_70
; %bb.69:
	v_add_co_u32 v42, vcc_lo, v48, v6
	v_add_co_ci_u32_e64 v43, null, v49, v7, vcc_lo
	global_load_dword v42, v[42:43], off
	s_waitcnt vmcnt(0)
	v_mul_f32_e32 v44, s3, v42
.LBB96_70:
	v_add_f32_e32 v40, v40, v41
	v_add_co_u32 v42, vcc_lo, v46, v6
	v_add_co_ci_u32_e64 v43, null, v47, v7, vcc_lo
	v_add_f32_e32 v44, v40, v44
	v_mov_b32_e32 v40, 0
	v_mov_b32_e32 v41, 0
	s_and_b32 vcc_lo, exec_lo, s1
	global_store_dword v[42:43], v44, off
	s_cbranch_vccnz .LBB96_72
; %bb.71:
	v_add_co_u32 v41, vcc_lo, v48, v10
	v_add_co_ci_u32_e64 v42, null, v49, v11, vcc_lo
	global_load_dword v41, v[41:42], off
	s_waitcnt vmcnt(0)
	v_mul_f32_e32 v41, s3, v41
.LBB96_72:
	v_add_f32_e32 v38, v38, v39
	;; [unrolled: 30-line block ×3, first 2 shown]
	v_add_f32_e32 v37, v34, v37
	v_add_co_u32 v34, vcc_lo, v46, v8
	v_add_co_ci_u32_e64 v35, null, v47, v9, vcc_lo
	s_and_b32 vcc_lo, exec_lo, s1
	global_store_dword v[34:35], v37, off
	s_cbranch_vccnz .LBB96_78
; %bb.77:
	v_add_co_u32 v34, vcc_lo, v48, v12
	v_add_co_ci_u32_e64 v35, null, v49, v13, vcc_lo
	global_load_dword v34, v[34:35], off
	s_waitcnt vmcnt(0)
	v_mul_f32_e32 v36, s3, v34
.LBB96_78:
	v_add_nc_u32_e32 v35, 0x60, v72
	v_add_f32_e32 v39, v32, v33
	v_mov_b32_e32 v34, 0
	v_mad_i64_i32 v[37:38], null, v35, s12, 0
	v_add_f32_e32 v39, v39, v36
	v_mov_b32_e32 v36, 0
	v_lshlrev_b64 v[32:33], 2, v[37:38]
	v_add_co_u32 v37, vcc_lo, v46, v12
	v_add_co_ci_u32_e64 v38, null, v47, v13, vcc_lo
	v_add_co_u32 v32, vcc_lo, s8, v32
	v_add_co_ci_u32_e64 v33, null, s9, v33, vcc_lo
	s_and_b32 vcc_lo, exec_lo, s1
	global_store_dword v[37:38], v39, off
	s_cbranch_vccnz .LBB96_80
; %bb.79:
	v_add_co_u32 v36, vcc_lo, v32, v0
	v_add_co_ci_u32_e64 v37, null, v33, v1, vcc_lo
	global_load_dword v36, v[36:37], off
	s_waitcnt vmcnt(0)
	v_mul_f32_e32 v36, s3, v36
.LBB96_80:
	v_mad_i64_i32 v[37:38], null, v35, s2, 0
	v_add_f32_e32 v35, v30, v31
	v_add_f32_e32 v35, v35, v36
	v_lshlrev_b64 v[37:38], 2, v[37:38]
	v_add_co_u32 v30, vcc_lo, s4, v37
	v_add_co_ci_u32_e64 v31, null, s5, v38, vcc_lo
	v_add_co_u32 v0, vcc_lo, v30, v0
	v_add_co_ci_u32_e64 v1, null, v31, v1, vcc_lo
	s_and_b32 vcc_lo, exec_lo, s1
	global_store_dword v[0:1], v35, off
	s_cbranch_vccnz .LBB96_82
; %bb.81:
	v_add_co_u32 v0, vcc_lo, v32, v2
	v_add_co_ci_u32_e64 v1, null, v33, v3, vcc_lo
	global_load_dword v0, v[0:1], off
	s_waitcnt vmcnt(0)
	v_mul_f32_e32 v34, s3, v0
.LBB96_82:
	v_add_f32_e32 v0, v28, v29
	v_add_co_u32 v2, vcc_lo, v30, v2
	v_add_co_ci_u32_e64 v3, null, v31, v3, vcc_lo
	v_add_f32_e32 v28, v0, v34
	v_mov_b32_e32 v0, 0
	v_mov_b32_e32 v1, 0
	s_and_b32 vcc_lo, exec_lo, s1
	global_store_dword v[2:3], v28, off
	s_cbranch_vccnz .LBB96_84
; %bb.83:
	v_add_co_u32 v1, vcc_lo, v32, v4
	v_add_co_ci_u32_e64 v2, null, v33, v5, vcc_lo
	global_load_dword v1, v[1:2], off
	s_waitcnt vmcnt(0)
	v_mul_f32_e32 v1, s3, v1
.LBB96_84:
	v_add_f32_e32 v2, v26, v27
	v_add_f32_e32 v3, v2, v1
	v_add_co_u32 v1, vcc_lo, v30, v4
	v_add_co_ci_u32_e64 v2, null, v31, v5, vcc_lo
	s_and_b32 vcc_lo, exec_lo, s1
	global_store_dword v[1:2], v3, off
	s_cbranch_vccnz .LBB96_86
; %bb.85:
	v_add_co_u32 v0, vcc_lo, v32, v6
	v_add_co_ci_u32_e64 v1, null, v33, v7, vcc_lo
	global_load_dword v0, v[0:1], off
	s_waitcnt vmcnt(0)
	v_mul_f32_e32 v0, s3, v0
.LBB96_86:
	v_add_f32_e32 v1, v24, v25
	v_add_co_u32 v2, vcc_lo, v30, v6
	v_add_co_ci_u32_e64 v3, null, v31, v7, vcc_lo
	v_add_f32_e32 v4, v1, v0
	v_mov_b32_e32 v0, 0
	v_mov_b32_e32 v1, 0
	s_and_b32 vcc_lo, exec_lo, s1
	global_store_dword v[2:3], v4, off
	s_cbranch_vccnz .LBB96_88
; %bb.87:
	v_add_co_u32 v1, vcc_lo, v32, v10
	v_add_co_ci_u32_e64 v2, null, v33, v11, vcc_lo
	global_load_dword v1, v[1:2], off
	s_waitcnt vmcnt(0)
	v_mul_f32_e32 v1, s3, v1
.LBB96_88:
	v_add_f32_e32 v2, v22, v23
	v_add_f32_e32 v3, v2, v1
	v_add_co_u32 v1, vcc_lo, v30, v10
	v_add_co_ci_u32_e64 v2, null, v31, v11, vcc_lo
	s_and_b32 vcc_lo, exec_lo, s1
	global_store_dword v[1:2], v3, off
	s_cbranch_vccnz .LBB96_90
; %bb.89:
	v_add_co_u32 v0, vcc_lo, v32, v14
	v_add_co_ci_u32_e64 v1, null, v33, v15, vcc_lo
	global_load_dword v0, v[0:1], off
	s_waitcnt vmcnt(0)
	v_mul_f32_e32 v0, s3, v0
.LBB96_90:
	v_add_f32_e32 v3, v20, v21
	v_add_co_u32 v1, vcc_lo, v30, v14
	v_add_co_ci_u32_e64 v2, null, v31, v15, vcc_lo
	v_add_f32_e32 v3, v3, v0
	v_add_f32_e32 v0, v18, v19
	s_mov_b32 s1, -1
	s_mov_b32 vcc_lo, s0
	global_store_dword v[1:2], v3, off
	s_cbranch_vccz .LBB96_92
; %bb.91:
	v_add_co_u32 v1, vcc_lo, v30, v8
	v_add_f32_e32 v3, 0, v0
	v_add_co_ci_u32_e64 v2, null, v31, v9, vcc_lo
	s_mov_b32 s1, 0
	global_store_dword v[1:2], v3, off
.LBB96_92:
	v_mov_b32_e32 v1, 0
	s_andn2_b32 vcc_lo, exec_lo, s1
	s_cbranch_vccnz .LBB96_94
; %bb.93:
	v_add_co_u32 v1, vcc_lo, v32, v8
	v_add_co_ci_u32_e64 v2, null, v33, v9, vcc_lo
	global_load_dword v3, v[1:2], off
	v_add_co_u32 v1, vcc_lo, v30, v8
	v_add_co_ci_u32_e64 v2, null, v31, v9, vcc_lo
	s_waitcnt vmcnt(0)
	v_fmac_f32_e32 v0, s3, v3
	v_add_co_u32 v3, vcc_lo, v32, v12
	v_add_co_ci_u32_e64 v4, null, v33, v13, vcc_lo
	global_store_dword v[1:2], v0, off
	global_load_dword v0, v[3:4], off
	s_waitcnt vmcnt(0)
	v_mul_f32_e32 v1, s3, v0
.LBB96_94:
	v_add_f32_e32 v0, v16, v17
	v_add_f32_e32 v2, v0, v1
	v_add_co_u32 v0, vcc_lo, v30, v12
	v_add_co_ci_u32_e64 v1, null, v31, v13, vcc_lo
	global_store_dword v[0:1], v2, off
	s_endpgm
	.section	.rodata,"a",@progbits
	.p2align	6, 0x0
	.amdhsa_kernel _ZN12_GLOBAL__N_120geam_min_plus_kernelIf15HIP_vector_typeIfLj2EES2_Li8ELi32ELi64ELi128ELi4ELi4ELi64ELi64ELi4ELc84ELc84ELb0ELb0ELb0EPKfS3_fEEviiiT16_PT17_ilS7_ilS5_S7_ilPT18_ili26rocblas_geam_ex_operation_
		.amdhsa_group_segment_fixed_size 6144
		.amdhsa_private_segment_fixed_size 0
		.amdhsa_kernarg_size 136
		.amdhsa_user_sgpr_count 6
		.amdhsa_user_sgpr_private_segment_buffer 1
		.amdhsa_user_sgpr_dispatch_ptr 0
		.amdhsa_user_sgpr_queue_ptr 0
		.amdhsa_user_sgpr_kernarg_segment_ptr 1
		.amdhsa_user_sgpr_dispatch_id 0
		.amdhsa_user_sgpr_flat_scratch_init 0
		.amdhsa_user_sgpr_private_segment_size 0
		.amdhsa_wavefront_size32 1
		.amdhsa_uses_dynamic_stack 0
		.amdhsa_system_sgpr_private_segment_wavefront_offset 0
		.amdhsa_system_sgpr_workgroup_id_x 1
		.amdhsa_system_sgpr_workgroup_id_y 0
		.amdhsa_system_sgpr_workgroup_id_z 1
		.amdhsa_system_sgpr_workgroup_info 0
		.amdhsa_system_vgpr_workitem_id 1
		.amdhsa_next_free_vgpr 151
		.amdhsa_next_free_sgpr 25
		.amdhsa_reserve_vcc 1
		.amdhsa_reserve_flat_scratch 0
		.amdhsa_float_round_mode_32 0
		.amdhsa_float_round_mode_16_64 0
		.amdhsa_float_denorm_mode_32 3
		.amdhsa_float_denorm_mode_16_64 3
		.amdhsa_dx10_clamp 1
		.amdhsa_ieee_mode 1
		.amdhsa_fp16_overflow 0
		.amdhsa_workgroup_processor_mode 1
		.amdhsa_memory_ordered 1
		.amdhsa_forward_progress 1
		.amdhsa_shared_vgpr_count 0
		.amdhsa_exception_fp_ieee_invalid_op 0
		.amdhsa_exception_fp_denorm_src 0
		.amdhsa_exception_fp_ieee_div_zero 0
		.amdhsa_exception_fp_ieee_overflow 0
		.amdhsa_exception_fp_ieee_underflow 0
		.amdhsa_exception_fp_ieee_inexact 0
		.amdhsa_exception_int_div_zero 0
	.end_amdhsa_kernel
	.section	.text._ZN12_GLOBAL__N_120geam_min_plus_kernelIf15HIP_vector_typeIfLj2EES2_Li8ELi32ELi64ELi128ELi4ELi4ELi64ELi64ELi4ELc84ELc84ELb0ELb0ELb0EPKfS3_fEEviiiT16_PT17_ilS7_ilS5_S7_ilPT18_ili26rocblas_geam_ex_operation_,"axG",@progbits,_ZN12_GLOBAL__N_120geam_min_plus_kernelIf15HIP_vector_typeIfLj2EES2_Li8ELi32ELi64ELi128ELi4ELi4ELi64ELi64ELi4ELc84ELc84ELb0ELb0ELb0EPKfS3_fEEviiiT16_PT17_ilS7_ilS5_S7_ilPT18_ili26rocblas_geam_ex_operation_,comdat
.Lfunc_end96:
	.size	_ZN12_GLOBAL__N_120geam_min_plus_kernelIf15HIP_vector_typeIfLj2EES2_Li8ELi32ELi64ELi128ELi4ELi4ELi64ELi64ELi4ELc84ELc84ELb0ELb0ELb0EPKfS3_fEEviiiT16_PT17_ilS7_ilS5_S7_ilPT18_ili26rocblas_geam_ex_operation_, .Lfunc_end96-_ZN12_GLOBAL__N_120geam_min_plus_kernelIf15HIP_vector_typeIfLj2EES2_Li8ELi32ELi64ELi128ELi4ELi4ELi64ELi64ELi4ELc84ELc84ELb0ELb0ELb0EPKfS3_fEEviiiT16_PT17_ilS7_ilS5_S7_ilPT18_ili26rocblas_geam_ex_operation_
                                        ; -- End function
	.set _ZN12_GLOBAL__N_120geam_min_plus_kernelIf15HIP_vector_typeIfLj2EES2_Li8ELi32ELi64ELi128ELi4ELi4ELi64ELi64ELi4ELc84ELc84ELb0ELb0ELb0EPKfS3_fEEviiiT16_PT17_ilS7_ilS5_S7_ilPT18_ili26rocblas_geam_ex_operation_.num_vgpr, 151
	.set _ZN12_GLOBAL__N_120geam_min_plus_kernelIf15HIP_vector_typeIfLj2EES2_Li8ELi32ELi64ELi128ELi4ELi4ELi64ELi64ELi4ELc84ELc84ELb0ELb0ELb0EPKfS3_fEEviiiT16_PT17_ilS7_ilS5_S7_ilPT18_ili26rocblas_geam_ex_operation_.num_agpr, 0
	.set _ZN12_GLOBAL__N_120geam_min_plus_kernelIf15HIP_vector_typeIfLj2EES2_Li8ELi32ELi64ELi128ELi4ELi4ELi64ELi64ELi4ELc84ELc84ELb0ELb0ELb0EPKfS3_fEEviiiT16_PT17_ilS7_ilS5_S7_ilPT18_ili26rocblas_geam_ex_operation_.numbered_sgpr, 25
	.set _ZN12_GLOBAL__N_120geam_min_plus_kernelIf15HIP_vector_typeIfLj2EES2_Li8ELi32ELi64ELi128ELi4ELi4ELi64ELi64ELi4ELc84ELc84ELb0ELb0ELb0EPKfS3_fEEviiiT16_PT17_ilS7_ilS5_S7_ilPT18_ili26rocblas_geam_ex_operation_.num_named_barrier, 0
	.set _ZN12_GLOBAL__N_120geam_min_plus_kernelIf15HIP_vector_typeIfLj2EES2_Li8ELi32ELi64ELi128ELi4ELi4ELi64ELi64ELi4ELc84ELc84ELb0ELb0ELb0EPKfS3_fEEviiiT16_PT17_ilS7_ilS5_S7_ilPT18_ili26rocblas_geam_ex_operation_.private_seg_size, 0
	.set _ZN12_GLOBAL__N_120geam_min_plus_kernelIf15HIP_vector_typeIfLj2EES2_Li8ELi32ELi64ELi128ELi4ELi4ELi64ELi64ELi4ELc84ELc84ELb0ELb0ELb0EPKfS3_fEEviiiT16_PT17_ilS7_ilS5_S7_ilPT18_ili26rocblas_geam_ex_operation_.uses_vcc, 1
	.set _ZN12_GLOBAL__N_120geam_min_plus_kernelIf15HIP_vector_typeIfLj2EES2_Li8ELi32ELi64ELi128ELi4ELi4ELi64ELi64ELi4ELc84ELc84ELb0ELb0ELb0EPKfS3_fEEviiiT16_PT17_ilS7_ilS5_S7_ilPT18_ili26rocblas_geam_ex_operation_.uses_flat_scratch, 0
	.set _ZN12_GLOBAL__N_120geam_min_plus_kernelIf15HIP_vector_typeIfLj2EES2_Li8ELi32ELi64ELi128ELi4ELi4ELi64ELi64ELi4ELc84ELc84ELb0ELb0ELb0EPKfS3_fEEviiiT16_PT17_ilS7_ilS5_S7_ilPT18_ili26rocblas_geam_ex_operation_.has_dyn_sized_stack, 0
	.set _ZN12_GLOBAL__N_120geam_min_plus_kernelIf15HIP_vector_typeIfLj2EES2_Li8ELi32ELi64ELi128ELi4ELi4ELi64ELi64ELi4ELc84ELc84ELb0ELb0ELb0EPKfS3_fEEviiiT16_PT17_ilS7_ilS5_S7_ilPT18_ili26rocblas_geam_ex_operation_.has_recursion, 0
	.set _ZN12_GLOBAL__N_120geam_min_plus_kernelIf15HIP_vector_typeIfLj2EES2_Li8ELi32ELi64ELi128ELi4ELi4ELi64ELi64ELi4ELc84ELc84ELb0ELb0ELb0EPKfS3_fEEviiiT16_PT17_ilS7_ilS5_S7_ilPT18_ili26rocblas_geam_ex_operation_.has_indirect_call, 0
	.section	.AMDGPU.csdata,"",@progbits
; Kernel info:
; codeLenInByte = 7620
; TotalNumSgprs: 27
; NumVgprs: 151
; ScratchSize: 0
; MemoryBound: 0
; FloatMode: 240
; IeeeMode: 1
; LDSByteSize: 6144 bytes/workgroup (compile time only)
; SGPRBlocks: 0
; VGPRBlocks: 18
; NumSGPRsForWavesPerEU: 27
; NumVGPRsForWavesPerEU: 151
; Occupancy: 6
; WaveLimiterHint : 1
; COMPUTE_PGM_RSRC2:SCRATCH_EN: 0
; COMPUTE_PGM_RSRC2:USER_SGPR: 6
; COMPUTE_PGM_RSRC2:TRAP_HANDLER: 0
; COMPUTE_PGM_RSRC2:TGID_X_EN: 1
; COMPUTE_PGM_RSRC2:TGID_Y_EN: 0
; COMPUTE_PGM_RSRC2:TGID_Z_EN: 1
; COMPUTE_PGM_RSRC2:TIDIG_COMP_CNT: 1
	.section	.text._ZN12_GLOBAL__N_120geam_min_plus_kernelIf15HIP_vector_typeIfLj2EES2_Li8ELi32ELi64ELi128ELi4ELi4ELi64ELi64ELi4ELc84ELc84ELb1ELb0ELb0EfKffEEviiiT16_PT17_ilS6_ilS4_S6_ilPT18_ili26rocblas_geam_ex_operation_,"axG",@progbits,_ZN12_GLOBAL__N_120geam_min_plus_kernelIf15HIP_vector_typeIfLj2EES2_Li8ELi32ELi64ELi128ELi4ELi4ELi64ELi64ELi4ELc84ELc84ELb1ELb0ELb0EfKffEEviiiT16_PT17_ilS6_ilS4_S6_ilPT18_ili26rocblas_geam_ex_operation_,comdat
	.globl	_ZN12_GLOBAL__N_120geam_min_plus_kernelIf15HIP_vector_typeIfLj2EES2_Li8ELi32ELi64ELi128ELi4ELi4ELi64ELi64ELi4ELc84ELc84ELb1ELb0ELb0EfKffEEviiiT16_PT17_ilS6_ilS4_S6_ilPT18_ili26rocblas_geam_ex_operation_ ; -- Begin function _ZN12_GLOBAL__N_120geam_min_plus_kernelIf15HIP_vector_typeIfLj2EES2_Li8ELi32ELi64ELi128ELi4ELi4ELi64ELi64ELi4ELc84ELc84ELb1ELb0ELb0EfKffEEviiiT16_PT17_ilS6_ilS4_S6_ilPT18_ili26rocblas_geam_ex_operation_
	.p2align	8
	.type	_ZN12_GLOBAL__N_120geam_min_plus_kernelIf15HIP_vector_typeIfLj2EES2_Li8ELi32ELi64ELi128ELi4ELi4ELi64ELi64ELi4ELc84ELc84ELb1ELb0ELb0EfKffEEviiiT16_PT17_ilS6_ilS4_S6_ilPT18_ili26rocblas_geam_ex_operation_,@function
_ZN12_GLOBAL__N_120geam_min_plus_kernelIf15HIP_vector_typeIfLj2EES2_Li8ELi32ELi64ELi128ELi4ELi4ELi64ELi64ELi4ELc84ELc84ELb1ELb0ELb0EfKffEEviiiT16_PT17_ilS6_ilS4_S6_ilPT18_ili26rocblas_geam_ex_operation_: ; @_ZN12_GLOBAL__N_120geam_min_plus_kernelIf15HIP_vector_typeIfLj2EES2_Li8ELi32ELi64ELi128ELi4ELi4ELi64ELi64ELi4ELc84ELc84ELb1ELb0ELb0EfKffEEviiiT16_PT17_ilS6_ilS4_S6_ilPT18_ili26rocblas_geam_ex_operation_
; %bb.0:
	s_clause 0x1
	s_load_dwordx2 s[14:15], s[4:5], 0x8
	s_load_dwordx4 s[0:3], s[4:5], 0x20
	s_waitcnt lgkmcnt(0)
	v_cmp_eq_f32_e64 s8, s15, 0
	s_and_b32 vcc_lo, exec_lo, s8
	s_cbranch_vccnz .LBB97_83
; %bb.1:
	s_load_dwordx2 s[10:11], s[4:5], 0x10
	s_mul_i32 s1, s1, s7
	s_mul_hi_u32 s9, s0, s7
	s_mul_i32 s0, s0, s7
	s_add_i32 s1, s9, s1
	s_lshl_b64 s[0:1], s[0:1], 2
	s_waitcnt lgkmcnt(0)
	s_add_u32 s18, s10, s0
	s_addc_u32 s19, s11, s1
	s_andn2_b32 vcc_lo, exec_lo, s8
	s_mov_b32 s0, -1
	s_cbranch_vccnz .LBB97_3
.LBB97_2:
	s_mov_b32 s0, 0
.LBB97_3:
	s_mov_b64 s[12:13], 0
	s_andn2_b32 vcc_lo, exec_lo, s0
	s_mov_b64 s[16:17], 0
	s_cbranch_vccnz .LBB97_5
; %bb.4:
	s_load_dwordx2 s[0:1], s[4:5], 0x38
	s_waitcnt lgkmcnt(0)
	s_mul_i32 s1, s1, s7
	s_mul_hi_u32 s8, s0, s7
	s_mul_i32 s0, s0, s7
	s_add_i32 s1, s8, s1
	s_lshl_b64 s[0:1], s[0:1], 2
	s_add_u32 s16, s2, s0
	s_addc_u32 s17, s3, s1
.LBB97_5:
	s_clause 0x1
	s_load_dword s2, s[4:5], 0x40
	s_load_dwordx4 s[8:11], s[4:5], 0x58
	s_mov_b32 s15, 0
	s_waitcnt lgkmcnt(0)
	v_cmp_eq_f32_e64 s0, s2, 0
	s_and_b32 s0, exec_lo, s0
	s_mov_b32 vcc_lo, s0
	s_cbranch_vccnz .LBB97_7
; %bb.6:
	s_load_dwordx2 s[12:13], s[4:5], 0x48
	s_mul_i32 s1, s9, s7
	s_mul_hi_u32 s3, s8, s7
	s_mul_i32 s8, s8, s7
	s_add_i32 s9, s3, s1
	s_lshl_b64 s[8:9], s[8:9], 2
	s_waitcnt lgkmcnt(0)
	s_add_u32 s12, s12, s8
	s_addc_u32 s13, s13, s9
.LBB97_7:
	s_clause 0x2
	s_load_dword s1, s[4:5], 0x0
	s_load_dword s20, s[4:5], 0x18
	;; [unrolled: 1-line block ×3, first 2 shown]
	v_lshl_add_u32 v4, v1, 3, v0
	v_and_b32_e32 v12, 3, v0
	v_mov_b32_e32 v70, 0
	v_lshl_or_b32 v75, v0, 4, 0x1000
	v_lshlrev_b32_e32 v76, 4, v1
	v_lshrrev_b32_e32 v13, 6, v4
	v_lshrrev_b32_e32 v16, 2, v4
	v_and_b32_e32 v4, 63, v4
	v_lshlrev_b32_e32 v17, 2, v12
	v_mov_b32_e32 v71, v70
	v_add_nc_u32_e32 v72, 4, v13
	v_mov_b32_e32 v68, v70
	v_lshlrev_b32_e32 v19, 4, v4
	v_lshl_or_b32 v82, v16, 4, v17
	v_mov_b32_e32 v69, v70
	v_mov_b32_e32 v66, v70
	;; [unrolled: 1-line block ×3, first 2 shown]
	s_waitcnt lgkmcnt(0)
	s_add_i32 s1, s1, -1
	v_mov_b32_e32 v64, v70
	s_ashr_i32 s3, s1, 31
	v_mad_i64_i32 v[5:6], null, s8, v72, 0
	s_lshr_b32 s3, s3, 26
	v_mov_b32_e32 v65, v70
	s_add_i32 s1, s1, s3
	v_mov_b32_e32 v62, v70
	s_ashr_i32 s1, s1, 6
	v_mov_b32_e32 v63, v70
	s_add_i32 s3, s1, 1
	s_not_b32 s1, s1
	v_cvt_f32_u32_e32 v2, s3
	v_lshlrev_b64 v[5:6], 2, v[5:6]
	v_mov_b32_e32 v60, v70
	v_mov_b32_e32 v61, v70
	;; [unrolled: 1-line block ×3, first 2 shown]
	v_rcp_iflag_f32_e32 v2, v2
	v_mov_b32_e32 v59, v70
	v_mov_b32_e32 v56, v70
	;; [unrolled: 1-line block ×9, first 2 shown]
	v_mul_f32_e32 v2, 0x4f7ffffe, v2
	v_mov_b32_e32 v48, v70
	v_mov_b32_e32 v49, v70
	;; [unrolled: 1-line block ×4, first 2 shown]
	v_cvt_u32_f32_e32 v2, v2
	v_mov_b32_e32 v44, v70
	v_mov_b32_e32 v45, v70
	;; [unrolled: 1-line block ×4, first 2 shown]
	v_readfirstlane_b32 s9, v2
	v_mad_i64_i32 v[2:3], null, s8, v13, 0
	v_mov_b32_e32 v40, v70
	v_mov_b32_e32 v41, v70
	s_mul_i32 s1, s1, s9
	v_mov_b32_e32 v38, v70
	s_mul_hi_u32 s1, s9, s1
	v_mov_b32_e32 v39, v70
	s_add_i32 s9, s9, s1
	v_lshlrev_b64 v[2:3], 2, v[2:3]
	s_mul_hi_u32 s1, s6, s9
	s_ashr_i32 s9, s8, 31
	s_mul_i32 s21, s1, s3
	s_add_i32 s22, s1, 1
	s_sub_i32 s21, s6, s21
	v_add_co_u32 v11, vcc_lo, s16, v2
	s_sub_i32 s23, s21, s3
	s_cmp_ge_u32 s21, s3
	v_add_co_ci_u32_e64 v14, null, s17, v3, vcc_lo
	s_cselect_b32 s1, s22, s1
	s_cselect_b32 s21, s23, s21
	s_add_i32 s22, s1, 1
	s_cmp_ge_u32 s21, s3
	v_add_co_u32 v15, vcc_lo, s16, v5
	s_cselect_b32 s21, s22, s1
	v_add_co_ci_u32_e64 v18, null, s17, v6, vcc_lo
	s_mul_i32 s1, s21, s3
	s_lshl_b32 s3, s21, 7
	s_sub_i32 s1, s6, s1
	v_or_b32_e32 v9, s3, v4
	s_lshl_b32 s1, s1, 6
	v_cmp_neq_f32_e64 s6, s2, 0
	v_add_nc_u32_e32 v7, s1, v16
	v_mov_b32_e32 v36, v70
	v_ashrrev_i32_e32 v10, 31, v9
	v_mov_b32_e32 v37, v70
	v_mov_b32_e32 v34, v70
	v_mad_i64_i32 v[7:8], null, v7, s20, 0
	v_lshlrev_b64 v[2:3], 2, v[9:10]
	v_mov_b32_e32 v35, v70
	v_mov_b32_e32 v32, v70
	;; [unrolled: 1-line block ×5, first 2 shown]
	v_lshlrev_b64 v[7:8], 2, v[7:8]
	v_mov_b32_e32 v28, v70
	v_mov_b32_e32 v29, v70
	;; [unrolled: 1-line block ×5, first 2 shown]
	v_add_co_u32 v73, vcc_lo, s18, v7
	v_add_co_ci_u32_e64 v74, null, s19, v8, vcc_lo
	v_add_co_u32 v5, vcc_lo, v11, v2
	v_add_co_ci_u32_e64 v6, null, v14, v3, vcc_lo
	;; [unrolled: 2-line block ×4, first 2 shown]
	s_clause 0x1
	global_load_dword v78, v[5:6], off
	global_load_dword v83, v[5:6], off offset:256
	global_load_dword v84, v[7:8], off
	s_clause 0x1
	global_load_dword v5, v[9:10], off
	global_load_dword v81, v[9:10], off offset:256
	global_load_dword v77, v[7:8], off offset:16
	v_mov_b32_e32 v6, v70
	v_mov_b32_e32 v7, v70
	v_mov_b32_e32 v10, v70
	v_mov_b32_e32 v11, v70
	v_mov_b32_e32 v14, v70
	v_mov_b32_e32 v15, v70
	v_mov_b32_e32 v8, v70
	v_mov_b32_e32 v9, v70
	v_mov_b32_e32 v25, v70
	v_mov_b32_e32 v22, v70
	v_mov_b32_e32 v23, v70
	v_mov_b32_e32 v20, v70
	v_mov_b32_e32 v21, v70
	v_mov_b32_e32 v18, v70
	v_lshl_add_u32 v79, v13, 2, v19
	v_mov_b32_e32 v19, v70
	v_mov_b32_e32 v16, v70
	;; [unrolled: 1-line block ×3, first 2 shown]
	v_add_nc_u32_e32 v80, 0x1000, v82
	s_mov_b32 s18, -1
	s_waitcnt vmcnt(4)
	ds_write2st64_b32 v79, v78, v83 offset1:4
	s_waitcnt vmcnt(3)
	ds_write_b32 v82, v84 offset:4096
	s_waitcnt vmcnt(0) lgkmcnt(0)
	s_barrier
	buffer_gl0_inv
.LBB97_8:                               ; =>This Inner Loop Header: Depth=1
	s_lshl_b32 s15, s15, 2
	v_cndmask_b32_e64 v78, 0, 1, s18
	v_add_nc_u32_e32 v95, s15, v75
	v_add_nc_u32_e32 v103, s15, v76
	s_mov_b32 s18, 0
	s_mov_b32 s15, 2
	v_cmp_ne_u32_e32 vcc_lo, 1, v78
	ds_read2_b64 v[83:86], v95 offset1:16
	ds_read2_b64 v[87:90], v95 offset0:32 offset1:48
	ds_read2_b64 v[91:94], v95 offset0:64 offset1:80
	;; [unrolled: 1-line block ×3, first 2 shown]
	ds_read2st64_b64 v[99:102], v103 offset1:1
	ds_read2st64_b64 v[103:106], v103 offset0:2 offset1:3
	s_and_b32 vcc_lo, exec_lo, vcc_lo
	s_waitcnt lgkmcnt(5)
	v_max_f32_e32 v78, v83, v83
	v_max_f32_e32 v83, v84, v84
	v_max_f32_e32 v84, v85, v85
	v_max_f32_e32 v85, v86, v86
	s_waitcnt lgkmcnt(4)
	v_max_f32_e32 v86, v87, v87
	v_max_f32_e32 v87, v88, v88
	v_max_f32_e32 v88, v89, v89
	v_max_f32_e32 v89, v90, v90
	;; [unrolled: 5-line block ×6, first 2 shown]
	v_min_f32_e32 v106, v78, v98
	v_min_f32_e32 v107, v84, v98
	;; [unrolled: 1-line block ×64, first 2 shown]
	v_add_f32_e32 v71, v104, v71
	v_add_f32_e32 v70, v106, v70
	;; [unrolled: 1-line block ×64, first 2 shown]
	s_cbranch_vccz .LBB97_8
; %bb.9:
	v_lshlrev_b32_e32 v78, 2, v13
	ds_write_b32 v82, v77 offset:5120
	v_lshl_add_u32 v77, v0, 4, 0x1400
	s_cmp_lt_i32 s14, 9
	v_lshl_add_u32 v4, v4, 4, v78
	v_lshl_add_u32 v78, v1, 4, 0x800
	ds_write2st64_b32 v4, v5, v81 offset0:8 offset1:12
	s_waitcnt lgkmcnt(0)
	s_barrier
	buffer_gl0_inv
	s_cbranch_scc1 .LBB97_16
; %bb.10:
	v_add_co_u32 v83, vcc_lo, s16, v2
	v_add_nc_u32_e32 v81, 0x1400, v82
	v_or_b32_e32 v82, 0x800, v4
	v_add_co_ci_u32_e64 v84, null, s17, v3, vcc_lo
	v_mov_b32_e32 v3, 0
	s_add_i32 s14, s14, -8
	s_mov_b32 s15, 8
	s_mov_b32 s16, 0
.LBB97_11:                              ; =>This Loop Header: Depth=1
                                        ;     Child Loop BB97_12 Depth 2
                                        ;     Child Loop BB97_14 Depth 2
	v_add_nc_u32_e32 v85, s15, v13
	s_mov_b32 s17, -1
	s_mov_b32 s18, 0
	v_mad_u64_u32 v[4:5], null, v85, s8, 0
	v_mov_b32_e32 v2, v5
	v_mad_u64_u32 v[85:86], null, v85, s9, v[2:3]
	v_or_b32_e32 v2, s15, v12
	v_mov_b32_e32 v5, v85
	v_lshlrev_b64 v[85:86], 2, v[2:3]
	v_lshlrev_b64 v[87:88], 2, v[4:5]
	v_add_co_u32 v4, vcc_lo, v73, v85
	v_add_co_ci_u32_e64 v5, null, v74, v86, vcc_lo
	v_add_co_u32 v86, vcc_lo, v83, v87
	v_add_co_ci_u32_e64 v87, null, v84, v88, vcc_lo
	global_load_dword v2, v[4:5], off
	s_clause 0x1
	global_load_dword v85, v[86:87], off
	global_load_dword v86, v[86:87], off offset:256
.LBB97_12:                              ;   Parent Loop BB97_11 Depth=1
                                        ; =>  This Inner Loop Header: Depth=2
	s_lshl_b32 s18, s18, 2
	v_cndmask_b32_e64 v87, 0, 1, s17
	v_add_nc_u32_e32 v107, s18, v78
	v_add_nc_u32_e32 v103, s18, v77
	s_mov_b32 s17, 0
	s_mov_b32 s18, 2
	v_cmp_ne_u32_e32 vcc_lo, 1, v87
	ds_read2st64_b64 v[87:90], v107 offset1:1
	ds_read2_b64 v[91:94], v103 offset1:16
	ds_read2_b64 v[95:98], v103 offset0:32 offset1:48
	ds_read2_b64 v[99:102], v103 offset0:64 offset1:80
	;; [unrolled: 1-line block ×3, first 2 shown]
	ds_read2st64_b64 v[107:110], v107 offset0:2 offset1:3
	s_and_b32 vcc_lo, exec_lo, vcc_lo
	s_waitcnt lgkmcnt(5)
	v_max_f32_e32 v87, v87, v87
	s_waitcnt lgkmcnt(4)
	v_max_f32_e32 v91, v91, v91
	v_max_f32_e32 v88, v88, v88
	;; [unrolled: 1-line block ×5, first 2 shown]
	s_waitcnt lgkmcnt(3)
	v_max_f32_e32 v95, v95, v95
	v_max_f32_e32 v96, v96, v96
	v_max_f32_e32 v97, v97, v97
	v_max_f32_e32 v98, v98, v98
	s_waitcnt lgkmcnt(2)
	v_max_f32_e32 v99, v99, v99
	v_max_f32_e32 v100, v100, v100
	v_max_f32_e32 v101, v101, v101
	v_max_f32_e32 v102, v102, v102
	;; [unrolled: 5-line block ×3, first 2 shown]
	v_max_f32_e32 v89, v89, v89
	v_max_f32_e32 v90, v90, v90
	s_waitcnt lgkmcnt(0)
	v_max_f32_e32 v107, v107, v107
	v_max_f32_e32 v108, v108, v108
	;; [unrolled: 1-line block ×4, first 2 shown]
	v_min_f32_e32 v111, v91, v87
	v_min_f32_e32 v112, v92, v88
	;; [unrolled: 1-line block ×64, first 2 shown]
	v_add_f32_e32 v71, v112, v71
	v_add_f32_e32 v70, v111, v70
	;; [unrolled: 1-line block ×64, first 2 shown]
	s_cbranch_vccz .LBB97_12
; %bb.13:                               ;   in Loop: Header=BB97_11 Depth=1
	v_add_nc_u32_e32 v89, s15, v72
	s_waitcnt vmcnt(2)
	ds_write_b32 v80, v2
	s_waitcnt vmcnt(0)
	ds_write2st64_b32 v79, v85, v86 offset1:4
	s_waitcnt lgkmcnt(0)
	s_barrier
	buffer_gl0_inv
	v_mad_u64_u32 v[87:88], null, v89, s8, 0
	s_mov_b32 s18, 0
	s_mov_b32 s17, -1
	v_mad_u64_u32 v[88:89], null, v89, s9, v[88:89]
	v_lshlrev_b64 v[87:88], 2, v[87:88]
	v_add_co_u32 v85, vcc_lo, v83, v87
	v_add_co_ci_u32_e64 v86, null, v84, v88, vcc_lo
	global_load_dword v2, v[4:5], off offset:16
	s_clause 0x1
	global_load_dword v4, v[85:86], off
	global_load_dword v5, v[85:86], off offset:256
.LBB97_14:                              ;   Parent Loop BB97_11 Depth=1
                                        ; =>  This Inner Loop Header: Depth=2
	s_lshl_b32 s18, s18, 2
	v_cndmask_b32_e64 v85, 0, 1, s17
	v_add_nc_u32_e32 v105, s18, v76
	v_add_nc_u32_e32 v101, s18, v75
	s_mov_b32 s17, 0
	s_mov_b32 s18, 2
	v_cmp_ne_u32_e32 vcc_lo, 1, v85
	ds_read2st64_b64 v[85:88], v105 offset1:1
	ds_read2_b64 v[89:92], v101 offset1:16
	ds_read2_b64 v[93:96], v101 offset0:32 offset1:48
	ds_read2_b64 v[97:100], v101 offset0:64 offset1:80
	;; [unrolled: 1-line block ×3, first 2 shown]
	ds_read2st64_b64 v[105:108], v105 offset0:2 offset1:3
	s_and_b32 vcc_lo, exec_lo, vcc_lo
	s_waitcnt lgkmcnt(5)
	v_max_f32_e32 v85, v85, v85
	s_waitcnt lgkmcnt(4)
	v_max_f32_e32 v89, v89, v89
	v_max_f32_e32 v86, v86, v86
	;; [unrolled: 1-line block ×5, first 2 shown]
	s_waitcnt lgkmcnt(3)
	v_max_f32_e32 v93, v93, v93
	v_max_f32_e32 v94, v94, v94
	v_max_f32_e32 v95, v95, v95
	v_max_f32_e32 v96, v96, v96
	s_waitcnt lgkmcnt(2)
	v_max_f32_e32 v97, v97, v97
	v_max_f32_e32 v98, v98, v98
	v_max_f32_e32 v99, v99, v99
	v_max_f32_e32 v100, v100, v100
	;; [unrolled: 5-line block ×3, first 2 shown]
	v_max_f32_e32 v87, v87, v87
	v_max_f32_e32 v88, v88, v88
	s_waitcnt lgkmcnt(0)
	v_max_f32_e32 v105, v105, v105
	v_max_f32_e32 v106, v106, v106
	;; [unrolled: 1-line block ×4, first 2 shown]
	v_min_f32_e32 v109, v89, v85
	v_min_f32_e32 v110, v90, v86
	;; [unrolled: 1-line block ×64, first 2 shown]
	v_add_f32_e32 v71, v110, v71
	v_add_f32_e32 v70, v109, v70
	;; [unrolled: 1-line block ×64, first 2 shown]
	s_cbranch_vccz .LBB97_14
; %bb.15:                               ;   in Loop: Header=BB97_11 Depth=1
	s_add_i32 s16, s16, 8
	s_add_i32 s15, s15, 8
	s_cmp_ge_i32 s16, s14
	s_waitcnt vmcnt(2)
	ds_write_b32 v81, v2
	s_waitcnt vmcnt(0)
	ds_write2st64_b32 v82, v4, v5 offset1:4
	s_waitcnt lgkmcnt(0)
	s_barrier
	buffer_gl0_inv
	s_cbranch_scc0 .LBB97_11
.LBB97_16:
	s_mov_b32 s9, 0
	s_mov_b32 s8, -1
.LBB97_17:                              ; =>This Inner Loop Header: Depth=1
	s_lshl_b32 s9, s9, 2
	v_cndmask_b32_e64 v2, 0, 1, s8
	v_add_nc_u32_e32 v12, s9, v78
	v_add_nc_u32_e32 v13, s9, v77
	s_mov_b32 s8, 0
	s_mov_b32 s9, 2
	v_cmp_ne_u32_e32 vcc_lo, 1, v2
	ds_read2st64_b64 v[2:5], v12 offset1:1
	ds_read2_b64 v[72:75], v13 offset1:16
	ds_read2_b64 v[79:82], v13 offset0:32 offset1:48
	ds_read2_b64 v[83:86], v13 offset0:64 offset1:80
	ds_read2_b64 v[87:90], v13 offset0:96 offset1:112
	ds_read2st64_b64 v[91:94], v12 offset0:2 offset1:3
	s_and_b32 vcc_lo, exec_lo, vcc_lo
	s_waitcnt lgkmcnt(5)
	v_max_f32_e32 v2, v2, v2
	s_waitcnt lgkmcnt(4)
	v_max_f32_e32 v12, v72, v72
	v_max_f32_e32 v3, v3, v3
	;; [unrolled: 1-line block ×5, first 2 shown]
	s_waitcnt lgkmcnt(3)
	v_max_f32_e32 v74, v79, v79
	v_max_f32_e32 v75, v80, v80
	v_max_f32_e32 v76, v81, v81
	v_max_f32_e32 v79, v82, v82
	s_waitcnt lgkmcnt(2)
	v_max_f32_e32 v80, v83, v83
	v_max_f32_e32 v81, v84, v84
	v_max_f32_e32 v82, v85, v85
	v_max_f32_e32 v83, v86, v86
	;; [unrolled: 5-line block ×3, first 2 shown]
	v_max_f32_e32 v4, v4, v4
	v_max_f32_e32 v5, v5, v5
	s_waitcnt lgkmcnt(0)
	v_max_f32_e32 v88, v91, v91
	v_max_f32_e32 v89, v92, v92
	;; [unrolled: 1-line block ×4, first 2 shown]
	v_min_f32_e32 v92, v12, v2
	v_min_f32_e32 v93, v13, v3
	;; [unrolled: 1-line block ×64, first 2 shown]
	v_add_f32_e32 v71, v93, v71
	v_add_f32_e32 v70, v92, v70
	;; [unrolled: 1-line block ×64, first 2 shown]
	s_cbranch_vccz .LBB97_17
; %bb.18:
	s_load_dword s8, s[4:5], 0x50
	v_add_nc_u32_e32 v72, s3, v1
	v_add_nc_u32_e32 v12, s1, v0
	v_cndmask_b32_e64 v0, 0, 1, s6
	v_mov_b32_e32 v4, 0
	v_ashrrev_i32_e32 v13, 31, v12
	v_cmp_ne_u32_e64 s1, 1, v0
	s_waitcnt lgkmcnt(0)
	v_mad_i64_i32 v[1:2], null, v72, s8, 0
	v_lshlrev_b64 v[2:3], 2, v[1:2]
	v_lshlrev_b64 v[0:1], 2, v[12:13]
	v_add_co_u32 v73, vcc_lo, s12, v2
	v_add_co_ci_u32_e64 v74, null, s13, v3, vcc_lo
	v_mov_b32_e32 v2, 0
	s_andn2_b32 vcc_lo, exec_lo, s6
	s_cbranch_vccnz .LBB97_20
; %bb.19:
	v_add_co_u32 v2, vcc_lo, v73, v0
	v_add_co_ci_u32_e64 v3, null, v74, v1, vcc_lo
	global_load_dword v2, v[2:3], off
	s_waitcnt vmcnt(0)
	v_mul_f32_e32 v2, s2, v2
.LBB97_20:
	s_clause 0x1
	s_load_dword s3, s[4:5], 0x68
	s_load_dwordx2 s[4:5], s[4:5], 0x70
	v_add_f32_e32 v3, v70, v71
	v_add_nc_u32_e32 v77, 8, v12
	v_add_f32_e32 v5, v3, v2
	v_ashrrev_i32_e32 v78, 31, v77
	v_lshlrev_b64 v[2:3], 2, v[77:78]
	s_waitcnt lgkmcnt(0)
	v_mad_i64_i32 v[75:76], null, v72, s3, 0
	s_mul_i32 s5, s5, s7
	s_mul_hi_u32 s6, s4, s7
	s_mul_i32 s4, s4, s7
	s_add_i32 s5, s6, s5
	s_lshl_b64 s[4:5], s[4:5], 2
	v_lshlrev_b64 v[70:71], 2, v[75:76]
	s_add_u32 s4, s10, s4
	s_addc_u32 s5, s11, s5
	v_add_co_u32 v70, vcc_lo, s4, v70
	v_add_co_ci_u32_e64 v71, null, s5, v71, vcc_lo
	v_add_co_u32 v75, vcc_lo, v70, v0
	v_add_co_ci_u32_e64 v76, null, v71, v1, vcc_lo
	s_and_b32 vcc_lo, exec_lo, s1
	global_store_dword v[75:76], v5, off
	s_cbranch_vccnz .LBB97_22
; %bb.21:
	v_add_co_u32 v4, vcc_lo, v73, v2
	v_add_co_ci_u32_e64 v5, null, v74, v3, vcc_lo
	global_load_dword v4, v[4:5], off
	s_waitcnt vmcnt(0)
	v_mul_f32_e32 v4, s2, v4
.LBB97_22:
	v_add_nc_u32_e32 v75, 16, v12
	v_add_f32_e32 v5, v68, v69
	v_add_co_u32 v77, vcc_lo, v70, v2
	v_add_co_ci_u32_e64 v78, null, v71, v3, vcc_lo
	v_ashrrev_i32_e32 v76, 31, v75
	v_add_f32_e32 v69, v5, v4
	v_mov_b32_e32 v13, 0
	v_mov_b32_e32 v68, 0
	s_and_b32 vcc_lo, exec_lo, s1
	v_lshlrev_b64 v[4:5], 2, v[75:76]
	global_store_dword v[77:78], v69, off
	s_cbranch_vccnz .LBB97_24
; %bb.23:
	v_add_co_u32 v68, vcc_lo, v73, v4
	v_add_co_ci_u32_e64 v69, null, v74, v5, vcc_lo
	global_load_dword v68, v[68:69], off
	s_waitcnt vmcnt(0)
	v_mul_f32_e32 v68, s2, v68
.LBB97_24:
	v_add_nc_u32_e32 v75, 24, v12
	v_add_f32_e32 v6, v6, v7
	v_ashrrev_i32_e32 v76, 31, v75
	v_add_f32_e32 v77, v6, v68
	v_add_co_u32 v68, vcc_lo, v70, v4
	v_add_co_ci_u32_e64 v69, null, v71, v5, vcc_lo
	v_lshlrev_b64 v[6:7], 2, v[75:76]
	s_and_b32 vcc_lo, exec_lo, s1
	global_store_dword v[68:69], v77, off
	s_cbranch_vccnz .LBB97_26
; %bb.25:
	v_add_co_u32 v68, vcc_lo, v73, v6
	v_add_co_ci_u32_e64 v69, null, v74, v7, vcc_lo
	global_load_dword v13, v[68:69], off
	s_waitcnt vmcnt(0)
	v_mul_f32_e32 v13, s2, v13
.LBB97_26:
	v_add_nc_u32_e32 v68, 32, v12
	v_add_f32_e32 v10, v10, v11
	v_add_co_u32 v75, vcc_lo, v70, v6
	v_add_co_ci_u32_e64 v76, null, v71, v7, vcc_lo
	v_ashrrev_i32_e32 v69, 31, v68
	v_add_f32_e32 v77, v10, v13
	v_mov_b32_e32 v13, 0
	s_and_b32 vcc_lo, exec_lo, s1
	v_lshlrev_b64 v[10:11], 2, v[68:69]
	v_mov_b32_e32 v68, 0
	global_store_dword v[75:76], v77, off
	s_cbranch_vccnz .LBB97_28
; %bb.27:
	v_add_co_u32 v68, vcc_lo, v73, v10
	v_add_co_ci_u32_e64 v69, null, v74, v11, vcc_lo
	global_load_dword v68, v[68:69], off
	s_waitcnt vmcnt(0)
	v_mul_f32_e32 v68, s2, v68
.LBB97_28:
	v_add_nc_u32_e32 v75, 40, v12
	v_add_f32_e32 v14, v14, v15
	v_ashrrev_i32_e32 v76, 31, v75
	v_add_f32_e32 v77, v14, v68
	v_add_co_u32 v68, vcc_lo, v70, v10
	v_add_co_ci_u32_e64 v69, null, v71, v11, vcc_lo
	v_lshlrev_b64 v[14:15], 2, v[75:76]
	s_and_b32 vcc_lo, exec_lo, s1
	global_store_dword v[68:69], v77, off
	s_cbranch_vccnz .LBB97_30
; %bb.29:
	v_add_co_u32 v68, vcc_lo, v73, v14
	v_add_co_ci_u32_e64 v69, null, v74, v15, vcc_lo
	global_load_dword v13, v[68:69], off
	s_waitcnt vmcnt(0)
	v_mul_f32_e32 v13, s2, v13
.LBB97_30:
	v_add_nc_u32_e32 v75, 48, v12
	v_add_f32_e32 v8, v8, v9
	v_add_co_u32 v77, vcc_lo, v70, v14
	v_add_co_ci_u32_e64 v78, null, v71, v15, vcc_lo
	v_ashrrev_i32_e32 v76, 31, v75
	v_add_f32_e32 v69, v8, v13
	v_mov_b32_e32 v68, 0
	v_mov_b32_e32 v13, 0
	s_and_b32 vcc_lo, exec_lo, s1
	v_lshlrev_b64 v[8:9], 2, v[75:76]
	global_store_dword v[77:78], v69, off
	s_cbranch_vccnz .LBB97_32
; %bb.31:
	v_add_co_u32 v75, vcc_lo, v73, v8
	v_add_co_ci_u32_e64 v76, null, v74, v9, vcc_lo
	global_load_dword v13, v[75:76], off
	s_waitcnt vmcnt(0)
	v_mul_f32_e32 v13, s2, v13
.LBB97_32:
	v_add_nc_u32_e32 v75, 56, v12
	v_add_f32_e32 v12, v66, v67
	v_add_co_u32 v66, vcc_lo, v70, v8
	v_add_co_ci_u32_e64 v67, null, v71, v9, vcc_lo
	v_ashrrev_i32_e32 v76, 31, v75
	v_add_f32_e32 v69, v12, v13
	s_and_b32 vcc_lo, exec_lo, s1
	v_lshlrev_b64 v[12:13], 2, v[75:76]
	global_store_dword v[66:67], v69, off
	s_cbranch_vccnz .LBB97_34
; %bb.33:
	v_add_co_u32 v66, vcc_lo, v73, v12
	v_add_co_ci_u32_e64 v67, null, v74, v13, vcc_lo
	global_load_dword v66, v[66:67], off
	s_waitcnt vmcnt(0)
	v_mul_f32_e32 v68, s2, v66
.LBB97_34:
	v_add_nc_u32_e32 v67, 32, v72
	v_add_f32_e32 v75, v64, v65
	v_add_co_u32 v69, vcc_lo, v70, v12
	v_add_co_ci_u32_e64 v70, null, v71, v13, vcc_lo
	v_mad_i64_i32 v[73:74], null, v67, s8, 0
	v_mov_b32_e32 v66, 0
	v_add_f32_e32 v71, v75, v68
	v_mov_b32_e32 v68, 0
	global_store_dword v[69:70], v71, off
	v_lshlrev_b64 v[64:65], 2, v[73:74]
	v_add_co_u32 v64, vcc_lo, s12, v64
	v_add_co_ci_u32_e64 v65, null, s13, v65, vcc_lo
	s_and_b32 vcc_lo, exec_lo, s1
	s_cbranch_vccnz .LBB97_36
; %bb.35:
	v_add_co_u32 v68, vcc_lo, v64, v0
	v_add_co_ci_u32_e64 v69, null, v65, v1, vcc_lo
	global_load_dword v68, v[68:69], off
	s_waitcnt vmcnt(0)
	v_mul_f32_e32 v68, s2, v68
.LBB97_36:
	v_mad_i64_i32 v[69:70], null, v67, s3, 0
	v_add_f32_e32 v67, v62, v63
	v_lshlrev_b64 v[69:70], 2, v[69:70]
	v_add_co_u32 v62, vcc_lo, s4, v69
	v_add_co_ci_u32_e64 v63, null, s5, v70, vcc_lo
	v_add_f32_e32 v69, v67, v68
	v_add_co_u32 v67, vcc_lo, v62, v0
	v_add_co_ci_u32_e64 v68, null, v63, v1, vcc_lo
	s_and_b32 vcc_lo, exec_lo, s1
	global_store_dword v[67:68], v69, off
	s_cbranch_vccnz .LBB97_38
; %bb.37:
	v_add_co_u32 v66, vcc_lo, v64, v2
	v_add_co_ci_u32_e64 v67, null, v65, v3, vcc_lo
	global_load_dword v66, v[66:67], off
	s_waitcnt vmcnt(0)
	v_mul_f32_e32 v66, s2, v66
.LBB97_38:
	v_add_f32_e32 v60, v60, v61
	v_add_co_u32 v67, vcc_lo, v62, v2
	v_add_co_ci_u32_e64 v68, null, v63, v3, vcc_lo
	v_add_f32_e32 v66, v60, v66
	v_mov_b32_e32 v60, 0
	v_mov_b32_e32 v61, 0
	s_and_b32 vcc_lo, exec_lo, s1
	global_store_dword v[67:68], v66, off
	s_cbranch_vccnz .LBB97_40
; %bb.39:
	v_add_co_u32 v66, vcc_lo, v64, v4
	v_add_co_ci_u32_e64 v67, null, v65, v5, vcc_lo
	global_load_dword v61, v[66:67], off
	s_waitcnt vmcnt(0)
	v_mul_f32_e32 v61, s2, v61
.LBB97_40:
	v_add_f32_e32 v58, v58, v59
	v_add_f32_e32 v61, v58, v61
	v_add_co_u32 v58, vcc_lo, v62, v4
	v_add_co_ci_u32_e64 v59, null, v63, v5, vcc_lo
	s_and_b32 vcc_lo, exec_lo, s1
	global_store_dword v[58:59], v61, off
	s_cbranch_vccnz .LBB97_42
; %bb.41:
	v_add_co_u32 v58, vcc_lo, v64, v6
	v_add_co_ci_u32_e64 v59, null, v65, v7, vcc_lo
	global_load_dword v58, v[58:59], off
	s_waitcnt vmcnt(0)
	v_mul_f32_e32 v60, s2, v58
.LBB97_42:
	v_add_f32_e32 v56, v56, v57
	v_add_co_u32 v58, vcc_lo, v62, v6
	v_add_co_ci_u32_e64 v59, null, v63, v7, vcc_lo
	v_add_f32_e32 v60, v56, v60
	v_mov_b32_e32 v56, 0
	v_mov_b32_e32 v57, 0
	s_and_b32 vcc_lo, exec_lo, s1
	global_store_dword v[58:59], v60, off
	s_cbranch_vccnz .LBB97_44
; %bb.43:
	v_add_co_u32 v57, vcc_lo, v64, v10
	v_add_co_ci_u32_e64 v58, null, v65, v11, vcc_lo
	global_load_dword v57, v[57:58], off
	s_waitcnt vmcnt(0)
	v_mul_f32_e32 v57, s2, v57
.LBB97_44:
	v_add_f32_e32 v54, v54, v55
	;; [unrolled: 30-line block ×3, first 2 shown]
	v_add_f32_e32 v53, v50, v53
	v_add_co_u32 v50, vcc_lo, v62, v8
	v_add_co_ci_u32_e64 v51, null, v63, v9, vcc_lo
	s_and_b32 vcc_lo, exec_lo, s1
	global_store_dword v[50:51], v53, off
	s_cbranch_vccnz .LBB97_50
; %bb.49:
	v_add_co_u32 v50, vcc_lo, v64, v12
	v_add_co_ci_u32_e64 v51, null, v65, v13, vcc_lo
	global_load_dword v50, v[50:51], off
	s_waitcnt vmcnt(0)
	v_mul_f32_e32 v52, s2, v50
.LBB97_50:
	v_add_nc_u32_e32 v51, 64, v72
	v_add_f32_e32 v55, v48, v49
	v_mov_b32_e32 v50, 0
	v_mad_i64_i32 v[53:54], null, v51, s8, 0
	v_add_f32_e32 v55, v55, v52
	v_mov_b32_e32 v52, 0
	v_lshlrev_b64 v[48:49], 2, v[53:54]
	v_add_co_u32 v53, vcc_lo, v62, v12
	v_add_co_ci_u32_e64 v54, null, v63, v13, vcc_lo
	v_add_co_u32 v48, vcc_lo, s12, v48
	v_add_co_ci_u32_e64 v49, null, s13, v49, vcc_lo
	s_and_b32 vcc_lo, exec_lo, s1
	global_store_dword v[53:54], v55, off
	s_cbranch_vccnz .LBB97_52
; %bb.51:
	v_add_co_u32 v52, vcc_lo, v48, v0
	v_add_co_ci_u32_e64 v53, null, v49, v1, vcc_lo
	global_load_dword v52, v[52:53], off
	s_waitcnt vmcnt(0)
	v_mul_f32_e32 v52, s2, v52
.LBB97_52:
	v_mad_i64_i32 v[53:54], null, v51, s3, 0
	v_add_f32_e32 v51, v46, v47
	v_lshlrev_b64 v[53:54], 2, v[53:54]
	v_add_co_u32 v46, vcc_lo, s4, v53
	v_add_co_ci_u32_e64 v47, null, s5, v54, vcc_lo
	v_add_f32_e32 v53, v51, v52
	v_add_co_u32 v51, vcc_lo, v46, v0
	v_add_co_ci_u32_e64 v52, null, v47, v1, vcc_lo
	s_and_b32 vcc_lo, exec_lo, s1
	global_store_dword v[51:52], v53, off
	s_cbranch_vccnz .LBB97_54
; %bb.53:
	v_add_co_u32 v50, vcc_lo, v48, v2
	v_add_co_ci_u32_e64 v51, null, v49, v3, vcc_lo
	global_load_dword v50, v[50:51], off
	s_waitcnt vmcnt(0)
	v_mul_f32_e32 v50, s2, v50
.LBB97_54:
	v_add_f32_e32 v44, v44, v45
	v_add_co_u32 v51, vcc_lo, v46, v2
	v_add_co_ci_u32_e64 v52, null, v47, v3, vcc_lo
	v_add_f32_e32 v50, v44, v50
	v_mov_b32_e32 v44, 0
	v_mov_b32_e32 v45, 0
	s_and_b32 vcc_lo, exec_lo, s1
	global_store_dword v[51:52], v50, off
	s_cbranch_vccnz .LBB97_56
; %bb.55:
	v_add_co_u32 v50, vcc_lo, v48, v4
	v_add_co_ci_u32_e64 v51, null, v49, v5, vcc_lo
	global_load_dword v45, v[50:51], off
	s_waitcnt vmcnt(0)
	v_mul_f32_e32 v45, s2, v45
.LBB97_56:
	v_add_f32_e32 v42, v42, v43
	v_add_f32_e32 v45, v42, v45
	v_add_co_u32 v42, vcc_lo, v46, v4
	v_add_co_ci_u32_e64 v43, null, v47, v5, vcc_lo
	s_and_b32 vcc_lo, exec_lo, s1
	global_store_dword v[42:43], v45, off
	s_cbranch_vccnz .LBB97_58
; %bb.57:
	v_add_co_u32 v42, vcc_lo, v48, v6
	v_add_co_ci_u32_e64 v43, null, v49, v7, vcc_lo
	global_load_dword v42, v[42:43], off
	s_waitcnt vmcnt(0)
	v_mul_f32_e32 v44, s2, v42
.LBB97_58:
	v_add_f32_e32 v40, v40, v41
	v_add_co_u32 v42, vcc_lo, v46, v6
	v_add_co_ci_u32_e64 v43, null, v47, v7, vcc_lo
	v_add_f32_e32 v44, v40, v44
	v_mov_b32_e32 v40, 0
	v_mov_b32_e32 v41, 0
	s_and_b32 vcc_lo, exec_lo, s1
	global_store_dword v[42:43], v44, off
	s_cbranch_vccnz .LBB97_60
; %bb.59:
	v_add_co_u32 v41, vcc_lo, v48, v10
	v_add_co_ci_u32_e64 v42, null, v49, v11, vcc_lo
	global_load_dword v41, v[41:42], off
	s_waitcnt vmcnt(0)
	v_mul_f32_e32 v41, s2, v41
.LBB97_60:
	v_add_f32_e32 v38, v38, v39
	;; [unrolled: 30-line block ×3, first 2 shown]
	v_add_f32_e32 v37, v34, v37
	v_add_co_u32 v34, vcc_lo, v46, v8
	v_add_co_ci_u32_e64 v35, null, v47, v9, vcc_lo
	s_and_b32 vcc_lo, exec_lo, s1
	global_store_dword v[34:35], v37, off
	s_cbranch_vccnz .LBB97_66
; %bb.65:
	v_add_co_u32 v34, vcc_lo, v48, v12
	v_add_co_ci_u32_e64 v35, null, v49, v13, vcc_lo
	global_load_dword v34, v[34:35], off
	s_waitcnt vmcnt(0)
	v_mul_f32_e32 v36, s2, v34
.LBB97_66:
	v_add_nc_u32_e32 v35, 0x60, v72
	v_add_f32_e32 v39, v32, v33
	v_mov_b32_e32 v34, 0
	v_mad_i64_i32 v[37:38], null, v35, s8, 0
	v_add_f32_e32 v39, v39, v36
	v_mov_b32_e32 v36, 0
	v_lshlrev_b64 v[32:33], 2, v[37:38]
	v_add_co_u32 v37, vcc_lo, v46, v12
	v_add_co_ci_u32_e64 v38, null, v47, v13, vcc_lo
	v_add_co_u32 v32, vcc_lo, s12, v32
	v_add_co_ci_u32_e64 v33, null, s13, v33, vcc_lo
	s_and_b32 vcc_lo, exec_lo, s1
	global_store_dword v[37:38], v39, off
	s_cbranch_vccnz .LBB97_68
; %bb.67:
	v_add_co_u32 v36, vcc_lo, v32, v0
	v_add_co_ci_u32_e64 v37, null, v33, v1, vcc_lo
	global_load_dword v36, v[36:37], off
	s_waitcnt vmcnt(0)
	v_mul_f32_e32 v36, s2, v36
.LBB97_68:
	v_mad_i64_i32 v[37:38], null, v35, s3, 0
	v_add_f32_e32 v35, v30, v31
	v_add_f32_e32 v35, v35, v36
	v_lshlrev_b64 v[37:38], 2, v[37:38]
	v_add_co_u32 v30, vcc_lo, s4, v37
	v_add_co_ci_u32_e64 v31, null, s5, v38, vcc_lo
	v_add_co_u32 v0, vcc_lo, v30, v0
	v_add_co_ci_u32_e64 v1, null, v31, v1, vcc_lo
	s_and_b32 vcc_lo, exec_lo, s1
	global_store_dword v[0:1], v35, off
	s_cbranch_vccnz .LBB97_70
; %bb.69:
	v_add_co_u32 v0, vcc_lo, v32, v2
	v_add_co_ci_u32_e64 v1, null, v33, v3, vcc_lo
	global_load_dword v0, v[0:1], off
	s_waitcnt vmcnt(0)
	v_mul_f32_e32 v34, s2, v0
.LBB97_70:
	v_add_f32_e32 v0, v28, v29
	v_add_co_u32 v2, vcc_lo, v30, v2
	v_add_co_ci_u32_e64 v3, null, v31, v3, vcc_lo
	v_add_f32_e32 v28, v0, v34
	v_mov_b32_e32 v0, 0
	v_mov_b32_e32 v1, 0
	s_and_b32 vcc_lo, exec_lo, s1
	global_store_dword v[2:3], v28, off
	s_cbranch_vccnz .LBB97_72
; %bb.71:
	v_add_co_u32 v1, vcc_lo, v32, v4
	v_add_co_ci_u32_e64 v2, null, v33, v5, vcc_lo
	global_load_dword v1, v[1:2], off
	s_waitcnt vmcnt(0)
	v_mul_f32_e32 v1, s2, v1
.LBB97_72:
	v_add_f32_e32 v2, v26, v27
	v_add_f32_e32 v3, v2, v1
	v_add_co_u32 v1, vcc_lo, v30, v4
	v_add_co_ci_u32_e64 v2, null, v31, v5, vcc_lo
	s_and_b32 vcc_lo, exec_lo, s1
	global_store_dword v[1:2], v3, off
	s_cbranch_vccnz .LBB97_74
; %bb.73:
	v_add_co_u32 v0, vcc_lo, v32, v6
	v_add_co_ci_u32_e64 v1, null, v33, v7, vcc_lo
	global_load_dword v0, v[0:1], off
	s_waitcnt vmcnt(0)
	v_mul_f32_e32 v0, s2, v0
.LBB97_74:
	v_add_f32_e32 v1, v24, v25
	v_add_co_u32 v2, vcc_lo, v30, v6
	v_add_co_ci_u32_e64 v3, null, v31, v7, vcc_lo
	v_add_f32_e32 v4, v1, v0
	v_mov_b32_e32 v0, 0
	v_mov_b32_e32 v1, 0
	s_and_b32 vcc_lo, exec_lo, s1
	global_store_dword v[2:3], v4, off
	s_cbranch_vccnz .LBB97_76
; %bb.75:
	v_add_co_u32 v1, vcc_lo, v32, v10
	v_add_co_ci_u32_e64 v2, null, v33, v11, vcc_lo
	global_load_dword v1, v[1:2], off
	s_waitcnt vmcnt(0)
	v_mul_f32_e32 v1, s2, v1
.LBB97_76:
	v_add_f32_e32 v2, v22, v23
	v_add_f32_e32 v3, v2, v1
	v_add_co_u32 v1, vcc_lo, v30, v10
	v_add_co_ci_u32_e64 v2, null, v31, v11, vcc_lo
	s_and_b32 vcc_lo, exec_lo, s1
	global_store_dword v[1:2], v3, off
	s_cbranch_vccnz .LBB97_78
; %bb.77:
	v_add_co_u32 v0, vcc_lo, v32, v14
	v_add_co_ci_u32_e64 v1, null, v33, v15, vcc_lo
	global_load_dword v0, v[0:1], off
	s_waitcnt vmcnt(0)
	v_mul_f32_e32 v0, s2, v0
.LBB97_78:
	v_add_f32_e32 v3, v20, v21
	v_add_co_u32 v1, vcc_lo, v30, v14
	v_add_co_ci_u32_e64 v2, null, v31, v15, vcc_lo
	v_add_f32_e32 v3, v3, v0
	v_add_f32_e32 v0, v18, v19
	s_mov_b32 s1, -1
	s_mov_b32 vcc_lo, s0
	global_store_dword v[1:2], v3, off
	s_cbranch_vccz .LBB97_80
; %bb.79:
	v_add_co_u32 v1, vcc_lo, v30, v8
	v_add_f32_e32 v3, 0, v0
	v_add_co_ci_u32_e64 v2, null, v31, v9, vcc_lo
	s_mov_b32 s1, 0
	global_store_dword v[1:2], v3, off
.LBB97_80:
	v_mov_b32_e32 v1, 0
	s_andn2_b32 vcc_lo, exec_lo, s1
	s_cbranch_vccnz .LBB97_82
; %bb.81:
	v_add_co_u32 v1, vcc_lo, v32, v8
	v_add_co_ci_u32_e64 v2, null, v33, v9, vcc_lo
	global_load_dword v3, v[1:2], off
	v_add_co_u32 v1, vcc_lo, v30, v8
	v_add_co_ci_u32_e64 v2, null, v31, v9, vcc_lo
	s_waitcnt vmcnt(0)
	v_fmac_f32_e32 v0, s2, v3
	v_add_co_u32 v3, vcc_lo, v32, v12
	v_add_co_ci_u32_e64 v4, null, v33, v13, vcc_lo
	global_store_dword v[1:2], v0, off
	global_load_dword v0, v[3:4], off
	s_waitcnt vmcnt(0)
	v_mul_f32_e32 v1, s2, v0
.LBB97_82:
	v_add_f32_e32 v0, v16, v17
	v_add_f32_e32 v2, v0, v1
	v_add_co_u32 v0, vcc_lo, v30, v12
	v_add_co_ci_u32_e64 v1, null, v31, v13, vcc_lo
	global_store_dword v[0:1], v2, off
	s_endpgm
.LBB97_83:
	s_mov_b64 s[18:19], 0
	s_andn2_b32 vcc_lo, exec_lo, s8
	s_mov_b32 s0, -1
	s_cbranch_vccz .LBB97_2
	s_branch .LBB97_3
	.section	.rodata,"a",@progbits
	.p2align	6, 0x0
	.amdhsa_kernel _ZN12_GLOBAL__N_120geam_min_plus_kernelIf15HIP_vector_typeIfLj2EES2_Li8ELi32ELi64ELi128ELi4ELi4ELi64ELi64ELi4ELc84ELc84ELb1ELb0ELb0EfKffEEviiiT16_PT17_ilS6_ilS4_S6_ilPT18_ili26rocblas_geam_ex_operation_
		.amdhsa_group_segment_fixed_size 6144
		.amdhsa_private_segment_fixed_size 0
		.amdhsa_kernarg_size 128
		.amdhsa_user_sgpr_count 6
		.amdhsa_user_sgpr_private_segment_buffer 1
		.amdhsa_user_sgpr_dispatch_ptr 0
		.amdhsa_user_sgpr_queue_ptr 0
		.amdhsa_user_sgpr_kernarg_segment_ptr 1
		.amdhsa_user_sgpr_dispatch_id 0
		.amdhsa_user_sgpr_flat_scratch_init 0
		.amdhsa_user_sgpr_private_segment_size 0
		.amdhsa_wavefront_size32 1
		.amdhsa_uses_dynamic_stack 0
		.amdhsa_system_sgpr_private_segment_wavefront_offset 0
		.amdhsa_system_sgpr_workgroup_id_x 1
		.amdhsa_system_sgpr_workgroup_id_y 0
		.amdhsa_system_sgpr_workgroup_id_z 1
		.amdhsa_system_sgpr_workgroup_info 0
		.amdhsa_system_vgpr_workitem_id 1
		.amdhsa_next_free_vgpr 153
		.amdhsa_next_free_sgpr 24
		.amdhsa_reserve_vcc 1
		.amdhsa_reserve_flat_scratch 0
		.amdhsa_float_round_mode_32 0
		.amdhsa_float_round_mode_16_64 0
		.amdhsa_float_denorm_mode_32 3
		.amdhsa_float_denorm_mode_16_64 3
		.amdhsa_dx10_clamp 1
		.amdhsa_ieee_mode 1
		.amdhsa_fp16_overflow 0
		.amdhsa_workgroup_processor_mode 1
		.amdhsa_memory_ordered 1
		.amdhsa_forward_progress 1
		.amdhsa_shared_vgpr_count 0
		.amdhsa_exception_fp_ieee_invalid_op 0
		.amdhsa_exception_fp_denorm_src 0
		.amdhsa_exception_fp_ieee_div_zero 0
		.amdhsa_exception_fp_ieee_overflow 0
		.amdhsa_exception_fp_ieee_underflow 0
		.amdhsa_exception_fp_ieee_inexact 0
		.amdhsa_exception_int_div_zero 0
	.end_amdhsa_kernel
	.section	.text._ZN12_GLOBAL__N_120geam_min_plus_kernelIf15HIP_vector_typeIfLj2EES2_Li8ELi32ELi64ELi128ELi4ELi4ELi64ELi64ELi4ELc84ELc84ELb1ELb0ELb0EfKffEEviiiT16_PT17_ilS6_ilS4_S6_ilPT18_ili26rocblas_geam_ex_operation_,"axG",@progbits,_ZN12_GLOBAL__N_120geam_min_plus_kernelIf15HIP_vector_typeIfLj2EES2_Li8ELi32ELi64ELi128ELi4ELi4ELi64ELi64ELi4ELc84ELc84ELb1ELb0ELb0EfKffEEviiiT16_PT17_ilS6_ilS4_S6_ilPT18_ili26rocblas_geam_ex_operation_,comdat
.Lfunc_end97:
	.size	_ZN12_GLOBAL__N_120geam_min_plus_kernelIf15HIP_vector_typeIfLj2EES2_Li8ELi32ELi64ELi128ELi4ELi4ELi64ELi64ELi4ELc84ELc84ELb1ELb0ELb0EfKffEEviiiT16_PT17_ilS6_ilS4_S6_ilPT18_ili26rocblas_geam_ex_operation_, .Lfunc_end97-_ZN12_GLOBAL__N_120geam_min_plus_kernelIf15HIP_vector_typeIfLj2EES2_Li8ELi32ELi64ELi128ELi4ELi4ELi64ELi64ELi4ELc84ELc84ELb1ELb0ELb0EfKffEEviiiT16_PT17_ilS6_ilS4_S6_ilPT18_ili26rocblas_geam_ex_operation_
                                        ; -- End function
	.set _ZN12_GLOBAL__N_120geam_min_plus_kernelIf15HIP_vector_typeIfLj2EES2_Li8ELi32ELi64ELi128ELi4ELi4ELi64ELi64ELi4ELc84ELc84ELb1ELb0ELb0EfKffEEviiiT16_PT17_ilS6_ilS4_S6_ilPT18_ili26rocblas_geam_ex_operation_.num_vgpr, 153
	.set _ZN12_GLOBAL__N_120geam_min_plus_kernelIf15HIP_vector_typeIfLj2EES2_Li8ELi32ELi64ELi128ELi4ELi4ELi64ELi64ELi4ELc84ELc84ELb1ELb0ELb0EfKffEEviiiT16_PT17_ilS6_ilS4_S6_ilPT18_ili26rocblas_geam_ex_operation_.num_agpr, 0
	.set _ZN12_GLOBAL__N_120geam_min_plus_kernelIf15HIP_vector_typeIfLj2EES2_Li8ELi32ELi64ELi128ELi4ELi4ELi64ELi64ELi4ELc84ELc84ELb1ELb0ELb0EfKffEEviiiT16_PT17_ilS6_ilS4_S6_ilPT18_ili26rocblas_geam_ex_operation_.numbered_sgpr, 24
	.set _ZN12_GLOBAL__N_120geam_min_plus_kernelIf15HIP_vector_typeIfLj2EES2_Li8ELi32ELi64ELi128ELi4ELi4ELi64ELi64ELi4ELc84ELc84ELb1ELb0ELb0EfKffEEviiiT16_PT17_ilS6_ilS4_S6_ilPT18_ili26rocblas_geam_ex_operation_.num_named_barrier, 0
	.set _ZN12_GLOBAL__N_120geam_min_plus_kernelIf15HIP_vector_typeIfLj2EES2_Li8ELi32ELi64ELi128ELi4ELi4ELi64ELi64ELi4ELc84ELc84ELb1ELb0ELb0EfKffEEviiiT16_PT17_ilS6_ilS4_S6_ilPT18_ili26rocblas_geam_ex_operation_.private_seg_size, 0
	.set _ZN12_GLOBAL__N_120geam_min_plus_kernelIf15HIP_vector_typeIfLj2EES2_Li8ELi32ELi64ELi128ELi4ELi4ELi64ELi64ELi4ELc84ELc84ELb1ELb0ELb0EfKffEEviiiT16_PT17_ilS6_ilS4_S6_ilPT18_ili26rocblas_geam_ex_operation_.uses_vcc, 1
	.set _ZN12_GLOBAL__N_120geam_min_plus_kernelIf15HIP_vector_typeIfLj2EES2_Li8ELi32ELi64ELi128ELi4ELi4ELi64ELi64ELi4ELc84ELc84ELb1ELb0ELb0EfKffEEviiiT16_PT17_ilS6_ilS4_S6_ilPT18_ili26rocblas_geam_ex_operation_.uses_flat_scratch, 0
	.set _ZN12_GLOBAL__N_120geam_min_plus_kernelIf15HIP_vector_typeIfLj2EES2_Li8ELi32ELi64ELi128ELi4ELi4ELi64ELi64ELi4ELc84ELc84ELb1ELb0ELb0EfKffEEviiiT16_PT17_ilS6_ilS4_S6_ilPT18_ili26rocblas_geam_ex_operation_.has_dyn_sized_stack, 0
	.set _ZN12_GLOBAL__N_120geam_min_plus_kernelIf15HIP_vector_typeIfLj2EES2_Li8ELi32ELi64ELi128ELi4ELi4ELi64ELi64ELi4ELc84ELc84ELb1ELb0ELb0EfKffEEviiiT16_PT17_ilS6_ilS4_S6_ilPT18_ili26rocblas_geam_ex_operation_.has_recursion, 0
	.set _ZN12_GLOBAL__N_120geam_min_plus_kernelIf15HIP_vector_typeIfLj2EES2_Li8ELi32ELi64ELi128ELi4ELi4ELi64ELi64ELi4ELc84ELc84ELb1ELb0ELb0EfKffEEviiiT16_PT17_ilS6_ilS4_S6_ilPT18_ili26rocblas_geam_ex_operation_.has_indirect_call, 0
	.section	.AMDGPU.csdata,"",@progbits
; Kernel info:
; codeLenInByte = 7276
; TotalNumSgprs: 26
; NumVgprs: 153
; ScratchSize: 0
; MemoryBound: 0
; FloatMode: 240
; IeeeMode: 1
; LDSByteSize: 6144 bytes/workgroup (compile time only)
; SGPRBlocks: 0
; VGPRBlocks: 19
; NumSGPRsForWavesPerEU: 26
; NumVGPRsForWavesPerEU: 153
; Occupancy: 6
; WaveLimiterHint : 1
; COMPUTE_PGM_RSRC2:SCRATCH_EN: 0
; COMPUTE_PGM_RSRC2:USER_SGPR: 6
; COMPUTE_PGM_RSRC2:TRAP_HANDLER: 0
; COMPUTE_PGM_RSRC2:TGID_X_EN: 1
; COMPUTE_PGM_RSRC2:TGID_Y_EN: 0
; COMPUTE_PGM_RSRC2:TGID_Z_EN: 1
; COMPUTE_PGM_RSRC2:TIDIG_COMP_CNT: 1
	.section	.text._ZN12_GLOBAL__N_120geam_min_plus_kernelIf15HIP_vector_typeIfLj2EES2_Li8ELi32ELi64ELi128ELi4ELi4ELi64ELi64ELi4ELc84ELc84ELb0ELb0ELb0EfKffEEviiiT16_PT17_ilS6_ilS4_S6_ilPT18_ili26rocblas_geam_ex_operation_,"axG",@progbits,_ZN12_GLOBAL__N_120geam_min_plus_kernelIf15HIP_vector_typeIfLj2EES2_Li8ELi32ELi64ELi128ELi4ELi4ELi64ELi64ELi4ELc84ELc84ELb0ELb0ELb0EfKffEEviiiT16_PT17_ilS6_ilS4_S6_ilPT18_ili26rocblas_geam_ex_operation_,comdat
	.globl	_ZN12_GLOBAL__N_120geam_min_plus_kernelIf15HIP_vector_typeIfLj2EES2_Li8ELi32ELi64ELi128ELi4ELi4ELi64ELi64ELi4ELc84ELc84ELb0ELb0ELb0EfKffEEviiiT16_PT17_ilS6_ilS4_S6_ilPT18_ili26rocblas_geam_ex_operation_ ; -- Begin function _ZN12_GLOBAL__N_120geam_min_plus_kernelIf15HIP_vector_typeIfLj2EES2_Li8ELi32ELi64ELi128ELi4ELi4ELi64ELi64ELi4ELc84ELc84ELb0ELb0ELb0EfKffEEviiiT16_PT17_ilS6_ilS4_S6_ilPT18_ili26rocblas_geam_ex_operation_
	.p2align	8
	.type	_ZN12_GLOBAL__N_120geam_min_plus_kernelIf15HIP_vector_typeIfLj2EES2_Li8ELi32ELi64ELi128ELi4ELi4ELi64ELi64ELi4ELc84ELc84ELb0ELb0ELb0EfKffEEviiiT16_PT17_ilS6_ilS4_S6_ilPT18_ili26rocblas_geam_ex_operation_,@function
_ZN12_GLOBAL__N_120geam_min_plus_kernelIf15HIP_vector_typeIfLj2EES2_Li8ELi32ELi64ELi128ELi4ELi4ELi64ELi64ELi4ELc84ELc84ELb0ELb0ELb0EfKffEEviiiT16_PT17_ilS6_ilS4_S6_ilPT18_ili26rocblas_geam_ex_operation_: ; @_ZN12_GLOBAL__N_120geam_min_plus_kernelIf15HIP_vector_typeIfLj2EES2_Li8ELi32ELi64ELi128ELi4ELi4ELi64ELi64ELi4ELc84ELc84ELb0ELb0ELb0EfKffEEviiiT16_PT17_ilS6_ilS4_S6_ilPT18_ili26rocblas_geam_ex_operation_
; %bb.0:
	s_clause 0x1
	s_load_dwordx2 s[14:15], s[4:5], 0x8
	s_load_dwordx4 s[8:11], s[4:5], 0x20
	s_waitcnt lgkmcnt(0)
	v_cmp_eq_f32_e64 s0, s15, 0
	s_and_b32 s1, exec_lo, s0
	s_mov_b32 vcc_lo, s1
	s_cbranch_vccnz .LBB98_95
; %bb.1:
	s_load_dwordx2 s[2:3], s[4:5], 0x10
	s_mul_i32 s9, s9, s7
	s_mul_hi_u32 s12, s8, s7
	s_mul_i32 s8, s8, s7
	s_add_i32 s9, s12, s9
	s_lshl_b64 s[8:9], s[8:9], 2
	s_waitcnt lgkmcnt(0)
	s_add_u32 s16, s2, s8
	s_addc_u32 s17, s3, s9
	s_andn2_b32 vcc_lo, exec_lo, s0
	s_mov_b32 s0, -1
	s_cbranch_vccnz .LBB98_3
.LBB98_2:
	s_mov_b32 s0, 0
.LBB98_3:
	s_mov_b64 s[12:13], 0
	s_andn2_b32 vcc_lo, exec_lo, s0
	s_mov_b64 s[18:19], 0
	s_cbranch_vccnz .LBB98_5
; %bb.4:
	s_load_dwordx2 s[2:3], s[4:5], 0x38
	s_waitcnt lgkmcnt(0)
	s_mul_i32 s0, s3, s7
	s_mul_hi_u32 s3, s2, s7
	s_mul_i32 s2, s2, s7
	s_add_i32 s3, s3, s0
	s_lshl_b64 s[2:3], s[2:3], 2
	s_add_u32 s18, s10, s2
	s_addc_u32 s19, s11, s3
.LBB98_5:
	s_clause 0x1
	s_load_dword s3, s[4:5], 0x40
	s_load_dwordx4 s[8:11], s[4:5], 0x58
	v_cmp_neq_f32_e64 s22, s15, 0
	s_waitcnt lgkmcnt(0)
	v_cmp_eq_f32_e64 s0, s3, 0
	s_and_b32 s0, exec_lo, s0
	s_mov_b32 vcc_lo, s0
	s_cbranch_vccnz .LBB98_7
; %bb.6:
	s_load_dwordx2 s[12:13], s[4:5], 0x48
	s_mul_i32 s2, s9, s7
	s_mul_hi_u32 s9, s8, s7
	s_mul_i32 s8, s8, s7
	s_add_i32 s9, s9, s2
	s_lshl_b64 s[8:9], s[8:9], 2
	s_waitcnt lgkmcnt(0)
	s_add_u32 s12, s12, s8
	s_addc_u32 s13, s13, s9
.LBB98_7:
	s_clause 0x2
	s_load_dword s2, s[4:5], 0x0
	s_load_dword s21, s[4:5], 0x18
	;; [unrolled: 1-line block ×3, first 2 shown]
	v_and_b32_e32 v12, 3, v0
	v_cndmask_b32_e64 v3, 0, 1, s22
	v_mov_b32_e32 v77, 0
	v_mov_b32_e32 v7, 0
	;; [unrolled: 1-line block ×3, first 2 shown]
	v_lshlrev_b32_e32 v9, 2, v12
	v_mov_b32_e32 v10, 0
	s_waitcnt lgkmcnt(0)
	s_add_i32 s2, s2, -1
	s_ashr_i32 s8, s2, 31
	s_lshr_b32 s8, s8, 26
	s_add_i32 s2, s2, s8
	s_ashr_i32 s2, s2, 6
	s_add_i32 s8, s2, 1
	s_not_b32 s2, s2
	v_cvt_f32_u32_e32 v2, s8
	v_rcp_iflag_f32_e32 v2, v2
	v_mul_f32_e32 v2, 0x4f7ffffe, v2
	v_cvt_u32_f32_e32 v2, v2
	v_readfirstlane_b32 s20, v2
	v_lshl_add_u32 v2, v1, 3, v0
	s_mul_i32 s2, s2, s20
	v_and_b32_e32 v5, 63, v2
	s_mul_hi_u32 s2, s20, s2
	v_lshrrev_b32_e32 v6, 2, v2
	s_add_i32 s20, s20, s2
	v_lshrrev_b32_e32 v13, 6, v2
	s_mul_hi_u32 s2, s6, s20
	s_ashr_i32 s20, s9, 31
	s_mul_i32 s23, s2, s8
	s_add_i32 s24, s2, 1
	s_sub_i32 s23, s6, s23
	s_sub_i32 s25, s23, s8
	s_cmp_ge_u32 s23, s8
	s_cselect_b32 s2, s24, s2
	s_cselect_b32 s23, s25, s23
	s_add_i32 s24, s2, 1
	s_cmp_ge_u32 s23, s8
	s_cselect_b32 s2, s24, s2
	s_andn2_b32 vcc_lo, exec_lo, s22
	s_mul_i32 s23, s2, s8
	s_lshl_b32 s8, s2, 7
	s_sub_i32 s6, s6, s23
	v_or_b32_e32 v2, s8, v5
	s_lshl_b32 s6, s6, 6
	v_cmp_ne_u32_e64 s2, 1, v3
	v_add_nc_u32_e32 v4, s6, v6
	v_ashrrev_i32_e32 v3, 31, v2
	s_cbranch_vccnz .LBB98_9
; %bb.8:
	v_mad_i64_i32 v[7:8], null, v4, s21, 0
	v_mad_i64_i32 v[10:11], null, s9, v13, 0
	v_lshlrev_b64 v[14:15], 2, v[2:3]
	v_lshlrev_b64 v[7:8], 2, v[7:8]
	;; [unrolled: 1-line block ×3, first 2 shown]
	v_add_co_u32 v7, vcc_lo, s16, v7
	v_add_co_ci_u32_e64 v8, null, s17, v8, vcc_lo
	v_add_co_u32 v10, vcc_lo, s18, v10
	v_add_co_ci_u32_e64 v11, null, s19, v11, vcc_lo
	;; [unrolled: 2-line block ×4, first 2 shown]
	global_load_dword v7, v[7:8], off
	s_clause 0x1
	global_load_dword v8, v[10:11], off
	global_load_dword v11, v[10:11], off offset:256
	s_waitcnt vmcnt(2)
	v_mul_f32_e32 v7, s15, v7
	s_waitcnt vmcnt(1)
	v_mul_f32_e32 v10, s15, v8
	;; [unrolled: 2-line block ×3, first 2 shown]
.LBB98_9:
	v_add_nc_u32_e32 v72, 4, v13
	v_mov_b32_e32 v79, 0
	v_mov_b32_e32 v80, 0
	s_and_b32 vcc_lo, exec_lo, s2
	s_cbranch_vccnz .LBB98_11
; %bb.10:
	v_mad_i64_i32 v[14:15], null, v4, s21, 0
	v_mad_i64_i32 v[16:17], null, s9, v72, 0
	v_lshlrev_b64 v[18:19], 2, v[2:3]
	v_lshlrev_b64 v[14:15], 2, v[14:15]
	;; [unrolled: 1-line block ×3, first 2 shown]
	v_add_co_u32 v11, vcc_lo, s16, v14
	v_add_co_ci_u32_e64 v15, null, s17, v15, vcc_lo
	v_add_co_u32 v16, vcc_lo, s18, v16
	v_add_co_ci_u32_e64 v17, null, s19, v17, vcc_lo
	;; [unrolled: 2-line block ×4, first 2 shown]
	global_load_dword v11, v[14:15], off offset:16
	s_clause 0x1
	global_load_dword v14, v[16:17], off
	global_load_dword v15, v[16:17], off offset:256
	s_waitcnt vmcnt(2)
	v_mul_f32_e32 v77, s15, v11
	s_waitcnt vmcnt(1)
	v_mul_f32_e32 v80, s15, v14
	;; [unrolled: 2-line block ×3, first 2 shown]
.LBB98_11:
	v_lshlrev_b32_e32 v11, 4, v5
	v_lshl_or_b32 v81, v6, 4, v9
	v_mov_b32_e32 v70, 0
	v_cmp_neq_f32_e64 s2, s3, 0
	v_lshl_or_b32 v74, v0, 4, 0x1000
	v_lshl_add_u32 v73, v13, 2, v11
	v_lshlrev_b32_e32 v75, 4, v1
	v_add_nc_u32_e32 v76, 0x1000, v81
	v_mov_b32_e32 v71, v70
	ds_write_b32 v81, v7 offset:4096
	ds_write2st64_b32 v73, v10, v8 offset1:4
	v_mov_b32_e32 v68, v70
	v_mov_b32_e32 v69, v70
	;; [unrolled: 1-line block ×62, first 2 shown]
	s_mov_b32 s23, 0
	s_mov_b32 s22, -1
	s_waitcnt lgkmcnt(0)
	s_barrier
	buffer_gl0_inv
.LBB98_12:                              ; =>This Inner Loop Header: Depth=1
	s_lshl_b32 s23, s23, 2
	v_cndmask_b32_e64 v78, 0, 1, s22
	v_add_nc_u32_e32 v94, s23, v74
	v_add_nc_u32_e32 v102, s23, v75
	s_mov_b32 s22, 0
	s_mov_b32 s23, 2
	v_cmp_ne_u32_e32 vcc_lo, 1, v78
	ds_read2_b64 v[82:85], v94 offset1:16
	ds_read2_b64 v[86:89], v94 offset0:32 offset1:48
	ds_read2_b64 v[90:93], v94 offset0:64 offset1:80
	;; [unrolled: 1-line block ×3, first 2 shown]
	ds_read2st64_b64 v[98:101], v102 offset1:1
	ds_read2st64_b64 v[102:105], v102 offset0:2 offset1:3
	s_and_b32 vcc_lo, exec_lo, vcc_lo
	s_waitcnt lgkmcnt(5)
	v_max_f32_e32 v78, v82, v82
	v_max_f32_e32 v82, v83, v83
	v_max_f32_e32 v83, v84, v84
	v_max_f32_e32 v84, v85, v85
	s_waitcnt lgkmcnt(4)
	v_max_f32_e32 v85, v86, v86
	v_max_f32_e32 v86, v87, v87
	v_max_f32_e32 v87, v88, v88
	v_max_f32_e32 v88, v89, v89
	;; [unrolled: 5-line block ×6, first 2 shown]
	v_min_f32_e32 v105, v78, v97
	v_min_f32_e32 v106, v83, v97
	;; [unrolled: 1-line block ×64, first 2 shown]
	v_add_f32_e32 v71, v103, v71
	v_add_f32_e32 v70, v105, v70
	;; [unrolled: 1-line block ×64, first 2 shown]
	s_cbranch_vccz .LBB98_12
; %bb.13:
	v_lshlrev_b32_e32 v78, 2, v13
	ds_write_b32 v81, v77 offset:5120
	v_lshl_add_u32 v77, v0, 4, 0x1400
	s_cmp_lt_i32 s14, 9
	v_lshl_add_u32 v5, v5, 4, v78
	v_lshl_add_u32 v78, v1, 4, 0x800
	ds_write2st64_b32 v5, v80, v79 offset0:8 offset1:12
	s_waitcnt lgkmcnt(0)
	s_barrier
	buffer_gl0_inv
	s_cbranch_scc1 .LBB98_28
; %bb.14:
	v_mad_i64_i32 v[82:83], null, v4, s21, 0
	v_lshlrev_b64 v[2:3], 2, v[2:3]
	v_or_b32_e32 v80, 0x800, v5
	v_add_nc_u32_e32 v79, 0x1400, v81
	s_add_i32 s14, s14, -8
	v_add_co_u32 v81, vcc_lo, s18, v2
	v_lshlrev_b64 v[4:5], 2, v[82:83]
	v_add_co_ci_u32_e64 v82, null, s19, v3, vcc_lo
	v_mov_b32_e32 v3, 0
	v_add_co_u32 v83, vcc_lo, s16, v4
	v_add_co_ci_u32_e64 v84, null, s17, v5, vcc_lo
	s_mov_b32 s16, 8
	s_mov_b32 s17, 0
.LBB98_15:                              ; =>This Loop Header: Depth=1
                                        ;     Child Loop BB98_20 Depth 2
                                        ;     Child Loop BB98_26 Depth 2
	s_mov_b32 s18, -1
	s_mov_b32 vcc_lo, s1
                                        ; implicit-def: $vgpr4_vgpr5
	s_cbranch_vccz .LBB98_17
; %bb.16:                               ;   in Loop: Header=BB98_15 Depth=1
	v_mov_b32_e32 v4, v3
	s_mov_b32 s18, 0
.LBB98_17:                              ;   in Loop: Header=BB98_15 Depth=1
	v_mov_b32_e32 v2, 0
	v_mov_b32_e32 v5, 0
	s_andn2_b32 vcc_lo, exec_lo, s18
	s_cbranch_vccnz .LBB98_19
; %bb.18:                               ;   in Loop: Header=BB98_15 Depth=1
	v_add_nc_u32_e32 v85, s16, v13
	v_mad_u64_u32 v[4:5], null, v85, s9, 0
	v_mov_b32_e32 v2, v5
	v_mad_u64_u32 v[85:86], null, v85, s20, v[2:3]
	v_or_b32_e32 v2, s16, v12
	v_mov_b32_e32 v5, v85
	v_lshlrev_b64 v[85:86], 2, v[2:3]
	v_lshlrev_b64 v[4:5], 2, v[4:5]
	v_add_co_u32 v85, vcc_lo, v83, v85
	v_add_co_ci_u32_e64 v86, null, v84, v86, vcc_lo
	v_add_co_u32 v4, vcc_lo, v81, v4
	v_add_co_ci_u32_e64 v5, null, v82, v5, vcc_lo
	global_load_dword v2, v[85:86], off
	s_clause 0x1
	global_load_dword v85, v[4:5], off
	global_load_dword v5, v[4:5], off offset:256
	s_waitcnt vmcnt(2)
	v_mul_f32_e32 v2, s15, v2
	s_waitcnt vmcnt(1)
	v_mul_f32_e32 v4, s15, v85
	s_waitcnt vmcnt(0)
	v_mul_f32_e32 v5, s15, v5
.LBB98_19:                              ;   in Loop: Header=BB98_15 Depth=1
	s_mov_b32 s19, 0
	s_mov_b32 s18, -1
.LBB98_20:                              ;   Parent Loop BB98_15 Depth=1
                                        ; =>  This Inner Loop Header: Depth=2
	s_lshl_b32 s19, s19, 2
	v_cndmask_b32_e64 v85, 0, 1, s18
	v_add_nc_u32_e32 v105, s19, v78
	v_add_nc_u32_e32 v101, s19, v77
	s_mov_b32 s18, 0
	s_mov_b32 s19, 2
	v_cmp_ne_u32_e32 vcc_lo, 1, v85
	ds_read2st64_b64 v[85:88], v105 offset1:1
	ds_read2_b64 v[89:92], v101 offset1:16
	ds_read2_b64 v[93:96], v101 offset0:32 offset1:48
	ds_read2_b64 v[97:100], v101 offset0:64 offset1:80
	;; [unrolled: 1-line block ×3, first 2 shown]
	ds_read2st64_b64 v[105:108], v105 offset0:2 offset1:3
	s_and_b32 vcc_lo, exec_lo, vcc_lo
	s_waitcnt lgkmcnt(5)
	v_max_f32_e32 v85, v85, v85
	s_waitcnt lgkmcnt(4)
	v_max_f32_e32 v89, v89, v89
	v_max_f32_e32 v86, v86, v86
	;; [unrolled: 1-line block ×5, first 2 shown]
	s_waitcnt lgkmcnt(3)
	v_max_f32_e32 v93, v93, v93
	v_max_f32_e32 v94, v94, v94
	v_max_f32_e32 v95, v95, v95
	v_max_f32_e32 v96, v96, v96
	s_waitcnt lgkmcnt(2)
	v_max_f32_e32 v97, v97, v97
	v_max_f32_e32 v98, v98, v98
	v_max_f32_e32 v99, v99, v99
	v_max_f32_e32 v100, v100, v100
	;; [unrolled: 5-line block ×3, first 2 shown]
	v_max_f32_e32 v87, v87, v87
	v_max_f32_e32 v88, v88, v88
	s_waitcnt lgkmcnt(0)
	v_max_f32_e32 v105, v105, v105
	v_max_f32_e32 v106, v106, v106
	;; [unrolled: 1-line block ×4, first 2 shown]
	v_min_f32_e32 v109, v89, v85
	v_min_f32_e32 v110, v90, v86
	;; [unrolled: 1-line block ×64, first 2 shown]
	v_add_f32_e32 v71, v110, v71
	v_add_f32_e32 v70, v109, v70
	;; [unrolled: 1-line block ×64, first 2 shown]
	s_cbranch_vccz .LBB98_20
; %bb.21:                               ;   in Loop: Header=BB98_15 Depth=1
	s_mov_b32 s18, -1
	s_mov_b32 vcc_lo, s1
	ds_write_b32 v76, v2
	ds_write2st64_b32 v73, v4, v5 offset1:4
	s_waitcnt lgkmcnt(0)
	s_barrier
	buffer_gl0_inv
                                        ; implicit-def: $vgpr4_vgpr5
	s_cbranch_vccz .LBB98_23
; %bb.22:                               ;   in Loop: Header=BB98_15 Depth=1
	v_mov_b32_e32 v4, v3
	s_mov_b32 s18, 0
.LBB98_23:                              ;   in Loop: Header=BB98_15 Depth=1
	v_mov_b32_e32 v2, 0
	v_mov_b32_e32 v5, 0
	s_andn2_b32 vcc_lo, exec_lo, s18
	s_cbranch_vccnz .LBB98_25
; %bb.24:                               ;   in Loop: Header=BB98_15 Depth=1
	v_add_nc_u32_e32 v85, s16, v72
	v_mad_u64_u32 v[4:5], null, v85, s9, 0
	v_mov_b32_e32 v2, v5
	v_mad_u64_u32 v[85:86], null, v85, s20, v[2:3]
	v_or_b32_e32 v2, s16, v12
	v_mov_b32_e32 v5, v85
	v_lshlrev_b64 v[85:86], 2, v[2:3]
	v_lshlrev_b64 v[4:5], 2, v[4:5]
	v_add_co_u32 v85, vcc_lo, v83, v85
	v_add_co_ci_u32_e64 v86, null, v84, v86, vcc_lo
	v_add_co_u32 v4, vcc_lo, v81, v4
	v_add_co_ci_u32_e64 v5, null, v82, v5, vcc_lo
	global_load_dword v2, v[85:86], off offset:16
	s_clause 0x1
	global_load_dword v85, v[4:5], off
	global_load_dword v5, v[4:5], off offset:256
	s_waitcnt vmcnt(2)
	v_mul_f32_e32 v2, s15, v2
	s_waitcnt vmcnt(1)
	v_mul_f32_e32 v4, s15, v85
	s_waitcnt vmcnt(0)
	v_mul_f32_e32 v5, s15, v5
.LBB98_25:                              ;   in Loop: Header=BB98_15 Depth=1
	s_mov_b32 s19, 0
	s_mov_b32 s18, -1
.LBB98_26:                              ;   Parent Loop BB98_15 Depth=1
                                        ; =>  This Inner Loop Header: Depth=2
	s_lshl_b32 s19, s19, 2
	v_cndmask_b32_e64 v85, 0, 1, s18
	v_add_nc_u32_e32 v105, s19, v75
	v_add_nc_u32_e32 v101, s19, v74
	s_mov_b32 s18, 0
	s_mov_b32 s19, 2
	v_cmp_ne_u32_e32 vcc_lo, 1, v85
	ds_read2st64_b64 v[85:88], v105 offset1:1
	ds_read2_b64 v[89:92], v101 offset1:16
	ds_read2_b64 v[93:96], v101 offset0:32 offset1:48
	ds_read2_b64 v[97:100], v101 offset0:64 offset1:80
	;; [unrolled: 1-line block ×3, first 2 shown]
	ds_read2st64_b64 v[105:108], v105 offset0:2 offset1:3
	s_and_b32 vcc_lo, exec_lo, vcc_lo
	s_waitcnt lgkmcnt(5)
	v_max_f32_e32 v85, v85, v85
	s_waitcnt lgkmcnt(4)
	v_max_f32_e32 v89, v89, v89
	v_max_f32_e32 v86, v86, v86
	;; [unrolled: 1-line block ×5, first 2 shown]
	s_waitcnt lgkmcnt(3)
	v_max_f32_e32 v93, v93, v93
	v_max_f32_e32 v94, v94, v94
	v_max_f32_e32 v95, v95, v95
	v_max_f32_e32 v96, v96, v96
	s_waitcnt lgkmcnt(2)
	v_max_f32_e32 v97, v97, v97
	v_max_f32_e32 v98, v98, v98
	v_max_f32_e32 v99, v99, v99
	v_max_f32_e32 v100, v100, v100
	;; [unrolled: 5-line block ×3, first 2 shown]
	v_max_f32_e32 v87, v87, v87
	v_max_f32_e32 v88, v88, v88
	s_waitcnt lgkmcnt(0)
	v_max_f32_e32 v105, v105, v105
	v_max_f32_e32 v106, v106, v106
	;; [unrolled: 1-line block ×4, first 2 shown]
	v_min_f32_e32 v109, v89, v85
	v_min_f32_e32 v110, v90, v86
	;; [unrolled: 1-line block ×64, first 2 shown]
	v_add_f32_e32 v71, v110, v71
	v_add_f32_e32 v70, v109, v70
	;; [unrolled: 1-line block ×64, first 2 shown]
	s_cbranch_vccz .LBB98_26
; %bb.27:                               ;   in Loop: Header=BB98_15 Depth=1
	s_add_i32 s17, s17, 8
	s_add_i32 s16, s16, 8
	s_cmp_ge_i32 s17, s14
	ds_write_b32 v79, v2
	ds_write2st64_b32 v80, v4, v5 offset1:4
	s_waitcnt lgkmcnt(0)
	s_barrier
	buffer_gl0_inv
	s_cbranch_scc0 .LBB98_15
.LBB98_28:
	s_mov_b32 s9, 0
	s_mov_b32 s1, -1
.LBB98_29:                              ; =>This Inner Loop Header: Depth=1
	s_lshl_b32 s9, s9, 2
	v_cndmask_b32_e64 v2, 0, 1, s1
	v_add_nc_u32_e32 v12, s9, v78
	v_add_nc_u32_e32 v13, s9, v77
	s_mov_b32 s1, 0
	s_mov_b32 s9, 2
	v_cmp_ne_u32_e32 vcc_lo, 1, v2
	ds_read2st64_b64 v[2:5], v12 offset1:1
	ds_read2_b64 v[72:75], v13 offset1:16
	ds_read2_b64 v[79:82], v13 offset0:32 offset1:48
	ds_read2_b64 v[83:86], v13 offset0:64 offset1:80
	;; [unrolled: 1-line block ×3, first 2 shown]
	ds_read2st64_b64 v[91:94], v12 offset0:2 offset1:3
	s_and_b32 vcc_lo, exec_lo, vcc_lo
	s_waitcnt lgkmcnt(5)
	v_max_f32_e32 v2, v2, v2
	s_waitcnt lgkmcnt(4)
	v_max_f32_e32 v12, v72, v72
	v_max_f32_e32 v3, v3, v3
	;; [unrolled: 1-line block ×5, first 2 shown]
	s_waitcnt lgkmcnt(3)
	v_max_f32_e32 v74, v79, v79
	v_max_f32_e32 v75, v80, v80
	v_max_f32_e32 v76, v81, v81
	v_max_f32_e32 v79, v82, v82
	s_waitcnt lgkmcnt(2)
	v_max_f32_e32 v80, v83, v83
	v_max_f32_e32 v81, v84, v84
	v_max_f32_e32 v82, v85, v85
	v_max_f32_e32 v83, v86, v86
	;; [unrolled: 5-line block ×3, first 2 shown]
	v_max_f32_e32 v4, v4, v4
	v_max_f32_e32 v5, v5, v5
	s_waitcnt lgkmcnt(0)
	v_max_f32_e32 v88, v91, v91
	v_max_f32_e32 v89, v92, v92
	;; [unrolled: 1-line block ×4, first 2 shown]
	v_min_f32_e32 v92, v12, v2
	v_min_f32_e32 v93, v13, v3
	;; [unrolled: 1-line block ×64, first 2 shown]
	v_add_f32_e32 v71, v93, v71
	v_add_f32_e32 v70, v92, v70
	;; [unrolled: 1-line block ×64, first 2 shown]
	s_cbranch_vccz .LBB98_29
; %bb.30:
	s_load_dword s9, s[4:5], 0x50
	v_add_nc_u32_e32 v72, s8, v1
	v_add_nc_u32_e32 v12, s6, v0
	v_cndmask_b32_e64 v0, 0, 1, s2
	v_mov_b32_e32 v4, 0
	v_ashrrev_i32_e32 v13, 31, v12
	v_cmp_ne_u32_e64 s1, 1, v0
	s_waitcnt lgkmcnt(0)
	v_mad_i64_i32 v[1:2], null, v72, s9, 0
	v_lshlrev_b64 v[2:3], 2, v[1:2]
	v_lshlrev_b64 v[0:1], 2, v[12:13]
	v_add_co_u32 v73, vcc_lo, s12, v2
	v_add_co_ci_u32_e64 v74, null, s13, v3, vcc_lo
	v_mov_b32_e32 v2, 0
	s_andn2_b32 vcc_lo, exec_lo, s2
	s_cbranch_vccnz .LBB98_32
; %bb.31:
	v_add_co_u32 v2, vcc_lo, v73, v0
	v_add_co_ci_u32_e64 v3, null, v74, v1, vcc_lo
	global_load_dword v2, v[2:3], off
	s_waitcnt vmcnt(0)
	v_mul_f32_e32 v2, s3, v2
.LBB98_32:
	s_clause 0x1
	s_load_dword s2, s[4:5], 0x68
	s_load_dwordx2 s[4:5], s[4:5], 0x70
	v_add_f32_e32 v3, v70, v71
	v_add_nc_u32_e32 v77, 8, v12
	v_add_f32_e32 v5, v3, v2
	v_ashrrev_i32_e32 v78, 31, v77
	v_lshlrev_b64 v[2:3], 2, v[77:78]
	s_waitcnt lgkmcnt(0)
	v_mad_i64_i32 v[75:76], null, v72, s2, 0
	s_mul_i32 s5, s5, s7
	s_mul_hi_u32 s6, s4, s7
	s_mul_i32 s4, s4, s7
	s_add_i32 s5, s6, s5
	s_lshl_b64 s[4:5], s[4:5], 2
	v_lshlrev_b64 v[70:71], 2, v[75:76]
	s_add_u32 s4, s10, s4
	s_addc_u32 s5, s11, s5
	v_add_co_u32 v70, vcc_lo, s4, v70
	v_add_co_ci_u32_e64 v71, null, s5, v71, vcc_lo
	v_add_co_u32 v75, vcc_lo, v70, v0
	v_add_co_ci_u32_e64 v76, null, v71, v1, vcc_lo
	s_and_b32 vcc_lo, exec_lo, s1
	global_store_dword v[75:76], v5, off
	s_cbranch_vccnz .LBB98_34
; %bb.33:
	v_add_co_u32 v4, vcc_lo, v73, v2
	v_add_co_ci_u32_e64 v5, null, v74, v3, vcc_lo
	global_load_dword v4, v[4:5], off
	s_waitcnt vmcnt(0)
	v_mul_f32_e32 v4, s3, v4
.LBB98_34:
	v_add_nc_u32_e32 v75, 16, v12
	v_add_f32_e32 v5, v68, v69
	v_add_co_u32 v77, vcc_lo, v70, v2
	v_add_co_ci_u32_e64 v78, null, v71, v3, vcc_lo
	v_ashrrev_i32_e32 v76, 31, v75
	v_add_f32_e32 v69, v5, v4
	v_mov_b32_e32 v13, 0
	v_mov_b32_e32 v68, 0
	s_and_b32 vcc_lo, exec_lo, s1
	v_lshlrev_b64 v[4:5], 2, v[75:76]
	global_store_dword v[77:78], v69, off
	s_cbranch_vccnz .LBB98_36
; %bb.35:
	v_add_co_u32 v68, vcc_lo, v73, v4
	v_add_co_ci_u32_e64 v69, null, v74, v5, vcc_lo
	global_load_dword v68, v[68:69], off
	s_waitcnt vmcnt(0)
	v_mul_f32_e32 v68, s3, v68
.LBB98_36:
	v_add_nc_u32_e32 v75, 24, v12
	v_add_f32_e32 v6, v6, v7
	v_ashrrev_i32_e32 v76, 31, v75
	v_add_f32_e32 v77, v6, v68
	v_add_co_u32 v68, vcc_lo, v70, v4
	v_add_co_ci_u32_e64 v69, null, v71, v5, vcc_lo
	v_lshlrev_b64 v[6:7], 2, v[75:76]
	s_and_b32 vcc_lo, exec_lo, s1
	global_store_dword v[68:69], v77, off
	s_cbranch_vccnz .LBB98_38
; %bb.37:
	v_add_co_u32 v68, vcc_lo, v73, v6
	v_add_co_ci_u32_e64 v69, null, v74, v7, vcc_lo
	global_load_dword v13, v[68:69], off
	s_waitcnt vmcnt(0)
	v_mul_f32_e32 v13, s3, v13
.LBB98_38:
	v_add_nc_u32_e32 v68, 32, v12
	v_add_f32_e32 v10, v10, v11
	v_add_co_u32 v75, vcc_lo, v70, v6
	v_add_co_ci_u32_e64 v76, null, v71, v7, vcc_lo
	v_ashrrev_i32_e32 v69, 31, v68
	v_add_f32_e32 v77, v10, v13
	v_mov_b32_e32 v13, 0
	s_and_b32 vcc_lo, exec_lo, s1
	v_lshlrev_b64 v[10:11], 2, v[68:69]
	v_mov_b32_e32 v68, 0
	global_store_dword v[75:76], v77, off
	s_cbranch_vccnz .LBB98_40
; %bb.39:
	v_add_co_u32 v68, vcc_lo, v73, v10
	v_add_co_ci_u32_e64 v69, null, v74, v11, vcc_lo
	global_load_dword v68, v[68:69], off
	s_waitcnt vmcnt(0)
	v_mul_f32_e32 v68, s3, v68
.LBB98_40:
	v_add_nc_u32_e32 v75, 40, v12
	v_add_f32_e32 v14, v14, v15
	v_ashrrev_i32_e32 v76, 31, v75
	v_add_f32_e32 v77, v14, v68
	v_add_co_u32 v68, vcc_lo, v70, v10
	v_add_co_ci_u32_e64 v69, null, v71, v11, vcc_lo
	v_lshlrev_b64 v[14:15], 2, v[75:76]
	s_and_b32 vcc_lo, exec_lo, s1
	global_store_dword v[68:69], v77, off
	s_cbranch_vccnz .LBB98_42
; %bb.41:
	v_add_co_u32 v68, vcc_lo, v73, v14
	v_add_co_ci_u32_e64 v69, null, v74, v15, vcc_lo
	global_load_dword v13, v[68:69], off
	s_waitcnt vmcnt(0)
	v_mul_f32_e32 v13, s3, v13
.LBB98_42:
	v_add_nc_u32_e32 v75, 48, v12
	v_add_f32_e32 v8, v8, v9
	v_add_co_u32 v77, vcc_lo, v70, v14
	v_add_co_ci_u32_e64 v78, null, v71, v15, vcc_lo
	v_ashrrev_i32_e32 v76, 31, v75
	v_add_f32_e32 v69, v8, v13
	v_mov_b32_e32 v68, 0
	v_mov_b32_e32 v13, 0
	s_and_b32 vcc_lo, exec_lo, s1
	v_lshlrev_b64 v[8:9], 2, v[75:76]
	global_store_dword v[77:78], v69, off
	s_cbranch_vccnz .LBB98_44
; %bb.43:
	v_add_co_u32 v75, vcc_lo, v73, v8
	v_add_co_ci_u32_e64 v76, null, v74, v9, vcc_lo
	global_load_dword v13, v[75:76], off
	s_waitcnt vmcnt(0)
	v_mul_f32_e32 v13, s3, v13
.LBB98_44:
	v_add_nc_u32_e32 v75, 56, v12
	v_add_f32_e32 v12, v66, v67
	v_add_co_u32 v66, vcc_lo, v70, v8
	v_add_co_ci_u32_e64 v67, null, v71, v9, vcc_lo
	v_ashrrev_i32_e32 v76, 31, v75
	v_add_f32_e32 v69, v12, v13
	s_and_b32 vcc_lo, exec_lo, s1
	v_lshlrev_b64 v[12:13], 2, v[75:76]
	global_store_dword v[66:67], v69, off
	s_cbranch_vccnz .LBB98_46
; %bb.45:
	v_add_co_u32 v66, vcc_lo, v73, v12
	v_add_co_ci_u32_e64 v67, null, v74, v13, vcc_lo
	global_load_dword v66, v[66:67], off
	s_waitcnt vmcnt(0)
	v_mul_f32_e32 v68, s3, v66
.LBB98_46:
	v_add_nc_u32_e32 v67, 32, v72
	v_add_f32_e32 v75, v64, v65
	v_add_co_u32 v69, vcc_lo, v70, v12
	v_add_co_ci_u32_e64 v70, null, v71, v13, vcc_lo
	v_mad_i64_i32 v[73:74], null, v67, s9, 0
	v_mov_b32_e32 v66, 0
	v_add_f32_e32 v71, v75, v68
	v_mov_b32_e32 v68, 0
	global_store_dword v[69:70], v71, off
	v_lshlrev_b64 v[64:65], 2, v[73:74]
	v_add_co_u32 v64, vcc_lo, s12, v64
	v_add_co_ci_u32_e64 v65, null, s13, v65, vcc_lo
	s_and_b32 vcc_lo, exec_lo, s1
	s_cbranch_vccnz .LBB98_48
; %bb.47:
	v_add_co_u32 v68, vcc_lo, v64, v0
	v_add_co_ci_u32_e64 v69, null, v65, v1, vcc_lo
	global_load_dword v68, v[68:69], off
	s_waitcnt vmcnt(0)
	v_mul_f32_e32 v68, s3, v68
.LBB98_48:
	v_mad_i64_i32 v[69:70], null, v67, s2, 0
	v_add_f32_e32 v67, v62, v63
	v_lshlrev_b64 v[69:70], 2, v[69:70]
	v_add_co_u32 v62, vcc_lo, s4, v69
	v_add_co_ci_u32_e64 v63, null, s5, v70, vcc_lo
	v_add_f32_e32 v69, v67, v68
	v_add_co_u32 v67, vcc_lo, v62, v0
	v_add_co_ci_u32_e64 v68, null, v63, v1, vcc_lo
	s_and_b32 vcc_lo, exec_lo, s1
	global_store_dword v[67:68], v69, off
	s_cbranch_vccnz .LBB98_50
; %bb.49:
	v_add_co_u32 v66, vcc_lo, v64, v2
	v_add_co_ci_u32_e64 v67, null, v65, v3, vcc_lo
	global_load_dword v66, v[66:67], off
	s_waitcnt vmcnt(0)
	v_mul_f32_e32 v66, s3, v66
.LBB98_50:
	v_add_f32_e32 v60, v60, v61
	v_add_co_u32 v67, vcc_lo, v62, v2
	v_add_co_ci_u32_e64 v68, null, v63, v3, vcc_lo
	v_add_f32_e32 v66, v60, v66
	v_mov_b32_e32 v60, 0
	v_mov_b32_e32 v61, 0
	s_and_b32 vcc_lo, exec_lo, s1
	global_store_dword v[67:68], v66, off
	s_cbranch_vccnz .LBB98_52
; %bb.51:
	v_add_co_u32 v66, vcc_lo, v64, v4
	v_add_co_ci_u32_e64 v67, null, v65, v5, vcc_lo
	global_load_dword v61, v[66:67], off
	s_waitcnt vmcnt(0)
	v_mul_f32_e32 v61, s3, v61
.LBB98_52:
	v_add_f32_e32 v58, v58, v59
	v_add_f32_e32 v61, v58, v61
	v_add_co_u32 v58, vcc_lo, v62, v4
	v_add_co_ci_u32_e64 v59, null, v63, v5, vcc_lo
	s_and_b32 vcc_lo, exec_lo, s1
	global_store_dword v[58:59], v61, off
	s_cbranch_vccnz .LBB98_54
; %bb.53:
	v_add_co_u32 v58, vcc_lo, v64, v6
	v_add_co_ci_u32_e64 v59, null, v65, v7, vcc_lo
	global_load_dword v58, v[58:59], off
	s_waitcnt vmcnt(0)
	v_mul_f32_e32 v60, s3, v58
.LBB98_54:
	v_add_f32_e32 v56, v56, v57
	v_add_co_u32 v58, vcc_lo, v62, v6
	v_add_co_ci_u32_e64 v59, null, v63, v7, vcc_lo
	v_add_f32_e32 v60, v56, v60
	v_mov_b32_e32 v56, 0
	v_mov_b32_e32 v57, 0
	s_and_b32 vcc_lo, exec_lo, s1
	global_store_dword v[58:59], v60, off
	s_cbranch_vccnz .LBB98_56
; %bb.55:
	v_add_co_u32 v57, vcc_lo, v64, v10
	v_add_co_ci_u32_e64 v58, null, v65, v11, vcc_lo
	global_load_dword v57, v[57:58], off
	s_waitcnt vmcnt(0)
	v_mul_f32_e32 v57, s3, v57
.LBB98_56:
	v_add_f32_e32 v54, v54, v55
	;; [unrolled: 30-line block ×3, first 2 shown]
	v_add_f32_e32 v53, v50, v53
	v_add_co_u32 v50, vcc_lo, v62, v8
	v_add_co_ci_u32_e64 v51, null, v63, v9, vcc_lo
	s_and_b32 vcc_lo, exec_lo, s1
	global_store_dword v[50:51], v53, off
	s_cbranch_vccnz .LBB98_62
; %bb.61:
	v_add_co_u32 v50, vcc_lo, v64, v12
	v_add_co_ci_u32_e64 v51, null, v65, v13, vcc_lo
	global_load_dword v50, v[50:51], off
	s_waitcnt vmcnt(0)
	v_mul_f32_e32 v52, s3, v50
.LBB98_62:
	v_add_nc_u32_e32 v51, 64, v72
	v_add_f32_e32 v55, v48, v49
	v_mov_b32_e32 v50, 0
	v_mad_i64_i32 v[53:54], null, v51, s9, 0
	v_add_f32_e32 v55, v55, v52
	v_mov_b32_e32 v52, 0
	v_lshlrev_b64 v[48:49], 2, v[53:54]
	v_add_co_u32 v53, vcc_lo, v62, v12
	v_add_co_ci_u32_e64 v54, null, v63, v13, vcc_lo
	v_add_co_u32 v48, vcc_lo, s12, v48
	v_add_co_ci_u32_e64 v49, null, s13, v49, vcc_lo
	s_and_b32 vcc_lo, exec_lo, s1
	global_store_dword v[53:54], v55, off
	s_cbranch_vccnz .LBB98_64
; %bb.63:
	v_add_co_u32 v52, vcc_lo, v48, v0
	v_add_co_ci_u32_e64 v53, null, v49, v1, vcc_lo
	global_load_dword v52, v[52:53], off
	s_waitcnt vmcnt(0)
	v_mul_f32_e32 v52, s3, v52
.LBB98_64:
	v_mad_i64_i32 v[53:54], null, v51, s2, 0
	v_add_f32_e32 v51, v46, v47
	v_lshlrev_b64 v[53:54], 2, v[53:54]
	v_add_co_u32 v46, vcc_lo, s4, v53
	v_add_co_ci_u32_e64 v47, null, s5, v54, vcc_lo
	v_add_f32_e32 v53, v51, v52
	v_add_co_u32 v51, vcc_lo, v46, v0
	v_add_co_ci_u32_e64 v52, null, v47, v1, vcc_lo
	s_and_b32 vcc_lo, exec_lo, s1
	global_store_dword v[51:52], v53, off
	s_cbranch_vccnz .LBB98_66
; %bb.65:
	v_add_co_u32 v50, vcc_lo, v48, v2
	v_add_co_ci_u32_e64 v51, null, v49, v3, vcc_lo
	global_load_dword v50, v[50:51], off
	s_waitcnt vmcnt(0)
	v_mul_f32_e32 v50, s3, v50
.LBB98_66:
	v_add_f32_e32 v44, v44, v45
	v_add_co_u32 v51, vcc_lo, v46, v2
	v_add_co_ci_u32_e64 v52, null, v47, v3, vcc_lo
	v_add_f32_e32 v50, v44, v50
	v_mov_b32_e32 v44, 0
	v_mov_b32_e32 v45, 0
	s_and_b32 vcc_lo, exec_lo, s1
	global_store_dword v[51:52], v50, off
	s_cbranch_vccnz .LBB98_68
; %bb.67:
	v_add_co_u32 v50, vcc_lo, v48, v4
	v_add_co_ci_u32_e64 v51, null, v49, v5, vcc_lo
	global_load_dword v45, v[50:51], off
	s_waitcnt vmcnt(0)
	v_mul_f32_e32 v45, s3, v45
.LBB98_68:
	v_add_f32_e32 v42, v42, v43
	v_add_f32_e32 v45, v42, v45
	v_add_co_u32 v42, vcc_lo, v46, v4
	v_add_co_ci_u32_e64 v43, null, v47, v5, vcc_lo
	s_and_b32 vcc_lo, exec_lo, s1
	global_store_dword v[42:43], v45, off
	s_cbranch_vccnz .LBB98_70
; %bb.69:
	v_add_co_u32 v42, vcc_lo, v48, v6
	v_add_co_ci_u32_e64 v43, null, v49, v7, vcc_lo
	global_load_dword v42, v[42:43], off
	s_waitcnt vmcnt(0)
	v_mul_f32_e32 v44, s3, v42
.LBB98_70:
	v_add_f32_e32 v40, v40, v41
	v_add_co_u32 v42, vcc_lo, v46, v6
	v_add_co_ci_u32_e64 v43, null, v47, v7, vcc_lo
	v_add_f32_e32 v44, v40, v44
	v_mov_b32_e32 v40, 0
	v_mov_b32_e32 v41, 0
	s_and_b32 vcc_lo, exec_lo, s1
	global_store_dword v[42:43], v44, off
	s_cbranch_vccnz .LBB98_72
; %bb.71:
	v_add_co_u32 v41, vcc_lo, v48, v10
	v_add_co_ci_u32_e64 v42, null, v49, v11, vcc_lo
	global_load_dword v41, v[41:42], off
	s_waitcnt vmcnt(0)
	v_mul_f32_e32 v41, s3, v41
.LBB98_72:
	v_add_f32_e32 v38, v38, v39
	;; [unrolled: 30-line block ×3, first 2 shown]
	v_add_f32_e32 v37, v34, v37
	v_add_co_u32 v34, vcc_lo, v46, v8
	v_add_co_ci_u32_e64 v35, null, v47, v9, vcc_lo
	s_and_b32 vcc_lo, exec_lo, s1
	global_store_dword v[34:35], v37, off
	s_cbranch_vccnz .LBB98_78
; %bb.77:
	v_add_co_u32 v34, vcc_lo, v48, v12
	v_add_co_ci_u32_e64 v35, null, v49, v13, vcc_lo
	global_load_dword v34, v[34:35], off
	s_waitcnt vmcnt(0)
	v_mul_f32_e32 v36, s3, v34
.LBB98_78:
	v_add_nc_u32_e32 v35, 0x60, v72
	v_add_f32_e32 v39, v32, v33
	v_mov_b32_e32 v34, 0
	v_mad_i64_i32 v[37:38], null, v35, s9, 0
	v_add_f32_e32 v39, v39, v36
	v_mov_b32_e32 v36, 0
	v_lshlrev_b64 v[32:33], 2, v[37:38]
	v_add_co_u32 v37, vcc_lo, v46, v12
	v_add_co_ci_u32_e64 v38, null, v47, v13, vcc_lo
	v_add_co_u32 v32, vcc_lo, s12, v32
	v_add_co_ci_u32_e64 v33, null, s13, v33, vcc_lo
	s_and_b32 vcc_lo, exec_lo, s1
	global_store_dword v[37:38], v39, off
	s_cbranch_vccnz .LBB98_80
; %bb.79:
	v_add_co_u32 v36, vcc_lo, v32, v0
	v_add_co_ci_u32_e64 v37, null, v33, v1, vcc_lo
	global_load_dword v36, v[36:37], off
	s_waitcnt vmcnt(0)
	v_mul_f32_e32 v36, s3, v36
.LBB98_80:
	v_mad_i64_i32 v[37:38], null, v35, s2, 0
	v_add_f32_e32 v35, v30, v31
	v_add_f32_e32 v35, v35, v36
	v_lshlrev_b64 v[37:38], 2, v[37:38]
	v_add_co_u32 v30, vcc_lo, s4, v37
	v_add_co_ci_u32_e64 v31, null, s5, v38, vcc_lo
	v_add_co_u32 v0, vcc_lo, v30, v0
	v_add_co_ci_u32_e64 v1, null, v31, v1, vcc_lo
	s_and_b32 vcc_lo, exec_lo, s1
	global_store_dword v[0:1], v35, off
	s_cbranch_vccnz .LBB98_82
; %bb.81:
	v_add_co_u32 v0, vcc_lo, v32, v2
	v_add_co_ci_u32_e64 v1, null, v33, v3, vcc_lo
	global_load_dword v0, v[0:1], off
	s_waitcnt vmcnt(0)
	v_mul_f32_e32 v34, s3, v0
.LBB98_82:
	v_add_f32_e32 v0, v28, v29
	v_add_co_u32 v2, vcc_lo, v30, v2
	v_add_co_ci_u32_e64 v3, null, v31, v3, vcc_lo
	v_add_f32_e32 v28, v0, v34
	v_mov_b32_e32 v0, 0
	v_mov_b32_e32 v1, 0
	s_and_b32 vcc_lo, exec_lo, s1
	global_store_dword v[2:3], v28, off
	s_cbranch_vccnz .LBB98_84
; %bb.83:
	v_add_co_u32 v1, vcc_lo, v32, v4
	v_add_co_ci_u32_e64 v2, null, v33, v5, vcc_lo
	global_load_dword v1, v[1:2], off
	s_waitcnt vmcnt(0)
	v_mul_f32_e32 v1, s3, v1
.LBB98_84:
	v_add_f32_e32 v2, v26, v27
	v_add_f32_e32 v3, v2, v1
	v_add_co_u32 v1, vcc_lo, v30, v4
	v_add_co_ci_u32_e64 v2, null, v31, v5, vcc_lo
	s_and_b32 vcc_lo, exec_lo, s1
	global_store_dword v[1:2], v3, off
	s_cbranch_vccnz .LBB98_86
; %bb.85:
	v_add_co_u32 v0, vcc_lo, v32, v6
	v_add_co_ci_u32_e64 v1, null, v33, v7, vcc_lo
	global_load_dword v0, v[0:1], off
	s_waitcnt vmcnt(0)
	v_mul_f32_e32 v0, s3, v0
.LBB98_86:
	v_add_f32_e32 v1, v24, v25
	v_add_co_u32 v2, vcc_lo, v30, v6
	v_add_co_ci_u32_e64 v3, null, v31, v7, vcc_lo
	v_add_f32_e32 v4, v1, v0
	v_mov_b32_e32 v0, 0
	v_mov_b32_e32 v1, 0
	s_and_b32 vcc_lo, exec_lo, s1
	global_store_dword v[2:3], v4, off
	s_cbranch_vccnz .LBB98_88
; %bb.87:
	v_add_co_u32 v1, vcc_lo, v32, v10
	v_add_co_ci_u32_e64 v2, null, v33, v11, vcc_lo
	global_load_dword v1, v[1:2], off
	s_waitcnt vmcnt(0)
	v_mul_f32_e32 v1, s3, v1
.LBB98_88:
	v_add_f32_e32 v2, v22, v23
	v_add_f32_e32 v3, v2, v1
	v_add_co_u32 v1, vcc_lo, v30, v10
	v_add_co_ci_u32_e64 v2, null, v31, v11, vcc_lo
	s_and_b32 vcc_lo, exec_lo, s1
	global_store_dword v[1:2], v3, off
	s_cbranch_vccnz .LBB98_90
; %bb.89:
	v_add_co_u32 v0, vcc_lo, v32, v14
	v_add_co_ci_u32_e64 v1, null, v33, v15, vcc_lo
	global_load_dword v0, v[0:1], off
	s_waitcnt vmcnt(0)
	v_mul_f32_e32 v0, s3, v0
.LBB98_90:
	v_add_f32_e32 v3, v20, v21
	v_add_co_u32 v1, vcc_lo, v30, v14
	v_add_co_ci_u32_e64 v2, null, v31, v15, vcc_lo
	v_add_f32_e32 v3, v3, v0
	v_add_f32_e32 v0, v18, v19
	s_mov_b32 s1, -1
	s_mov_b32 vcc_lo, s0
	global_store_dword v[1:2], v3, off
	s_cbranch_vccz .LBB98_92
; %bb.91:
	v_add_co_u32 v1, vcc_lo, v30, v8
	v_add_f32_e32 v3, 0, v0
	v_add_co_ci_u32_e64 v2, null, v31, v9, vcc_lo
	s_mov_b32 s1, 0
	global_store_dword v[1:2], v3, off
.LBB98_92:
	v_mov_b32_e32 v1, 0
	s_andn2_b32 vcc_lo, exec_lo, s1
	s_cbranch_vccnz .LBB98_94
; %bb.93:
	v_add_co_u32 v1, vcc_lo, v32, v8
	v_add_co_ci_u32_e64 v2, null, v33, v9, vcc_lo
	global_load_dword v3, v[1:2], off
	v_add_co_u32 v1, vcc_lo, v30, v8
	v_add_co_ci_u32_e64 v2, null, v31, v9, vcc_lo
	s_waitcnt vmcnt(0)
	v_fmac_f32_e32 v0, s3, v3
	v_add_co_u32 v3, vcc_lo, v32, v12
	v_add_co_ci_u32_e64 v4, null, v33, v13, vcc_lo
	global_store_dword v[1:2], v0, off
	global_load_dword v0, v[3:4], off
	s_waitcnt vmcnt(0)
	v_mul_f32_e32 v1, s3, v0
.LBB98_94:
	v_add_f32_e32 v0, v16, v17
	v_add_f32_e32 v2, v0, v1
	v_add_co_u32 v0, vcc_lo, v30, v12
	v_add_co_ci_u32_e64 v1, null, v31, v13, vcc_lo
	global_store_dword v[0:1], v2, off
	s_endpgm
.LBB98_95:
	s_mov_b64 s[16:17], 0
	s_andn2_b32 vcc_lo, exec_lo, s0
	s_mov_b32 s0, -1
	s_cbranch_vccz .LBB98_2
	s_branch .LBB98_3
	.section	.rodata,"a",@progbits
	.p2align	6, 0x0
	.amdhsa_kernel _ZN12_GLOBAL__N_120geam_min_plus_kernelIf15HIP_vector_typeIfLj2EES2_Li8ELi32ELi64ELi128ELi4ELi4ELi64ELi64ELi4ELc84ELc84ELb0ELb0ELb0EfKffEEviiiT16_PT17_ilS6_ilS4_S6_ilPT18_ili26rocblas_geam_ex_operation_
		.amdhsa_group_segment_fixed_size 6144
		.amdhsa_private_segment_fixed_size 0
		.amdhsa_kernarg_size 128
		.amdhsa_user_sgpr_count 6
		.amdhsa_user_sgpr_private_segment_buffer 1
		.amdhsa_user_sgpr_dispatch_ptr 0
		.amdhsa_user_sgpr_queue_ptr 0
		.amdhsa_user_sgpr_kernarg_segment_ptr 1
		.amdhsa_user_sgpr_dispatch_id 0
		.amdhsa_user_sgpr_flat_scratch_init 0
		.amdhsa_user_sgpr_private_segment_size 0
		.amdhsa_wavefront_size32 1
		.amdhsa_uses_dynamic_stack 0
		.amdhsa_system_sgpr_private_segment_wavefront_offset 0
		.amdhsa_system_sgpr_workgroup_id_x 1
		.amdhsa_system_sgpr_workgroup_id_y 0
		.amdhsa_system_sgpr_workgroup_id_z 1
		.amdhsa_system_sgpr_workgroup_info 0
		.amdhsa_system_vgpr_workitem_id 1
		.amdhsa_next_free_vgpr 151
		.amdhsa_next_free_sgpr 26
		.amdhsa_reserve_vcc 1
		.amdhsa_reserve_flat_scratch 0
		.amdhsa_float_round_mode_32 0
		.amdhsa_float_round_mode_16_64 0
		.amdhsa_float_denorm_mode_32 3
		.amdhsa_float_denorm_mode_16_64 3
		.amdhsa_dx10_clamp 1
		.amdhsa_ieee_mode 1
		.amdhsa_fp16_overflow 0
		.amdhsa_workgroup_processor_mode 1
		.amdhsa_memory_ordered 1
		.amdhsa_forward_progress 1
		.amdhsa_shared_vgpr_count 0
		.amdhsa_exception_fp_ieee_invalid_op 0
		.amdhsa_exception_fp_denorm_src 0
		.amdhsa_exception_fp_ieee_div_zero 0
		.amdhsa_exception_fp_ieee_overflow 0
		.amdhsa_exception_fp_ieee_underflow 0
		.amdhsa_exception_fp_ieee_inexact 0
		.amdhsa_exception_int_div_zero 0
	.end_amdhsa_kernel
	.section	.text._ZN12_GLOBAL__N_120geam_min_plus_kernelIf15HIP_vector_typeIfLj2EES2_Li8ELi32ELi64ELi128ELi4ELi4ELi64ELi64ELi4ELc84ELc84ELb0ELb0ELb0EfKffEEviiiT16_PT17_ilS6_ilS4_S6_ilPT18_ili26rocblas_geam_ex_operation_,"axG",@progbits,_ZN12_GLOBAL__N_120geam_min_plus_kernelIf15HIP_vector_typeIfLj2EES2_Li8ELi32ELi64ELi128ELi4ELi4ELi64ELi64ELi4ELc84ELc84ELb0ELb0ELb0EfKffEEviiiT16_PT17_ilS6_ilS4_S6_ilPT18_ili26rocblas_geam_ex_operation_,comdat
.Lfunc_end98:
	.size	_ZN12_GLOBAL__N_120geam_min_plus_kernelIf15HIP_vector_typeIfLj2EES2_Li8ELi32ELi64ELi128ELi4ELi4ELi64ELi64ELi4ELc84ELc84ELb0ELb0ELb0EfKffEEviiiT16_PT17_ilS6_ilS4_S6_ilPT18_ili26rocblas_geam_ex_operation_, .Lfunc_end98-_ZN12_GLOBAL__N_120geam_min_plus_kernelIf15HIP_vector_typeIfLj2EES2_Li8ELi32ELi64ELi128ELi4ELi4ELi64ELi64ELi4ELc84ELc84ELb0ELb0ELb0EfKffEEviiiT16_PT17_ilS6_ilS4_S6_ilPT18_ili26rocblas_geam_ex_operation_
                                        ; -- End function
	.set _ZN12_GLOBAL__N_120geam_min_plus_kernelIf15HIP_vector_typeIfLj2EES2_Li8ELi32ELi64ELi128ELi4ELi4ELi64ELi64ELi4ELc84ELc84ELb0ELb0ELb0EfKffEEviiiT16_PT17_ilS6_ilS4_S6_ilPT18_ili26rocblas_geam_ex_operation_.num_vgpr, 151
	.set _ZN12_GLOBAL__N_120geam_min_plus_kernelIf15HIP_vector_typeIfLj2EES2_Li8ELi32ELi64ELi128ELi4ELi4ELi64ELi64ELi4ELc84ELc84ELb0ELb0ELb0EfKffEEviiiT16_PT17_ilS6_ilS4_S6_ilPT18_ili26rocblas_geam_ex_operation_.num_agpr, 0
	.set _ZN12_GLOBAL__N_120geam_min_plus_kernelIf15HIP_vector_typeIfLj2EES2_Li8ELi32ELi64ELi128ELi4ELi4ELi64ELi64ELi4ELc84ELc84ELb0ELb0ELb0EfKffEEviiiT16_PT17_ilS6_ilS4_S6_ilPT18_ili26rocblas_geam_ex_operation_.numbered_sgpr, 26
	.set _ZN12_GLOBAL__N_120geam_min_plus_kernelIf15HIP_vector_typeIfLj2EES2_Li8ELi32ELi64ELi128ELi4ELi4ELi64ELi64ELi4ELc84ELc84ELb0ELb0ELb0EfKffEEviiiT16_PT17_ilS6_ilS4_S6_ilPT18_ili26rocblas_geam_ex_operation_.num_named_barrier, 0
	.set _ZN12_GLOBAL__N_120geam_min_plus_kernelIf15HIP_vector_typeIfLj2EES2_Li8ELi32ELi64ELi128ELi4ELi4ELi64ELi64ELi4ELc84ELc84ELb0ELb0ELb0EfKffEEviiiT16_PT17_ilS6_ilS4_S6_ilPT18_ili26rocblas_geam_ex_operation_.private_seg_size, 0
	.set _ZN12_GLOBAL__N_120geam_min_plus_kernelIf15HIP_vector_typeIfLj2EES2_Li8ELi32ELi64ELi128ELi4ELi4ELi64ELi64ELi4ELc84ELc84ELb0ELb0ELb0EfKffEEviiiT16_PT17_ilS6_ilS4_S6_ilPT18_ili26rocblas_geam_ex_operation_.uses_vcc, 1
	.set _ZN12_GLOBAL__N_120geam_min_plus_kernelIf15HIP_vector_typeIfLj2EES2_Li8ELi32ELi64ELi128ELi4ELi4ELi64ELi64ELi4ELc84ELc84ELb0ELb0ELb0EfKffEEviiiT16_PT17_ilS6_ilS4_S6_ilPT18_ili26rocblas_geam_ex_operation_.uses_flat_scratch, 0
	.set _ZN12_GLOBAL__N_120geam_min_plus_kernelIf15HIP_vector_typeIfLj2EES2_Li8ELi32ELi64ELi128ELi4ELi4ELi64ELi64ELi4ELc84ELc84ELb0ELb0ELb0EfKffEEviiiT16_PT17_ilS6_ilS4_S6_ilPT18_ili26rocblas_geam_ex_operation_.has_dyn_sized_stack, 0
	.set _ZN12_GLOBAL__N_120geam_min_plus_kernelIf15HIP_vector_typeIfLj2EES2_Li8ELi32ELi64ELi128ELi4ELi4ELi64ELi64ELi4ELc84ELc84ELb0ELb0ELb0EfKffEEviiiT16_PT17_ilS6_ilS4_S6_ilPT18_ili26rocblas_geam_ex_operation_.has_recursion, 0
	.set _ZN12_GLOBAL__N_120geam_min_plus_kernelIf15HIP_vector_typeIfLj2EES2_Li8ELi32ELi64ELi128ELi4ELi4ELi64ELi64ELi4ELc84ELc84ELb0ELb0ELb0EfKffEEviiiT16_PT17_ilS6_ilS4_S6_ilPT18_ili26rocblas_geam_ex_operation_.has_indirect_call, 0
	.section	.AMDGPU.csdata,"",@progbits
; Kernel info:
; codeLenInByte = 7620
; TotalNumSgprs: 28
; NumVgprs: 151
; ScratchSize: 0
; MemoryBound: 0
; FloatMode: 240
; IeeeMode: 1
; LDSByteSize: 6144 bytes/workgroup (compile time only)
; SGPRBlocks: 0
; VGPRBlocks: 18
; NumSGPRsForWavesPerEU: 28
; NumVGPRsForWavesPerEU: 151
; Occupancy: 6
; WaveLimiterHint : 1
; COMPUTE_PGM_RSRC2:SCRATCH_EN: 0
; COMPUTE_PGM_RSRC2:USER_SGPR: 6
; COMPUTE_PGM_RSRC2:TRAP_HANDLER: 0
; COMPUTE_PGM_RSRC2:TGID_X_EN: 1
; COMPUTE_PGM_RSRC2:TGID_Y_EN: 0
; COMPUTE_PGM_RSRC2:TGID_Z_EN: 1
; COMPUTE_PGM_RSRC2:TIDIG_COMP_CNT: 1
	.section	.text._ZN12_GLOBAL__N_120geam_min_plus_kernelIf15HIP_vector_typeIfLj2EES2_Li8ELi32ELi64ELi128ELi4ELi4ELi64ELi64ELi4ELc84ELc84ELb0ELb1ELb0EPKfS3_fEEviiiT16_PT17_ilS7_ilS5_S7_ilPT18_ili26rocblas_geam_ex_operation_,"axG",@progbits,_ZN12_GLOBAL__N_120geam_min_plus_kernelIf15HIP_vector_typeIfLj2EES2_Li8ELi32ELi64ELi128ELi4ELi4ELi64ELi64ELi4ELc84ELc84ELb0ELb1ELb0EPKfS3_fEEviiiT16_PT17_ilS7_ilS5_S7_ilPT18_ili26rocblas_geam_ex_operation_,comdat
	.globl	_ZN12_GLOBAL__N_120geam_min_plus_kernelIf15HIP_vector_typeIfLj2EES2_Li8ELi32ELi64ELi128ELi4ELi4ELi64ELi64ELi4ELc84ELc84ELb0ELb1ELb0EPKfS3_fEEviiiT16_PT17_ilS7_ilS5_S7_ilPT18_ili26rocblas_geam_ex_operation_ ; -- Begin function _ZN12_GLOBAL__N_120geam_min_plus_kernelIf15HIP_vector_typeIfLj2EES2_Li8ELi32ELi64ELi128ELi4ELi4ELi64ELi64ELi4ELc84ELc84ELb0ELb1ELb0EPKfS3_fEEviiiT16_PT17_ilS7_ilS5_S7_ilPT18_ili26rocblas_geam_ex_operation_
	.p2align	8
	.type	_ZN12_GLOBAL__N_120geam_min_plus_kernelIf15HIP_vector_typeIfLj2EES2_Li8ELi32ELi64ELi128ELi4ELi4ELi64ELi64ELi4ELc84ELc84ELb0ELb1ELb0EPKfS3_fEEviiiT16_PT17_ilS7_ilS5_S7_ilPT18_ili26rocblas_geam_ex_operation_,@function
_ZN12_GLOBAL__N_120geam_min_plus_kernelIf15HIP_vector_typeIfLj2EES2_Li8ELi32ELi64ELi128ELi4ELi4ELi64ELi64ELi4ELc84ELc84ELb0ELb1ELb0EPKfS3_fEEviiiT16_PT17_ilS7_ilS5_S7_ilPT18_ili26rocblas_geam_ex_operation_: ; @_ZN12_GLOBAL__N_120geam_min_plus_kernelIf15HIP_vector_typeIfLj2EES2_Li8ELi32ELi64ELi128ELi4ELi4ELi64ELi64ELi4ELc84ELc84ELb0ELb1ELb0EPKfS3_fEEviiiT16_PT17_ilS7_ilS5_S7_ilPT18_ili26rocblas_geam_ex_operation_
; %bb.0:
	s_clause 0x1
	s_load_dwordx4 s[12:15], s[4:5], 0x10
	s_load_dwordx4 s[0:3], s[4:5], 0x28
	s_mov_b32 s18, s7
	s_mov_b32 s19, 0
	s_mov_b64 s[20:21], 0
	s_lshl_b64 s[16:17], s[18:19], 2
	s_mov_b64 s[22:23], 0
	s_waitcnt lgkmcnt(0)
	s_add_u32 s8, s12, s16
	s_addc_u32 s9, s13, s17
	s_load_dword s24, s[8:9], 0x0
	s_clause 0x1
	s_load_dwordx4 s[8:11], s[4:5], 0x40
	s_load_dwordx2 s[12:13], s[4:5], 0x50
	s_waitcnt lgkmcnt(0)
	v_cmp_eq_f32_e64 s7, s24, 0
	v_cmp_neq_f32_e64 s25, s24, 0
	s_add_u32 s10, s10, s16
	s_addc_u32 s11, s11, s17
	s_and_b32 vcc_lo, exec_lo, s7
	s_cbranch_vccnz .LBB99_2
; %bb.1:
	s_mul_i32 s1, s1, s18
	s_mul_hi_u32 s7, s0, s18
	s_mul_i32 s0, s0, s18
	s_add_i32 s1, s7, s1
	s_lshl_b64 s[0:1], s[0:1], 2
	s_add_u32 s22, s14, s0
	s_addc_u32 s23, s15, s1
.LBB99_2:
	s_load_dword s19, s[10:11], 0x0
	s_andn2_b32 vcc_lo, exec_lo, s25
	s_cbranch_vccnz .LBB99_4
; %bb.3:
	s_mul_i32 s0, s9, s18
	s_mul_hi_u32 s1, s8, s18
	s_add_i32 s1, s1, s0
	s_mul_i32 s0, s8, s18
	s_lshl_b64 s[0:1], s[0:1], 2
	s_add_u32 s20, s2, s0
	s_addc_u32 s21, s3, s1
.LBB99_4:
	s_load_dwordx4 s[8:11], s[4:5], 0x60
	s_waitcnt lgkmcnt(0)
	v_cmp_eq_f32_e64 s0, s19, 0
	v_cmp_neq_f32_e64 s7, s19, 0
	s_and_b32 vcc_lo, exec_lo, s0
	s_cbranch_vccnz .LBB99_6
; %bb.5:
	s_mul_i32 s0, s9, s18
	s_mul_hi_u32 s1, s8, s18
	s_add_i32 s1, s1, s0
	s_mul_i32 s0, s8, s18
	s_lshl_b64 s[0:1], s[0:1], 2
	s_add_u32 s16, s12, s0
	s_addc_u32 s17, s13, s1
	s_branch .LBB99_7
.LBB99_6:
	s_mov_b64 s[16:17], 0
.LBB99_7:
	s_clause 0x1
	s_load_dwordx4 s[12:15], s[4:5], 0x0
	s_load_dword s27, s[4:5], 0x20
	v_and_b32_e32 v70, 3, v0
	v_mov_b32_e32 v6, 0
	v_mov_b32_e32 v8, 0
	v_lshlrev_b32_e32 v9, 2, v70
	s_waitcnt lgkmcnt(0)
	s_add_i32 s0, s12, -1
	v_cmp_gt_i32_e32 vcc_lo, s14, v70
	s_ashr_i32 s1, s0, 31
	s_lshr_b32 s1, s1, 26
	s_add_i32 s0, s0, s1
	s_ashr_i32 s0, s0, 6
	s_add_i32 s2, s0, 1
	s_not_b32 s0, s0
	v_cvt_f32_u32_e32 v2, s2
	v_rcp_iflag_f32_e32 v2, v2
	v_mul_f32_e32 v2, 0x4f7ffffe, v2
	v_cvt_u32_f32_e32 v2, v2
	v_readfirstlane_b32 s1, v2
	v_lshl_add_u32 v2, v1, 3, v0
	s_mul_i32 s0, s0, s1
	v_lshrrev_b32_e32 v7, 2, v2
	s_mul_hi_u32 s0, s1, s0
	s_add_i32 s1, s1, s0
	s_mul_hi_u32 s0, s6, s1
	s_mul_i32 s1, s0, s2
	s_add_i32 s3, s0, 1
	s_sub_i32 s1, s6, s1
	s_sub_i32 s8, s1, s2
	s_cmp_ge_u32 s1, s2
	s_cselect_b32 s0, s3, s0
	s_cselect_b32 s1, s8, s1
	s_add_i32 s3, s0, 1
	s_cmp_ge_u32 s1, s2
	s_cselect_b32 s1, s3, s0
	s_mul_i32 s0, s1, s2
	s_sub_i32 s0, s6, s0
	s_lshl_b32 s6, s0, 6
	v_add_nc_u32_e32 v4, s6, v7
	v_cmp_gt_i32_e64 s0, s12, v4
	s_and_b32 s2, vcc_lo, s0
	s_and_b32 s3, s25, s2
	s_and_saveexec_b32 s2, s3
	s_cbranch_execz .LBB99_9
; %bb.8:
	v_mad_i64_i32 v[10:11], null, v4, s27, 0
	v_lshlrev_b64 v[10:11], 2, v[10:11]
	v_add_co_u32 v3, vcc_lo, s22, v10
	v_add_co_ci_u32_e64 v5, null, s23, v11, vcc_lo
	v_add_co_u32 v10, vcc_lo, v3, v9
	v_add_co_ci_u32_e64 v11, null, 0, v5, vcc_lo
	global_load_dword v3, v[10:11], off
	s_waitcnt vmcnt(0)
	v_mul_f32_e32 v8, s24, v3
.LBB99_9:
	s_or_b32 exec_lo, exec_lo, s2
	s_load_dword s9, s[4:5], 0x38
	v_lshrrev_b32_e32 v71, 6, v2
	s_add_i32 s15, s14, -1
	v_and_b32_e32 v10, 63, v2
	s_lshl_b32 s8, s1, 7
	s_xor_b32 s26, s25, -1
	v_min_i32_e32 v3, s15, v71
	v_cmp_le_i32_e32 vcc_lo, s14, v71
	v_or_b32_e32 v2, s8, v10
	v_cmp_le_i32_e64 s1, s13, v2
	s_or_b32 s3, s1, vcc_lo
	s_waitcnt lgkmcnt(0)
	v_mad_i64_i32 v[11:12], null, s9, v3, 0
	v_ashrrev_i32_e32 v3, 31, v2
	v_lshlrev_b64 v[12:13], 2, v[11:12]
	v_add_co_u32 v12, s2, s20, v12
	v_add_co_ci_u32_e64 v13, null, s21, v13, s2
	s_nor_b32 s2, s3, s26
	s_and_saveexec_b32 s3, s2
	s_cbranch_execz .LBB99_11
; %bb.10:
	v_lshlrev_b64 v[5:6], 2, v[2:3]
	v_add_co_u32 v5, s2, v12, v5
	v_add_co_ci_u32_e64 v6, null, v13, v6, s2
	global_load_dword v5, v[5:6], off
	s_waitcnt vmcnt(0)
	v_mul_f32_e32 v6, s24, v5
.LBB99_11:
	s_or_b32 exec_lo, exec_lo, s3
	v_or_b32_e32 v5, 64, v2
	v_mov_b32_e32 v11, 0
	v_cmp_le_i32_e64 s2, s13, v5
	v_mov_b32_e32 v5, 0
	s_or_b32 s3, s2, vcc_lo
	s_nor_b32 s28, s3, s26
	s_and_saveexec_b32 s3, s28
	s_cbranch_execz .LBB99_13
; %bb.12:
	v_lshlrev_b64 v[14:15], 2, v[2:3]
	v_add_co_u32 v11, vcc_lo, v12, v14
	v_add_co_ci_u32_e64 v12, null, v13, v15, vcc_lo
	global_load_dword v11, v[11:12], off offset:256
	s_waitcnt vmcnt(0)
	v_mul_f32_e32 v11, s24, v11
.LBB99_13:
	s_or_b32 exec_lo, exec_lo, s3
	v_or_b32_e32 v12, 4, v70
	v_cmp_gt_i32_e32 vcc_lo, s14, v12
	s_and_b32 s3, vcc_lo, s0
	s_and_b32 s28, s25, s3
	s_and_saveexec_b32 s3, s28
	s_cbranch_execz .LBB99_15
; %bb.14:
	v_mad_i64_i32 v[12:13], null, v4, s27, 0
	v_lshlrev_b64 v[12:13], 2, v[12:13]
	v_add_co_u32 v5, vcc_lo, s22, v12
	v_add_co_ci_u32_e64 v13, null, s23, v13, vcc_lo
	v_add_co_u32 v12, vcc_lo, v5, v9
	v_add_co_ci_u32_e64 v13, null, 0, v13, vcc_lo
	global_load_dword v5, v[12:13], off offset:16
	s_waitcnt vmcnt(0)
	v_mul_f32_e32 v5, s24, v5
.LBB99_15:
	s_or_b32 exec_lo, exec_lo, s3
	v_add_nc_u32_e32 v14, 4, v71
	v_mov_b32_e32 v76, 0
	v_mov_b32_e32 v77, 0
	v_min_i32_e32 v12, s15, v14
	v_cmp_le_i32_e32 vcc_lo, s14, v14
	v_mad_i64_i32 v[12:13], null, s9, v12, 0
	v_lshlrev_b64 v[12:13], 2, v[12:13]
	v_add_co_u32 v12, s3, s20, v12
	v_add_co_ci_u32_e64 v13, null, s21, v13, s3
	s_or_b32 s3, s1, vcc_lo
	s_nor_b32 s3, s3, s26
	s_and_saveexec_b32 s28, s3
	s_cbranch_execz .LBB99_17
; %bb.16:
	v_lshlrev_b64 v[14:15], 2, v[2:3]
	v_add_co_u32 v14, s3, v12, v14
	v_add_co_ci_u32_e64 v15, null, v13, v15, s3
	global_load_dword v14, v[14:15], off
	s_waitcnt vmcnt(0)
	v_mul_f32_e32 v77, s24, v14
.LBB99_17:
	s_or_b32 exec_lo, exec_lo, s28
	s_or_b32 s3, s2, vcc_lo
	s_nor_b32 s28, s3, s26
	s_and_saveexec_b32 s3, s28
	s_cbranch_execz .LBB99_19
; %bb.18:
	v_lshlrev_b64 v[14:15], 2, v[2:3]
	v_add_co_u32 v12, vcc_lo, v12, v14
	v_add_co_ci_u32_e64 v13, null, v13, v15, vcc_lo
	global_load_dword v12, v[12:13], off offset:256
	s_waitcnt vmcnt(0)
	v_mul_f32_e32 v76, s24, v12
.LBB99_19:
	s_or_b32 exec_lo, exec_lo, s3
	v_lshlrev_b32_e32 v10, 4, v10
	v_lshl_or_b32 v78, v7, 4, v9
	v_mov_b32_e32 v68, 0
	v_lshl_or_b32 v72, v0, 4, 0x1000
	v_lshlrev_b32_e32 v74, 4, v1
	v_lshl_add_u32 v73, v71, 2, v10
	v_add_nc_u32_e32 v75, 0x1000, v78
	ds_write_b32 v78, v8 offset:4096
	v_mov_b32_e32 v69, v68
	v_mov_b32_e32 v7, v68
	ds_write2st64_b32 v73, v6, v11 offset1:4
	v_mov_b32_e32 v6, v68
	v_mov_b32_e32 v8, v68
	;; [unrolled: 1-line block ×61, first 2 shown]
	s_mov_b32 s28, 0
	s_mov_b32 s3, -1
	s_waitcnt lgkmcnt(0)
	s_barrier
	buffer_gl0_inv
.LBB99_20:                              ; =>This Inner Loop Header: Depth=1
	s_lshl_b32 s28, s28, 2
	s_andn2_b32 vcc_lo, exec_lo, s3
	v_add_nc_u32_e32 v91, s28, v72
	v_add_nc_u32_e32 v99, s28, v74
	s_mov_b32 s3, 0
	s_mov_b32 s28, 2
	ds_read2_b64 v[79:82], v91 offset1:16
	ds_read2_b64 v[83:86], v91 offset0:32 offset1:48
	ds_read2_b64 v[87:90], v91 offset0:64 offset1:80
	;; [unrolled: 1-line block ×3, first 2 shown]
	ds_read2st64_b64 v[95:98], v99 offset1:1
	ds_read2st64_b64 v[99:102], v99 offset0:2 offset1:3
	s_waitcnt lgkmcnt(5)
	v_max_f32_e32 v103, v79, v79
	v_max_f32_e32 v81, v81, v81
	s_waitcnt lgkmcnt(4)
	v_max_f32_e32 v83, v83, v83
	s_waitcnt lgkmcnt(1)
	v_max_f32_e32 v95, v95, v95
	v_max_f32_e32 v85, v85, v85
	;; [unrolled: 1-line block ×5, first 2 shown]
	v_min_f32_e32 v79, v103, v95
	v_max_f32_e32 v89, v89, v89
	v_max_f32_e32 v82, v82, v82
	;; [unrolled: 1-line block ×3, first 2 shown]
	v_min_f32_e32 v104, v80, v96
	v_add_f32_e32 v68, v68, v79
	v_min_f32_e32 v79, v81, v95
	v_max_f32_e32 v84, v84, v84
	v_max_f32_e32 v86, v86, v86
	v_add_f32_e32 v69, v69, v104
	v_min_f32_e32 v104, v82, v96
	v_add_f32_e32 v6, v6, v79
	v_min_f32_e32 v79, v83, v95
	v_max_f32_e32 v88, v88, v88
	v_max_f32_e32 v93, v93, v93
	v_add_f32_e32 v7, v7, v104
	;; [unrolled: 6-line block ×3, first 2 shown]
	v_min_f32_e32 v104, v86, v96
	v_add_f32_e32 v10, v10, v79
	v_min_f32_e32 v79, v87, v95
	v_add_f32_e32 v11, v11, v104
	;; [unrolled: 2-line block ×5, first 2 shown]
	v_min_f32_e32 v79, v91, v95
	v_min_f32_e32 v95, v93, v95
	v_add_f32_e32 v15, v15, v104
	v_min_f32_e32 v104, v92, v96
	v_add_f32_e32 v16, v16, v79
	v_max_f32_e32 v79, v94, v94
	v_add_f32_e32 v66, v66, v95
	v_add_f32_e32 v17, v17, v104
	v_min_f32_e32 v94, v79, v96
	v_max_f32_e32 v96, v98, v98
	v_add_f32_e32 v67, v67, v94
	v_max_f32_e32 v94, v97, v97
	v_min_f32_e32 v97, v80, v96
	v_min_f32_e32 v95, v103, v94
	v_add_f32_e32 v65, v65, v97
	v_min_f32_e32 v97, v82, v96
	v_add_f32_e32 v64, v64, v95
	;; [unrolled: 2-line block ×12, first 2 shown]
	v_min_f32_e32 v95, v91, v94
	v_min_f32_e32 v94, v93, v94
	v_add_f32_e32 v53, v53, v97
	v_add_f32_e32 v52, v52, v95
	v_min_f32_e32 v95, v79, v96
	v_add_f32_e32 v50, v50, v94
	s_waitcnt lgkmcnt(0)
	v_max_f32_e32 v94, v99, v99
	v_max_f32_e32 v96, v100, v100
	v_add_f32_e32 v51, v51, v95
	v_min_f32_e32 v95, v103, v94
	v_min_f32_e32 v97, v80, v96
	v_add_f32_e32 v48, v48, v95
	v_min_f32_e32 v95, v81, v94
	v_add_f32_e32 v49, v49, v97
	;; [unrolled: 2-line block ×12, first 2 shown]
	v_min_f32_e32 v97, v92, v96
	v_min_f32_e32 v94, v93, v94
	v_add_f32_e32 v36, v36, v95
	v_min_f32_e32 v95, v79, v96
	v_max_f32_e32 v96, v102, v102
	v_add_f32_e32 v34, v34, v94
	v_max_f32_e32 v94, v101, v101
	v_add_f32_e32 v37, v37, v97
	v_add_f32_e32 v35, v35, v95
	v_min_f32_e32 v80, v80, v96
	v_min_f32_e32 v79, v79, v96
	;; [unrolled: 1-line block ×3, first 2 shown]
	v_add_f32_e32 v33, v33, v80
	v_min_f32_e32 v80, v81, v94
	v_min_f32_e32 v81, v82, v96
	v_add_f32_e32 v32, v32, v95
	v_add_f32_e32 v19, v19, v79
	;; [unrolled: 1-line block ×3, first 2 shown]
	v_min_f32_e32 v80, v83, v94
	v_add_f32_e32 v31, v31, v81
	v_min_f32_e32 v81, v84, v96
	v_add_f32_e32 v28, v28, v80
	;; [unrolled: 2-line block ×11, first 2 shown]
	v_add_f32_e32 v18, v18, v80
	s_cbranch_vccz .LBB99_20
; %bb.21:
	ds_write_b32 v78, v5 offset:5120
	ds_write2st64_b32 v73, v77, v76 offset0:8 offset1:12
	v_lshl_add_u32 v76, v0, 4, 0x1400
	v_lshl_add_u32 v77, v1, 4, 0x800
	s_cmp_lt_i32 s14, 9
	s_waitcnt lgkmcnt(0)
	s_barrier
	buffer_gl0_inv
	s_cbranch_scc1 .LBB99_40
; %bb.22:
	v_mad_i64_i32 v[4:5], null, v4, s27, 0
	v_lshlrev_b64 v[2:3], 2, v[2:3]
	v_add_nc_u32_e32 v78, 0x1400, v78
	v_add_nc_u32_e32 v79, 0x800, v73
	s_mov_b32 s27, 0
	v_lshlrev_b64 v[4:5], 2, v[4:5]
	v_add_co_u32 v80, vcc_lo, s22, v4
	v_add_co_ci_u32_e64 v81, null, s23, v5, vcc_lo
	v_mov_b32_e32 v5, 0
	s_add_i32 s22, s14, -8
	s_mov_b32 s23, 8
.LBB99_23:                              ; =>This Loop Header: Depth=1
                                        ;     Child Loop BB99_30 Depth 2
                                        ;     Child Loop BB99_38 Depth 2
	v_or_b32_e32 v4, s23, v70
	v_mov_b32_e32 v82, 0
	v_cmp_gt_i32_e32 vcc_lo, s14, v4
	s_and_b32 s3, vcc_lo, s0
	s_and_b32 s28, s25, s3
	s_and_saveexec_b32 s3, s28
	s_cbranch_execz .LBB99_25
; %bb.24:                               ;   in Loop: Header=BB99_23 Depth=1
	v_lshlrev_b64 v[82:83], 2, v[4:5]
	v_add_co_u32 v82, vcc_lo, v80, v82
	v_add_co_ci_u32_e64 v83, null, v81, v83, vcc_lo
	global_load_dword v82, v[82:83], off
	s_waitcnt vmcnt(0)
	v_mul_f32_e32 v82, s24, v82
.LBB99_25:                              ;   in Loop: Header=BB99_23 Depth=1
	s_or_b32 exec_lo, exec_lo, s3
	v_add_nc_u32_e32 v87, s23, v71
	v_min_i32_e32 v83, s15, v87
	v_cmp_le_i32_e32 vcc_lo, s14, v87
	v_mad_i64_i32 v[83:84], null, v83, s9, 0
	v_lshlrev_b64 v[85:86], 2, v[83:84]
	v_mov_b32_e32 v83, 0
	v_mov_b32_e32 v84, 0
	v_add_co_u32 v85, s3, s20, v85
	v_add_co_ci_u32_e64 v86, null, s21, v86, s3
	s_or_b32 s3, s1, vcc_lo
	s_nor_b32 s3, s3, s26
	s_and_saveexec_b32 s28, s3
	s_cbranch_execz .LBB99_27
; %bb.26:                               ;   in Loop: Header=BB99_23 Depth=1
	v_add_co_u32 v87, s3, v85, v2
	v_add_co_ci_u32_e64 v88, null, v86, v3, s3
	global_load_dword v84, v[87:88], off
	s_waitcnt vmcnt(0)
	v_mul_f32_e32 v84, s24, v84
.LBB99_27:                              ;   in Loop: Header=BB99_23 Depth=1
	s_or_b32 exec_lo, exec_lo, s28
	s_or_b32 s3, s2, vcc_lo
	s_nor_b32 s28, s3, s26
	s_and_saveexec_b32 s3, s28
	s_cbranch_execz .LBB99_29
; %bb.28:                               ;   in Loop: Header=BB99_23 Depth=1
	v_add_co_u32 v85, vcc_lo, v85, v2
	v_add_co_ci_u32_e64 v86, null, v86, v3, vcc_lo
	global_load_dword v83, v[85:86], off offset:256
	s_waitcnt vmcnt(0)
	v_mul_f32_e32 v83, s24, v83
.LBB99_29:                              ;   in Loop: Header=BB99_23 Depth=1
	s_or_b32 exec_lo, exec_lo, s3
	s_mov_b32 s28, 0
	s_mov_b32 s3, -1
.LBB99_30:                              ;   Parent Loop BB99_23 Depth=1
                                        ; =>  This Inner Loop Header: Depth=2
	s_lshl_b32 s28, s28, 2
	s_andn2_b32 vcc_lo, exec_lo, s3
	v_add_nc_u32_e32 v97, s28, v76
	v_add_nc_u32_e32 v105, s28, v77
	s_mov_b32 s3, 0
	s_mov_b32 s28, 2
	ds_read2_b64 v[85:88], v97 offset1:16
	ds_read2_b64 v[89:92], v97 offset0:32 offset1:48
	ds_read2_b64 v[93:96], v97 offset0:64 offset1:80
	;; [unrolled: 1-line block ×3, first 2 shown]
	ds_read2st64_b64 v[101:104], v105 offset1:1
	ds_read2st64_b64 v[105:108], v105 offset0:2 offset1:3
	s_waitcnt lgkmcnt(5)
	v_max_f32_e32 v85, v85, v85
	v_max_f32_e32 v86, v86, v86
	;; [unrolled: 1-line block ×3, first 2 shown]
	s_waitcnt lgkmcnt(1)
	v_max_f32_e32 v101, v101, v101
	v_max_f32_e32 v102, v102, v102
	;; [unrolled: 1-line block ×5, first 2 shown]
	v_min_f32_e32 v109, v85, v101
	v_min_f32_e32 v110, v86, v102
	v_max_f32_e32 v91, v91, v91
	v_max_f32_e32 v92, v92, v92
	;; [unrolled: 1-line block ×3, first 2 shown]
	v_add_f32_e32 v68, v68, v109
	v_min_f32_e32 v109, v87, v101
	v_add_f32_e32 v69, v69, v110
	v_min_f32_e32 v110, v88, v102
	v_max_f32_e32 v94, v94, v94
	v_max_f32_e32 v95, v95, v95
	v_add_f32_e32 v6, v6, v109
	v_min_f32_e32 v109, v89, v101
	v_add_f32_e32 v7, v7, v110
	v_min_f32_e32 v110, v90, v102
	v_max_f32_e32 v96, v96, v96
	v_max_f32_e32 v97, v97, v97
	;; [unrolled: 6-line block ×3, first 2 shown]
	v_add_f32_e32 v10, v10, v109
	v_min_f32_e32 v109, v93, v101
	v_add_f32_e32 v11, v11, v110
	v_min_f32_e32 v110, v94, v102
	v_max_f32_e32 v100, v100, v100
	v_add_f32_e32 v12, v12, v109
	v_min_f32_e32 v109, v95, v101
	v_add_f32_e32 v13, v13, v110
	v_min_f32_e32 v110, v96, v102
	;; [unrolled: 2-line block ×3, first 2 shown]
	v_min_f32_e32 v101, v99, v101
	v_add_f32_e32 v15, v15, v110
	v_min_f32_e32 v110, v98, v102
	v_min_f32_e32 v102, v100, v102
	v_add_f32_e32 v16, v16, v109
	v_add_f32_e32 v66, v66, v101
	v_max_f32_e32 v101, v103, v103
	v_max_f32_e32 v103, v104, v104
	v_add_f32_e32 v67, v67, v102
	v_add_f32_e32 v17, v17, v110
	v_min_f32_e32 v102, v85, v101
	v_min_f32_e32 v104, v86, v103
	v_add_f32_e32 v64, v64, v102
	v_min_f32_e32 v102, v87, v101
	v_add_f32_e32 v65, v65, v104
	;; [unrolled: 2-line block ×11, first 2 shown]
	v_min_f32_e32 v102, v97, v101
	v_min_f32_e32 v101, v99, v101
	v_add_f32_e32 v55, v55, v104
	v_min_f32_e32 v104, v98, v103
	v_add_f32_e32 v52, v52, v102
	;; [unrolled: 2-line block ×3, first 2 shown]
	s_waitcnt lgkmcnt(0)
	v_max_f32_e32 v101, v105, v105
	v_max_f32_e32 v103, v106, v106
	v_add_f32_e32 v53, v53, v104
	v_add_f32_e32 v51, v51, v102
	v_min_f32_e32 v102, v85, v101
	v_min_f32_e32 v104, v86, v103
	v_add_f32_e32 v48, v48, v102
	v_min_f32_e32 v102, v87, v101
	v_add_f32_e32 v49, v49, v104
	;; [unrolled: 2-line block ×11, first 2 shown]
	v_min_f32_e32 v102, v97, v101
	v_min_f32_e32 v101, v99, v101
	v_add_f32_e32 v39, v39, v104
	v_min_f32_e32 v104, v98, v103
	v_add_f32_e32 v36, v36, v102
	;; [unrolled: 2-line block ×3, first 2 shown]
	v_max_f32_e32 v101, v107, v107
	v_add_f32_e32 v37, v37, v104
	v_add_f32_e32 v35, v35, v102
	v_max_f32_e32 v102, v108, v108
	v_min_f32_e32 v85, v85, v101
	v_min_f32_e32 v86, v86, v102
	v_add_f32_e32 v32, v32, v85
	v_min_f32_e32 v85, v87, v101
	v_add_f32_e32 v33, v33, v86
	;; [unrolled: 2-line block ×15, first 2 shown]
	v_add_f32_e32 v19, v19, v86
	s_cbranch_vccz .LBB99_30
; %bb.31:                               ;   in Loop: Header=BB99_23 Depth=1
	v_or_b32_e32 v85, 4, v4
	ds_write_b32 v75, v82
	ds_write2st64_b32 v73, v84, v83 offset1:4
	v_mov_b32_e32 v82, 0
	v_mov_b32_e32 v83, 0
	v_cmp_gt_i32_e32 vcc_lo, s14, v85
	s_waitcnt lgkmcnt(0)
	s_barrier
	buffer_gl0_inv
	s_and_b32 s3, vcc_lo, s0
	s_and_b32 s28, s25, s3
	s_and_saveexec_b32 s3, s28
	s_cbranch_execz .LBB99_33
; %bb.32:                               ;   in Loop: Header=BB99_23 Depth=1
	v_lshlrev_b64 v[83:84], 2, v[4:5]
	v_add_co_u32 v83, vcc_lo, v80, v83
	v_add_co_ci_u32_e64 v84, null, v81, v84, vcc_lo
	global_load_dword v4, v[83:84], off offset:16
	s_waitcnt vmcnt(0)
	v_mul_f32_e32 v83, s24, v4
.LBB99_33:                              ;   in Loop: Header=BB99_23 Depth=1
	s_or_b32 exec_lo, exec_lo, s3
	v_add3_u32 v4, v71, s23, 4
	v_min_i32_e32 v84, s15, v4
	v_cmp_le_i32_e32 vcc_lo, s14, v4
	v_mad_i64_i32 v[84:85], null, v84, s9, 0
	v_lshlrev_b64 v[84:85], 2, v[84:85]
	v_add_co_u32 v84, s3, s20, v84
	v_add_co_ci_u32_e64 v85, null, s21, v85, s3
	s_or_b32 s3, s1, vcc_lo
	s_nor_b32 s3, s3, s26
	s_and_saveexec_b32 s28, s3
	s_cbranch_execz .LBB99_35
; %bb.34:                               ;   in Loop: Header=BB99_23 Depth=1
	v_add_co_u32 v86, s3, v84, v2
	v_add_co_ci_u32_e64 v87, null, v85, v3, s3
	global_load_dword v4, v[86:87], off
	s_waitcnt vmcnt(0)
	v_mul_f32_e32 v82, s24, v4
.LBB99_35:                              ;   in Loop: Header=BB99_23 Depth=1
	s_or_b32 exec_lo, exec_lo, s28
	v_mov_b32_e32 v4, 0
	s_or_b32 s3, s2, vcc_lo
	s_nor_b32 s28, s3, s26
	s_and_saveexec_b32 s3, s28
	s_cbranch_execz .LBB99_37
; %bb.36:                               ;   in Loop: Header=BB99_23 Depth=1
	v_add_co_u32 v84, vcc_lo, v84, v2
	v_add_co_ci_u32_e64 v85, null, v85, v3, vcc_lo
	global_load_dword v4, v[84:85], off offset:256
	s_waitcnt vmcnt(0)
	v_mul_f32_e32 v4, s24, v4
.LBB99_37:                              ;   in Loop: Header=BB99_23 Depth=1
	s_or_b32 exec_lo, exec_lo, s3
	s_mov_b32 s28, 0
	s_mov_b32 s3, -1
.LBB99_38:                              ;   Parent Loop BB99_23 Depth=1
                                        ; =>  This Inner Loop Header: Depth=2
	s_lshl_b32 s28, s28, 2
	s_andn2_b32 vcc_lo, exec_lo, s3
	v_add_nc_u32_e32 v96, s28, v72
	v_add_nc_u32_e32 v104, s28, v74
	s_mov_b32 s3, 0
	s_mov_b32 s28, 2
	ds_read2_b64 v[84:87], v96 offset1:16
	ds_read2_b64 v[88:91], v96 offset0:32 offset1:48
	ds_read2_b64 v[92:95], v96 offset0:64 offset1:80
	;; [unrolled: 1-line block ×3, first 2 shown]
	ds_read2st64_b64 v[100:103], v104 offset1:1
	ds_read2st64_b64 v[104:107], v104 offset0:2 offset1:3
	s_waitcnt lgkmcnt(5)
	v_max_f32_e32 v84, v84, v84
	v_max_f32_e32 v85, v85, v85
	;; [unrolled: 1-line block ×3, first 2 shown]
	s_waitcnt lgkmcnt(1)
	v_max_f32_e32 v100, v100, v100
	v_max_f32_e32 v101, v101, v101
	;; [unrolled: 1-line block ×5, first 2 shown]
	v_min_f32_e32 v108, v84, v100
	v_min_f32_e32 v109, v85, v101
	v_max_f32_e32 v90, v90, v90
	v_max_f32_e32 v91, v91, v91
	;; [unrolled: 1-line block ×3, first 2 shown]
	v_add_f32_e32 v68, v68, v108
	v_min_f32_e32 v108, v86, v100
	v_add_f32_e32 v69, v69, v109
	v_min_f32_e32 v109, v87, v101
	v_max_f32_e32 v93, v93, v93
	v_max_f32_e32 v94, v94, v94
	v_add_f32_e32 v6, v6, v108
	v_min_f32_e32 v108, v88, v100
	v_add_f32_e32 v7, v7, v109
	v_min_f32_e32 v109, v89, v101
	v_max_f32_e32 v95, v95, v95
	v_max_f32_e32 v96, v96, v96
	;; [unrolled: 6-line block ×3, first 2 shown]
	v_add_f32_e32 v10, v10, v108
	v_min_f32_e32 v108, v92, v100
	v_add_f32_e32 v11, v11, v109
	v_min_f32_e32 v109, v93, v101
	v_max_f32_e32 v99, v99, v99
	v_add_f32_e32 v12, v12, v108
	v_min_f32_e32 v108, v94, v100
	v_add_f32_e32 v13, v13, v109
	v_min_f32_e32 v109, v95, v101
	;; [unrolled: 2-line block ×3, first 2 shown]
	v_min_f32_e32 v100, v98, v100
	v_add_f32_e32 v15, v15, v109
	v_min_f32_e32 v109, v97, v101
	v_min_f32_e32 v101, v99, v101
	v_add_f32_e32 v16, v16, v108
	v_add_f32_e32 v66, v66, v100
	v_max_f32_e32 v100, v102, v102
	v_max_f32_e32 v102, v103, v103
	v_add_f32_e32 v67, v67, v101
	v_add_f32_e32 v17, v17, v109
	v_min_f32_e32 v101, v84, v100
	v_min_f32_e32 v103, v85, v102
	v_add_f32_e32 v64, v64, v101
	v_min_f32_e32 v101, v86, v100
	v_add_f32_e32 v65, v65, v103
	;; [unrolled: 2-line block ×11, first 2 shown]
	v_min_f32_e32 v101, v96, v100
	v_min_f32_e32 v100, v98, v100
	v_add_f32_e32 v55, v55, v103
	v_min_f32_e32 v103, v97, v102
	v_add_f32_e32 v52, v52, v101
	;; [unrolled: 2-line block ×3, first 2 shown]
	s_waitcnt lgkmcnt(0)
	v_max_f32_e32 v100, v104, v104
	v_max_f32_e32 v102, v105, v105
	v_add_f32_e32 v53, v53, v103
	v_add_f32_e32 v51, v51, v101
	v_min_f32_e32 v101, v84, v100
	v_min_f32_e32 v103, v85, v102
	v_add_f32_e32 v48, v48, v101
	v_min_f32_e32 v101, v86, v100
	v_add_f32_e32 v49, v49, v103
	;; [unrolled: 2-line block ×11, first 2 shown]
	v_min_f32_e32 v101, v96, v100
	v_min_f32_e32 v100, v98, v100
	v_add_f32_e32 v39, v39, v103
	v_min_f32_e32 v103, v97, v102
	v_add_f32_e32 v36, v36, v101
	;; [unrolled: 2-line block ×3, first 2 shown]
	v_max_f32_e32 v100, v106, v106
	v_add_f32_e32 v37, v37, v103
	v_add_f32_e32 v35, v35, v101
	v_max_f32_e32 v101, v107, v107
	v_min_f32_e32 v84, v84, v100
	v_min_f32_e32 v85, v85, v101
	v_add_f32_e32 v32, v32, v84
	v_min_f32_e32 v84, v86, v100
	v_add_f32_e32 v33, v33, v85
	;; [unrolled: 2-line block ×15, first 2 shown]
	v_add_f32_e32 v19, v19, v85
	s_cbranch_vccz .LBB99_38
; %bb.39:                               ;   in Loop: Header=BB99_23 Depth=1
	s_add_i32 s27, s27, 8
	s_add_i32 s23, s23, 8
	s_cmp_ge_i32 s27, s22
	ds_write_b32 v78, v83
	ds_write2st64_b32 v79, v82, v4 offset1:4
	s_waitcnt lgkmcnt(0)
	s_barrier
	buffer_gl0_inv
	s_cbranch_scc0 .LBB99_23
.LBB99_40:
	s_mov_b32 s1, 0
	s_mov_b32 s0, -1
.LBB99_41:                              ; =>This Inner Loop Header: Depth=1
	s_lshl_b32 s1, s1, 2
	s_andn2_b32 vcc_lo, exec_lo, s0
	v_add_nc_u32_e32 v74, s1, v76
	s_mov_b32 s0, 0
	ds_read2_b64 v[2:5], v74 offset1:16
	ds_read2_b64 v[70:73], v74 offset0:32 offset1:48
	ds_read2_b64 v[78:81], v74 offset0:64 offset1:80
	ds_read2_b64 v[82:85], v74 offset0:96 offset1:112
	v_add_nc_u32_e32 v74, s1, v77
	s_mov_b32 s1, 2
	ds_read2st64_b64 v[86:89], v74 offset1:1
	ds_read2st64_b64 v[90:93], v74 offset0:2 offset1:3
	s_waitcnt lgkmcnt(5)
	v_max_f32_e32 v2, v2, v2
	v_max_f32_e32 v4, v4, v4
	s_waitcnt lgkmcnt(4)
	v_max_f32_e32 v70, v70, v70
	v_max_f32_e32 v72, v72, v72
	;; [unrolled: 1-line block ×6, first 2 shown]
	s_waitcnt lgkmcnt(1)
	v_max_f32_e32 v74, v86, v86
	v_max_f32_e32 v86, v87, v87
	;; [unrolled: 1-line block ×5, first 2 shown]
	v_min_f32_e32 v75, v2, v74
	v_min_f32_e32 v87, v3, v86
	v_add_f32_e32 v68, v68, v75
	v_min_f32_e32 v75, v4, v74
	v_add_f32_e32 v69, v69, v87
	;; [unrolled: 2-line block ×7, first 2 shown]
	v_max_f32_e32 v75, v78, v78
	v_add_f32_e32 v11, v11, v87
	v_min_f32_e32 v87, v79, v86
	v_min_f32_e32 v78, v75, v74
	v_add_f32_e32 v13, v13, v87
	v_min_f32_e32 v87, v81, v86
	v_add_f32_e32 v12, v12, v78
	v_max_f32_e32 v78, v80, v80
	v_add_f32_e32 v15, v15, v87
	v_min_f32_e32 v87, v83, v86
	v_min_f32_e32 v80, v78, v74
	v_add_f32_e32 v17, v17, v87
	v_add_f32_e32 v14, v14, v80
	v_max_f32_e32 v80, v82, v82
	v_min_f32_e32 v82, v80, v74
	v_add_f32_e32 v16, v16, v82
	v_max_f32_e32 v82, v84, v84
	v_max_f32_e32 v84, v85, v85
	v_min_f32_e32 v74, v82, v74
	v_min_f32_e32 v85, v84, v86
	v_max_f32_e32 v86, v89, v89
	v_add_f32_e32 v66, v66, v74
	v_max_f32_e32 v74, v88, v88
	v_add_f32_e32 v67, v67, v85
	v_min_f32_e32 v87, v3, v86
	v_min_f32_e32 v85, v2, v74
	v_add_f32_e32 v65, v65, v87
	v_min_f32_e32 v87, v5, v86
	v_add_f32_e32 v64, v64, v85
	;; [unrolled: 2-line block ×12, first 2 shown]
	v_min_f32_e32 v85, v80, v74
	v_min_f32_e32 v74, v82, v74
	v_add_f32_e32 v53, v53, v87
	v_add_f32_e32 v52, v52, v85
	v_min_f32_e32 v85, v84, v86
	v_add_f32_e32 v50, v50, v74
	s_waitcnt lgkmcnt(0)
	v_max_f32_e32 v74, v90, v90
	v_max_f32_e32 v86, v91, v91
	v_add_f32_e32 v51, v51, v85
	v_min_f32_e32 v85, v2, v74
	v_min_f32_e32 v87, v3, v86
	v_add_f32_e32 v48, v48, v85
	v_min_f32_e32 v85, v4, v74
	v_add_f32_e32 v49, v49, v87
	;; [unrolled: 2-line block ×11, first 2 shown]
	v_min_f32_e32 v85, v80, v74
	v_min_f32_e32 v74, v82, v74
	v_add_f32_e32 v39, v39, v87
	v_min_f32_e32 v87, v83, v86
	v_add_f32_e32 v36, v36, v85
	;; [unrolled: 2-line block ×3, first 2 shown]
	v_max_f32_e32 v74, v92, v92
	v_add_f32_e32 v37, v37, v87
	v_add_f32_e32 v35, v35, v85
	v_max_f32_e32 v85, v93, v93
	v_min_f32_e32 v2, v2, v74
	v_min_f32_e32 v3, v3, v85
	v_add_f32_e32 v32, v32, v2
	v_min_f32_e32 v2, v4, v74
	v_add_f32_e32 v33, v33, v3
	;; [unrolled: 2-line block ×15, first 2 shown]
	v_add_f32_e32 v19, v19, v3
	s_cbranch_vccz .LBB99_41
; %bb.42:
	s_clause 0x2
	s_load_dwordx2 s[0:1], s[4:5], 0x78
	s_load_dword s14, s[4:5], 0x58
	s_load_dword s9, s[4:5], 0x70
	v_add_nc_u32_e32 v71, s8, v1
	v_add_nc_u32_e32 v0, s6, v0
	v_cndmask_b32_e64 v70, 0, 1, s7
	v_cmp_gt_i32_e64 s8, s13, v71
	s_waitcnt lgkmcnt(0)
	s_mul_i32 s1, s1, s18
	v_mad_i64_i32 v[1:2], null, v71, s14, 0
	v_mad_i64_i32 v[3:4], null, v71, s9, 0
	s_mul_hi_u32 s3, s0, s18
	s_mul_i32 s2, s0, s18
	s_add_i32 s3, s3, s1
	v_cmp_gt_i32_e64 s0, s12, v0
	v_lshlrev_b64 v[72:73], 2, v[1:2]
	s_lshl_b64 s[2:3], s[2:3], 2
	v_lshlrev_b64 v[2:3], 2, v[3:4]
	s_add_u32 s10, s10, s2
	s_addc_u32 s11, s11, s3
	v_ashrrev_i32_e32 v1, 31, v0
	v_add_co_u32 v74, vcc_lo, s16, v72
	v_add_co_ci_u32_e64 v75, null, s17, v73, vcc_lo
	v_add_co_u32 v72, vcc_lo, s10, v2
	v_add_co_ci_u32_e64 v73, null, s11, v3, vcc_lo
	s_and_b32 s2, s0, s8
	s_and_saveexec_b32 s1, s2
	s_cbranch_execz .LBB99_47
; %bb.43:
	v_lshlrev_b64 v[2:3], 2, v[0:1]
	s_andn2_b32 vcc_lo, exec_lo, s7
	s_cbranch_vccnz .LBB99_45
; %bb.44:
	v_add_co_u32 v4, vcc_lo, v74, v2
	v_add_co_ci_u32_e64 v5, null, v75, v3, vcc_lo
	global_load_dword v4, v[4:5], off
	s_waitcnt vmcnt(0)
	v_mul_f32_e32 v4, s19, v4
	s_branch .LBB99_46
.LBB99_45:
	v_mov_b32_e32 v4, 0
.LBB99_46:
	v_add_f32_e32 v5, v68, v69
	v_add_co_u32 v2, vcc_lo, v72, v2
	v_add_co_ci_u32_e64 v3, null, v73, v3, vcc_lo
	v_add_f32_e32 v4, v5, v4
	global_store_dword v[2:3], v4, off
.LBB99_47:
	s_or_b32 exec_lo, exec_lo, s1
	v_add_nc_u32_e32 v2, 8, v0
	v_cmp_gt_i32_e64 s1, s12, v2
	v_ashrrev_i32_e32 v3, 31, v2
	s_and_b32 s3, s1, s8
	s_and_saveexec_b32 s2, s3
	s_cbranch_execz .LBB99_52
; %bb.48:
	v_cmp_ne_u32_e32 vcc_lo, 1, v70
	v_lshlrev_b64 v[4:5], 2, v[2:3]
	s_cbranch_vccnz .LBB99_50
; %bb.49:
	v_add_co_u32 v68, vcc_lo, v74, v4
	v_add_co_ci_u32_e64 v69, null, v75, v5, vcc_lo
	global_load_dword v68, v[68:69], off
	s_waitcnt vmcnt(0)
	v_mul_f32_e32 v68, s19, v68
	s_branch .LBB99_51
.LBB99_50:
	v_mov_b32_e32 v68, 0
.LBB99_51:
	v_add_f32_e32 v6, v6, v7
	v_add_co_u32 v4, vcc_lo, v72, v4
	v_add_co_ci_u32_e64 v5, null, v73, v5, vcc_lo
	v_add_f32_e32 v6, v6, v68
	global_store_dword v[4:5], v6, off
.LBB99_52:
	s_or_b32 exec_lo, exec_lo, s2
	v_add_nc_u32_e32 v4, 16, v0
	v_cmp_gt_i32_e64 s2, s12, v4
	v_ashrrev_i32_e32 v5, 31, v4
	s_and_b32 s4, s2, s8
	s_and_saveexec_b32 s3, s4
	s_cbranch_execz .LBB99_57
; %bb.53:
	v_cmp_ne_u32_e32 vcc_lo, 1, v70
	v_lshlrev_b64 v[6:7], 2, v[4:5]
	s_cbranch_vccnz .LBB99_55
; %bb.54:
	v_add_co_u32 v68, vcc_lo, v74, v6
	v_add_co_ci_u32_e64 v69, null, v75, v7, vcc_lo
	global_load_dword v68, v[68:69], off
	s_waitcnt vmcnt(0)
	v_mul_f32_e32 v68, s19, v68
	s_branch .LBB99_56
.LBB99_55:
	v_mov_b32_e32 v68, 0
.LBB99_56:
	v_add_f32_e32 v8, v8, v9
	v_add_co_u32 v6, vcc_lo, v72, v6
	v_add_co_ci_u32_e64 v7, null, v73, v7, vcc_lo
	v_add_f32_e32 v8, v8, v68
	global_store_dword v[6:7], v8, off
.LBB99_57:
	;; [unrolled: 27-line block ×7, first 2 shown]
	s_or_b32 exec_lo, exec_lo, s8
	v_add_nc_u32_e32 v68, 32, v71
	v_mad_i64_i32 v[16:17], null, v68, s14, 0
	v_mad_i64_i32 v[66:67], null, v68, s9, 0
	v_cmp_gt_i32_e64 s8, s13, v68
	v_lshlrev_b64 v[16:17], 2, v[16:17]
	s_and_b32 s15, s0, s8
	v_lshlrev_b64 v[66:67], 2, v[66:67]
	v_add_co_u32 v68, vcc_lo, s16, v16
	v_add_co_ci_u32_e64 v69, null, s17, v17, vcc_lo
	v_add_co_u32 v66, vcc_lo, s10, v66
	v_add_co_ci_u32_e64 v67, null, s11, v67, vcc_lo
	s_and_saveexec_b32 s12, s15
	s_cbranch_execnz .LBB99_90
; %bb.83:
	s_or_b32 exec_lo, exec_lo, s12
	s_and_b32 s15, s1, s8
	s_and_saveexec_b32 s12, s15
	s_cbranch_execnz .LBB99_94
.LBB99_84:
	s_or_b32 exec_lo, exec_lo, s12
	s_and_b32 s15, s2, s8
	s_and_saveexec_b32 s12, s15
	s_cbranch_execnz .LBB99_98
.LBB99_85:
	s_or_b32 exec_lo, exec_lo, s12
	s_and_b32 s15, s3, s8
	s_and_saveexec_b32 s12, s15
	s_cbranch_execnz .LBB99_102
.LBB99_86:
	s_or_b32 exec_lo, exec_lo, s12
	s_and_b32 s15, s4, s8
	s_and_saveexec_b32 s12, s15
	s_cbranch_execnz .LBB99_106
.LBB99_87:
	s_or_b32 exec_lo, exec_lo, s12
	s_and_b32 s15, s5, s8
	s_and_saveexec_b32 s12, s15
	s_cbranch_execnz .LBB99_110
.LBB99_88:
	s_or_b32 exec_lo, exec_lo, s12
	s_and_b32 s15, s6, s8
	s_and_saveexec_b32 s12, s15
	s_cbranch_execnz .LBB99_114
.LBB99_89:
	s_or_b32 exec_lo, exec_lo, s12
	s_and_b32 s12, s7, s8
	s_and_saveexec_b32 s8, s12
	s_cbranch_execnz .LBB99_118
	s_branch .LBB99_122
.LBB99_90:
	v_cmp_ne_u32_e32 vcc_lo, 1, v70
	v_lshlrev_b64 v[16:17], 2, v[0:1]
	s_cbranch_vccnz .LBB99_92
; %bb.91:
	v_add_co_u32 v72, vcc_lo, v68, v16
	v_add_co_ci_u32_e64 v73, null, v69, v17, vcc_lo
	global_load_dword v72, v[72:73], off
	s_waitcnt vmcnt(0)
	v_mul_f32_e32 v72, s19, v72
	s_branch .LBB99_93
.LBB99_92:
	v_mov_b32_e32 v72, 0
.LBB99_93:
	v_add_f32_e32 v64, v64, v65
	v_add_co_u32 v16, vcc_lo, v66, v16
	v_add_co_ci_u32_e64 v17, null, v67, v17, vcc_lo
	v_add_f32_e32 v64, v64, v72
	global_store_dword v[16:17], v64, off
	s_or_b32 exec_lo, exec_lo, s12
	s_and_b32 s15, s1, s8
	s_and_saveexec_b32 s12, s15
	s_cbranch_execz .LBB99_84
.LBB99_94:
	v_cmp_ne_u32_e32 vcc_lo, 1, v70
	v_lshlrev_b64 v[16:17], 2, v[2:3]
	s_cbranch_vccnz .LBB99_96
; %bb.95:
	v_add_co_u32 v64, vcc_lo, v68, v16
	v_add_co_ci_u32_e64 v65, null, v69, v17, vcc_lo
	global_load_dword v64, v[64:65], off
	s_waitcnt vmcnt(0)
	v_mul_f32_e32 v64, s19, v64
	s_branch .LBB99_97
.LBB99_96:
	v_mov_b32_e32 v64, 0
.LBB99_97:
	v_add_f32_e32 v62, v62, v63
	v_add_co_u32 v16, vcc_lo, v66, v16
	v_add_co_ci_u32_e64 v17, null, v67, v17, vcc_lo
	v_add_f32_e32 v62, v62, v64
	global_store_dword v[16:17], v62, off
	s_or_b32 exec_lo, exec_lo, s12
	s_and_b32 s15, s2, s8
	s_and_saveexec_b32 s12, s15
	s_cbranch_execz .LBB99_85
.LBB99_98:
	v_cmp_ne_u32_e32 vcc_lo, 1, v70
	v_lshlrev_b64 v[16:17], 2, v[4:5]
	s_cbranch_vccnz .LBB99_100
; %bb.99:
	v_add_co_u32 v62, vcc_lo, v68, v16
	v_add_co_ci_u32_e64 v63, null, v69, v17, vcc_lo
	global_load_dword v62, v[62:63], off
	s_waitcnt vmcnt(0)
	v_mul_f32_e32 v62, s19, v62
	s_branch .LBB99_101
.LBB99_100:
	v_mov_b32_e32 v62, 0
.LBB99_101:
	v_add_f32_e32 v60, v60, v61
	v_add_co_u32 v16, vcc_lo, v66, v16
	v_add_co_ci_u32_e64 v17, null, v67, v17, vcc_lo
	v_add_f32_e32 v60, v60, v62
	global_store_dword v[16:17], v60, off
	s_or_b32 exec_lo, exec_lo, s12
	s_and_b32 s15, s3, s8
	s_and_saveexec_b32 s12, s15
	s_cbranch_execz .LBB99_86
.LBB99_102:
	v_cmp_ne_u32_e32 vcc_lo, 1, v70
	v_lshlrev_b64 v[16:17], 2, v[6:7]
	s_cbranch_vccnz .LBB99_104
; %bb.103:
	v_add_co_u32 v60, vcc_lo, v68, v16
	v_add_co_ci_u32_e64 v61, null, v69, v17, vcc_lo
	global_load_dword v60, v[60:61], off
	s_waitcnt vmcnt(0)
	v_mul_f32_e32 v60, s19, v60
	s_branch .LBB99_105
.LBB99_104:
	v_mov_b32_e32 v60, 0
.LBB99_105:
	v_add_f32_e32 v58, v58, v59
	v_add_co_u32 v16, vcc_lo, v66, v16
	v_add_co_ci_u32_e64 v17, null, v67, v17, vcc_lo
	v_add_f32_e32 v58, v58, v60
	global_store_dword v[16:17], v58, off
	s_or_b32 exec_lo, exec_lo, s12
	s_and_b32 s15, s4, s8
	s_and_saveexec_b32 s12, s15
	s_cbranch_execz .LBB99_87
.LBB99_106:
	v_cmp_ne_u32_e32 vcc_lo, 1, v70
	v_lshlrev_b64 v[16:17], 2, v[8:9]
	s_cbranch_vccnz .LBB99_108
; %bb.107:
	v_add_co_u32 v58, vcc_lo, v68, v16
	v_add_co_ci_u32_e64 v59, null, v69, v17, vcc_lo
	global_load_dword v58, v[58:59], off
	s_waitcnt vmcnt(0)
	v_mul_f32_e32 v58, s19, v58
	s_branch .LBB99_109
.LBB99_108:
	v_mov_b32_e32 v58, 0
.LBB99_109:
	v_add_f32_e32 v56, v56, v57
	v_add_co_u32 v16, vcc_lo, v66, v16
	v_add_co_ci_u32_e64 v17, null, v67, v17, vcc_lo
	v_add_f32_e32 v56, v56, v58
	global_store_dword v[16:17], v56, off
	s_or_b32 exec_lo, exec_lo, s12
	s_and_b32 s15, s5, s8
	s_and_saveexec_b32 s12, s15
	s_cbranch_execz .LBB99_88
.LBB99_110:
	v_cmp_ne_u32_e32 vcc_lo, 1, v70
	v_lshlrev_b64 v[16:17], 2, v[10:11]
	s_cbranch_vccnz .LBB99_112
; %bb.111:
	v_add_co_u32 v56, vcc_lo, v68, v16
	v_add_co_ci_u32_e64 v57, null, v69, v17, vcc_lo
	global_load_dword v56, v[56:57], off
	s_waitcnt vmcnt(0)
	v_mul_f32_e32 v56, s19, v56
	s_branch .LBB99_113
.LBB99_112:
	v_mov_b32_e32 v56, 0
.LBB99_113:
	v_add_f32_e32 v54, v54, v55
	v_add_co_u32 v16, vcc_lo, v66, v16
	v_add_co_ci_u32_e64 v17, null, v67, v17, vcc_lo
	v_add_f32_e32 v54, v54, v56
	global_store_dword v[16:17], v54, off
	s_or_b32 exec_lo, exec_lo, s12
	s_and_b32 s15, s6, s8
	s_and_saveexec_b32 s12, s15
	s_cbranch_execz .LBB99_89
.LBB99_114:
	v_cmp_ne_u32_e32 vcc_lo, 1, v70
	v_lshlrev_b64 v[16:17], 2, v[12:13]
	s_cbranch_vccnz .LBB99_116
; %bb.115:
	v_add_co_u32 v54, vcc_lo, v68, v16
	v_add_co_ci_u32_e64 v55, null, v69, v17, vcc_lo
	global_load_dword v54, v[54:55], off
	s_waitcnt vmcnt(0)
	v_mul_f32_e32 v54, s19, v54
	s_branch .LBB99_117
.LBB99_116:
	v_mov_b32_e32 v54, 0
.LBB99_117:
	v_add_f32_e32 v52, v52, v53
	v_add_co_u32 v16, vcc_lo, v66, v16
	v_add_co_ci_u32_e64 v17, null, v67, v17, vcc_lo
	v_add_f32_e32 v52, v52, v54
	global_store_dword v[16:17], v52, off
	s_or_b32 exec_lo, exec_lo, s12
	s_and_b32 s12, s7, s8
	s_and_saveexec_b32 s8, s12
	s_cbranch_execz .LBB99_122
.LBB99_118:
	v_cmp_ne_u32_e32 vcc_lo, 1, v70
	v_lshlrev_b64 v[16:17], 2, v[14:15]
	s_cbranch_vccnz .LBB99_120
; %bb.119:
	v_add_co_u32 v52, vcc_lo, v68, v16
	v_add_co_ci_u32_e64 v53, null, v69, v17, vcc_lo
	global_load_dword v52, v[52:53], off
	s_waitcnt vmcnt(0)
	v_mul_f32_e32 v52, s19, v52
	s_branch .LBB99_121
.LBB99_120:
	v_mov_b32_e32 v52, 0
.LBB99_121:
	v_add_f32_e32 v50, v50, v51
	v_add_co_u32 v16, vcc_lo, v66, v16
	v_add_co_ci_u32_e64 v17, null, v67, v17, vcc_lo
	v_add_f32_e32 v50, v50, v52
	global_store_dword v[16:17], v50, off
.LBB99_122:
	s_or_b32 exec_lo, exec_lo, s8
	v_add_nc_u32_e32 v52, 64, v71
	v_mad_i64_i32 v[16:17], null, v52, s14, 0
	v_mad_i64_i32 v[50:51], null, v52, s9, 0
	v_cmp_gt_i32_e64 s8, s13, v52
	v_lshlrev_b64 v[16:17], 2, v[16:17]
	s_and_b32 s15, s0, s8
	v_lshlrev_b64 v[50:51], 2, v[50:51]
	v_add_co_u32 v52, vcc_lo, s16, v16
	v_add_co_ci_u32_e64 v53, null, s17, v17, vcc_lo
	v_add_co_u32 v50, vcc_lo, s10, v50
	v_add_co_ci_u32_e64 v51, null, s11, v51, vcc_lo
	s_and_saveexec_b32 s12, s15
	s_cbranch_execnz .LBB99_130
; %bb.123:
	s_or_b32 exec_lo, exec_lo, s12
	s_and_b32 s15, s1, s8
	s_and_saveexec_b32 s12, s15
	s_cbranch_execnz .LBB99_134
.LBB99_124:
	s_or_b32 exec_lo, exec_lo, s12
	s_and_b32 s15, s2, s8
	s_and_saveexec_b32 s12, s15
	s_cbranch_execnz .LBB99_138
.LBB99_125:
	s_or_b32 exec_lo, exec_lo, s12
	s_and_b32 s15, s3, s8
	s_and_saveexec_b32 s12, s15
	s_cbranch_execnz .LBB99_142
.LBB99_126:
	s_or_b32 exec_lo, exec_lo, s12
	s_and_b32 s15, s4, s8
	s_and_saveexec_b32 s12, s15
	s_cbranch_execnz .LBB99_146
.LBB99_127:
	s_or_b32 exec_lo, exec_lo, s12
	s_and_b32 s15, s5, s8
	s_and_saveexec_b32 s12, s15
	s_cbranch_execnz .LBB99_150
.LBB99_128:
	s_or_b32 exec_lo, exec_lo, s12
	s_and_b32 s15, s6, s8
	s_and_saveexec_b32 s12, s15
	s_cbranch_execnz .LBB99_154
.LBB99_129:
	s_or_b32 exec_lo, exec_lo, s12
	s_and_b32 s12, s7, s8
	s_and_saveexec_b32 s8, s12
	s_cbranch_execnz .LBB99_158
	s_branch .LBB99_162
.LBB99_130:
	v_cmp_ne_u32_e32 vcc_lo, 1, v70
	v_lshlrev_b64 v[16:17], 2, v[0:1]
	s_cbranch_vccnz .LBB99_132
; %bb.131:
	v_add_co_u32 v54, vcc_lo, v52, v16
	v_add_co_ci_u32_e64 v55, null, v53, v17, vcc_lo
	global_load_dword v54, v[54:55], off
	s_waitcnt vmcnt(0)
	v_mul_f32_e32 v54, s19, v54
	s_branch .LBB99_133
.LBB99_132:
	v_mov_b32_e32 v54, 0
.LBB99_133:
	v_add_f32_e32 v48, v48, v49
	v_add_co_u32 v16, vcc_lo, v50, v16
	v_add_co_ci_u32_e64 v17, null, v51, v17, vcc_lo
	v_add_f32_e32 v48, v48, v54
	global_store_dword v[16:17], v48, off
	s_or_b32 exec_lo, exec_lo, s12
	s_and_b32 s15, s1, s8
	s_and_saveexec_b32 s12, s15
	s_cbranch_execz .LBB99_124
.LBB99_134:
	v_cmp_ne_u32_e32 vcc_lo, 1, v70
	v_lshlrev_b64 v[16:17], 2, v[2:3]
	s_cbranch_vccnz .LBB99_136
; %bb.135:
	v_add_co_u32 v48, vcc_lo, v52, v16
	v_add_co_ci_u32_e64 v49, null, v53, v17, vcc_lo
	global_load_dword v48, v[48:49], off
	s_waitcnt vmcnt(0)
	v_mul_f32_e32 v48, s19, v48
	s_branch .LBB99_137
.LBB99_136:
	v_mov_b32_e32 v48, 0
.LBB99_137:
	v_add_f32_e32 v46, v46, v47
	v_add_co_u32 v16, vcc_lo, v50, v16
	v_add_co_ci_u32_e64 v17, null, v51, v17, vcc_lo
	v_add_f32_e32 v46, v46, v48
	global_store_dword v[16:17], v46, off
	s_or_b32 exec_lo, exec_lo, s12
	s_and_b32 s15, s2, s8
	s_and_saveexec_b32 s12, s15
	s_cbranch_execz .LBB99_125
.LBB99_138:
	v_cmp_ne_u32_e32 vcc_lo, 1, v70
	v_lshlrev_b64 v[16:17], 2, v[4:5]
	s_cbranch_vccnz .LBB99_140
; %bb.139:
	v_add_co_u32 v46, vcc_lo, v52, v16
	v_add_co_ci_u32_e64 v47, null, v53, v17, vcc_lo
	global_load_dword v46, v[46:47], off
	s_waitcnt vmcnt(0)
	v_mul_f32_e32 v46, s19, v46
	s_branch .LBB99_141
.LBB99_140:
	v_mov_b32_e32 v46, 0
.LBB99_141:
	v_add_f32_e32 v44, v44, v45
	v_add_co_u32 v16, vcc_lo, v50, v16
	v_add_co_ci_u32_e64 v17, null, v51, v17, vcc_lo
	v_add_f32_e32 v44, v44, v46
	global_store_dword v[16:17], v44, off
	s_or_b32 exec_lo, exec_lo, s12
	s_and_b32 s15, s3, s8
	s_and_saveexec_b32 s12, s15
	s_cbranch_execz .LBB99_126
.LBB99_142:
	v_cmp_ne_u32_e32 vcc_lo, 1, v70
	v_lshlrev_b64 v[16:17], 2, v[6:7]
	s_cbranch_vccnz .LBB99_144
; %bb.143:
	v_add_co_u32 v44, vcc_lo, v52, v16
	v_add_co_ci_u32_e64 v45, null, v53, v17, vcc_lo
	global_load_dword v44, v[44:45], off
	s_waitcnt vmcnt(0)
	v_mul_f32_e32 v44, s19, v44
	s_branch .LBB99_145
.LBB99_144:
	v_mov_b32_e32 v44, 0
.LBB99_145:
	v_add_f32_e32 v42, v42, v43
	v_add_co_u32 v16, vcc_lo, v50, v16
	v_add_co_ci_u32_e64 v17, null, v51, v17, vcc_lo
	v_add_f32_e32 v42, v42, v44
	global_store_dword v[16:17], v42, off
	s_or_b32 exec_lo, exec_lo, s12
	s_and_b32 s15, s4, s8
	s_and_saveexec_b32 s12, s15
	s_cbranch_execz .LBB99_127
.LBB99_146:
	v_cmp_ne_u32_e32 vcc_lo, 1, v70
	v_lshlrev_b64 v[16:17], 2, v[8:9]
	s_cbranch_vccnz .LBB99_148
; %bb.147:
	v_add_co_u32 v42, vcc_lo, v52, v16
	v_add_co_ci_u32_e64 v43, null, v53, v17, vcc_lo
	global_load_dword v42, v[42:43], off
	s_waitcnt vmcnt(0)
	v_mul_f32_e32 v42, s19, v42
	s_branch .LBB99_149
.LBB99_148:
	v_mov_b32_e32 v42, 0
.LBB99_149:
	v_add_f32_e32 v40, v40, v41
	v_add_co_u32 v16, vcc_lo, v50, v16
	v_add_co_ci_u32_e64 v17, null, v51, v17, vcc_lo
	v_add_f32_e32 v40, v40, v42
	global_store_dword v[16:17], v40, off
	s_or_b32 exec_lo, exec_lo, s12
	s_and_b32 s15, s5, s8
	s_and_saveexec_b32 s12, s15
	s_cbranch_execz .LBB99_128
.LBB99_150:
	v_cmp_ne_u32_e32 vcc_lo, 1, v70
	v_lshlrev_b64 v[16:17], 2, v[10:11]
	s_cbranch_vccnz .LBB99_152
; %bb.151:
	v_add_co_u32 v40, vcc_lo, v52, v16
	v_add_co_ci_u32_e64 v41, null, v53, v17, vcc_lo
	global_load_dword v40, v[40:41], off
	s_waitcnt vmcnt(0)
	v_mul_f32_e32 v40, s19, v40
	s_branch .LBB99_153
.LBB99_152:
	v_mov_b32_e32 v40, 0
.LBB99_153:
	v_add_f32_e32 v38, v38, v39
	v_add_co_u32 v16, vcc_lo, v50, v16
	v_add_co_ci_u32_e64 v17, null, v51, v17, vcc_lo
	v_add_f32_e32 v38, v38, v40
	global_store_dword v[16:17], v38, off
	s_or_b32 exec_lo, exec_lo, s12
	s_and_b32 s15, s6, s8
	s_and_saveexec_b32 s12, s15
	s_cbranch_execz .LBB99_129
.LBB99_154:
	v_cmp_ne_u32_e32 vcc_lo, 1, v70
	v_lshlrev_b64 v[16:17], 2, v[12:13]
	s_cbranch_vccnz .LBB99_156
; %bb.155:
	v_add_co_u32 v38, vcc_lo, v52, v16
	v_add_co_ci_u32_e64 v39, null, v53, v17, vcc_lo
	global_load_dword v38, v[38:39], off
	s_waitcnt vmcnt(0)
	v_mul_f32_e32 v38, s19, v38
	s_branch .LBB99_157
.LBB99_156:
	v_mov_b32_e32 v38, 0
.LBB99_157:
	v_add_f32_e32 v36, v36, v37
	v_add_co_u32 v16, vcc_lo, v50, v16
	v_add_co_ci_u32_e64 v17, null, v51, v17, vcc_lo
	v_add_f32_e32 v36, v36, v38
	global_store_dword v[16:17], v36, off
	s_or_b32 exec_lo, exec_lo, s12
	s_and_b32 s12, s7, s8
	s_and_saveexec_b32 s8, s12
	s_cbranch_execz .LBB99_162
.LBB99_158:
	v_cmp_ne_u32_e32 vcc_lo, 1, v70
	v_lshlrev_b64 v[16:17], 2, v[14:15]
	s_cbranch_vccnz .LBB99_160
; %bb.159:
	v_add_co_u32 v36, vcc_lo, v52, v16
	v_add_co_ci_u32_e64 v37, null, v53, v17, vcc_lo
	global_load_dword v36, v[36:37], off
	s_waitcnt vmcnt(0)
	v_mul_f32_e32 v36, s19, v36
	s_branch .LBB99_161
.LBB99_160:
	v_mov_b32_e32 v36, 0
.LBB99_161:
	v_add_f32_e32 v34, v34, v35
	v_add_co_u32 v16, vcc_lo, v50, v16
	v_add_co_ci_u32_e64 v17, null, v51, v17, vcc_lo
	v_add_f32_e32 v34, v34, v36
	global_store_dword v[16:17], v34, off
.LBB99_162:
	s_or_b32 exec_lo, exec_lo, s8
	v_add_nc_u32_e32 v36, 0x60, v71
	v_mad_i64_i32 v[16:17], null, v36, s14, 0
	v_mad_i64_i32 v[34:35], null, v36, s9, 0
	v_cmp_gt_i32_e64 s8, s13, v36
	v_lshlrev_b64 v[16:17], 2, v[16:17]
	s_and_b32 s9, s0, s8
	v_lshlrev_b64 v[36:37], 2, v[34:35]
	v_add_co_u32 v34, vcc_lo, s16, v16
	v_add_co_ci_u32_e64 v35, null, s17, v17, vcc_lo
	v_add_co_u32 v16, vcc_lo, s10, v36
	v_add_co_ci_u32_e64 v17, null, s11, v37, vcc_lo
	s_and_saveexec_b32 s0, s9
	s_cbranch_execnz .LBB99_171
; %bb.163:
	s_or_b32 exec_lo, exec_lo, s0
	s_and_b32 s1, s1, s8
	s_and_saveexec_b32 s0, s1
	s_cbranch_execnz .LBB99_175
.LBB99_164:
	s_or_b32 exec_lo, exec_lo, s0
	s_and_b32 s1, s2, s8
	s_and_saveexec_b32 s0, s1
	s_cbranch_execnz .LBB99_179
.LBB99_165:
	s_or_b32 exec_lo, exec_lo, s0
	s_and_b32 s1, s3, s8
	s_and_saveexec_b32 s0, s1
	s_cbranch_execnz .LBB99_183
.LBB99_166:
	s_or_b32 exec_lo, exec_lo, s0
	s_and_b32 s1, s4, s8
	s_and_saveexec_b32 s0, s1
	s_cbranch_execnz .LBB99_187
.LBB99_167:
	s_or_b32 exec_lo, exec_lo, s0
	s_and_b32 s1, s5, s8
	s_and_saveexec_b32 s0, s1
	s_cbranch_execnz .LBB99_191
.LBB99_168:
	s_or_b32 exec_lo, exec_lo, s0
	s_and_b32 s1, s6, s8
	s_and_saveexec_b32 s0, s1
	s_cbranch_execnz .LBB99_195
.LBB99_169:
	s_or_b32 exec_lo, exec_lo, s0
	s_and_b32 s0, s7, s8
	s_and_saveexec_b32 s1, s0
	s_cbranch_execnz .LBB99_199
.LBB99_170:
	s_endpgm
.LBB99_171:
	v_cmp_ne_u32_e32 vcc_lo, 1, v70
	v_lshlrev_b64 v[0:1], 2, v[0:1]
	s_cbranch_vccnz .LBB99_173
; %bb.172:
	v_add_co_u32 v36, vcc_lo, v34, v0
	v_add_co_ci_u32_e64 v37, null, v35, v1, vcc_lo
	global_load_dword v36, v[36:37], off
	s_waitcnt vmcnt(0)
	v_mul_f32_e32 v36, s19, v36
	s_branch .LBB99_174
.LBB99_173:
	v_mov_b32_e32 v36, 0
.LBB99_174:
	v_add_f32_e32 v32, v32, v33
	v_add_co_u32 v0, vcc_lo, v16, v0
	v_add_co_ci_u32_e64 v1, null, v17, v1, vcc_lo
	v_add_f32_e32 v32, v32, v36
	global_store_dword v[0:1], v32, off
	s_or_b32 exec_lo, exec_lo, s0
	s_and_b32 s1, s1, s8
	s_and_saveexec_b32 s0, s1
	s_cbranch_execz .LBB99_164
.LBB99_175:
	v_cmp_ne_u32_e32 vcc_lo, 1, v70
	v_lshlrev_b64 v[0:1], 2, v[2:3]
	s_cbranch_vccnz .LBB99_177
; %bb.176:
	v_add_co_u32 v2, vcc_lo, v34, v0
	v_add_co_ci_u32_e64 v3, null, v35, v1, vcc_lo
	global_load_dword v2, v[2:3], off
	s_waitcnt vmcnt(0)
	v_mul_f32_e32 v2, s19, v2
	s_branch .LBB99_178
.LBB99_177:
	v_mov_b32_e32 v2, 0
.LBB99_178:
	v_add_f32_e32 v3, v30, v31
	v_add_co_u32 v0, vcc_lo, v16, v0
	v_add_co_ci_u32_e64 v1, null, v17, v1, vcc_lo
	v_add_f32_e32 v2, v3, v2
	global_store_dword v[0:1], v2, off
	s_or_b32 exec_lo, exec_lo, s0
	s_and_b32 s1, s2, s8
	s_and_saveexec_b32 s0, s1
	s_cbranch_execz .LBB99_165
.LBB99_179:
	v_cmp_ne_u32_e32 vcc_lo, 1, v70
	v_lshlrev_b64 v[0:1], 2, v[4:5]
	s_cbranch_vccnz .LBB99_181
; %bb.180:
	v_add_co_u32 v2, vcc_lo, v34, v0
	v_add_co_ci_u32_e64 v3, null, v35, v1, vcc_lo
	global_load_dword v2, v[2:3], off
	s_waitcnt vmcnt(0)
	v_mul_f32_e32 v2, s19, v2
	s_branch .LBB99_182
.LBB99_181:
	v_mov_b32_e32 v2, 0
.LBB99_182:
	v_add_f32_e32 v3, v28, v29
	v_add_co_u32 v0, vcc_lo, v16, v0
	v_add_co_ci_u32_e64 v1, null, v17, v1, vcc_lo
	v_add_f32_e32 v2, v3, v2
	global_store_dword v[0:1], v2, off
	s_or_b32 exec_lo, exec_lo, s0
	s_and_b32 s1, s3, s8
	s_and_saveexec_b32 s0, s1
	s_cbranch_execz .LBB99_166
.LBB99_183:
	v_cmp_ne_u32_e32 vcc_lo, 1, v70
	v_lshlrev_b64 v[0:1], 2, v[6:7]
	s_cbranch_vccnz .LBB99_185
; %bb.184:
	v_add_co_u32 v2, vcc_lo, v34, v0
	v_add_co_ci_u32_e64 v3, null, v35, v1, vcc_lo
	global_load_dword v2, v[2:3], off
	s_waitcnt vmcnt(0)
	v_mul_f32_e32 v2, s19, v2
	s_branch .LBB99_186
.LBB99_185:
	v_mov_b32_e32 v2, 0
.LBB99_186:
	v_add_f32_e32 v3, v26, v27
	v_add_co_u32 v0, vcc_lo, v16, v0
	v_add_co_ci_u32_e64 v1, null, v17, v1, vcc_lo
	v_add_f32_e32 v2, v3, v2
	global_store_dword v[0:1], v2, off
	s_or_b32 exec_lo, exec_lo, s0
	s_and_b32 s1, s4, s8
	s_and_saveexec_b32 s0, s1
	s_cbranch_execz .LBB99_167
.LBB99_187:
	v_cmp_ne_u32_e32 vcc_lo, 1, v70
	v_lshlrev_b64 v[0:1], 2, v[8:9]
	s_cbranch_vccnz .LBB99_189
; %bb.188:
	v_add_co_u32 v2, vcc_lo, v34, v0
	v_add_co_ci_u32_e64 v3, null, v35, v1, vcc_lo
	global_load_dword v2, v[2:3], off
	s_waitcnt vmcnt(0)
	v_mul_f32_e32 v2, s19, v2
	s_branch .LBB99_190
.LBB99_189:
	v_mov_b32_e32 v2, 0
.LBB99_190:
	v_add_f32_e32 v3, v24, v25
	v_add_co_u32 v0, vcc_lo, v16, v0
	v_add_co_ci_u32_e64 v1, null, v17, v1, vcc_lo
	v_add_f32_e32 v2, v3, v2
	global_store_dword v[0:1], v2, off
	s_or_b32 exec_lo, exec_lo, s0
	s_and_b32 s1, s5, s8
	s_and_saveexec_b32 s0, s1
	s_cbranch_execz .LBB99_168
.LBB99_191:
	v_cmp_ne_u32_e32 vcc_lo, 1, v70
	v_lshlrev_b64 v[0:1], 2, v[10:11]
	s_cbranch_vccnz .LBB99_193
; %bb.192:
	v_add_co_u32 v2, vcc_lo, v34, v0
	v_add_co_ci_u32_e64 v3, null, v35, v1, vcc_lo
	global_load_dword v2, v[2:3], off
	s_waitcnt vmcnt(0)
	v_mul_f32_e32 v2, s19, v2
	s_branch .LBB99_194
.LBB99_193:
	v_mov_b32_e32 v2, 0
.LBB99_194:
	v_add_f32_e32 v3, v22, v23
	v_add_co_u32 v0, vcc_lo, v16, v0
	v_add_co_ci_u32_e64 v1, null, v17, v1, vcc_lo
	v_add_f32_e32 v2, v3, v2
	global_store_dword v[0:1], v2, off
	s_or_b32 exec_lo, exec_lo, s0
	s_and_b32 s1, s6, s8
	s_and_saveexec_b32 s0, s1
	s_cbranch_execz .LBB99_169
.LBB99_195:
	v_cmp_ne_u32_e32 vcc_lo, 1, v70
	v_lshlrev_b64 v[0:1], 2, v[12:13]
	s_cbranch_vccnz .LBB99_197
; %bb.196:
	v_add_co_u32 v2, vcc_lo, v34, v0
	v_add_co_ci_u32_e64 v3, null, v35, v1, vcc_lo
	global_load_dword v2, v[2:3], off
	s_waitcnt vmcnt(0)
	v_mul_f32_e32 v2, s19, v2
	s_branch .LBB99_198
.LBB99_197:
	v_mov_b32_e32 v2, 0
.LBB99_198:
	v_add_f32_e32 v3, v20, v21
	v_add_co_u32 v0, vcc_lo, v16, v0
	v_add_co_ci_u32_e64 v1, null, v17, v1, vcc_lo
	v_add_f32_e32 v2, v3, v2
	global_store_dword v[0:1], v2, off
	s_or_b32 exec_lo, exec_lo, s0
	s_and_b32 s0, s7, s8
	s_and_saveexec_b32 s1, s0
	s_cbranch_execz .LBB99_170
.LBB99_199:
	v_cmp_ne_u32_e32 vcc_lo, 1, v70
	v_lshlrev_b64 v[0:1], 2, v[14:15]
	s_cbranch_vccnz .LBB99_201
; %bb.200:
	v_add_co_u32 v2, vcc_lo, v34, v0
	v_add_co_ci_u32_e64 v3, null, v35, v1, vcc_lo
	global_load_dword v2, v[2:3], off
	s_waitcnt vmcnt(0)
	v_mul_f32_e32 v2, s19, v2
	s_branch .LBB99_202
.LBB99_201:
	v_mov_b32_e32 v2, 0
.LBB99_202:
	v_add_f32_e32 v3, v18, v19
	v_add_co_u32 v0, vcc_lo, v16, v0
	v_add_co_ci_u32_e64 v1, null, v17, v1, vcc_lo
	v_add_f32_e32 v2, v3, v2
	global_store_dword v[0:1], v2, off
	s_endpgm
	.section	.rodata,"a",@progbits
	.p2align	6, 0x0
	.amdhsa_kernel _ZN12_GLOBAL__N_120geam_min_plus_kernelIf15HIP_vector_typeIfLj2EES2_Li8ELi32ELi64ELi128ELi4ELi4ELi64ELi64ELi4ELc84ELc84ELb0ELb1ELb0EPKfS3_fEEviiiT16_PT17_ilS7_ilS5_S7_ilPT18_ili26rocblas_geam_ex_operation_
		.amdhsa_group_segment_fixed_size 6144
		.amdhsa_private_segment_fixed_size 0
		.amdhsa_kernarg_size 136
		.amdhsa_user_sgpr_count 6
		.amdhsa_user_sgpr_private_segment_buffer 1
		.amdhsa_user_sgpr_dispatch_ptr 0
		.amdhsa_user_sgpr_queue_ptr 0
		.amdhsa_user_sgpr_kernarg_segment_ptr 1
		.amdhsa_user_sgpr_dispatch_id 0
		.amdhsa_user_sgpr_flat_scratch_init 0
		.amdhsa_user_sgpr_private_segment_size 0
		.amdhsa_wavefront_size32 1
		.amdhsa_uses_dynamic_stack 0
		.amdhsa_system_sgpr_private_segment_wavefront_offset 0
		.amdhsa_system_sgpr_workgroup_id_x 1
		.amdhsa_system_sgpr_workgroup_id_y 0
		.amdhsa_system_sgpr_workgroup_id_z 1
		.amdhsa_system_sgpr_workgroup_info 0
		.amdhsa_system_vgpr_workitem_id 1
		.amdhsa_next_free_vgpr 111
		.amdhsa_next_free_sgpr 29
		.amdhsa_reserve_vcc 1
		.amdhsa_reserve_flat_scratch 0
		.amdhsa_float_round_mode_32 0
		.amdhsa_float_round_mode_16_64 0
		.amdhsa_float_denorm_mode_32 3
		.amdhsa_float_denorm_mode_16_64 3
		.amdhsa_dx10_clamp 1
		.amdhsa_ieee_mode 1
		.amdhsa_fp16_overflow 0
		.amdhsa_workgroup_processor_mode 1
		.amdhsa_memory_ordered 1
		.amdhsa_forward_progress 1
		.amdhsa_shared_vgpr_count 0
		.amdhsa_exception_fp_ieee_invalid_op 0
		.amdhsa_exception_fp_denorm_src 0
		.amdhsa_exception_fp_ieee_div_zero 0
		.amdhsa_exception_fp_ieee_overflow 0
		.amdhsa_exception_fp_ieee_underflow 0
		.amdhsa_exception_fp_ieee_inexact 0
		.amdhsa_exception_int_div_zero 0
	.end_amdhsa_kernel
	.section	.text._ZN12_GLOBAL__N_120geam_min_plus_kernelIf15HIP_vector_typeIfLj2EES2_Li8ELi32ELi64ELi128ELi4ELi4ELi64ELi64ELi4ELc84ELc84ELb0ELb1ELb0EPKfS3_fEEviiiT16_PT17_ilS7_ilS5_S7_ilPT18_ili26rocblas_geam_ex_operation_,"axG",@progbits,_ZN12_GLOBAL__N_120geam_min_plus_kernelIf15HIP_vector_typeIfLj2EES2_Li8ELi32ELi64ELi128ELi4ELi4ELi64ELi64ELi4ELc84ELc84ELb0ELb1ELb0EPKfS3_fEEviiiT16_PT17_ilS7_ilS5_S7_ilPT18_ili26rocblas_geam_ex_operation_,comdat
.Lfunc_end99:
	.size	_ZN12_GLOBAL__N_120geam_min_plus_kernelIf15HIP_vector_typeIfLj2EES2_Li8ELi32ELi64ELi128ELi4ELi4ELi64ELi64ELi4ELc84ELc84ELb0ELb1ELb0EPKfS3_fEEviiiT16_PT17_ilS7_ilS5_S7_ilPT18_ili26rocblas_geam_ex_operation_, .Lfunc_end99-_ZN12_GLOBAL__N_120geam_min_plus_kernelIf15HIP_vector_typeIfLj2EES2_Li8ELi32ELi64ELi128ELi4ELi4ELi64ELi64ELi4ELc84ELc84ELb0ELb1ELb0EPKfS3_fEEviiiT16_PT17_ilS7_ilS5_S7_ilPT18_ili26rocblas_geam_ex_operation_
                                        ; -- End function
	.set _ZN12_GLOBAL__N_120geam_min_plus_kernelIf15HIP_vector_typeIfLj2EES2_Li8ELi32ELi64ELi128ELi4ELi4ELi64ELi64ELi4ELc84ELc84ELb0ELb1ELb0EPKfS3_fEEviiiT16_PT17_ilS7_ilS5_S7_ilPT18_ili26rocblas_geam_ex_operation_.num_vgpr, 111
	.set _ZN12_GLOBAL__N_120geam_min_plus_kernelIf15HIP_vector_typeIfLj2EES2_Li8ELi32ELi64ELi128ELi4ELi4ELi64ELi64ELi4ELc84ELc84ELb0ELb1ELb0EPKfS3_fEEviiiT16_PT17_ilS7_ilS5_S7_ilPT18_ili26rocblas_geam_ex_operation_.num_agpr, 0
	.set _ZN12_GLOBAL__N_120geam_min_plus_kernelIf15HIP_vector_typeIfLj2EES2_Li8ELi32ELi64ELi128ELi4ELi4ELi64ELi64ELi4ELc84ELc84ELb0ELb1ELb0EPKfS3_fEEviiiT16_PT17_ilS7_ilS5_S7_ilPT18_ili26rocblas_geam_ex_operation_.numbered_sgpr, 29
	.set _ZN12_GLOBAL__N_120geam_min_plus_kernelIf15HIP_vector_typeIfLj2EES2_Li8ELi32ELi64ELi128ELi4ELi4ELi64ELi64ELi4ELc84ELc84ELb0ELb1ELb0EPKfS3_fEEviiiT16_PT17_ilS7_ilS5_S7_ilPT18_ili26rocblas_geam_ex_operation_.num_named_barrier, 0
	.set _ZN12_GLOBAL__N_120geam_min_plus_kernelIf15HIP_vector_typeIfLj2EES2_Li8ELi32ELi64ELi128ELi4ELi4ELi64ELi64ELi4ELc84ELc84ELb0ELb1ELb0EPKfS3_fEEviiiT16_PT17_ilS7_ilS5_S7_ilPT18_ili26rocblas_geam_ex_operation_.private_seg_size, 0
	.set _ZN12_GLOBAL__N_120geam_min_plus_kernelIf15HIP_vector_typeIfLj2EES2_Li8ELi32ELi64ELi128ELi4ELi4ELi64ELi64ELi4ELc84ELc84ELb0ELb1ELb0EPKfS3_fEEviiiT16_PT17_ilS7_ilS5_S7_ilPT18_ili26rocblas_geam_ex_operation_.uses_vcc, 1
	.set _ZN12_GLOBAL__N_120geam_min_plus_kernelIf15HIP_vector_typeIfLj2EES2_Li8ELi32ELi64ELi128ELi4ELi4ELi64ELi64ELi4ELc84ELc84ELb0ELb1ELb0EPKfS3_fEEviiiT16_PT17_ilS7_ilS5_S7_ilPT18_ili26rocblas_geam_ex_operation_.uses_flat_scratch, 0
	.set _ZN12_GLOBAL__N_120geam_min_plus_kernelIf15HIP_vector_typeIfLj2EES2_Li8ELi32ELi64ELi128ELi4ELi4ELi64ELi64ELi4ELc84ELc84ELb0ELb1ELb0EPKfS3_fEEviiiT16_PT17_ilS7_ilS5_S7_ilPT18_ili26rocblas_geam_ex_operation_.has_dyn_sized_stack, 0
	.set _ZN12_GLOBAL__N_120geam_min_plus_kernelIf15HIP_vector_typeIfLj2EES2_Li8ELi32ELi64ELi128ELi4ELi4ELi64ELi64ELi4ELc84ELc84ELb0ELb1ELb0EPKfS3_fEEviiiT16_PT17_ilS7_ilS5_S7_ilPT18_ili26rocblas_geam_ex_operation_.has_recursion, 0
	.set _ZN12_GLOBAL__N_120geam_min_plus_kernelIf15HIP_vector_typeIfLj2EES2_Li8ELi32ELi64ELi128ELi4ELi4ELi64ELi64ELi4ELc84ELc84ELb0ELb1ELb0EPKfS3_fEEviiiT16_PT17_ilS7_ilS5_S7_ilPT18_ili26rocblas_geam_ex_operation_.has_indirect_call, 0
	.section	.AMDGPU.csdata,"",@progbits
; Kernel info:
; codeLenInByte = 9036
; TotalNumSgprs: 31
; NumVgprs: 111
; ScratchSize: 0
; MemoryBound: 0
; FloatMode: 240
; IeeeMode: 1
; LDSByteSize: 6144 bytes/workgroup (compile time only)
; SGPRBlocks: 0
; VGPRBlocks: 13
; NumSGPRsForWavesPerEU: 31
; NumVGPRsForWavesPerEU: 111
; Occupancy: 9
; WaveLimiterHint : 0
; COMPUTE_PGM_RSRC2:SCRATCH_EN: 0
; COMPUTE_PGM_RSRC2:USER_SGPR: 6
; COMPUTE_PGM_RSRC2:TRAP_HANDLER: 0
; COMPUTE_PGM_RSRC2:TGID_X_EN: 1
; COMPUTE_PGM_RSRC2:TGID_Y_EN: 0
; COMPUTE_PGM_RSRC2:TGID_Z_EN: 1
; COMPUTE_PGM_RSRC2:TIDIG_COMP_CNT: 1
	.section	.text._ZN12_GLOBAL__N_120geam_min_plus_kernelIf15HIP_vector_typeIfLj2EES2_Li8ELi32ELi64ELi128ELi4ELi4ELi64ELi64ELi4ELc84ELc84ELb1ELb1ELb0EfKffEEviiiT16_PT17_ilS6_ilS4_S6_ilPT18_ili26rocblas_geam_ex_operation_,"axG",@progbits,_ZN12_GLOBAL__N_120geam_min_plus_kernelIf15HIP_vector_typeIfLj2EES2_Li8ELi32ELi64ELi128ELi4ELi4ELi64ELi64ELi4ELc84ELc84ELb1ELb1ELb0EfKffEEviiiT16_PT17_ilS6_ilS4_S6_ilPT18_ili26rocblas_geam_ex_operation_,comdat
	.globl	_ZN12_GLOBAL__N_120geam_min_plus_kernelIf15HIP_vector_typeIfLj2EES2_Li8ELi32ELi64ELi128ELi4ELi4ELi64ELi64ELi4ELc84ELc84ELb1ELb1ELb0EfKffEEviiiT16_PT17_ilS6_ilS4_S6_ilPT18_ili26rocblas_geam_ex_operation_ ; -- Begin function _ZN12_GLOBAL__N_120geam_min_plus_kernelIf15HIP_vector_typeIfLj2EES2_Li8ELi32ELi64ELi128ELi4ELi4ELi64ELi64ELi4ELc84ELc84ELb1ELb1ELb0EfKffEEviiiT16_PT17_ilS6_ilS4_S6_ilPT18_ili26rocblas_geam_ex_operation_
	.p2align	8
	.type	_ZN12_GLOBAL__N_120geam_min_plus_kernelIf15HIP_vector_typeIfLj2EES2_Li8ELi32ELi64ELi128ELi4ELi4ELi64ELi64ELi4ELc84ELc84ELb1ELb1ELb0EfKffEEviiiT16_PT17_ilS6_ilS4_S6_ilPT18_ili26rocblas_geam_ex_operation_,@function
_ZN12_GLOBAL__N_120geam_min_plus_kernelIf15HIP_vector_typeIfLj2EES2_Li8ELi32ELi64ELi128ELi4ELi4ELi64ELi64ELi4ELc84ELc84ELb1ELb1ELb0EfKffEEviiiT16_PT17_ilS6_ilS4_S6_ilPT18_ili26rocblas_geam_ex_operation_: ; @_ZN12_GLOBAL__N_120geam_min_plus_kernelIf15HIP_vector_typeIfLj2EES2_Li8ELi32ELi64ELi128ELi4ELi4ELi64ELi64ELi4ELc84ELc84ELb1ELb1ELb0EfKffEEviiiT16_PT17_ilS6_ilS4_S6_ilPT18_ili26rocblas_geam_ex_operation_
; %bb.0:
	s_clause 0x1
	s_load_dwordx4 s[12:15], s[4:5], 0x0
	s_load_dwordx4 s[0:3], s[4:5], 0x20
	s_waitcnt lgkmcnt(0)
	v_cmp_eq_f32_e64 s8, s15, 0
	s_and_b32 vcc_lo, exec_lo, s8
	s_cbranch_vccnz .LBB100_45
; %bb.1:
	s_load_dwordx2 s[10:11], s[4:5], 0x10
	s_mul_i32 s1, s1, s7
	s_mul_hi_u32 s9, s0, s7
	s_mul_i32 s0, s0, s7
	s_add_i32 s1, s9, s1
	s_lshl_b64 s[0:1], s[0:1], 2
	s_waitcnt lgkmcnt(0)
	s_add_u32 s20, s10, s0
	s_addc_u32 s21, s11, s1
	s_andn2_b32 vcc_lo, exec_lo, s8
	s_mov_b32 s0, -1
	s_cbranch_vccnz .LBB100_3
.LBB100_2:
	s_mov_b32 s0, 0
.LBB100_3:
	s_mov_b64 s[16:17], 0
	s_andn2_b32 vcc_lo, exec_lo, s0
	s_mov_b64 s[18:19], 0
	s_cbranch_vccnz .LBB100_5
; %bb.4:
	s_load_dwordx2 s[0:1], s[4:5], 0x38
	s_waitcnt lgkmcnt(0)
	s_mul_i32 s1, s1, s7
	s_mul_hi_u32 s8, s0, s7
	s_mul_i32 s0, s0, s7
	s_add_i32 s1, s8, s1
	s_lshl_b64 s[0:1], s[0:1], 2
	s_add_u32 s18, s2, s0
	s_addc_u32 s19, s3, s1
.LBB100_5:
	s_clause 0x1
	s_load_dword s15, s[4:5], 0x40
	s_load_dwordx4 s[8:11], s[4:5], 0x58
	s_waitcnt lgkmcnt(0)
	v_cmp_eq_f32_e64 s0, s15, 0
	v_cmp_neq_f32_e64 s3, s15, 0
	s_and_b32 vcc_lo, exec_lo, s0
	s_cbranch_vccnz .LBB100_7
; %bb.6:
	s_load_dwordx2 s[0:1], s[4:5], 0x48
	s_mul_i32 s2, s9, s7
	s_mul_hi_u32 s9, s8, s7
	s_mul_i32 s8, s8, s7
	s_add_i32 s9, s9, s2
	s_lshl_b64 s[8:9], s[8:9], 2
	s_waitcnt lgkmcnt(0)
	s_add_u32 s16, s0, s8
	s_addc_u32 s17, s1, s9
.LBB100_7:
	s_add_i32 s0, s12, -1
	s_load_dword s24, s[4:5], 0x18
	s_ashr_i32 s1, s0, 31
	v_and_b32_e32 v70, 3, v0
	s_lshr_b32 s1, s1, 26
	v_mov_b32_e32 v6, 0
	s_add_i32 s0, s0, s1
	v_mov_b32_e32 v8, 0
	s_ashr_i32 s0, s0, 6
	v_lshlrev_b32_e32 v9, 2, v70
	s_add_i32 s1, s0, 1
	s_not_b32 s0, s0
	v_cvt_f32_u32_e32 v2, s1
	v_rcp_iflag_f32_e32 v2, v2
	v_mul_f32_e32 v2, 0x4f7ffffe, v2
	v_cvt_u32_f32_e32 v2, v2
	v_readfirstlane_b32 s2, v2
	v_lshl_add_u32 v2, v1, 3, v0
	s_mul_i32 s0, s0, s2
	v_lshrrev_b32_e32 v7, 2, v2
	s_mul_hi_u32 s0, s2, s0
	s_add_i32 s2, s2, s0
	s_mul_hi_u32 s0, s6, s2
	s_mul_i32 s2, s0, s1
	s_add_i32 s8, s0, 1
	s_sub_i32 s2, s6, s2
	s_sub_i32 s9, s2, s1
	s_cmp_ge_u32 s2, s1
	s_cselect_b32 s0, s8, s0
	s_cselect_b32 s2, s9, s2
	s_add_i32 s8, s0, 1
	s_cmp_ge_u32 s2, s1
	s_cselect_b32 s2, s8, s0
	s_mul_i32 s0, s2, s1
	s_sub_i32 s0, s6, s0
	s_lshl_b32 s6, s0, 6
	v_cmp_gt_i32_e64 s0, s14, v70
	v_add_nc_u32_e32 v4, s6, v7
	v_cmp_gt_i32_e64 s1, s12, v4
	v_cmp_le_i32_e32 vcc_lo, s12, v4
	s_and_b32 s0, s0, s1
	s_and_saveexec_b32 s1, s0
	s_cbranch_execz .LBB100_9
; %bb.8:
	s_waitcnt lgkmcnt(0)
	v_mad_i64_i32 v[10:11], null, v4, s24, 0
	v_lshlrev_b64 v[10:11], 2, v[10:11]
	v_add_co_u32 v3, s0, s20, v10
	v_add_co_ci_u32_e64 v5, null, s21, v11, s0
	v_add_co_u32 v10, s0, v3, v9
	v_add_co_ci_u32_e64 v11, null, 0, v5, s0
	global_load_dword v8, v[10:11], off
.LBB100_9:
	s_or_b32 exec_lo, exec_lo, s1
	s_load_dword s9, s[4:5], 0x30
	v_lshrrev_b32_e32 v71, 6, v2
	v_and_b32_e32 v10, 63, v2
	s_lshl_b32 s8, s2, 7
	v_cmp_le_i32_e64 s2, s14, v71
	v_or_b32_e32 v2, s8, v10
	v_cmp_le_i32_e64 s0, s13, v2
	v_ashrrev_i32_e32 v3, 31, v2
	s_waitcnt lgkmcnt(0)
	v_mad_i64_i32 v[11:12], null, s9, v71, 0
	s_ashr_i32 s22, s9, 31
	v_lshlrev_b64 v[12:13], 2, v[11:12]
	v_add_co_u32 v12, s1, s18, v12
	v_add_co_ci_u32_e64 v13, null, s19, v13, s1
	s_nor_b32 s1, s0, s2
	s_and_saveexec_b32 s23, s1
	s_cbranch_execz .LBB100_11
; %bb.10:
	v_lshlrev_b64 v[5:6], 2, v[2:3]
	v_add_co_u32 v5, s1, v12, v5
	v_add_co_ci_u32_e64 v6, null, v13, v6, s1
	global_load_dword v6, v[5:6], off
.LBB100_11:
	s_or_b32 exec_lo, exec_lo, s23
	v_or_b32_e32 v5, 64, v2
	v_mov_b32_e32 v11, 0
	v_cmp_le_i32_e64 s1, s13, v5
	v_mov_b32_e32 v5, 0
	s_nor_b32 s2, s1, s2
	s_and_saveexec_b32 s23, s2
	s_cbranch_execz .LBB100_13
; %bb.12:
	v_lshlrev_b64 v[14:15], 2, v[2:3]
	v_add_co_u32 v11, s2, v12, v14
	v_add_co_ci_u32_e64 v12, null, v13, v15, s2
	global_load_dword v11, v[11:12], off offset:256
.LBB100_13:
	s_or_b32 exec_lo, exec_lo, s23
	v_or_b32_e32 v12, 4, v70
	s_xor_b32 s23, vcc_lo, -1
	v_cmp_gt_i32_e64 s2, s14, v12
	s_and_b32 s25, s2, s23
	s_and_saveexec_b32 s2, s25
	s_cbranch_execz .LBB100_15
; %bb.14:
	v_mad_i64_i32 v[12:13], null, v4, s24, 0
	v_lshlrev_b64 v[12:13], 2, v[12:13]
	v_add_co_u32 v5, vcc_lo, s20, v12
	v_add_co_ci_u32_e64 v13, null, s21, v13, vcc_lo
	v_add_co_u32 v12, vcc_lo, v5, v9
	v_add_co_ci_u32_e64 v13, null, 0, v13, vcc_lo
	global_load_dword v5, v[12:13], off offset:16
.LBB100_15:
	s_or_b32 exec_lo, exec_lo, s2
	v_add_nc_u32_e32 v15, 4, v71
	v_mov_b32_e32 v76, 0
	v_mov_b32_e32 v77, 0
	v_mad_u64_u32 v[12:13], null, s9, v15, 0
	v_cmp_le_i32_e32 vcc_lo, s14, v15
	v_mad_u64_u32 v[13:14], null, s22, v15, v[13:14]
	v_lshlrev_b64 v[12:13], 2, v[12:13]
	v_add_co_u32 v12, s2, s18, v12
	v_add_co_ci_u32_e64 v13, null, s19, v13, s2
	s_nor_b32 s2, s0, vcc_lo
	s_and_saveexec_b32 s25, s2
	s_cbranch_execz .LBB100_17
; %bb.16:
	v_lshlrev_b64 v[14:15], 2, v[2:3]
	v_add_co_u32 v14, s2, v12, v14
	v_add_co_ci_u32_e64 v15, null, v13, v15, s2
	global_load_dword v77, v[14:15], off
.LBB100_17:
	s_or_b32 exec_lo, exec_lo, s25
	s_nor_b32 s25, s1, vcc_lo
	s_and_saveexec_b32 s2, s25
	s_cbranch_execz .LBB100_19
; %bb.18:
	v_lshlrev_b64 v[14:15], 2, v[2:3]
	v_add_co_u32 v12, vcc_lo, v12, v14
	v_add_co_ci_u32_e64 v13, null, v13, v15, vcc_lo
	global_load_dword v76, v[12:13], off offset:256
.LBB100_19:
	s_or_b32 exec_lo, exec_lo, s2
	v_lshlrev_b32_e32 v10, 4, v10
	v_lshl_or_b32 v78, v7, 4, v9
	v_mov_b32_e32 v68, 0
	v_lshl_or_b32 v72, v0, 4, 0x1000
	v_lshlrev_b32_e32 v74, 4, v1
	v_lshl_add_u32 v73, v71, 2, v10
	v_add_nc_u32_e32 v75, 0x1000, v78
	s_waitcnt vmcnt(0)
	ds_write_b32 v78, v8 offset:4096
	v_mov_b32_e32 v69, v68
	v_mov_b32_e32 v7, v68
	ds_write2st64_b32 v73, v6, v11 offset1:4
	v_mov_b32_e32 v6, v68
	v_mov_b32_e32 v8, v68
	;; [unrolled: 1-line block ×61, first 2 shown]
	s_mov_b32 s25, 0
	s_mov_b32 s2, -1
	s_waitcnt lgkmcnt(0)
	s_barrier
	buffer_gl0_inv
.LBB100_20:                             ; =>This Inner Loop Header: Depth=1
	s_lshl_b32 s25, s25, 2
	s_andn2_b32 vcc_lo, exec_lo, s2
	v_add_nc_u32_e32 v91, s25, v72
	v_add_nc_u32_e32 v99, s25, v74
	s_mov_b32 s2, 0
	s_mov_b32 s25, 2
	ds_read2_b64 v[79:82], v91 offset1:16
	ds_read2_b64 v[83:86], v91 offset0:32 offset1:48
	ds_read2_b64 v[87:90], v91 offset0:64 offset1:80
	;; [unrolled: 1-line block ×3, first 2 shown]
	ds_read2st64_b64 v[95:98], v99 offset1:1
	ds_read2st64_b64 v[99:102], v99 offset0:2 offset1:3
	s_waitcnt lgkmcnt(5)
	v_max_f32_e32 v103, v79, v79
	v_max_f32_e32 v81, v81, v81
	s_waitcnt lgkmcnt(4)
	v_max_f32_e32 v83, v83, v83
	s_waitcnt lgkmcnt(1)
	v_max_f32_e32 v95, v95, v95
	v_max_f32_e32 v85, v85, v85
	v_max_f32_e32 v87, v87, v87
	v_max_f32_e32 v96, v96, v96
	v_max_f32_e32 v80, v80, v80
	v_min_f32_e32 v79, v103, v95
	v_max_f32_e32 v89, v89, v89
	v_max_f32_e32 v82, v82, v82
	;; [unrolled: 1-line block ×3, first 2 shown]
	v_min_f32_e32 v104, v80, v96
	v_add_f32_e32 v68, v68, v79
	v_min_f32_e32 v79, v81, v95
	v_max_f32_e32 v84, v84, v84
	v_max_f32_e32 v86, v86, v86
	v_add_f32_e32 v69, v69, v104
	v_min_f32_e32 v104, v82, v96
	v_add_f32_e32 v6, v6, v79
	v_min_f32_e32 v79, v83, v95
	v_max_f32_e32 v88, v88, v88
	v_max_f32_e32 v93, v93, v93
	v_add_f32_e32 v7, v7, v104
	;; [unrolled: 6-line block ×3, first 2 shown]
	v_min_f32_e32 v104, v86, v96
	v_add_f32_e32 v10, v10, v79
	v_min_f32_e32 v79, v87, v95
	v_add_f32_e32 v11, v11, v104
	;; [unrolled: 2-line block ×5, first 2 shown]
	v_min_f32_e32 v79, v91, v95
	v_min_f32_e32 v95, v93, v95
	v_add_f32_e32 v15, v15, v104
	v_min_f32_e32 v104, v92, v96
	v_add_f32_e32 v16, v16, v79
	v_max_f32_e32 v79, v94, v94
	v_add_f32_e32 v66, v66, v95
	v_add_f32_e32 v17, v17, v104
	v_min_f32_e32 v94, v79, v96
	v_max_f32_e32 v96, v98, v98
	v_add_f32_e32 v67, v67, v94
	v_max_f32_e32 v94, v97, v97
	v_min_f32_e32 v97, v80, v96
	v_min_f32_e32 v95, v103, v94
	v_add_f32_e32 v65, v65, v97
	v_min_f32_e32 v97, v82, v96
	v_add_f32_e32 v64, v64, v95
	;; [unrolled: 2-line block ×12, first 2 shown]
	v_min_f32_e32 v95, v91, v94
	v_min_f32_e32 v94, v93, v94
	v_add_f32_e32 v53, v53, v97
	v_add_f32_e32 v52, v52, v95
	v_min_f32_e32 v95, v79, v96
	v_add_f32_e32 v50, v50, v94
	s_waitcnt lgkmcnt(0)
	v_max_f32_e32 v94, v99, v99
	v_max_f32_e32 v96, v100, v100
	v_add_f32_e32 v51, v51, v95
	v_min_f32_e32 v95, v103, v94
	v_min_f32_e32 v97, v80, v96
	v_add_f32_e32 v48, v48, v95
	v_min_f32_e32 v95, v81, v94
	v_add_f32_e32 v49, v49, v97
	;; [unrolled: 2-line block ×12, first 2 shown]
	v_min_f32_e32 v97, v92, v96
	v_min_f32_e32 v94, v93, v94
	v_add_f32_e32 v36, v36, v95
	v_min_f32_e32 v95, v79, v96
	v_max_f32_e32 v96, v102, v102
	v_add_f32_e32 v34, v34, v94
	v_max_f32_e32 v94, v101, v101
	v_add_f32_e32 v37, v37, v97
	v_add_f32_e32 v35, v35, v95
	v_min_f32_e32 v80, v80, v96
	v_min_f32_e32 v79, v79, v96
	;; [unrolled: 1-line block ×3, first 2 shown]
	v_add_f32_e32 v33, v33, v80
	v_min_f32_e32 v80, v81, v94
	v_min_f32_e32 v81, v82, v96
	v_add_f32_e32 v32, v32, v95
	v_add_f32_e32 v19, v19, v79
	;; [unrolled: 1-line block ×3, first 2 shown]
	v_min_f32_e32 v80, v83, v94
	v_add_f32_e32 v31, v31, v81
	v_min_f32_e32 v81, v84, v96
	v_add_f32_e32 v28, v28, v80
	;; [unrolled: 2-line block ×11, first 2 shown]
	v_add_f32_e32 v18, v18, v80
	s_cbranch_vccz .LBB100_20
; %bb.21:
	ds_write_b32 v78, v5 offset:5120
	ds_write2st64_b32 v73, v77, v76 offset0:8 offset1:12
	v_lshl_add_u32 v76, v0, 4, 0x1400
	v_lshl_add_u32 v77, v1, 4, 0x800
	s_cmp_lt_i32 s14, 9
	s_waitcnt lgkmcnt(0)
	s_barrier
	buffer_gl0_inv
	s_cbranch_scc1 .LBB100_40
; %bb.22:
	v_mad_i64_i32 v[4:5], null, v4, s24, 0
	v_lshlrev_b64 v[2:3], 2, v[2:3]
	v_add_nc_u32_e32 v78, 0x1400, v78
	v_add_nc_u32_e32 v79, 0x800, v73
	s_mov_b32 s24, 0
	v_lshlrev_b64 v[4:5], 2, v[4:5]
	v_add_co_u32 v80, vcc_lo, s20, v4
	v_add_co_ci_u32_e64 v81, null, s21, v5, vcc_lo
	v_mov_b32_e32 v5, 0
	s_add_i32 s20, s14, -8
	s_mov_b32 s21, 8
.LBB100_23:                             ; =>This Loop Header: Depth=1
                                        ;     Child Loop BB100_30 Depth 2
                                        ;     Child Loop BB100_38 Depth 2
	v_or_b32_e32 v4, s21, v70
	v_mov_b32_e32 v82, 0
	v_cmp_gt_i32_e32 vcc_lo, s14, v4
	s_and_b32 s25, vcc_lo, s23
	s_and_saveexec_b32 s2, s25
	s_cbranch_execz .LBB100_25
; %bb.24:                               ;   in Loop: Header=BB100_23 Depth=1
	v_lshlrev_b64 v[82:83], 2, v[4:5]
	v_add_co_u32 v82, vcc_lo, v80, v82
	v_add_co_ci_u32_e64 v83, null, v81, v83, vcc_lo
	global_load_dword v82, v[82:83], off
.LBB100_25:                             ;   in Loop: Header=BB100_23 Depth=1
	s_or_b32 exec_lo, exec_lo, s2
	v_add_nc_u32_e32 v87, s21, v71
	v_mad_u64_u32 v[83:84], null, v87, s9, 0
	v_cmp_le_i32_e32 vcc_lo, s14, v87
	v_mad_u64_u32 v[84:85], null, v87, s22, v[84:85]
	v_lshlrev_b64 v[85:86], 2, v[83:84]
	v_mov_b32_e32 v83, 0
	v_mov_b32_e32 v84, 0
	v_add_co_u32 v85, s2, s18, v85
	v_add_co_ci_u32_e64 v86, null, s19, v86, s2
	s_nor_b32 s2, s0, vcc_lo
	s_and_saveexec_b32 s25, s2
	s_cbranch_execz .LBB100_27
; %bb.26:                               ;   in Loop: Header=BB100_23 Depth=1
	v_add_co_u32 v87, s2, v85, v2
	v_add_co_ci_u32_e64 v88, null, v86, v3, s2
	global_load_dword v84, v[87:88], off
.LBB100_27:                             ;   in Loop: Header=BB100_23 Depth=1
	s_or_b32 exec_lo, exec_lo, s25
	s_nor_b32 s25, s1, vcc_lo
	s_and_saveexec_b32 s2, s25
	s_cbranch_execz .LBB100_29
; %bb.28:                               ;   in Loop: Header=BB100_23 Depth=1
	v_add_co_u32 v85, vcc_lo, v85, v2
	v_add_co_ci_u32_e64 v86, null, v86, v3, vcc_lo
	global_load_dword v83, v[85:86], off offset:256
.LBB100_29:                             ;   in Loop: Header=BB100_23 Depth=1
	s_or_b32 exec_lo, exec_lo, s2
	s_mov_b32 s25, 0
	s_mov_b32 s2, -1
.LBB100_30:                             ;   Parent Loop BB100_23 Depth=1
                                        ; =>  This Inner Loop Header: Depth=2
	s_lshl_b32 s25, s25, 2
	s_andn2_b32 vcc_lo, exec_lo, s2
	v_add_nc_u32_e32 v97, s25, v76
	v_add_nc_u32_e32 v105, s25, v77
	s_mov_b32 s2, 0
	s_mov_b32 s25, 2
	ds_read2_b64 v[85:88], v97 offset1:16
	ds_read2_b64 v[89:92], v97 offset0:32 offset1:48
	ds_read2_b64 v[93:96], v97 offset0:64 offset1:80
	;; [unrolled: 1-line block ×3, first 2 shown]
	ds_read2st64_b64 v[101:104], v105 offset1:1
	ds_read2st64_b64 v[105:108], v105 offset0:2 offset1:3
	s_waitcnt lgkmcnt(5)
	v_max_f32_e32 v85, v85, v85
	v_max_f32_e32 v86, v86, v86
	;; [unrolled: 1-line block ×3, first 2 shown]
	s_waitcnt lgkmcnt(1)
	v_max_f32_e32 v101, v101, v101
	v_max_f32_e32 v102, v102, v102
	;; [unrolled: 1-line block ×5, first 2 shown]
	v_min_f32_e32 v109, v85, v101
	v_min_f32_e32 v110, v86, v102
	v_max_f32_e32 v91, v91, v91
	v_max_f32_e32 v92, v92, v92
	;; [unrolled: 1-line block ×3, first 2 shown]
	v_add_f32_e32 v68, v68, v109
	v_min_f32_e32 v109, v87, v101
	v_add_f32_e32 v69, v69, v110
	v_min_f32_e32 v110, v88, v102
	v_max_f32_e32 v94, v94, v94
	v_max_f32_e32 v95, v95, v95
	v_add_f32_e32 v6, v6, v109
	v_min_f32_e32 v109, v89, v101
	v_add_f32_e32 v7, v7, v110
	v_min_f32_e32 v110, v90, v102
	v_max_f32_e32 v96, v96, v96
	v_max_f32_e32 v97, v97, v97
	;; [unrolled: 6-line block ×3, first 2 shown]
	v_add_f32_e32 v10, v10, v109
	v_min_f32_e32 v109, v93, v101
	v_add_f32_e32 v11, v11, v110
	v_min_f32_e32 v110, v94, v102
	v_max_f32_e32 v100, v100, v100
	v_add_f32_e32 v12, v12, v109
	v_min_f32_e32 v109, v95, v101
	v_add_f32_e32 v13, v13, v110
	v_min_f32_e32 v110, v96, v102
	;; [unrolled: 2-line block ×3, first 2 shown]
	v_min_f32_e32 v101, v99, v101
	v_add_f32_e32 v15, v15, v110
	v_min_f32_e32 v110, v98, v102
	v_min_f32_e32 v102, v100, v102
	v_add_f32_e32 v16, v16, v109
	v_add_f32_e32 v66, v66, v101
	v_max_f32_e32 v101, v103, v103
	v_max_f32_e32 v103, v104, v104
	v_add_f32_e32 v67, v67, v102
	v_add_f32_e32 v17, v17, v110
	v_min_f32_e32 v102, v85, v101
	v_min_f32_e32 v104, v86, v103
	v_add_f32_e32 v64, v64, v102
	v_min_f32_e32 v102, v87, v101
	v_add_f32_e32 v65, v65, v104
	;; [unrolled: 2-line block ×11, first 2 shown]
	v_min_f32_e32 v102, v97, v101
	v_min_f32_e32 v101, v99, v101
	v_add_f32_e32 v55, v55, v104
	v_min_f32_e32 v104, v98, v103
	v_add_f32_e32 v52, v52, v102
	;; [unrolled: 2-line block ×3, first 2 shown]
	s_waitcnt lgkmcnt(0)
	v_max_f32_e32 v101, v105, v105
	v_max_f32_e32 v103, v106, v106
	v_add_f32_e32 v53, v53, v104
	v_add_f32_e32 v51, v51, v102
	v_min_f32_e32 v102, v85, v101
	v_min_f32_e32 v104, v86, v103
	v_add_f32_e32 v48, v48, v102
	v_min_f32_e32 v102, v87, v101
	v_add_f32_e32 v49, v49, v104
	;; [unrolled: 2-line block ×11, first 2 shown]
	v_min_f32_e32 v102, v97, v101
	v_min_f32_e32 v101, v99, v101
	v_add_f32_e32 v39, v39, v104
	v_min_f32_e32 v104, v98, v103
	v_add_f32_e32 v36, v36, v102
	;; [unrolled: 2-line block ×3, first 2 shown]
	v_max_f32_e32 v101, v107, v107
	v_add_f32_e32 v37, v37, v104
	v_add_f32_e32 v35, v35, v102
	v_max_f32_e32 v102, v108, v108
	v_min_f32_e32 v85, v85, v101
	v_min_f32_e32 v86, v86, v102
	v_add_f32_e32 v32, v32, v85
	v_min_f32_e32 v85, v87, v101
	v_add_f32_e32 v33, v33, v86
	v_min_f32_e32 v86, v88, v102
	v_add_f32_e32 v30, v30, v85
	v_min_f32_e32 v85, v89, v101
	v_add_f32_e32 v31, v31, v86
	v_min_f32_e32 v86, v90, v102
	v_add_f32_e32 v28, v28, v85
	v_min_f32_e32 v85, v91, v101
	v_add_f32_e32 v29, v29, v86
	v_min_f32_e32 v86, v92, v102
	v_add_f32_e32 v26, v26, v85
	v_min_f32_e32 v85, v93, v101
	v_add_f32_e32 v27, v27, v86
	v_min_f32_e32 v86, v94, v102
	v_add_f32_e32 v24, v24, v85
	v_min_f32_e32 v85, v95, v101
	v_add_f32_e32 v25, v25, v86
	v_min_f32_e32 v86, v96, v102
	v_add_f32_e32 v22, v22, v85
	v_min_f32_e32 v85, v97, v101
	v_add_f32_e32 v23, v23, v86
	v_min_f32_e32 v86, v98, v102
	v_add_f32_e32 v20, v20, v85
	v_min_f32_e32 v85, v99, v101
	v_add_f32_e32 v21, v21, v86
	v_min_f32_e32 v86, v100, v102
	v_add_f32_e32 v18, v18, v85
	v_add_f32_e32 v19, v19, v86
	s_cbranch_vccz .LBB100_30
; %bb.31:                               ;   in Loop: Header=BB100_23 Depth=1
	v_or_b32_e32 v85, 4, v4
	s_waitcnt vmcnt(0)
	ds_write_b32 v75, v82
	ds_write2st64_b32 v73, v84, v83 offset1:4
	v_mov_b32_e32 v82, 0
	v_mov_b32_e32 v83, 0
	s_waitcnt lgkmcnt(0)
	v_cmp_gt_i32_e32 vcc_lo, s14, v85
	s_barrier
	buffer_gl0_inv
	s_and_b32 s25, vcc_lo, s23
	s_and_saveexec_b32 s2, s25
	s_cbranch_execz .LBB100_33
; %bb.32:                               ;   in Loop: Header=BB100_23 Depth=1
	v_lshlrev_b64 v[83:84], 2, v[4:5]
	v_add_co_u32 v83, vcc_lo, v80, v83
	v_add_co_ci_u32_e64 v84, null, v81, v84, vcc_lo
	global_load_dword v83, v[83:84], off offset:16
.LBB100_33:                             ;   in Loop: Header=BB100_23 Depth=1
	s_or_b32 exec_lo, exec_lo, s2
	v_add3_u32 v87, v71, s21, 4
	v_mad_u64_u32 v[84:85], null, v87, s9, 0
	v_cmp_le_i32_e32 vcc_lo, s14, v87
	v_mov_b32_e32 v4, v85
	v_mad_u64_u32 v[85:86], null, v87, s22, v[4:5]
	v_lshlrev_b64 v[84:85], 2, v[84:85]
	v_add_co_u32 v84, s2, s18, v84
	v_add_co_ci_u32_e64 v85, null, s19, v85, s2
	s_nor_b32 s2, s0, vcc_lo
	s_and_saveexec_b32 s25, s2
	s_cbranch_execz .LBB100_35
; %bb.34:                               ;   in Loop: Header=BB100_23 Depth=1
	v_add_co_u32 v86, s2, v84, v2
	v_add_co_ci_u32_e64 v87, null, v85, v3, s2
	global_load_dword v82, v[86:87], off
.LBB100_35:                             ;   in Loop: Header=BB100_23 Depth=1
	s_or_b32 exec_lo, exec_lo, s25
	v_mov_b32_e32 v4, 0
	s_nor_b32 s25, s1, vcc_lo
	s_and_saveexec_b32 s2, s25
	s_cbranch_execz .LBB100_37
; %bb.36:                               ;   in Loop: Header=BB100_23 Depth=1
	v_add_co_u32 v84, vcc_lo, v84, v2
	v_add_co_ci_u32_e64 v85, null, v85, v3, vcc_lo
	global_load_dword v4, v[84:85], off offset:256
.LBB100_37:                             ;   in Loop: Header=BB100_23 Depth=1
	s_or_b32 exec_lo, exec_lo, s2
	s_mov_b32 s25, 0
	s_mov_b32 s2, -1
.LBB100_38:                             ;   Parent Loop BB100_23 Depth=1
                                        ; =>  This Inner Loop Header: Depth=2
	s_lshl_b32 s25, s25, 2
	s_andn2_b32 vcc_lo, exec_lo, s2
	v_add_nc_u32_e32 v96, s25, v72
	v_add_nc_u32_e32 v104, s25, v74
	s_mov_b32 s2, 0
	s_mov_b32 s25, 2
	ds_read2_b64 v[84:87], v96 offset1:16
	ds_read2_b64 v[88:91], v96 offset0:32 offset1:48
	ds_read2_b64 v[92:95], v96 offset0:64 offset1:80
	;; [unrolled: 1-line block ×3, first 2 shown]
	ds_read2st64_b64 v[100:103], v104 offset1:1
	ds_read2st64_b64 v[104:107], v104 offset0:2 offset1:3
	s_waitcnt lgkmcnt(5)
	v_max_f32_e32 v84, v84, v84
	v_max_f32_e32 v85, v85, v85
	;; [unrolled: 1-line block ×3, first 2 shown]
	s_waitcnt lgkmcnt(1)
	v_max_f32_e32 v100, v100, v100
	v_max_f32_e32 v101, v101, v101
	;; [unrolled: 1-line block ×5, first 2 shown]
	v_min_f32_e32 v108, v84, v100
	v_min_f32_e32 v109, v85, v101
	v_max_f32_e32 v90, v90, v90
	v_max_f32_e32 v91, v91, v91
	;; [unrolled: 1-line block ×3, first 2 shown]
	v_add_f32_e32 v68, v68, v108
	v_min_f32_e32 v108, v86, v100
	v_add_f32_e32 v69, v69, v109
	v_min_f32_e32 v109, v87, v101
	v_max_f32_e32 v93, v93, v93
	v_max_f32_e32 v94, v94, v94
	v_add_f32_e32 v6, v6, v108
	v_min_f32_e32 v108, v88, v100
	v_add_f32_e32 v7, v7, v109
	v_min_f32_e32 v109, v89, v101
	v_max_f32_e32 v95, v95, v95
	v_max_f32_e32 v96, v96, v96
	v_add_f32_e32 v8, v8, v108
	v_min_f32_e32 v108, v90, v100
	v_add_f32_e32 v9, v9, v109
	v_min_f32_e32 v109, v91, v101
	v_max_f32_e32 v98, v98, v98
	v_max_f32_e32 v97, v97, v97
	v_add_f32_e32 v10, v10, v108
	v_min_f32_e32 v108, v92, v100
	v_add_f32_e32 v11, v11, v109
	v_min_f32_e32 v109, v93, v101
	v_max_f32_e32 v99, v99, v99
	v_add_f32_e32 v12, v12, v108
	v_min_f32_e32 v108, v94, v100
	v_add_f32_e32 v13, v13, v109
	v_min_f32_e32 v109, v95, v101
	;; [unrolled: 2-line block ×3, first 2 shown]
	v_min_f32_e32 v100, v98, v100
	v_add_f32_e32 v15, v15, v109
	v_min_f32_e32 v109, v97, v101
	v_min_f32_e32 v101, v99, v101
	v_add_f32_e32 v16, v16, v108
	v_add_f32_e32 v66, v66, v100
	v_max_f32_e32 v100, v102, v102
	v_max_f32_e32 v102, v103, v103
	v_add_f32_e32 v67, v67, v101
	v_add_f32_e32 v17, v17, v109
	v_min_f32_e32 v101, v84, v100
	v_min_f32_e32 v103, v85, v102
	v_add_f32_e32 v64, v64, v101
	v_min_f32_e32 v101, v86, v100
	v_add_f32_e32 v65, v65, v103
	;; [unrolled: 2-line block ×11, first 2 shown]
	v_min_f32_e32 v101, v96, v100
	v_min_f32_e32 v100, v98, v100
	v_add_f32_e32 v55, v55, v103
	v_min_f32_e32 v103, v97, v102
	v_add_f32_e32 v52, v52, v101
	;; [unrolled: 2-line block ×3, first 2 shown]
	s_waitcnt lgkmcnt(0)
	v_max_f32_e32 v100, v104, v104
	v_max_f32_e32 v102, v105, v105
	v_add_f32_e32 v53, v53, v103
	v_add_f32_e32 v51, v51, v101
	v_min_f32_e32 v101, v84, v100
	v_min_f32_e32 v103, v85, v102
	v_add_f32_e32 v48, v48, v101
	v_min_f32_e32 v101, v86, v100
	v_add_f32_e32 v49, v49, v103
	;; [unrolled: 2-line block ×11, first 2 shown]
	v_min_f32_e32 v101, v96, v100
	v_min_f32_e32 v100, v98, v100
	v_add_f32_e32 v39, v39, v103
	v_min_f32_e32 v103, v97, v102
	v_add_f32_e32 v36, v36, v101
	;; [unrolled: 2-line block ×3, first 2 shown]
	v_max_f32_e32 v100, v106, v106
	v_add_f32_e32 v37, v37, v103
	v_add_f32_e32 v35, v35, v101
	v_max_f32_e32 v101, v107, v107
	v_min_f32_e32 v84, v84, v100
	v_min_f32_e32 v85, v85, v101
	v_add_f32_e32 v32, v32, v84
	v_min_f32_e32 v84, v86, v100
	v_add_f32_e32 v33, v33, v85
	;; [unrolled: 2-line block ×15, first 2 shown]
	v_add_f32_e32 v19, v19, v85
	s_cbranch_vccz .LBB100_38
; %bb.39:                               ;   in Loop: Header=BB100_23 Depth=1
	s_add_i32 s24, s24, 8
	s_add_i32 s21, s21, 8
	s_cmp_ge_i32 s24, s20
	s_waitcnt vmcnt(0)
	ds_write_b32 v78, v83
	ds_write2st64_b32 v79, v82, v4 offset1:4
	s_waitcnt lgkmcnt(0)
	s_barrier
	buffer_gl0_inv
	s_cbranch_scc0 .LBB100_23
.LBB100_40:
	s_mov_b32 s1, 0
	s_mov_b32 s0, -1
.LBB100_41:                             ; =>This Inner Loop Header: Depth=1
	s_lshl_b32 s1, s1, 2
	s_andn2_b32 vcc_lo, exec_lo, s0
	v_add_nc_u32_e32 v74, s1, v76
	s_mov_b32 s0, 0
	ds_read2_b64 v[2:5], v74 offset1:16
	ds_read2_b64 v[70:73], v74 offset0:32 offset1:48
	ds_read2_b64 v[78:81], v74 offset0:64 offset1:80
	;; [unrolled: 1-line block ×3, first 2 shown]
	v_add_nc_u32_e32 v74, s1, v77
	s_mov_b32 s1, 2
	ds_read2st64_b64 v[86:89], v74 offset1:1
	ds_read2st64_b64 v[90:93], v74 offset0:2 offset1:3
	s_waitcnt lgkmcnt(5)
	v_max_f32_e32 v2, v2, v2
	v_max_f32_e32 v4, v4, v4
	s_waitcnt lgkmcnt(4)
	v_max_f32_e32 v70, v70, v70
	v_max_f32_e32 v72, v72, v72
	;; [unrolled: 1-line block ×6, first 2 shown]
	s_waitcnt lgkmcnt(1)
	v_max_f32_e32 v74, v86, v86
	v_max_f32_e32 v86, v87, v87
	;; [unrolled: 1-line block ×5, first 2 shown]
	v_min_f32_e32 v75, v2, v74
	v_min_f32_e32 v87, v3, v86
	v_add_f32_e32 v68, v68, v75
	v_min_f32_e32 v75, v4, v74
	v_add_f32_e32 v69, v69, v87
	;; [unrolled: 2-line block ×7, first 2 shown]
	v_max_f32_e32 v75, v78, v78
	v_add_f32_e32 v11, v11, v87
	v_min_f32_e32 v87, v79, v86
	v_min_f32_e32 v78, v75, v74
	v_add_f32_e32 v13, v13, v87
	v_min_f32_e32 v87, v81, v86
	v_add_f32_e32 v12, v12, v78
	v_max_f32_e32 v78, v80, v80
	v_add_f32_e32 v15, v15, v87
	v_min_f32_e32 v87, v83, v86
	v_min_f32_e32 v80, v78, v74
	v_add_f32_e32 v17, v17, v87
	v_add_f32_e32 v14, v14, v80
	v_max_f32_e32 v80, v82, v82
	v_min_f32_e32 v82, v80, v74
	v_add_f32_e32 v16, v16, v82
	v_max_f32_e32 v82, v84, v84
	v_max_f32_e32 v84, v85, v85
	v_min_f32_e32 v74, v82, v74
	v_min_f32_e32 v85, v84, v86
	v_max_f32_e32 v86, v89, v89
	v_add_f32_e32 v66, v66, v74
	v_max_f32_e32 v74, v88, v88
	v_add_f32_e32 v67, v67, v85
	v_min_f32_e32 v87, v3, v86
	v_min_f32_e32 v85, v2, v74
	v_add_f32_e32 v65, v65, v87
	v_min_f32_e32 v87, v5, v86
	v_add_f32_e32 v64, v64, v85
	v_min_f32_e32 v85, v4, v74
	v_add_f32_e32 v63, v63, v87
	v_min_f32_e32 v87, v71, v86
	v_add_f32_e32 v62, v62, v85
	v_min_f32_e32 v85, v70, v74
	v_add_f32_e32 v61, v61, v87
	v_min_f32_e32 v87, v73, v86
	v_add_f32_e32 v60, v60, v85
	v_min_f32_e32 v85, v72, v74
	v_add_f32_e32 v59, v59, v87
	v_min_f32_e32 v87, v79, v86
	v_add_f32_e32 v58, v58, v85
	v_min_f32_e32 v85, v75, v74
	v_add_f32_e32 v57, v57, v87
	v_min_f32_e32 v87, v81, v86
	v_add_f32_e32 v56, v56, v85
	v_min_f32_e32 v85, v78, v74
	v_add_f32_e32 v55, v55, v87
	v_min_f32_e32 v87, v83, v86
	v_add_f32_e32 v54, v54, v85
	v_min_f32_e32 v85, v80, v74
	v_min_f32_e32 v74, v82, v74
	v_add_f32_e32 v53, v53, v87
	v_add_f32_e32 v52, v52, v85
	v_min_f32_e32 v85, v84, v86
	v_add_f32_e32 v50, v50, v74
	s_waitcnt lgkmcnt(0)
	v_max_f32_e32 v74, v90, v90
	v_max_f32_e32 v86, v91, v91
	v_add_f32_e32 v51, v51, v85
	v_min_f32_e32 v85, v2, v74
	v_min_f32_e32 v87, v3, v86
	v_add_f32_e32 v48, v48, v85
	v_min_f32_e32 v85, v4, v74
	v_add_f32_e32 v49, v49, v87
	;; [unrolled: 2-line block ×11, first 2 shown]
	v_min_f32_e32 v85, v80, v74
	v_min_f32_e32 v74, v82, v74
	v_add_f32_e32 v39, v39, v87
	v_min_f32_e32 v87, v83, v86
	v_add_f32_e32 v36, v36, v85
	;; [unrolled: 2-line block ×3, first 2 shown]
	v_max_f32_e32 v74, v92, v92
	v_add_f32_e32 v37, v37, v87
	v_add_f32_e32 v35, v35, v85
	v_max_f32_e32 v85, v93, v93
	v_min_f32_e32 v2, v2, v74
	v_min_f32_e32 v3, v3, v85
	v_add_f32_e32 v32, v32, v2
	v_min_f32_e32 v2, v4, v74
	v_add_f32_e32 v33, v33, v3
	v_min_f32_e32 v3, v5, v85
	v_add_f32_e32 v30, v30, v2
	v_min_f32_e32 v2, v70, v74
	v_add_f32_e32 v31, v31, v3
	v_min_f32_e32 v3, v71, v85
	v_add_f32_e32 v28, v28, v2
	v_min_f32_e32 v2, v72, v74
	v_add_f32_e32 v29, v29, v3
	v_min_f32_e32 v3, v73, v85
	v_add_f32_e32 v26, v26, v2
	v_min_f32_e32 v2, v75, v74
	v_add_f32_e32 v27, v27, v3
	v_min_f32_e32 v3, v79, v85
	v_add_f32_e32 v24, v24, v2
	v_min_f32_e32 v2, v78, v74
	v_add_f32_e32 v25, v25, v3
	v_min_f32_e32 v3, v81, v85
	v_add_f32_e32 v22, v22, v2
	v_min_f32_e32 v2, v80, v74
	v_add_f32_e32 v23, v23, v3
	v_min_f32_e32 v3, v83, v85
	v_add_f32_e32 v20, v20, v2
	v_min_f32_e32 v2, v82, v74
	v_add_f32_e32 v21, v21, v3
	v_min_f32_e32 v3, v84, v85
	v_add_f32_e32 v18, v18, v2
	v_add_f32_e32 v19, v19, v3
	s_cbranch_vccz .LBB100_41
; %bb.42:
	s_clause 0x2
	s_load_dwordx2 s[0:1], s[4:5], 0x70
	s_load_dword s14, s[4:5], 0x50
	s_load_dword s9, s[4:5], 0x68
	v_add_nc_u32_e32 v71, s8, v1
	v_add_nc_u32_e32 v0, s6, v0
	v_cndmask_b32_e64 v70, 0, 1, s3
	v_cmp_gt_i32_e64 s8, s13, v71
	s_waitcnt lgkmcnt(0)
	s_mul_i32 s1, s1, s7
	v_mad_i64_i32 v[1:2], null, v71, s14, 0
	v_mad_i64_i32 v[3:4], null, v71, s9, 0
	s_mul_hi_u32 s2, s0, s7
	s_mul_i32 s4, s0, s7
	s_add_i32 s5, s2, s1
	v_cmp_gt_i32_e64 s0, s12, v0
	v_lshlrev_b64 v[72:73], 2, v[1:2]
	s_lshl_b64 s[4:5], s[4:5], 2
	v_lshlrev_b64 v[2:3], 2, v[3:4]
	s_add_u32 s10, s10, s4
	s_addc_u32 s11, s11, s5
	v_ashrrev_i32_e32 v1, 31, v0
	v_add_co_u32 v74, vcc_lo, s16, v72
	v_add_co_ci_u32_e64 v75, null, s17, v73, vcc_lo
	v_add_co_u32 v72, vcc_lo, s10, v2
	v_add_co_ci_u32_e64 v73, null, s11, v3, vcc_lo
	s_and_b32 s2, s0, s8
	s_and_saveexec_b32 s1, s2
	s_cbranch_execz .LBB100_48
; %bb.43:
	v_lshlrev_b64 v[2:3], 2, v[0:1]
	s_andn2_b32 vcc_lo, exec_lo, s3
	s_cbranch_vccnz .LBB100_46
; %bb.44:
	v_add_co_u32 v4, vcc_lo, v74, v2
	v_add_co_ci_u32_e64 v5, null, v75, v3, vcc_lo
	global_load_dword v4, v[4:5], off
	s_waitcnt vmcnt(0)
	v_mul_f32_e32 v4, s15, v4
	s_branch .LBB100_47
.LBB100_45:
	s_mov_b64 s[20:21], 0
	s_andn2_b32 vcc_lo, exec_lo, s8
	s_mov_b32 s0, -1
	s_cbranch_vccz .LBB100_2
	s_branch .LBB100_3
.LBB100_46:
	v_mov_b32_e32 v4, 0
.LBB100_47:
	v_add_f32_e32 v5, v68, v69
	v_add_co_u32 v2, vcc_lo, v72, v2
	v_add_co_ci_u32_e64 v3, null, v73, v3, vcc_lo
	v_add_f32_e32 v4, v5, v4
	global_store_dword v[2:3], v4, off
.LBB100_48:
	s_or_b32 exec_lo, exec_lo, s1
	v_add_nc_u32_e32 v2, 8, v0
	v_cmp_gt_i32_e64 s1, s12, v2
	v_ashrrev_i32_e32 v3, 31, v2
	s_and_b32 s3, s1, s8
	s_and_saveexec_b32 s2, s3
	s_cbranch_execz .LBB100_53
; %bb.49:
	v_cmp_ne_u32_e32 vcc_lo, 1, v70
	v_lshlrev_b64 v[4:5], 2, v[2:3]
	s_cbranch_vccnz .LBB100_51
; %bb.50:
	v_add_co_u32 v68, vcc_lo, v74, v4
	v_add_co_ci_u32_e64 v69, null, v75, v5, vcc_lo
	global_load_dword v68, v[68:69], off
	s_waitcnt vmcnt(0)
	v_mul_f32_e32 v68, s15, v68
	s_branch .LBB100_52
.LBB100_51:
	v_mov_b32_e32 v68, 0
.LBB100_52:
	v_add_f32_e32 v6, v6, v7
	v_add_co_u32 v4, vcc_lo, v72, v4
	v_add_co_ci_u32_e64 v5, null, v73, v5, vcc_lo
	v_add_f32_e32 v6, v6, v68
	global_store_dword v[4:5], v6, off
.LBB100_53:
	s_or_b32 exec_lo, exec_lo, s2
	v_add_nc_u32_e32 v4, 16, v0
	v_cmp_gt_i32_e64 s2, s12, v4
	v_ashrrev_i32_e32 v5, 31, v4
	s_and_b32 s4, s2, s8
	s_and_saveexec_b32 s3, s4
	s_cbranch_execz .LBB100_58
; %bb.54:
	v_cmp_ne_u32_e32 vcc_lo, 1, v70
	v_lshlrev_b64 v[6:7], 2, v[4:5]
	s_cbranch_vccnz .LBB100_56
; %bb.55:
	v_add_co_u32 v68, vcc_lo, v74, v6
	v_add_co_ci_u32_e64 v69, null, v75, v7, vcc_lo
	global_load_dword v68, v[68:69], off
	s_waitcnt vmcnt(0)
	v_mul_f32_e32 v68, s15, v68
	s_branch .LBB100_57
.LBB100_56:
	v_mov_b32_e32 v68, 0
.LBB100_57:
	v_add_f32_e32 v8, v8, v9
	v_add_co_u32 v6, vcc_lo, v72, v6
	v_add_co_ci_u32_e64 v7, null, v73, v7, vcc_lo
	v_add_f32_e32 v8, v8, v68
	global_store_dword v[6:7], v8, off
.LBB100_58:
	;; [unrolled: 27-line block ×7, first 2 shown]
	s_or_b32 exec_lo, exec_lo, s8
	v_add_nc_u32_e32 v68, 32, v71
	v_mad_i64_i32 v[16:17], null, v68, s14, 0
	v_mad_i64_i32 v[66:67], null, v68, s9, 0
	v_cmp_gt_i32_e64 s8, s13, v68
	v_lshlrev_b64 v[16:17], 2, v[16:17]
	s_and_b32 s18, s0, s8
	v_lshlrev_b64 v[66:67], 2, v[66:67]
	v_add_co_u32 v68, vcc_lo, s16, v16
	v_add_co_ci_u32_e64 v69, null, s17, v17, vcc_lo
	v_add_co_u32 v66, vcc_lo, s10, v66
	v_add_co_ci_u32_e64 v67, null, s11, v67, vcc_lo
	s_and_saveexec_b32 s12, s18
	s_cbranch_execnz .LBB100_91
; %bb.84:
	s_or_b32 exec_lo, exec_lo, s12
	s_and_b32 s18, s1, s8
	s_and_saveexec_b32 s12, s18
	s_cbranch_execnz .LBB100_95
.LBB100_85:
	s_or_b32 exec_lo, exec_lo, s12
	s_and_b32 s18, s2, s8
	s_and_saveexec_b32 s12, s18
	s_cbranch_execnz .LBB100_99
.LBB100_86:
	s_or_b32 exec_lo, exec_lo, s12
	s_and_b32 s18, s3, s8
	s_and_saveexec_b32 s12, s18
	s_cbranch_execnz .LBB100_103
.LBB100_87:
	s_or_b32 exec_lo, exec_lo, s12
	s_and_b32 s18, s4, s8
	s_and_saveexec_b32 s12, s18
	s_cbranch_execnz .LBB100_107
.LBB100_88:
	s_or_b32 exec_lo, exec_lo, s12
	s_and_b32 s18, s5, s8
	s_and_saveexec_b32 s12, s18
	s_cbranch_execnz .LBB100_111
.LBB100_89:
	s_or_b32 exec_lo, exec_lo, s12
	s_and_b32 s18, s6, s8
	s_and_saveexec_b32 s12, s18
	s_cbranch_execnz .LBB100_115
.LBB100_90:
	s_or_b32 exec_lo, exec_lo, s12
	s_and_b32 s12, s7, s8
	s_and_saveexec_b32 s8, s12
	s_cbranch_execnz .LBB100_119
	s_branch .LBB100_123
.LBB100_91:
	v_cmp_ne_u32_e32 vcc_lo, 1, v70
	v_lshlrev_b64 v[16:17], 2, v[0:1]
	s_cbranch_vccnz .LBB100_93
; %bb.92:
	v_add_co_u32 v72, vcc_lo, v68, v16
	v_add_co_ci_u32_e64 v73, null, v69, v17, vcc_lo
	global_load_dword v72, v[72:73], off
	s_waitcnt vmcnt(0)
	v_mul_f32_e32 v72, s15, v72
	s_branch .LBB100_94
.LBB100_93:
	v_mov_b32_e32 v72, 0
.LBB100_94:
	v_add_f32_e32 v64, v64, v65
	v_add_co_u32 v16, vcc_lo, v66, v16
	v_add_co_ci_u32_e64 v17, null, v67, v17, vcc_lo
	v_add_f32_e32 v64, v64, v72
	global_store_dword v[16:17], v64, off
	s_or_b32 exec_lo, exec_lo, s12
	s_and_b32 s18, s1, s8
	s_and_saveexec_b32 s12, s18
	s_cbranch_execz .LBB100_85
.LBB100_95:
	v_cmp_ne_u32_e32 vcc_lo, 1, v70
	v_lshlrev_b64 v[16:17], 2, v[2:3]
	s_cbranch_vccnz .LBB100_97
; %bb.96:
	v_add_co_u32 v64, vcc_lo, v68, v16
	v_add_co_ci_u32_e64 v65, null, v69, v17, vcc_lo
	global_load_dword v64, v[64:65], off
	s_waitcnt vmcnt(0)
	v_mul_f32_e32 v64, s15, v64
	s_branch .LBB100_98
.LBB100_97:
	v_mov_b32_e32 v64, 0
.LBB100_98:
	v_add_f32_e32 v62, v62, v63
	v_add_co_u32 v16, vcc_lo, v66, v16
	v_add_co_ci_u32_e64 v17, null, v67, v17, vcc_lo
	v_add_f32_e32 v62, v62, v64
	global_store_dword v[16:17], v62, off
	s_or_b32 exec_lo, exec_lo, s12
	s_and_b32 s18, s2, s8
	s_and_saveexec_b32 s12, s18
	s_cbranch_execz .LBB100_86
.LBB100_99:
	v_cmp_ne_u32_e32 vcc_lo, 1, v70
	v_lshlrev_b64 v[16:17], 2, v[4:5]
	s_cbranch_vccnz .LBB100_101
; %bb.100:
	v_add_co_u32 v62, vcc_lo, v68, v16
	v_add_co_ci_u32_e64 v63, null, v69, v17, vcc_lo
	global_load_dword v62, v[62:63], off
	s_waitcnt vmcnt(0)
	v_mul_f32_e32 v62, s15, v62
	s_branch .LBB100_102
.LBB100_101:
	v_mov_b32_e32 v62, 0
.LBB100_102:
	v_add_f32_e32 v60, v60, v61
	v_add_co_u32 v16, vcc_lo, v66, v16
	v_add_co_ci_u32_e64 v17, null, v67, v17, vcc_lo
	v_add_f32_e32 v60, v60, v62
	global_store_dword v[16:17], v60, off
	s_or_b32 exec_lo, exec_lo, s12
	s_and_b32 s18, s3, s8
	s_and_saveexec_b32 s12, s18
	s_cbranch_execz .LBB100_87
.LBB100_103:
	v_cmp_ne_u32_e32 vcc_lo, 1, v70
	v_lshlrev_b64 v[16:17], 2, v[6:7]
	s_cbranch_vccnz .LBB100_105
; %bb.104:
	v_add_co_u32 v60, vcc_lo, v68, v16
	v_add_co_ci_u32_e64 v61, null, v69, v17, vcc_lo
	global_load_dword v60, v[60:61], off
	s_waitcnt vmcnt(0)
	v_mul_f32_e32 v60, s15, v60
	s_branch .LBB100_106
.LBB100_105:
	v_mov_b32_e32 v60, 0
.LBB100_106:
	v_add_f32_e32 v58, v58, v59
	v_add_co_u32 v16, vcc_lo, v66, v16
	v_add_co_ci_u32_e64 v17, null, v67, v17, vcc_lo
	v_add_f32_e32 v58, v58, v60
	global_store_dword v[16:17], v58, off
	s_or_b32 exec_lo, exec_lo, s12
	s_and_b32 s18, s4, s8
	s_and_saveexec_b32 s12, s18
	s_cbranch_execz .LBB100_88
.LBB100_107:
	v_cmp_ne_u32_e32 vcc_lo, 1, v70
	v_lshlrev_b64 v[16:17], 2, v[8:9]
	s_cbranch_vccnz .LBB100_109
; %bb.108:
	v_add_co_u32 v58, vcc_lo, v68, v16
	v_add_co_ci_u32_e64 v59, null, v69, v17, vcc_lo
	global_load_dword v58, v[58:59], off
	s_waitcnt vmcnt(0)
	v_mul_f32_e32 v58, s15, v58
	s_branch .LBB100_110
.LBB100_109:
	v_mov_b32_e32 v58, 0
.LBB100_110:
	v_add_f32_e32 v56, v56, v57
	v_add_co_u32 v16, vcc_lo, v66, v16
	v_add_co_ci_u32_e64 v17, null, v67, v17, vcc_lo
	v_add_f32_e32 v56, v56, v58
	global_store_dword v[16:17], v56, off
	s_or_b32 exec_lo, exec_lo, s12
	s_and_b32 s18, s5, s8
	s_and_saveexec_b32 s12, s18
	s_cbranch_execz .LBB100_89
.LBB100_111:
	v_cmp_ne_u32_e32 vcc_lo, 1, v70
	v_lshlrev_b64 v[16:17], 2, v[10:11]
	s_cbranch_vccnz .LBB100_113
; %bb.112:
	v_add_co_u32 v56, vcc_lo, v68, v16
	v_add_co_ci_u32_e64 v57, null, v69, v17, vcc_lo
	global_load_dword v56, v[56:57], off
	s_waitcnt vmcnt(0)
	v_mul_f32_e32 v56, s15, v56
	s_branch .LBB100_114
.LBB100_113:
	v_mov_b32_e32 v56, 0
.LBB100_114:
	v_add_f32_e32 v54, v54, v55
	v_add_co_u32 v16, vcc_lo, v66, v16
	v_add_co_ci_u32_e64 v17, null, v67, v17, vcc_lo
	v_add_f32_e32 v54, v54, v56
	global_store_dword v[16:17], v54, off
	s_or_b32 exec_lo, exec_lo, s12
	s_and_b32 s18, s6, s8
	s_and_saveexec_b32 s12, s18
	s_cbranch_execz .LBB100_90
.LBB100_115:
	v_cmp_ne_u32_e32 vcc_lo, 1, v70
	v_lshlrev_b64 v[16:17], 2, v[12:13]
	s_cbranch_vccnz .LBB100_117
; %bb.116:
	v_add_co_u32 v54, vcc_lo, v68, v16
	v_add_co_ci_u32_e64 v55, null, v69, v17, vcc_lo
	global_load_dword v54, v[54:55], off
	s_waitcnt vmcnt(0)
	v_mul_f32_e32 v54, s15, v54
	s_branch .LBB100_118
.LBB100_117:
	v_mov_b32_e32 v54, 0
.LBB100_118:
	v_add_f32_e32 v52, v52, v53
	v_add_co_u32 v16, vcc_lo, v66, v16
	v_add_co_ci_u32_e64 v17, null, v67, v17, vcc_lo
	v_add_f32_e32 v52, v52, v54
	global_store_dword v[16:17], v52, off
	s_or_b32 exec_lo, exec_lo, s12
	s_and_b32 s12, s7, s8
	s_and_saveexec_b32 s8, s12
	s_cbranch_execz .LBB100_123
.LBB100_119:
	v_cmp_ne_u32_e32 vcc_lo, 1, v70
	v_lshlrev_b64 v[16:17], 2, v[14:15]
	s_cbranch_vccnz .LBB100_121
; %bb.120:
	v_add_co_u32 v52, vcc_lo, v68, v16
	v_add_co_ci_u32_e64 v53, null, v69, v17, vcc_lo
	global_load_dword v52, v[52:53], off
	s_waitcnt vmcnt(0)
	v_mul_f32_e32 v52, s15, v52
	s_branch .LBB100_122
.LBB100_121:
	v_mov_b32_e32 v52, 0
.LBB100_122:
	v_add_f32_e32 v50, v50, v51
	v_add_co_u32 v16, vcc_lo, v66, v16
	v_add_co_ci_u32_e64 v17, null, v67, v17, vcc_lo
	v_add_f32_e32 v50, v50, v52
	global_store_dword v[16:17], v50, off
.LBB100_123:
	s_or_b32 exec_lo, exec_lo, s8
	v_add_nc_u32_e32 v52, 64, v71
	v_mad_i64_i32 v[16:17], null, v52, s14, 0
	v_mad_i64_i32 v[50:51], null, v52, s9, 0
	v_cmp_gt_i32_e64 s8, s13, v52
	v_lshlrev_b64 v[16:17], 2, v[16:17]
	s_and_b32 s18, s0, s8
	v_lshlrev_b64 v[50:51], 2, v[50:51]
	v_add_co_u32 v52, vcc_lo, s16, v16
	v_add_co_ci_u32_e64 v53, null, s17, v17, vcc_lo
	v_add_co_u32 v50, vcc_lo, s10, v50
	v_add_co_ci_u32_e64 v51, null, s11, v51, vcc_lo
	s_and_saveexec_b32 s12, s18
	s_cbranch_execnz .LBB100_131
; %bb.124:
	s_or_b32 exec_lo, exec_lo, s12
	s_and_b32 s18, s1, s8
	s_and_saveexec_b32 s12, s18
	s_cbranch_execnz .LBB100_135
.LBB100_125:
	s_or_b32 exec_lo, exec_lo, s12
	s_and_b32 s18, s2, s8
	s_and_saveexec_b32 s12, s18
	s_cbranch_execnz .LBB100_139
.LBB100_126:
	s_or_b32 exec_lo, exec_lo, s12
	s_and_b32 s18, s3, s8
	s_and_saveexec_b32 s12, s18
	s_cbranch_execnz .LBB100_143
.LBB100_127:
	s_or_b32 exec_lo, exec_lo, s12
	s_and_b32 s18, s4, s8
	s_and_saveexec_b32 s12, s18
	s_cbranch_execnz .LBB100_147
.LBB100_128:
	s_or_b32 exec_lo, exec_lo, s12
	s_and_b32 s18, s5, s8
	s_and_saveexec_b32 s12, s18
	s_cbranch_execnz .LBB100_151
.LBB100_129:
	s_or_b32 exec_lo, exec_lo, s12
	s_and_b32 s18, s6, s8
	s_and_saveexec_b32 s12, s18
	s_cbranch_execnz .LBB100_155
.LBB100_130:
	s_or_b32 exec_lo, exec_lo, s12
	s_and_b32 s12, s7, s8
	s_and_saveexec_b32 s8, s12
	s_cbranch_execnz .LBB100_159
	s_branch .LBB100_163
.LBB100_131:
	v_cmp_ne_u32_e32 vcc_lo, 1, v70
	v_lshlrev_b64 v[16:17], 2, v[0:1]
	s_cbranch_vccnz .LBB100_133
; %bb.132:
	v_add_co_u32 v54, vcc_lo, v52, v16
	v_add_co_ci_u32_e64 v55, null, v53, v17, vcc_lo
	global_load_dword v54, v[54:55], off
	s_waitcnt vmcnt(0)
	v_mul_f32_e32 v54, s15, v54
	s_branch .LBB100_134
.LBB100_133:
	v_mov_b32_e32 v54, 0
.LBB100_134:
	v_add_f32_e32 v48, v48, v49
	v_add_co_u32 v16, vcc_lo, v50, v16
	v_add_co_ci_u32_e64 v17, null, v51, v17, vcc_lo
	v_add_f32_e32 v48, v48, v54
	global_store_dword v[16:17], v48, off
	s_or_b32 exec_lo, exec_lo, s12
	s_and_b32 s18, s1, s8
	s_and_saveexec_b32 s12, s18
	s_cbranch_execz .LBB100_125
.LBB100_135:
	v_cmp_ne_u32_e32 vcc_lo, 1, v70
	v_lshlrev_b64 v[16:17], 2, v[2:3]
	s_cbranch_vccnz .LBB100_137
; %bb.136:
	v_add_co_u32 v48, vcc_lo, v52, v16
	v_add_co_ci_u32_e64 v49, null, v53, v17, vcc_lo
	global_load_dword v48, v[48:49], off
	s_waitcnt vmcnt(0)
	v_mul_f32_e32 v48, s15, v48
	s_branch .LBB100_138
.LBB100_137:
	v_mov_b32_e32 v48, 0
.LBB100_138:
	v_add_f32_e32 v46, v46, v47
	v_add_co_u32 v16, vcc_lo, v50, v16
	v_add_co_ci_u32_e64 v17, null, v51, v17, vcc_lo
	v_add_f32_e32 v46, v46, v48
	global_store_dword v[16:17], v46, off
	s_or_b32 exec_lo, exec_lo, s12
	s_and_b32 s18, s2, s8
	s_and_saveexec_b32 s12, s18
	s_cbranch_execz .LBB100_126
.LBB100_139:
	v_cmp_ne_u32_e32 vcc_lo, 1, v70
	v_lshlrev_b64 v[16:17], 2, v[4:5]
	s_cbranch_vccnz .LBB100_141
; %bb.140:
	v_add_co_u32 v46, vcc_lo, v52, v16
	v_add_co_ci_u32_e64 v47, null, v53, v17, vcc_lo
	global_load_dword v46, v[46:47], off
	s_waitcnt vmcnt(0)
	v_mul_f32_e32 v46, s15, v46
	s_branch .LBB100_142
.LBB100_141:
	v_mov_b32_e32 v46, 0
.LBB100_142:
	v_add_f32_e32 v44, v44, v45
	v_add_co_u32 v16, vcc_lo, v50, v16
	v_add_co_ci_u32_e64 v17, null, v51, v17, vcc_lo
	v_add_f32_e32 v44, v44, v46
	global_store_dword v[16:17], v44, off
	s_or_b32 exec_lo, exec_lo, s12
	s_and_b32 s18, s3, s8
	s_and_saveexec_b32 s12, s18
	s_cbranch_execz .LBB100_127
.LBB100_143:
	v_cmp_ne_u32_e32 vcc_lo, 1, v70
	v_lshlrev_b64 v[16:17], 2, v[6:7]
	s_cbranch_vccnz .LBB100_145
; %bb.144:
	v_add_co_u32 v44, vcc_lo, v52, v16
	v_add_co_ci_u32_e64 v45, null, v53, v17, vcc_lo
	global_load_dword v44, v[44:45], off
	s_waitcnt vmcnt(0)
	v_mul_f32_e32 v44, s15, v44
	s_branch .LBB100_146
.LBB100_145:
	v_mov_b32_e32 v44, 0
.LBB100_146:
	v_add_f32_e32 v42, v42, v43
	v_add_co_u32 v16, vcc_lo, v50, v16
	v_add_co_ci_u32_e64 v17, null, v51, v17, vcc_lo
	v_add_f32_e32 v42, v42, v44
	global_store_dword v[16:17], v42, off
	s_or_b32 exec_lo, exec_lo, s12
	s_and_b32 s18, s4, s8
	s_and_saveexec_b32 s12, s18
	s_cbranch_execz .LBB100_128
.LBB100_147:
	v_cmp_ne_u32_e32 vcc_lo, 1, v70
	v_lshlrev_b64 v[16:17], 2, v[8:9]
	s_cbranch_vccnz .LBB100_149
; %bb.148:
	v_add_co_u32 v42, vcc_lo, v52, v16
	v_add_co_ci_u32_e64 v43, null, v53, v17, vcc_lo
	global_load_dword v42, v[42:43], off
	s_waitcnt vmcnt(0)
	v_mul_f32_e32 v42, s15, v42
	s_branch .LBB100_150
.LBB100_149:
	v_mov_b32_e32 v42, 0
.LBB100_150:
	v_add_f32_e32 v40, v40, v41
	v_add_co_u32 v16, vcc_lo, v50, v16
	v_add_co_ci_u32_e64 v17, null, v51, v17, vcc_lo
	v_add_f32_e32 v40, v40, v42
	global_store_dword v[16:17], v40, off
	s_or_b32 exec_lo, exec_lo, s12
	s_and_b32 s18, s5, s8
	s_and_saveexec_b32 s12, s18
	s_cbranch_execz .LBB100_129
.LBB100_151:
	v_cmp_ne_u32_e32 vcc_lo, 1, v70
	v_lshlrev_b64 v[16:17], 2, v[10:11]
	s_cbranch_vccnz .LBB100_153
; %bb.152:
	v_add_co_u32 v40, vcc_lo, v52, v16
	v_add_co_ci_u32_e64 v41, null, v53, v17, vcc_lo
	global_load_dword v40, v[40:41], off
	s_waitcnt vmcnt(0)
	v_mul_f32_e32 v40, s15, v40
	s_branch .LBB100_154
.LBB100_153:
	v_mov_b32_e32 v40, 0
.LBB100_154:
	v_add_f32_e32 v38, v38, v39
	v_add_co_u32 v16, vcc_lo, v50, v16
	v_add_co_ci_u32_e64 v17, null, v51, v17, vcc_lo
	v_add_f32_e32 v38, v38, v40
	global_store_dword v[16:17], v38, off
	s_or_b32 exec_lo, exec_lo, s12
	s_and_b32 s18, s6, s8
	s_and_saveexec_b32 s12, s18
	s_cbranch_execz .LBB100_130
.LBB100_155:
	v_cmp_ne_u32_e32 vcc_lo, 1, v70
	v_lshlrev_b64 v[16:17], 2, v[12:13]
	s_cbranch_vccnz .LBB100_157
; %bb.156:
	v_add_co_u32 v38, vcc_lo, v52, v16
	v_add_co_ci_u32_e64 v39, null, v53, v17, vcc_lo
	global_load_dword v38, v[38:39], off
	s_waitcnt vmcnt(0)
	v_mul_f32_e32 v38, s15, v38
	s_branch .LBB100_158
.LBB100_157:
	v_mov_b32_e32 v38, 0
.LBB100_158:
	v_add_f32_e32 v36, v36, v37
	v_add_co_u32 v16, vcc_lo, v50, v16
	v_add_co_ci_u32_e64 v17, null, v51, v17, vcc_lo
	v_add_f32_e32 v36, v36, v38
	global_store_dword v[16:17], v36, off
	s_or_b32 exec_lo, exec_lo, s12
	s_and_b32 s12, s7, s8
	s_and_saveexec_b32 s8, s12
	s_cbranch_execz .LBB100_163
.LBB100_159:
	v_cmp_ne_u32_e32 vcc_lo, 1, v70
	v_lshlrev_b64 v[16:17], 2, v[14:15]
	s_cbranch_vccnz .LBB100_161
; %bb.160:
	v_add_co_u32 v36, vcc_lo, v52, v16
	v_add_co_ci_u32_e64 v37, null, v53, v17, vcc_lo
	global_load_dword v36, v[36:37], off
	s_waitcnt vmcnt(0)
	v_mul_f32_e32 v36, s15, v36
	s_branch .LBB100_162
.LBB100_161:
	v_mov_b32_e32 v36, 0
.LBB100_162:
	v_add_f32_e32 v34, v34, v35
	v_add_co_u32 v16, vcc_lo, v50, v16
	v_add_co_ci_u32_e64 v17, null, v51, v17, vcc_lo
	v_add_f32_e32 v34, v34, v36
	global_store_dword v[16:17], v34, off
.LBB100_163:
	s_or_b32 exec_lo, exec_lo, s8
	v_add_nc_u32_e32 v36, 0x60, v71
	v_mad_i64_i32 v[16:17], null, v36, s14, 0
	v_mad_i64_i32 v[34:35], null, v36, s9, 0
	v_cmp_gt_i32_e64 s8, s13, v36
	v_lshlrev_b64 v[16:17], 2, v[16:17]
	s_and_b32 s9, s0, s8
	v_lshlrev_b64 v[36:37], 2, v[34:35]
	v_add_co_u32 v34, vcc_lo, s16, v16
	v_add_co_ci_u32_e64 v35, null, s17, v17, vcc_lo
	v_add_co_u32 v16, vcc_lo, s10, v36
	v_add_co_ci_u32_e64 v17, null, s11, v37, vcc_lo
	s_and_saveexec_b32 s0, s9
	s_cbranch_execnz .LBB100_172
; %bb.164:
	s_or_b32 exec_lo, exec_lo, s0
	s_and_b32 s1, s1, s8
	s_and_saveexec_b32 s0, s1
	s_cbranch_execnz .LBB100_176
.LBB100_165:
	s_or_b32 exec_lo, exec_lo, s0
	s_and_b32 s1, s2, s8
	s_and_saveexec_b32 s0, s1
	s_cbranch_execnz .LBB100_180
.LBB100_166:
	s_or_b32 exec_lo, exec_lo, s0
	s_and_b32 s1, s3, s8
	s_and_saveexec_b32 s0, s1
	s_cbranch_execnz .LBB100_184
.LBB100_167:
	s_or_b32 exec_lo, exec_lo, s0
	s_and_b32 s1, s4, s8
	s_and_saveexec_b32 s0, s1
	s_cbranch_execnz .LBB100_188
.LBB100_168:
	s_or_b32 exec_lo, exec_lo, s0
	s_and_b32 s1, s5, s8
	s_and_saveexec_b32 s0, s1
	s_cbranch_execnz .LBB100_192
.LBB100_169:
	s_or_b32 exec_lo, exec_lo, s0
	s_and_b32 s1, s6, s8
	s_and_saveexec_b32 s0, s1
	s_cbranch_execnz .LBB100_196
.LBB100_170:
	s_or_b32 exec_lo, exec_lo, s0
	s_and_b32 s0, s7, s8
	s_and_saveexec_b32 s1, s0
	s_cbranch_execnz .LBB100_200
.LBB100_171:
	s_endpgm
.LBB100_172:
	v_cmp_ne_u32_e32 vcc_lo, 1, v70
	v_lshlrev_b64 v[0:1], 2, v[0:1]
	s_cbranch_vccnz .LBB100_174
; %bb.173:
	v_add_co_u32 v36, vcc_lo, v34, v0
	v_add_co_ci_u32_e64 v37, null, v35, v1, vcc_lo
	global_load_dword v36, v[36:37], off
	s_waitcnt vmcnt(0)
	v_mul_f32_e32 v36, s15, v36
	s_branch .LBB100_175
.LBB100_174:
	v_mov_b32_e32 v36, 0
.LBB100_175:
	v_add_f32_e32 v32, v32, v33
	v_add_co_u32 v0, vcc_lo, v16, v0
	v_add_co_ci_u32_e64 v1, null, v17, v1, vcc_lo
	v_add_f32_e32 v32, v32, v36
	global_store_dword v[0:1], v32, off
	s_or_b32 exec_lo, exec_lo, s0
	s_and_b32 s1, s1, s8
	s_and_saveexec_b32 s0, s1
	s_cbranch_execz .LBB100_165
.LBB100_176:
	v_cmp_ne_u32_e32 vcc_lo, 1, v70
	v_lshlrev_b64 v[0:1], 2, v[2:3]
	s_cbranch_vccnz .LBB100_178
; %bb.177:
	v_add_co_u32 v2, vcc_lo, v34, v0
	v_add_co_ci_u32_e64 v3, null, v35, v1, vcc_lo
	global_load_dword v2, v[2:3], off
	s_waitcnt vmcnt(0)
	v_mul_f32_e32 v2, s15, v2
	s_branch .LBB100_179
.LBB100_178:
	v_mov_b32_e32 v2, 0
.LBB100_179:
	v_add_f32_e32 v3, v30, v31
	v_add_co_u32 v0, vcc_lo, v16, v0
	v_add_co_ci_u32_e64 v1, null, v17, v1, vcc_lo
	v_add_f32_e32 v2, v3, v2
	global_store_dword v[0:1], v2, off
	s_or_b32 exec_lo, exec_lo, s0
	s_and_b32 s1, s2, s8
	s_and_saveexec_b32 s0, s1
	s_cbranch_execz .LBB100_166
.LBB100_180:
	v_cmp_ne_u32_e32 vcc_lo, 1, v70
	v_lshlrev_b64 v[0:1], 2, v[4:5]
	s_cbranch_vccnz .LBB100_182
; %bb.181:
	v_add_co_u32 v2, vcc_lo, v34, v0
	v_add_co_ci_u32_e64 v3, null, v35, v1, vcc_lo
	global_load_dword v2, v[2:3], off
	s_waitcnt vmcnt(0)
	v_mul_f32_e32 v2, s15, v2
	s_branch .LBB100_183
.LBB100_182:
	v_mov_b32_e32 v2, 0
.LBB100_183:
	v_add_f32_e32 v3, v28, v29
	v_add_co_u32 v0, vcc_lo, v16, v0
	v_add_co_ci_u32_e64 v1, null, v17, v1, vcc_lo
	v_add_f32_e32 v2, v3, v2
	global_store_dword v[0:1], v2, off
	s_or_b32 exec_lo, exec_lo, s0
	s_and_b32 s1, s3, s8
	s_and_saveexec_b32 s0, s1
	s_cbranch_execz .LBB100_167
.LBB100_184:
	v_cmp_ne_u32_e32 vcc_lo, 1, v70
	v_lshlrev_b64 v[0:1], 2, v[6:7]
	s_cbranch_vccnz .LBB100_186
; %bb.185:
	v_add_co_u32 v2, vcc_lo, v34, v0
	v_add_co_ci_u32_e64 v3, null, v35, v1, vcc_lo
	global_load_dword v2, v[2:3], off
	s_waitcnt vmcnt(0)
	v_mul_f32_e32 v2, s15, v2
	s_branch .LBB100_187
.LBB100_186:
	v_mov_b32_e32 v2, 0
.LBB100_187:
	v_add_f32_e32 v3, v26, v27
	v_add_co_u32 v0, vcc_lo, v16, v0
	v_add_co_ci_u32_e64 v1, null, v17, v1, vcc_lo
	v_add_f32_e32 v2, v3, v2
	global_store_dword v[0:1], v2, off
	s_or_b32 exec_lo, exec_lo, s0
	s_and_b32 s1, s4, s8
	s_and_saveexec_b32 s0, s1
	s_cbranch_execz .LBB100_168
.LBB100_188:
	v_cmp_ne_u32_e32 vcc_lo, 1, v70
	v_lshlrev_b64 v[0:1], 2, v[8:9]
	s_cbranch_vccnz .LBB100_190
; %bb.189:
	v_add_co_u32 v2, vcc_lo, v34, v0
	v_add_co_ci_u32_e64 v3, null, v35, v1, vcc_lo
	global_load_dword v2, v[2:3], off
	s_waitcnt vmcnt(0)
	v_mul_f32_e32 v2, s15, v2
	s_branch .LBB100_191
.LBB100_190:
	v_mov_b32_e32 v2, 0
.LBB100_191:
	v_add_f32_e32 v3, v24, v25
	v_add_co_u32 v0, vcc_lo, v16, v0
	v_add_co_ci_u32_e64 v1, null, v17, v1, vcc_lo
	v_add_f32_e32 v2, v3, v2
	global_store_dword v[0:1], v2, off
	s_or_b32 exec_lo, exec_lo, s0
	s_and_b32 s1, s5, s8
	s_and_saveexec_b32 s0, s1
	s_cbranch_execz .LBB100_169
.LBB100_192:
	v_cmp_ne_u32_e32 vcc_lo, 1, v70
	v_lshlrev_b64 v[0:1], 2, v[10:11]
	s_cbranch_vccnz .LBB100_194
; %bb.193:
	v_add_co_u32 v2, vcc_lo, v34, v0
	v_add_co_ci_u32_e64 v3, null, v35, v1, vcc_lo
	global_load_dword v2, v[2:3], off
	s_waitcnt vmcnt(0)
	v_mul_f32_e32 v2, s15, v2
	s_branch .LBB100_195
.LBB100_194:
	v_mov_b32_e32 v2, 0
.LBB100_195:
	v_add_f32_e32 v3, v22, v23
	v_add_co_u32 v0, vcc_lo, v16, v0
	v_add_co_ci_u32_e64 v1, null, v17, v1, vcc_lo
	v_add_f32_e32 v2, v3, v2
	global_store_dword v[0:1], v2, off
	s_or_b32 exec_lo, exec_lo, s0
	s_and_b32 s1, s6, s8
	s_and_saveexec_b32 s0, s1
	s_cbranch_execz .LBB100_170
.LBB100_196:
	v_cmp_ne_u32_e32 vcc_lo, 1, v70
	v_lshlrev_b64 v[0:1], 2, v[12:13]
	s_cbranch_vccnz .LBB100_198
; %bb.197:
	v_add_co_u32 v2, vcc_lo, v34, v0
	v_add_co_ci_u32_e64 v3, null, v35, v1, vcc_lo
	global_load_dword v2, v[2:3], off
	s_waitcnt vmcnt(0)
	v_mul_f32_e32 v2, s15, v2
	s_branch .LBB100_199
.LBB100_198:
	v_mov_b32_e32 v2, 0
.LBB100_199:
	v_add_f32_e32 v3, v20, v21
	v_add_co_u32 v0, vcc_lo, v16, v0
	v_add_co_ci_u32_e64 v1, null, v17, v1, vcc_lo
	v_add_f32_e32 v2, v3, v2
	global_store_dword v[0:1], v2, off
	s_or_b32 exec_lo, exec_lo, s0
	s_and_b32 s0, s7, s8
	s_and_saveexec_b32 s1, s0
	s_cbranch_execz .LBB100_171
.LBB100_200:
	v_cmp_ne_u32_e32 vcc_lo, 1, v70
	v_lshlrev_b64 v[0:1], 2, v[14:15]
	s_cbranch_vccnz .LBB100_202
; %bb.201:
	v_add_co_u32 v2, vcc_lo, v34, v0
	v_add_co_ci_u32_e64 v3, null, v35, v1, vcc_lo
	global_load_dword v2, v[2:3], off
	s_waitcnt vmcnt(0)
	v_mul_f32_e32 v2, s15, v2
	s_branch .LBB100_203
.LBB100_202:
	v_mov_b32_e32 v2, 0
.LBB100_203:
	v_add_f32_e32 v3, v18, v19
	v_add_co_u32 v0, vcc_lo, v16, v0
	v_add_co_ci_u32_e64 v1, null, v17, v1, vcc_lo
	v_add_f32_e32 v2, v3, v2
	global_store_dword v[0:1], v2, off
	s_endpgm
	.section	.rodata,"a",@progbits
	.p2align	6, 0x0
	.amdhsa_kernel _ZN12_GLOBAL__N_120geam_min_plus_kernelIf15HIP_vector_typeIfLj2EES2_Li8ELi32ELi64ELi128ELi4ELi4ELi64ELi64ELi4ELc84ELc84ELb1ELb1ELb0EfKffEEviiiT16_PT17_ilS6_ilS4_S6_ilPT18_ili26rocblas_geam_ex_operation_
		.amdhsa_group_segment_fixed_size 6144
		.amdhsa_private_segment_fixed_size 0
		.amdhsa_kernarg_size 128
		.amdhsa_user_sgpr_count 6
		.amdhsa_user_sgpr_private_segment_buffer 1
		.amdhsa_user_sgpr_dispatch_ptr 0
		.amdhsa_user_sgpr_queue_ptr 0
		.amdhsa_user_sgpr_kernarg_segment_ptr 1
		.amdhsa_user_sgpr_dispatch_id 0
		.amdhsa_user_sgpr_flat_scratch_init 0
		.amdhsa_user_sgpr_private_segment_size 0
		.amdhsa_wavefront_size32 1
		.amdhsa_uses_dynamic_stack 0
		.amdhsa_system_sgpr_private_segment_wavefront_offset 0
		.amdhsa_system_sgpr_workgroup_id_x 1
		.amdhsa_system_sgpr_workgroup_id_y 0
		.amdhsa_system_sgpr_workgroup_id_z 1
		.amdhsa_system_sgpr_workgroup_info 0
		.amdhsa_system_vgpr_workitem_id 1
		.amdhsa_next_free_vgpr 111
		.amdhsa_next_free_sgpr 26
		.amdhsa_reserve_vcc 1
		.amdhsa_reserve_flat_scratch 0
		.amdhsa_float_round_mode_32 0
		.amdhsa_float_round_mode_16_64 0
		.amdhsa_float_denorm_mode_32 3
		.amdhsa_float_denorm_mode_16_64 3
		.amdhsa_dx10_clamp 1
		.amdhsa_ieee_mode 1
		.amdhsa_fp16_overflow 0
		.amdhsa_workgroup_processor_mode 1
		.amdhsa_memory_ordered 1
		.amdhsa_forward_progress 1
		.amdhsa_shared_vgpr_count 0
		.amdhsa_exception_fp_ieee_invalid_op 0
		.amdhsa_exception_fp_denorm_src 0
		.amdhsa_exception_fp_ieee_div_zero 0
		.amdhsa_exception_fp_ieee_overflow 0
		.amdhsa_exception_fp_ieee_underflow 0
		.amdhsa_exception_fp_ieee_inexact 0
		.amdhsa_exception_int_div_zero 0
	.end_amdhsa_kernel
	.section	.text._ZN12_GLOBAL__N_120geam_min_plus_kernelIf15HIP_vector_typeIfLj2EES2_Li8ELi32ELi64ELi128ELi4ELi4ELi64ELi64ELi4ELc84ELc84ELb1ELb1ELb0EfKffEEviiiT16_PT17_ilS6_ilS4_S6_ilPT18_ili26rocblas_geam_ex_operation_,"axG",@progbits,_ZN12_GLOBAL__N_120geam_min_plus_kernelIf15HIP_vector_typeIfLj2EES2_Li8ELi32ELi64ELi128ELi4ELi4ELi64ELi64ELi4ELc84ELc84ELb1ELb1ELb0EfKffEEviiiT16_PT17_ilS6_ilS4_S6_ilPT18_ili26rocblas_geam_ex_operation_,comdat
.Lfunc_end100:
	.size	_ZN12_GLOBAL__N_120geam_min_plus_kernelIf15HIP_vector_typeIfLj2EES2_Li8ELi32ELi64ELi128ELi4ELi4ELi64ELi64ELi4ELc84ELc84ELb1ELb1ELb0EfKffEEviiiT16_PT17_ilS6_ilS4_S6_ilPT18_ili26rocblas_geam_ex_operation_, .Lfunc_end100-_ZN12_GLOBAL__N_120geam_min_plus_kernelIf15HIP_vector_typeIfLj2EES2_Li8ELi32ELi64ELi128ELi4ELi4ELi64ELi64ELi4ELc84ELc84ELb1ELb1ELb0EfKffEEviiiT16_PT17_ilS6_ilS4_S6_ilPT18_ili26rocblas_geam_ex_operation_
                                        ; -- End function
	.set _ZN12_GLOBAL__N_120geam_min_plus_kernelIf15HIP_vector_typeIfLj2EES2_Li8ELi32ELi64ELi128ELi4ELi4ELi64ELi64ELi4ELc84ELc84ELb1ELb1ELb0EfKffEEviiiT16_PT17_ilS6_ilS4_S6_ilPT18_ili26rocblas_geam_ex_operation_.num_vgpr, 111
	.set _ZN12_GLOBAL__N_120geam_min_plus_kernelIf15HIP_vector_typeIfLj2EES2_Li8ELi32ELi64ELi128ELi4ELi4ELi64ELi64ELi4ELc84ELc84ELb1ELb1ELb0EfKffEEviiiT16_PT17_ilS6_ilS4_S6_ilPT18_ili26rocblas_geam_ex_operation_.num_agpr, 0
	.set _ZN12_GLOBAL__N_120geam_min_plus_kernelIf15HIP_vector_typeIfLj2EES2_Li8ELi32ELi64ELi128ELi4ELi4ELi64ELi64ELi4ELc84ELc84ELb1ELb1ELb0EfKffEEviiiT16_PT17_ilS6_ilS4_S6_ilPT18_ili26rocblas_geam_ex_operation_.numbered_sgpr, 26
	.set _ZN12_GLOBAL__N_120geam_min_plus_kernelIf15HIP_vector_typeIfLj2EES2_Li8ELi32ELi64ELi128ELi4ELi4ELi64ELi64ELi4ELc84ELc84ELb1ELb1ELb0EfKffEEviiiT16_PT17_ilS6_ilS4_S6_ilPT18_ili26rocblas_geam_ex_operation_.num_named_barrier, 0
	.set _ZN12_GLOBAL__N_120geam_min_plus_kernelIf15HIP_vector_typeIfLj2EES2_Li8ELi32ELi64ELi128ELi4ELi4ELi64ELi64ELi4ELc84ELc84ELb1ELb1ELb0EfKffEEviiiT16_PT17_ilS6_ilS4_S6_ilPT18_ili26rocblas_geam_ex_operation_.private_seg_size, 0
	.set _ZN12_GLOBAL__N_120geam_min_plus_kernelIf15HIP_vector_typeIfLj2EES2_Li8ELi32ELi64ELi128ELi4ELi4ELi64ELi64ELi4ELc84ELc84ELb1ELb1ELb0EfKffEEviiiT16_PT17_ilS6_ilS4_S6_ilPT18_ili26rocblas_geam_ex_operation_.uses_vcc, 1
	.set _ZN12_GLOBAL__N_120geam_min_plus_kernelIf15HIP_vector_typeIfLj2EES2_Li8ELi32ELi64ELi128ELi4ELi4ELi64ELi64ELi4ELc84ELc84ELb1ELb1ELb0EfKffEEviiiT16_PT17_ilS6_ilS4_S6_ilPT18_ili26rocblas_geam_ex_operation_.uses_flat_scratch, 0
	.set _ZN12_GLOBAL__N_120geam_min_plus_kernelIf15HIP_vector_typeIfLj2EES2_Li8ELi32ELi64ELi128ELi4ELi4ELi64ELi64ELi4ELc84ELc84ELb1ELb1ELb0EfKffEEviiiT16_PT17_ilS6_ilS4_S6_ilPT18_ili26rocblas_geam_ex_operation_.has_dyn_sized_stack, 0
	.set _ZN12_GLOBAL__N_120geam_min_plus_kernelIf15HIP_vector_typeIfLj2EES2_Li8ELi32ELi64ELi128ELi4ELi4ELi64ELi64ELi4ELc84ELc84ELb1ELb1ELb0EfKffEEviiiT16_PT17_ilS6_ilS4_S6_ilPT18_ili26rocblas_geam_ex_operation_.has_recursion, 0
	.set _ZN12_GLOBAL__N_120geam_min_plus_kernelIf15HIP_vector_typeIfLj2EES2_Li8ELi32ELi64ELi128ELi4ELi4ELi64ELi64ELi4ELc84ELc84ELb1ELb1ELb0EfKffEEviiiT16_PT17_ilS6_ilS4_S6_ilPT18_ili26rocblas_geam_ex_operation_.has_indirect_call, 0
	.section	.AMDGPU.csdata,"",@progbits
; Kernel info:
; codeLenInByte = 8920
; TotalNumSgprs: 28
; NumVgprs: 111
; ScratchSize: 0
; MemoryBound: 0
; FloatMode: 240
; IeeeMode: 1
; LDSByteSize: 6144 bytes/workgroup (compile time only)
; SGPRBlocks: 0
; VGPRBlocks: 13
; NumSGPRsForWavesPerEU: 28
; NumVGPRsForWavesPerEU: 111
; Occupancy: 9
; WaveLimiterHint : 0
; COMPUTE_PGM_RSRC2:SCRATCH_EN: 0
; COMPUTE_PGM_RSRC2:USER_SGPR: 6
; COMPUTE_PGM_RSRC2:TRAP_HANDLER: 0
; COMPUTE_PGM_RSRC2:TGID_X_EN: 1
; COMPUTE_PGM_RSRC2:TGID_Y_EN: 0
; COMPUTE_PGM_RSRC2:TGID_Z_EN: 1
; COMPUTE_PGM_RSRC2:TIDIG_COMP_CNT: 1
	.section	.text._ZN12_GLOBAL__N_120geam_min_plus_kernelIf15HIP_vector_typeIfLj2EES2_Li8ELi32ELi64ELi128ELi4ELi4ELi64ELi64ELi4ELc84ELc84ELb0ELb1ELb0EfKffEEviiiT16_PT17_ilS6_ilS4_S6_ilPT18_ili26rocblas_geam_ex_operation_,"axG",@progbits,_ZN12_GLOBAL__N_120geam_min_plus_kernelIf15HIP_vector_typeIfLj2EES2_Li8ELi32ELi64ELi128ELi4ELi4ELi64ELi64ELi4ELc84ELc84ELb0ELb1ELb0EfKffEEviiiT16_PT17_ilS6_ilS4_S6_ilPT18_ili26rocblas_geam_ex_operation_,comdat
	.globl	_ZN12_GLOBAL__N_120geam_min_plus_kernelIf15HIP_vector_typeIfLj2EES2_Li8ELi32ELi64ELi128ELi4ELi4ELi64ELi64ELi4ELc84ELc84ELb0ELb1ELb0EfKffEEviiiT16_PT17_ilS6_ilS4_S6_ilPT18_ili26rocblas_geam_ex_operation_ ; -- Begin function _ZN12_GLOBAL__N_120geam_min_plus_kernelIf15HIP_vector_typeIfLj2EES2_Li8ELi32ELi64ELi128ELi4ELi4ELi64ELi64ELi4ELc84ELc84ELb0ELb1ELb0EfKffEEviiiT16_PT17_ilS6_ilS4_S6_ilPT18_ili26rocblas_geam_ex_operation_
	.p2align	8
	.type	_ZN12_GLOBAL__N_120geam_min_plus_kernelIf15HIP_vector_typeIfLj2EES2_Li8ELi32ELi64ELi128ELi4ELi4ELi64ELi64ELi4ELc84ELc84ELb0ELb1ELb0EfKffEEviiiT16_PT17_ilS6_ilS4_S6_ilPT18_ili26rocblas_geam_ex_operation_,@function
_ZN12_GLOBAL__N_120geam_min_plus_kernelIf15HIP_vector_typeIfLj2EES2_Li8ELi32ELi64ELi128ELi4ELi4ELi64ELi64ELi4ELc84ELc84ELb0ELb1ELb0EfKffEEviiiT16_PT17_ilS6_ilS4_S6_ilPT18_ili26rocblas_geam_ex_operation_: ; @_ZN12_GLOBAL__N_120geam_min_plus_kernelIf15HIP_vector_typeIfLj2EES2_Li8ELi32ELi64ELi128ELi4ELi4ELi64ELi64ELi4ELc84ELc84ELb0ELb1ELb0EfKffEEviiiT16_PT17_ilS6_ilS4_S6_ilPT18_ili26rocblas_geam_ex_operation_
; %bb.0:
	s_clause 0x1
	s_load_dwordx4 s[12:15], s[4:5], 0x0
	s_load_dwordx4 s[0:3], s[4:5], 0x20
	s_waitcnt lgkmcnt(0)
	v_cmp_eq_f32_e64 s8, s15, 0
	v_cmp_neq_f32_e64 s24, s15, 0
	s_and_b32 vcc_lo, exec_lo, s8
	s_cbranch_vccnz .LBB101_45
; %bb.1:
	s_load_dwordx2 s[10:11], s[4:5], 0x10
	s_mul_i32 s1, s1, s7
	s_mul_hi_u32 s9, s0, s7
	s_mul_i32 s0, s0, s7
	s_add_i32 s1, s9, s1
	s_lshl_b64 s[0:1], s[0:1], 2
	s_waitcnt lgkmcnt(0)
	s_add_u32 s20, s10, s0
	s_addc_u32 s21, s11, s1
	s_andn2_b32 vcc_lo, exec_lo, s8
	s_mov_b32 s0, -1
	s_cbranch_vccnz .LBB101_3
.LBB101_2:
	s_mov_b32 s0, 0
.LBB101_3:
	s_mov_b64 s[16:17], 0
	s_andn2_b32 vcc_lo, exec_lo, s0
	s_mov_b64 s[18:19], 0
	s_cbranch_vccnz .LBB101_5
; %bb.4:
	s_load_dwordx2 s[0:1], s[4:5], 0x38
	s_waitcnt lgkmcnt(0)
	s_mul_i32 s1, s1, s7
	s_mul_hi_u32 s8, s0, s7
	s_mul_i32 s0, s0, s7
	s_add_i32 s1, s8, s1
	s_lshl_b64 s[0:1], s[0:1], 2
	s_add_u32 s18, s2, s0
	s_addc_u32 s19, s3, s1
.LBB101_5:
	s_clause 0x1
	s_load_dword s22, s[4:5], 0x40
	s_load_dwordx4 s[8:11], s[4:5], 0x58
	s_waitcnt lgkmcnt(0)
	v_cmp_eq_f32_e64 s0, s22, 0
	v_cmp_neq_f32_e64 s23, s22, 0
	s_and_b32 vcc_lo, exec_lo, s0
	s_cbranch_vccnz .LBB101_7
; %bb.6:
	s_load_dwordx2 s[0:1], s[4:5], 0x48
	s_mul_i32 s2, s9, s7
	s_mul_hi_u32 s3, s8, s7
	s_add_i32 s3, s3, s2
	s_mul_i32 s2, s8, s7
	s_lshl_b64 s[2:3], s[2:3], 2
	s_waitcnt lgkmcnt(0)
	s_add_u32 s16, s0, s2
	s_addc_u32 s17, s1, s3
.LBB101_7:
	s_add_i32 s0, s12, -1
	s_load_dword s27, s[4:5], 0x18
	s_ashr_i32 s1, s0, 31
	v_and_b32_e32 v70, 3, v0
	s_lshr_b32 s1, s1, 26
	v_mov_b32_e32 v6, 0
	s_add_i32 s0, s0, s1
	v_mov_b32_e32 v8, 0
	s_ashr_i32 s0, s0, 6
	v_cmp_gt_i32_e32 vcc_lo, s14, v70
	s_add_i32 s2, s0, 1
	s_not_b32 s0, s0
	v_cvt_f32_u32_e32 v2, s2
	v_lshlrev_b32_e32 v9, 2, v70
	v_rcp_iflag_f32_e32 v2, v2
	v_mul_f32_e32 v2, 0x4f7ffffe, v2
	v_cvt_u32_f32_e32 v2, v2
	v_readfirstlane_b32 s1, v2
	v_lshl_add_u32 v2, v1, 3, v0
	s_mul_i32 s0, s0, s1
	v_lshrrev_b32_e32 v7, 2, v2
	s_mul_hi_u32 s0, s1, s0
	s_add_i32 s1, s1, s0
	s_mul_hi_u32 s0, s6, s1
	s_mul_i32 s1, s0, s2
	s_add_i32 s3, s0, 1
	s_sub_i32 s1, s6, s1
	s_sub_i32 s8, s1, s2
	s_cmp_ge_u32 s1, s2
	s_cselect_b32 s0, s3, s0
	s_cselect_b32 s1, s8, s1
	s_add_i32 s3, s0, 1
	s_cmp_ge_u32 s1, s2
	s_cselect_b32 s1, s3, s0
	s_mul_i32 s0, s1, s2
	s_sub_i32 s0, s6, s0
	s_lshl_b32 s6, s0, 6
	v_add_nc_u32_e32 v4, s6, v7
	v_cmp_gt_i32_e64 s0, s12, v4
	s_and_b32 s2, vcc_lo, s0
	s_and_b32 s3, s24, s2
	s_and_saveexec_b32 s2, s3
	s_cbranch_execz .LBB101_9
; %bb.8:
	s_waitcnt lgkmcnt(0)
	v_mad_i64_i32 v[10:11], null, v4, s27, 0
	v_lshlrev_b64 v[10:11], 2, v[10:11]
	v_add_co_u32 v3, vcc_lo, s20, v10
	v_add_co_ci_u32_e64 v5, null, s21, v11, vcc_lo
	v_add_co_u32 v10, vcc_lo, v3, v9
	v_add_co_ci_u32_e64 v11, null, 0, v5, vcc_lo
	global_load_dword v3, v[10:11], off
	s_waitcnt vmcnt(0)
	v_mul_f32_e32 v8, s15, v3
.LBB101_9:
	s_or_b32 exec_lo, exec_lo, s2
	s_load_dword s9, s[4:5], 0x30
	v_lshrrev_b32_e32 v71, 6, v2
	s_add_i32 s25, s14, -1
	v_and_b32_e32 v10, 63, v2
	s_lshl_b32 s8, s1, 7
	s_xor_b32 s26, s24, -1
	v_min_i32_e32 v3, s25, v71
	v_cmp_le_i32_e32 vcc_lo, s14, v71
	v_or_b32_e32 v2, s8, v10
	v_cmp_le_i32_e64 s1, s13, v2
	s_or_b32 s3, s1, vcc_lo
	s_waitcnt lgkmcnt(0)
	v_mad_i64_i32 v[11:12], null, s9, v3, 0
	v_ashrrev_i32_e32 v3, 31, v2
	v_lshlrev_b64 v[12:13], 2, v[11:12]
	v_add_co_u32 v12, s2, s18, v12
	v_add_co_ci_u32_e64 v13, null, s19, v13, s2
	s_nor_b32 s2, s3, s26
	s_and_saveexec_b32 s3, s2
	s_cbranch_execz .LBB101_11
; %bb.10:
	v_lshlrev_b64 v[5:6], 2, v[2:3]
	v_add_co_u32 v5, s2, v12, v5
	v_add_co_ci_u32_e64 v6, null, v13, v6, s2
	global_load_dword v5, v[5:6], off
	s_waitcnt vmcnt(0)
	v_mul_f32_e32 v6, s15, v5
.LBB101_11:
	s_or_b32 exec_lo, exec_lo, s3
	v_or_b32_e32 v5, 64, v2
	v_mov_b32_e32 v11, 0
	v_cmp_le_i32_e64 s2, s13, v5
	v_mov_b32_e32 v5, 0
	s_or_b32 s3, s2, vcc_lo
	s_nor_b32 s28, s3, s26
	s_and_saveexec_b32 s3, s28
	s_cbranch_execz .LBB101_13
; %bb.12:
	v_lshlrev_b64 v[14:15], 2, v[2:3]
	v_add_co_u32 v11, vcc_lo, v12, v14
	v_add_co_ci_u32_e64 v12, null, v13, v15, vcc_lo
	global_load_dword v11, v[11:12], off offset:256
	s_waitcnt vmcnt(0)
	v_mul_f32_e32 v11, s15, v11
.LBB101_13:
	s_or_b32 exec_lo, exec_lo, s3
	v_or_b32_e32 v12, 4, v70
	v_cmp_gt_i32_e32 vcc_lo, s14, v12
	s_and_b32 s3, vcc_lo, s0
	s_and_b32 s28, s24, s3
	s_and_saveexec_b32 s3, s28
	s_cbranch_execz .LBB101_15
; %bb.14:
	v_mad_i64_i32 v[12:13], null, v4, s27, 0
	v_lshlrev_b64 v[12:13], 2, v[12:13]
	v_add_co_u32 v5, vcc_lo, s20, v12
	v_add_co_ci_u32_e64 v13, null, s21, v13, vcc_lo
	v_add_co_u32 v12, vcc_lo, v5, v9
	v_add_co_ci_u32_e64 v13, null, 0, v13, vcc_lo
	global_load_dword v5, v[12:13], off offset:16
	s_waitcnt vmcnt(0)
	v_mul_f32_e32 v5, s15, v5
.LBB101_15:
	s_or_b32 exec_lo, exec_lo, s3
	v_add_nc_u32_e32 v14, 4, v71
	v_mov_b32_e32 v76, 0
	v_mov_b32_e32 v77, 0
	v_min_i32_e32 v12, s25, v14
	v_cmp_le_i32_e32 vcc_lo, s14, v14
	v_mad_i64_i32 v[12:13], null, s9, v12, 0
	v_lshlrev_b64 v[12:13], 2, v[12:13]
	v_add_co_u32 v12, s3, s18, v12
	v_add_co_ci_u32_e64 v13, null, s19, v13, s3
	s_or_b32 s3, s1, vcc_lo
	s_nor_b32 s3, s3, s26
	s_and_saveexec_b32 s28, s3
	s_cbranch_execz .LBB101_17
; %bb.16:
	v_lshlrev_b64 v[14:15], 2, v[2:3]
	v_add_co_u32 v14, s3, v12, v14
	v_add_co_ci_u32_e64 v15, null, v13, v15, s3
	global_load_dword v14, v[14:15], off
	s_waitcnt vmcnt(0)
	v_mul_f32_e32 v77, s15, v14
.LBB101_17:
	s_or_b32 exec_lo, exec_lo, s28
	s_or_b32 s3, s2, vcc_lo
	s_nor_b32 s28, s3, s26
	s_and_saveexec_b32 s3, s28
	s_cbranch_execz .LBB101_19
; %bb.18:
	v_lshlrev_b64 v[14:15], 2, v[2:3]
	v_add_co_u32 v12, vcc_lo, v12, v14
	v_add_co_ci_u32_e64 v13, null, v13, v15, vcc_lo
	global_load_dword v12, v[12:13], off offset:256
	s_waitcnt vmcnt(0)
	v_mul_f32_e32 v76, s15, v12
.LBB101_19:
	s_or_b32 exec_lo, exec_lo, s3
	v_lshlrev_b32_e32 v10, 4, v10
	v_lshl_or_b32 v78, v7, 4, v9
	v_mov_b32_e32 v68, 0
	v_lshl_or_b32 v72, v0, 4, 0x1000
	v_lshlrev_b32_e32 v74, 4, v1
	v_lshl_add_u32 v73, v71, 2, v10
	v_add_nc_u32_e32 v75, 0x1000, v78
	ds_write_b32 v78, v8 offset:4096
	v_mov_b32_e32 v69, v68
	v_mov_b32_e32 v7, v68
	ds_write2st64_b32 v73, v6, v11 offset1:4
	v_mov_b32_e32 v6, v68
	v_mov_b32_e32 v8, v68
	;; [unrolled: 1-line block ×61, first 2 shown]
	s_mov_b32 s28, 0
	s_mov_b32 s3, -1
	s_waitcnt lgkmcnt(0)
	s_barrier
	buffer_gl0_inv
.LBB101_20:                             ; =>This Inner Loop Header: Depth=1
	s_lshl_b32 s28, s28, 2
	s_andn2_b32 vcc_lo, exec_lo, s3
	v_add_nc_u32_e32 v91, s28, v72
	v_add_nc_u32_e32 v99, s28, v74
	s_mov_b32 s3, 0
	s_mov_b32 s28, 2
	ds_read2_b64 v[79:82], v91 offset1:16
	ds_read2_b64 v[83:86], v91 offset0:32 offset1:48
	ds_read2_b64 v[87:90], v91 offset0:64 offset1:80
	ds_read2_b64 v[91:94], v91 offset0:96 offset1:112
	ds_read2st64_b64 v[95:98], v99 offset1:1
	ds_read2st64_b64 v[99:102], v99 offset0:2 offset1:3
	s_waitcnt lgkmcnt(5)
	v_max_f32_e32 v103, v79, v79
	v_max_f32_e32 v81, v81, v81
	s_waitcnt lgkmcnt(4)
	v_max_f32_e32 v83, v83, v83
	s_waitcnt lgkmcnt(1)
	v_max_f32_e32 v95, v95, v95
	v_max_f32_e32 v85, v85, v85
	v_max_f32_e32 v87, v87, v87
	v_max_f32_e32 v96, v96, v96
	v_max_f32_e32 v80, v80, v80
	v_min_f32_e32 v79, v103, v95
	v_max_f32_e32 v89, v89, v89
	v_max_f32_e32 v82, v82, v82
	;; [unrolled: 1-line block ×3, first 2 shown]
	v_min_f32_e32 v104, v80, v96
	v_add_f32_e32 v68, v68, v79
	v_min_f32_e32 v79, v81, v95
	v_max_f32_e32 v84, v84, v84
	v_max_f32_e32 v86, v86, v86
	v_add_f32_e32 v69, v69, v104
	v_min_f32_e32 v104, v82, v96
	v_add_f32_e32 v6, v6, v79
	v_min_f32_e32 v79, v83, v95
	v_max_f32_e32 v88, v88, v88
	v_max_f32_e32 v93, v93, v93
	v_add_f32_e32 v7, v7, v104
	;; [unrolled: 6-line block ×3, first 2 shown]
	v_min_f32_e32 v104, v86, v96
	v_add_f32_e32 v10, v10, v79
	v_min_f32_e32 v79, v87, v95
	v_add_f32_e32 v11, v11, v104
	;; [unrolled: 2-line block ×5, first 2 shown]
	v_min_f32_e32 v79, v91, v95
	v_min_f32_e32 v95, v93, v95
	v_add_f32_e32 v15, v15, v104
	v_min_f32_e32 v104, v92, v96
	v_add_f32_e32 v16, v16, v79
	v_max_f32_e32 v79, v94, v94
	v_add_f32_e32 v66, v66, v95
	v_add_f32_e32 v17, v17, v104
	v_min_f32_e32 v94, v79, v96
	v_max_f32_e32 v96, v98, v98
	v_add_f32_e32 v67, v67, v94
	v_max_f32_e32 v94, v97, v97
	v_min_f32_e32 v97, v80, v96
	v_min_f32_e32 v95, v103, v94
	v_add_f32_e32 v65, v65, v97
	v_min_f32_e32 v97, v82, v96
	v_add_f32_e32 v64, v64, v95
	v_min_f32_e32 v95, v81, v94
	v_add_f32_e32 v63, v63, v97
	v_min_f32_e32 v97, v84, v96
	v_add_f32_e32 v62, v62, v95
	v_min_f32_e32 v95, v83, v94
	v_add_f32_e32 v61, v61, v97
	v_min_f32_e32 v97, v86, v96
	v_add_f32_e32 v60, v60, v95
	v_min_f32_e32 v95, v85, v94
	v_add_f32_e32 v59, v59, v97
	v_min_f32_e32 v97, v88, v96
	v_add_f32_e32 v58, v58, v95
	v_min_f32_e32 v95, v87, v94
	v_add_f32_e32 v57, v57, v97
	v_min_f32_e32 v97, v90, v96
	v_add_f32_e32 v56, v56, v95
	v_min_f32_e32 v95, v89, v94
	v_add_f32_e32 v55, v55, v97
	v_min_f32_e32 v97, v92, v96
	v_add_f32_e32 v54, v54, v95
	v_min_f32_e32 v95, v91, v94
	v_min_f32_e32 v94, v93, v94
	v_add_f32_e32 v53, v53, v97
	v_add_f32_e32 v52, v52, v95
	v_min_f32_e32 v95, v79, v96
	v_add_f32_e32 v50, v50, v94
	s_waitcnt lgkmcnt(0)
	v_max_f32_e32 v94, v99, v99
	v_max_f32_e32 v96, v100, v100
	v_add_f32_e32 v51, v51, v95
	v_min_f32_e32 v95, v103, v94
	v_min_f32_e32 v97, v80, v96
	v_add_f32_e32 v48, v48, v95
	v_min_f32_e32 v95, v81, v94
	v_add_f32_e32 v49, v49, v97
	;; [unrolled: 2-line block ×12, first 2 shown]
	v_min_f32_e32 v97, v92, v96
	v_min_f32_e32 v94, v93, v94
	v_add_f32_e32 v36, v36, v95
	v_min_f32_e32 v95, v79, v96
	v_max_f32_e32 v96, v102, v102
	v_add_f32_e32 v34, v34, v94
	v_max_f32_e32 v94, v101, v101
	v_add_f32_e32 v37, v37, v97
	v_add_f32_e32 v35, v35, v95
	v_min_f32_e32 v80, v80, v96
	v_min_f32_e32 v79, v79, v96
	;; [unrolled: 1-line block ×3, first 2 shown]
	v_add_f32_e32 v33, v33, v80
	v_min_f32_e32 v80, v81, v94
	v_min_f32_e32 v81, v82, v96
	v_add_f32_e32 v32, v32, v95
	v_add_f32_e32 v19, v19, v79
	;; [unrolled: 1-line block ×3, first 2 shown]
	v_min_f32_e32 v80, v83, v94
	v_add_f32_e32 v31, v31, v81
	v_min_f32_e32 v81, v84, v96
	v_add_f32_e32 v28, v28, v80
	v_min_f32_e32 v80, v85, v94
	v_add_f32_e32 v29, v29, v81
	v_min_f32_e32 v81, v86, v96
	v_add_f32_e32 v26, v26, v80
	v_min_f32_e32 v80, v87, v94
	v_add_f32_e32 v27, v27, v81
	v_min_f32_e32 v81, v88, v96
	v_add_f32_e32 v24, v24, v80
	v_min_f32_e32 v80, v89, v94
	v_add_f32_e32 v25, v25, v81
	v_min_f32_e32 v81, v90, v96
	v_add_f32_e32 v22, v22, v80
	v_min_f32_e32 v80, v91, v94
	v_add_f32_e32 v23, v23, v81
	v_min_f32_e32 v81, v92, v96
	v_add_f32_e32 v20, v20, v80
	v_min_f32_e32 v80, v93, v94
	v_add_f32_e32 v21, v21, v81
	v_add_f32_e32 v18, v18, v80
	s_cbranch_vccz .LBB101_20
; %bb.21:
	ds_write_b32 v78, v5 offset:5120
	ds_write2st64_b32 v73, v77, v76 offset0:8 offset1:12
	v_lshl_add_u32 v76, v0, 4, 0x1400
	v_lshl_add_u32 v77, v1, 4, 0x800
	s_cmp_lt_i32 s14, 9
	s_waitcnt lgkmcnt(0)
	s_barrier
	buffer_gl0_inv
	s_cbranch_scc1 .LBB101_40
; %bb.22:
	v_mad_i64_i32 v[4:5], null, v4, s27, 0
	v_lshlrev_b64 v[2:3], 2, v[2:3]
	v_add_nc_u32_e32 v78, 0x1400, v78
	v_add_nc_u32_e32 v79, 0x800, v73
	s_mov_b32 s27, 0
	v_lshlrev_b64 v[4:5], 2, v[4:5]
	v_add_co_u32 v80, vcc_lo, s20, v4
	v_add_co_ci_u32_e64 v81, null, s21, v5, vcc_lo
	v_mov_b32_e32 v5, 0
	s_add_i32 s20, s14, -8
	s_mov_b32 s21, 8
.LBB101_23:                             ; =>This Loop Header: Depth=1
                                        ;     Child Loop BB101_30 Depth 2
                                        ;     Child Loop BB101_38 Depth 2
	v_or_b32_e32 v4, s21, v70
	v_mov_b32_e32 v82, 0
	v_cmp_gt_i32_e32 vcc_lo, s14, v4
	s_and_b32 s3, vcc_lo, s0
	s_and_b32 s28, s24, s3
	s_and_saveexec_b32 s3, s28
	s_cbranch_execz .LBB101_25
; %bb.24:                               ;   in Loop: Header=BB101_23 Depth=1
	v_lshlrev_b64 v[82:83], 2, v[4:5]
	v_add_co_u32 v82, vcc_lo, v80, v82
	v_add_co_ci_u32_e64 v83, null, v81, v83, vcc_lo
	global_load_dword v82, v[82:83], off
	s_waitcnt vmcnt(0)
	v_mul_f32_e32 v82, s15, v82
.LBB101_25:                             ;   in Loop: Header=BB101_23 Depth=1
	s_or_b32 exec_lo, exec_lo, s3
	v_add_nc_u32_e32 v87, s21, v71
	v_min_i32_e32 v83, s25, v87
	v_cmp_le_i32_e32 vcc_lo, s14, v87
	v_mad_i64_i32 v[83:84], null, v83, s9, 0
	v_lshlrev_b64 v[85:86], 2, v[83:84]
	v_mov_b32_e32 v83, 0
	v_mov_b32_e32 v84, 0
	v_add_co_u32 v85, s3, s18, v85
	v_add_co_ci_u32_e64 v86, null, s19, v86, s3
	s_or_b32 s3, s1, vcc_lo
	s_nor_b32 s3, s3, s26
	s_and_saveexec_b32 s28, s3
	s_cbranch_execz .LBB101_27
; %bb.26:                               ;   in Loop: Header=BB101_23 Depth=1
	v_add_co_u32 v87, s3, v85, v2
	v_add_co_ci_u32_e64 v88, null, v86, v3, s3
	global_load_dword v84, v[87:88], off
	s_waitcnt vmcnt(0)
	v_mul_f32_e32 v84, s15, v84
.LBB101_27:                             ;   in Loop: Header=BB101_23 Depth=1
	s_or_b32 exec_lo, exec_lo, s28
	s_or_b32 s3, s2, vcc_lo
	s_nor_b32 s28, s3, s26
	s_and_saveexec_b32 s3, s28
	s_cbranch_execz .LBB101_29
; %bb.28:                               ;   in Loop: Header=BB101_23 Depth=1
	v_add_co_u32 v85, vcc_lo, v85, v2
	v_add_co_ci_u32_e64 v86, null, v86, v3, vcc_lo
	global_load_dword v83, v[85:86], off offset:256
	s_waitcnt vmcnt(0)
	v_mul_f32_e32 v83, s15, v83
.LBB101_29:                             ;   in Loop: Header=BB101_23 Depth=1
	s_or_b32 exec_lo, exec_lo, s3
	s_mov_b32 s28, 0
	s_mov_b32 s3, -1
.LBB101_30:                             ;   Parent Loop BB101_23 Depth=1
                                        ; =>  This Inner Loop Header: Depth=2
	s_lshl_b32 s28, s28, 2
	s_andn2_b32 vcc_lo, exec_lo, s3
	v_add_nc_u32_e32 v97, s28, v76
	v_add_nc_u32_e32 v105, s28, v77
	s_mov_b32 s3, 0
	s_mov_b32 s28, 2
	ds_read2_b64 v[85:88], v97 offset1:16
	ds_read2_b64 v[89:92], v97 offset0:32 offset1:48
	ds_read2_b64 v[93:96], v97 offset0:64 offset1:80
	;; [unrolled: 1-line block ×3, first 2 shown]
	ds_read2st64_b64 v[101:104], v105 offset1:1
	ds_read2st64_b64 v[105:108], v105 offset0:2 offset1:3
	s_waitcnt lgkmcnt(5)
	v_max_f32_e32 v85, v85, v85
	v_max_f32_e32 v86, v86, v86
	;; [unrolled: 1-line block ×3, first 2 shown]
	s_waitcnt lgkmcnt(1)
	v_max_f32_e32 v101, v101, v101
	v_max_f32_e32 v102, v102, v102
	;; [unrolled: 1-line block ×5, first 2 shown]
	v_min_f32_e32 v109, v85, v101
	v_min_f32_e32 v110, v86, v102
	v_max_f32_e32 v91, v91, v91
	v_max_f32_e32 v92, v92, v92
	;; [unrolled: 1-line block ×3, first 2 shown]
	v_add_f32_e32 v68, v68, v109
	v_min_f32_e32 v109, v87, v101
	v_add_f32_e32 v69, v69, v110
	v_min_f32_e32 v110, v88, v102
	v_max_f32_e32 v94, v94, v94
	v_max_f32_e32 v95, v95, v95
	v_add_f32_e32 v6, v6, v109
	v_min_f32_e32 v109, v89, v101
	v_add_f32_e32 v7, v7, v110
	v_min_f32_e32 v110, v90, v102
	v_max_f32_e32 v96, v96, v96
	v_max_f32_e32 v97, v97, v97
	;; [unrolled: 6-line block ×3, first 2 shown]
	v_add_f32_e32 v10, v10, v109
	v_min_f32_e32 v109, v93, v101
	v_add_f32_e32 v11, v11, v110
	v_min_f32_e32 v110, v94, v102
	v_max_f32_e32 v100, v100, v100
	v_add_f32_e32 v12, v12, v109
	v_min_f32_e32 v109, v95, v101
	v_add_f32_e32 v13, v13, v110
	v_min_f32_e32 v110, v96, v102
	;; [unrolled: 2-line block ×3, first 2 shown]
	v_min_f32_e32 v101, v99, v101
	v_add_f32_e32 v15, v15, v110
	v_min_f32_e32 v110, v98, v102
	v_min_f32_e32 v102, v100, v102
	v_add_f32_e32 v16, v16, v109
	v_add_f32_e32 v66, v66, v101
	v_max_f32_e32 v101, v103, v103
	v_max_f32_e32 v103, v104, v104
	v_add_f32_e32 v67, v67, v102
	v_add_f32_e32 v17, v17, v110
	v_min_f32_e32 v102, v85, v101
	v_min_f32_e32 v104, v86, v103
	v_add_f32_e32 v64, v64, v102
	v_min_f32_e32 v102, v87, v101
	v_add_f32_e32 v65, v65, v104
	;; [unrolled: 2-line block ×11, first 2 shown]
	v_min_f32_e32 v102, v97, v101
	v_min_f32_e32 v101, v99, v101
	v_add_f32_e32 v55, v55, v104
	v_min_f32_e32 v104, v98, v103
	v_add_f32_e32 v52, v52, v102
	;; [unrolled: 2-line block ×3, first 2 shown]
	s_waitcnt lgkmcnt(0)
	v_max_f32_e32 v101, v105, v105
	v_max_f32_e32 v103, v106, v106
	v_add_f32_e32 v53, v53, v104
	v_add_f32_e32 v51, v51, v102
	v_min_f32_e32 v102, v85, v101
	v_min_f32_e32 v104, v86, v103
	v_add_f32_e32 v48, v48, v102
	v_min_f32_e32 v102, v87, v101
	v_add_f32_e32 v49, v49, v104
	;; [unrolled: 2-line block ×11, first 2 shown]
	v_min_f32_e32 v102, v97, v101
	v_min_f32_e32 v101, v99, v101
	v_add_f32_e32 v39, v39, v104
	v_min_f32_e32 v104, v98, v103
	v_add_f32_e32 v36, v36, v102
	;; [unrolled: 2-line block ×3, first 2 shown]
	v_max_f32_e32 v101, v107, v107
	v_add_f32_e32 v37, v37, v104
	v_add_f32_e32 v35, v35, v102
	v_max_f32_e32 v102, v108, v108
	v_min_f32_e32 v85, v85, v101
	v_min_f32_e32 v86, v86, v102
	v_add_f32_e32 v32, v32, v85
	v_min_f32_e32 v85, v87, v101
	v_add_f32_e32 v33, v33, v86
	;; [unrolled: 2-line block ×15, first 2 shown]
	v_add_f32_e32 v19, v19, v86
	s_cbranch_vccz .LBB101_30
; %bb.31:                               ;   in Loop: Header=BB101_23 Depth=1
	v_or_b32_e32 v85, 4, v4
	ds_write_b32 v75, v82
	ds_write2st64_b32 v73, v84, v83 offset1:4
	v_mov_b32_e32 v82, 0
	v_mov_b32_e32 v83, 0
	v_cmp_gt_i32_e32 vcc_lo, s14, v85
	s_waitcnt lgkmcnt(0)
	s_barrier
	buffer_gl0_inv
	s_and_b32 s3, vcc_lo, s0
	s_and_b32 s28, s24, s3
	s_and_saveexec_b32 s3, s28
	s_cbranch_execz .LBB101_33
; %bb.32:                               ;   in Loop: Header=BB101_23 Depth=1
	v_lshlrev_b64 v[83:84], 2, v[4:5]
	v_add_co_u32 v83, vcc_lo, v80, v83
	v_add_co_ci_u32_e64 v84, null, v81, v84, vcc_lo
	global_load_dword v4, v[83:84], off offset:16
	s_waitcnt vmcnt(0)
	v_mul_f32_e32 v83, s15, v4
.LBB101_33:                             ;   in Loop: Header=BB101_23 Depth=1
	s_or_b32 exec_lo, exec_lo, s3
	v_add3_u32 v4, v71, s21, 4
	v_min_i32_e32 v84, s25, v4
	v_cmp_le_i32_e32 vcc_lo, s14, v4
	v_mad_i64_i32 v[84:85], null, v84, s9, 0
	v_lshlrev_b64 v[84:85], 2, v[84:85]
	v_add_co_u32 v84, s3, s18, v84
	v_add_co_ci_u32_e64 v85, null, s19, v85, s3
	s_or_b32 s3, s1, vcc_lo
	s_nor_b32 s3, s3, s26
	s_and_saveexec_b32 s28, s3
	s_cbranch_execz .LBB101_35
; %bb.34:                               ;   in Loop: Header=BB101_23 Depth=1
	v_add_co_u32 v86, s3, v84, v2
	v_add_co_ci_u32_e64 v87, null, v85, v3, s3
	global_load_dword v4, v[86:87], off
	s_waitcnt vmcnt(0)
	v_mul_f32_e32 v82, s15, v4
.LBB101_35:                             ;   in Loop: Header=BB101_23 Depth=1
	s_or_b32 exec_lo, exec_lo, s28
	v_mov_b32_e32 v4, 0
	s_or_b32 s3, s2, vcc_lo
	s_nor_b32 s28, s3, s26
	s_and_saveexec_b32 s3, s28
	s_cbranch_execz .LBB101_37
; %bb.36:                               ;   in Loop: Header=BB101_23 Depth=1
	v_add_co_u32 v84, vcc_lo, v84, v2
	v_add_co_ci_u32_e64 v85, null, v85, v3, vcc_lo
	global_load_dword v4, v[84:85], off offset:256
	s_waitcnt vmcnt(0)
	v_mul_f32_e32 v4, s15, v4
.LBB101_37:                             ;   in Loop: Header=BB101_23 Depth=1
	s_or_b32 exec_lo, exec_lo, s3
	s_mov_b32 s28, 0
	s_mov_b32 s3, -1
.LBB101_38:                             ;   Parent Loop BB101_23 Depth=1
                                        ; =>  This Inner Loop Header: Depth=2
	s_lshl_b32 s28, s28, 2
	s_andn2_b32 vcc_lo, exec_lo, s3
	v_add_nc_u32_e32 v96, s28, v72
	v_add_nc_u32_e32 v104, s28, v74
	s_mov_b32 s3, 0
	s_mov_b32 s28, 2
	ds_read2_b64 v[84:87], v96 offset1:16
	ds_read2_b64 v[88:91], v96 offset0:32 offset1:48
	ds_read2_b64 v[92:95], v96 offset0:64 offset1:80
	;; [unrolled: 1-line block ×3, first 2 shown]
	ds_read2st64_b64 v[100:103], v104 offset1:1
	ds_read2st64_b64 v[104:107], v104 offset0:2 offset1:3
	s_waitcnt lgkmcnt(5)
	v_max_f32_e32 v84, v84, v84
	v_max_f32_e32 v85, v85, v85
	v_max_f32_e32 v86, v86, v86
	s_waitcnt lgkmcnt(1)
	v_max_f32_e32 v100, v100, v100
	v_max_f32_e32 v101, v101, v101
	;; [unrolled: 1-line block ×5, first 2 shown]
	v_min_f32_e32 v108, v84, v100
	v_min_f32_e32 v109, v85, v101
	v_max_f32_e32 v90, v90, v90
	v_max_f32_e32 v91, v91, v91
	;; [unrolled: 1-line block ×3, first 2 shown]
	v_add_f32_e32 v68, v68, v108
	v_min_f32_e32 v108, v86, v100
	v_add_f32_e32 v69, v69, v109
	v_min_f32_e32 v109, v87, v101
	v_max_f32_e32 v93, v93, v93
	v_max_f32_e32 v94, v94, v94
	v_add_f32_e32 v6, v6, v108
	v_min_f32_e32 v108, v88, v100
	v_add_f32_e32 v7, v7, v109
	v_min_f32_e32 v109, v89, v101
	v_max_f32_e32 v95, v95, v95
	v_max_f32_e32 v96, v96, v96
	;; [unrolled: 6-line block ×3, first 2 shown]
	v_add_f32_e32 v10, v10, v108
	v_min_f32_e32 v108, v92, v100
	v_add_f32_e32 v11, v11, v109
	v_min_f32_e32 v109, v93, v101
	v_max_f32_e32 v99, v99, v99
	v_add_f32_e32 v12, v12, v108
	v_min_f32_e32 v108, v94, v100
	v_add_f32_e32 v13, v13, v109
	v_min_f32_e32 v109, v95, v101
	;; [unrolled: 2-line block ×3, first 2 shown]
	v_min_f32_e32 v100, v98, v100
	v_add_f32_e32 v15, v15, v109
	v_min_f32_e32 v109, v97, v101
	v_min_f32_e32 v101, v99, v101
	v_add_f32_e32 v16, v16, v108
	v_add_f32_e32 v66, v66, v100
	v_max_f32_e32 v100, v102, v102
	v_max_f32_e32 v102, v103, v103
	v_add_f32_e32 v67, v67, v101
	v_add_f32_e32 v17, v17, v109
	v_min_f32_e32 v101, v84, v100
	v_min_f32_e32 v103, v85, v102
	v_add_f32_e32 v64, v64, v101
	v_min_f32_e32 v101, v86, v100
	v_add_f32_e32 v65, v65, v103
	;; [unrolled: 2-line block ×11, first 2 shown]
	v_min_f32_e32 v101, v96, v100
	v_min_f32_e32 v100, v98, v100
	v_add_f32_e32 v55, v55, v103
	v_min_f32_e32 v103, v97, v102
	v_add_f32_e32 v52, v52, v101
	;; [unrolled: 2-line block ×3, first 2 shown]
	s_waitcnt lgkmcnt(0)
	v_max_f32_e32 v100, v104, v104
	v_max_f32_e32 v102, v105, v105
	v_add_f32_e32 v53, v53, v103
	v_add_f32_e32 v51, v51, v101
	v_min_f32_e32 v101, v84, v100
	v_min_f32_e32 v103, v85, v102
	v_add_f32_e32 v48, v48, v101
	v_min_f32_e32 v101, v86, v100
	v_add_f32_e32 v49, v49, v103
	;; [unrolled: 2-line block ×11, first 2 shown]
	v_min_f32_e32 v101, v96, v100
	v_min_f32_e32 v100, v98, v100
	v_add_f32_e32 v39, v39, v103
	v_min_f32_e32 v103, v97, v102
	v_add_f32_e32 v36, v36, v101
	;; [unrolled: 2-line block ×3, first 2 shown]
	v_max_f32_e32 v100, v106, v106
	v_add_f32_e32 v37, v37, v103
	v_add_f32_e32 v35, v35, v101
	v_max_f32_e32 v101, v107, v107
	v_min_f32_e32 v84, v84, v100
	v_min_f32_e32 v85, v85, v101
	v_add_f32_e32 v32, v32, v84
	v_min_f32_e32 v84, v86, v100
	v_add_f32_e32 v33, v33, v85
	;; [unrolled: 2-line block ×15, first 2 shown]
	v_add_f32_e32 v19, v19, v85
	s_cbranch_vccz .LBB101_38
; %bb.39:                               ;   in Loop: Header=BB101_23 Depth=1
	s_add_i32 s27, s27, 8
	s_add_i32 s21, s21, 8
	s_cmp_ge_i32 s27, s20
	ds_write_b32 v78, v83
	ds_write2st64_b32 v79, v82, v4 offset1:4
	s_waitcnt lgkmcnt(0)
	s_barrier
	buffer_gl0_inv
	s_cbranch_scc0 .LBB101_23
.LBB101_40:
	s_mov_b32 s1, 0
	s_mov_b32 s0, -1
.LBB101_41:                             ; =>This Inner Loop Header: Depth=1
	s_lshl_b32 s1, s1, 2
	s_andn2_b32 vcc_lo, exec_lo, s0
	v_add_nc_u32_e32 v74, s1, v76
	s_mov_b32 s0, 0
	ds_read2_b64 v[2:5], v74 offset1:16
	ds_read2_b64 v[70:73], v74 offset0:32 offset1:48
	ds_read2_b64 v[78:81], v74 offset0:64 offset1:80
	;; [unrolled: 1-line block ×3, first 2 shown]
	v_add_nc_u32_e32 v74, s1, v77
	s_mov_b32 s1, 2
	ds_read2st64_b64 v[86:89], v74 offset1:1
	ds_read2st64_b64 v[90:93], v74 offset0:2 offset1:3
	s_waitcnt lgkmcnt(5)
	v_max_f32_e32 v2, v2, v2
	v_max_f32_e32 v4, v4, v4
	s_waitcnt lgkmcnt(4)
	v_max_f32_e32 v70, v70, v70
	v_max_f32_e32 v72, v72, v72
	;; [unrolled: 1-line block ×6, first 2 shown]
	s_waitcnt lgkmcnt(1)
	v_max_f32_e32 v74, v86, v86
	v_max_f32_e32 v86, v87, v87
	;; [unrolled: 1-line block ×5, first 2 shown]
	v_min_f32_e32 v75, v2, v74
	v_min_f32_e32 v87, v3, v86
	v_add_f32_e32 v68, v68, v75
	v_min_f32_e32 v75, v4, v74
	v_add_f32_e32 v69, v69, v87
	;; [unrolled: 2-line block ×7, first 2 shown]
	v_max_f32_e32 v75, v78, v78
	v_add_f32_e32 v11, v11, v87
	v_min_f32_e32 v87, v79, v86
	v_min_f32_e32 v78, v75, v74
	v_add_f32_e32 v13, v13, v87
	v_min_f32_e32 v87, v81, v86
	v_add_f32_e32 v12, v12, v78
	v_max_f32_e32 v78, v80, v80
	v_add_f32_e32 v15, v15, v87
	v_min_f32_e32 v87, v83, v86
	v_min_f32_e32 v80, v78, v74
	v_add_f32_e32 v17, v17, v87
	v_add_f32_e32 v14, v14, v80
	v_max_f32_e32 v80, v82, v82
	v_min_f32_e32 v82, v80, v74
	v_add_f32_e32 v16, v16, v82
	v_max_f32_e32 v82, v84, v84
	v_max_f32_e32 v84, v85, v85
	v_min_f32_e32 v74, v82, v74
	v_min_f32_e32 v85, v84, v86
	v_max_f32_e32 v86, v89, v89
	v_add_f32_e32 v66, v66, v74
	v_max_f32_e32 v74, v88, v88
	v_add_f32_e32 v67, v67, v85
	v_min_f32_e32 v87, v3, v86
	v_min_f32_e32 v85, v2, v74
	v_add_f32_e32 v65, v65, v87
	v_min_f32_e32 v87, v5, v86
	v_add_f32_e32 v64, v64, v85
	;; [unrolled: 2-line block ×12, first 2 shown]
	v_min_f32_e32 v85, v80, v74
	v_min_f32_e32 v74, v82, v74
	v_add_f32_e32 v53, v53, v87
	v_add_f32_e32 v52, v52, v85
	v_min_f32_e32 v85, v84, v86
	v_add_f32_e32 v50, v50, v74
	s_waitcnt lgkmcnt(0)
	v_max_f32_e32 v74, v90, v90
	v_max_f32_e32 v86, v91, v91
	v_add_f32_e32 v51, v51, v85
	v_min_f32_e32 v85, v2, v74
	v_min_f32_e32 v87, v3, v86
	v_add_f32_e32 v48, v48, v85
	v_min_f32_e32 v85, v4, v74
	v_add_f32_e32 v49, v49, v87
	;; [unrolled: 2-line block ×11, first 2 shown]
	v_min_f32_e32 v85, v80, v74
	v_min_f32_e32 v74, v82, v74
	v_add_f32_e32 v39, v39, v87
	v_min_f32_e32 v87, v83, v86
	v_add_f32_e32 v36, v36, v85
	;; [unrolled: 2-line block ×3, first 2 shown]
	v_max_f32_e32 v74, v92, v92
	v_add_f32_e32 v37, v37, v87
	v_add_f32_e32 v35, v35, v85
	v_max_f32_e32 v85, v93, v93
	v_min_f32_e32 v2, v2, v74
	v_min_f32_e32 v3, v3, v85
	v_add_f32_e32 v32, v32, v2
	v_min_f32_e32 v2, v4, v74
	v_add_f32_e32 v33, v33, v3
	;; [unrolled: 2-line block ×15, first 2 shown]
	v_add_f32_e32 v19, v19, v3
	s_cbranch_vccz .LBB101_41
; %bb.42:
	s_clause 0x2
	s_load_dwordx2 s[0:1], s[4:5], 0x70
	s_load_dword s14, s[4:5], 0x50
	s_load_dword s9, s[4:5], 0x68
	v_add_nc_u32_e32 v71, s8, v1
	v_add_nc_u32_e32 v0, s6, v0
	v_cndmask_b32_e64 v70, 0, 1, s23
	v_cmp_gt_i32_e64 s8, s13, v71
	s_waitcnt lgkmcnt(0)
	s_mul_i32 s1, s1, s7
	v_mad_i64_i32 v[1:2], null, v71, s14, 0
	v_mad_i64_i32 v[3:4], null, v71, s9, 0
	s_mul_hi_u32 s3, s0, s7
	s_mul_i32 s2, s0, s7
	s_add_i32 s3, s3, s1
	v_cmp_gt_i32_e64 s0, s12, v0
	v_lshlrev_b64 v[72:73], 2, v[1:2]
	s_lshl_b64 s[2:3], s[2:3], 2
	v_lshlrev_b64 v[2:3], 2, v[3:4]
	s_add_u32 s10, s10, s2
	s_addc_u32 s11, s11, s3
	v_ashrrev_i32_e32 v1, 31, v0
	v_add_co_u32 v74, vcc_lo, s16, v72
	v_add_co_ci_u32_e64 v75, null, s17, v73, vcc_lo
	v_add_co_u32 v72, vcc_lo, s10, v2
	v_add_co_ci_u32_e64 v73, null, s11, v3, vcc_lo
	s_and_b32 s2, s0, s8
	s_and_saveexec_b32 s1, s2
	s_cbranch_execz .LBB101_48
; %bb.43:
	v_lshlrev_b64 v[2:3], 2, v[0:1]
	s_andn2_b32 vcc_lo, exec_lo, s23
	s_cbranch_vccnz .LBB101_46
; %bb.44:
	v_add_co_u32 v4, vcc_lo, v74, v2
	v_add_co_ci_u32_e64 v5, null, v75, v3, vcc_lo
	global_load_dword v4, v[4:5], off
	s_waitcnt vmcnt(0)
	v_mul_f32_e32 v4, s22, v4
	s_branch .LBB101_47
.LBB101_45:
	s_mov_b64 s[20:21], 0
	s_andn2_b32 vcc_lo, exec_lo, s8
	s_mov_b32 s0, -1
	s_cbranch_vccz .LBB101_2
	s_branch .LBB101_3
.LBB101_46:
	v_mov_b32_e32 v4, 0
.LBB101_47:
	v_add_f32_e32 v5, v68, v69
	v_add_co_u32 v2, vcc_lo, v72, v2
	v_add_co_ci_u32_e64 v3, null, v73, v3, vcc_lo
	v_add_f32_e32 v4, v5, v4
	global_store_dword v[2:3], v4, off
.LBB101_48:
	s_or_b32 exec_lo, exec_lo, s1
	v_add_nc_u32_e32 v2, 8, v0
	v_cmp_gt_i32_e64 s1, s12, v2
	v_ashrrev_i32_e32 v3, 31, v2
	s_and_b32 s3, s1, s8
	s_and_saveexec_b32 s2, s3
	s_cbranch_execz .LBB101_53
; %bb.49:
	v_cmp_ne_u32_e32 vcc_lo, 1, v70
	v_lshlrev_b64 v[4:5], 2, v[2:3]
	s_cbranch_vccnz .LBB101_51
; %bb.50:
	v_add_co_u32 v68, vcc_lo, v74, v4
	v_add_co_ci_u32_e64 v69, null, v75, v5, vcc_lo
	global_load_dword v68, v[68:69], off
	s_waitcnt vmcnt(0)
	v_mul_f32_e32 v68, s22, v68
	s_branch .LBB101_52
.LBB101_51:
	v_mov_b32_e32 v68, 0
.LBB101_52:
	v_add_f32_e32 v6, v6, v7
	v_add_co_u32 v4, vcc_lo, v72, v4
	v_add_co_ci_u32_e64 v5, null, v73, v5, vcc_lo
	v_add_f32_e32 v6, v6, v68
	global_store_dword v[4:5], v6, off
.LBB101_53:
	s_or_b32 exec_lo, exec_lo, s2
	v_add_nc_u32_e32 v4, 16, v0
	v_cmp_gt_i32_e64 s2, s12, v4
	v_ashrrev_i32_e32 v5, 31, v4
	s_and_b32 s4, s2, s8
	s_and_saveexec_b32 s3, s4
	s_cbranch_execz .LBB101_58
; %bb.54:
	v_cmp_ne_u32_e32 vcc_lo, 1, v70
	v_lshlrev_b64 v[6:7], 2, v[4:5]
	s_cbranch_vccnz .LBB101_56
; %bb.55:
	v_add_co_u32 v68, vcc_lo, v74, v6
	v_add_co_ci_u32_e64 v69, null, v75, v7, vcc_lo
	global_load_dword v68, v[68:69], off
	s_waitcnt vmcnt(0)
	v_mul_f32_e32 v68, s22, v68
	s_branch .LBB101_57
.LBB101_56:
	v_mov_b32_e32 v68, 0
.LBB101_57:
	v_add_f32_e32 v8, v8, v9
	v_add_co_u32 v6, vcc_lo, v72, v6
	v_add_co_ci_u32_e64 v7, null, v73, v7, vcc_lo
	v_add_f32_e32 v8, v8, v68
	global_store_dword v[6:7], v8, off
.LBB101_58:
	;; [unrolled: 27-line block ×7, first 2 shown]
	s_or_b32 exec_lo, exec_lo, s8
	v_add_nc_u32_e32 v68, 32, v71
	v_mad_i64_i32 v[16:17], null, v68, s14, 0
	v_mad_i64_i32 v[66:67], null, v68, s9, 0
	v_cmp_gt_i32_e64 s8, s13, v68
	v_lshlrev_b64 v[16:17], 2, v[16:17]
	s_and_b32 s15, s0, s8
	v_lshlrev_b64 v[66:67], 2, v[66:67]
	v_add_co_u32 v68, vcc_lo, s16, v16
	v_add_co_ci_u32_e64 v69, null, s17, v17, vcc_lo
	v_add_co_u32 v66, vcc_lo, s10, v66
	v_add_co_ci_u32_e64 v67, null, s11, v67, vcc_lo
	s_and_saveexec_b32 s12, s15
	s_cbranch_execnz .LBB101_91
; %bb.84:
	s_or_b32 exec_lo, exec_lo, s12
	s_and_b32 s15, s1, s8
	s_and_saveexec_b32 s12, s15
	s_cbranch_execnz .LBB101_95
.LBB101_85:
	s_or_b32 exec_lo, exec_lo, s12
	s_and_b32 s15, s2, s8
	s_and_saveexec_b32 s12, s15
	s_cbranch_execnz .LBB101_99
.LBB101_86:
	s_or_b32 exec_lo, exec_lo, s12
	s_and_b32 s15, s3, s8
	s_and_saveexec_b32 s12, s15
	s_cbranch_execnz .LBB101_103
.LBB101_87:
	s_or_b32 exec_lo, exec_lo, s12
	s_and_b32 s15, s4, s8
	s_and_saveexec_b32 s12, s15
	s_cbranch_execnz .LBB101_107
.LBB101_88:
	s_or_b32 exec_lo, exec_lo, s12
	s_and_b32 s15, s5, s8
	s_and_saveexec_b32 s12, s15
	s_cbranch_execnz .LBB101_111
.LBB101_89:
	s_or_b32 exec_lo, exec_lo, s12
	s_and_b32 s15, s6, s8
	s_and_saveexec_b32 s12, s15
	s_cbranch_execnz .LBB101_115
.LBB101_90:
	s_or_b32 exec_lo, exec_lo, s12
	s_and_b32 s12, s7, s8
	s_and_saveexec_b32 s8, s12
	s_cbranch_execnz .LBB101_119
	s_branch .LBB101_123
.LBB101_91:
	v_cmp_ne_u32_e32 vcc_lo, 1, v70
	v_lshlrev_b64 v[16:17], 2, v[0:1]
	s_cbranch_vccnz .LBB101_93
; %bb.92:
	v_add_co_u32 v72, vcc_lo, v68, v16
	v_add_co_ci_u32_e64 v73, null, v69, v17, vcc_lo
	global_load_dword v72, v[72:73], off
	s_waitcnt vmcnt(0)
	v_mul_f32_e32 v72, s22, v72
	s_branch .LBB101_94
.LBB101_93:
	v_mov_b32_e32 v72, 0
.LBB101_94:
	v_add_f32_e32 v64, v64, v65
	v_add_co_u32 v16, vcc_lo, v66, v16
	v_add_co_ci_u32_e64 v17, null, v67, v17, vcc_lo
	v_add_f32_e32 v64, v64, v72
	global_store_dword v[16:17], v64, off
	s_or_b32 exec_lo, exec_lo, s12
	s_and_b32 s15, s1, s8
	s_and_saveexec_b32 s12, s15
	s_cbranch_execz .LBB101_85
.LBB101_95:
	v_cmp_ne_u32_e32 vcc_lo, 1, v70
	v_lshlrev_b64 v[16:17], 2, v[2:3]
	s_cbranch_vccnz .LBB101_97
; %bb.96:
	v_add_co_u32 v64, vcc_lo, v68, v16
	v_add_co_ci_u32_e64 v65, null, v69, v17, vcc_lo
	global_load_dword v64, v[64:65], off
	s_waitcnt vmcnt(0)
	v_mul_f32_e32 v64, s22, v64
	s_branch .LBB101_98
.LBB101_97:
	v_mov_b32_e32 v64, 0
.LBB101_98:
	v_add_f32_e32 v62, v62, v63
	v_add_co_u32 v16, vcc_lo, v66, v16
	v_add_co_ci_u32_e64 v17, null, v67, v17, vcc_lo
	v_add_f32_e32 v62, v62, v64
	global_store_dword v[16:17], v62, off
	s_or_b32 exec_lo, exec_lo, s12
	s_and_b32 s15, s2, s8
	s_and_saveexec_b32 s12, s15
	s_cbranch_execz .LBB101_86
.LBB101_99:
	v_cmp_ne_u32_e32 vcc_lo, 1, v70
	v_lshlrev_b64 v[16:17], 2, v[4:5]
	s_cbranch_vccnz .LBB101_101
; %bb.100:
	v_add_co_u32 v62, vcc_lo, v68, v16
	v_add_co_ci_u32_e64 v63, null, v69, v17, vcc_lo
	global_load_dword v62, v[62:63], off
	s_waitcnt vmcnt(0)
	v_mul_f32_e32 v62, s22, v62
	s_branch .LBB101_102
.LBB101_101:
	v_mov_b32_e32 v62, 0
.LBB101_102:
	v_add_f32_e32 v60, v60, v61
	v_add_co_u32 v16, vcc_lo, v66, v16
	v_add_co_ci_u32_e64 v17, null, v67, v17, vcc_lo
	v_add_f32_e32 v60, v60, v62
	global_store_dword v[16:17], v60, off
	s_or_b32 exec_lo, exec_lo, s12
	s_and_b32 s15, s3, s8
	s_and_saveexec_b32 s12, s15
	s_cbranch_execz .LBB101_87
.LBB101_103:
	v_cmp_ne_u32_e32 vcc_lo, 1, v70
	v_lshlrev_b64 v[16:17], 2, v[6:7]
	s_cbranch_vccnz .LBB101_105
; %bb.104:
	v_add_co_u32 v60, vcc_lo, v68, v16
	v_add_co_ci_u32_e64 v61, null, v69, v17, vcc_lo
	global_load_dword v60, v[60:61], off
	s_waitcnt vmcnt(0)
	v_mul_f32_e32 v60, s22, v60
	s_branch .LBB101_106
.LBB101_105:
	v_mov_b32_e32 v60, 0
.LBB101_106:
	v_add_f32_e32 v58, v58, v59
	v_add_co_u32 v16, vcc_lo, v66, v16
	v_add_co_ci_u32_e64 v17, null, v67, v17, vcc_lo
	v_add_f32_e32 v58, v58, v60
	global_store_dword v[16:17], v58, off
	s_or_b32 exec_lo, exec_lo, s12
	s_and_b32 s15, s4, s8
	s_and_saveexec_b32 s12, s15
	s_cbranch_execz .LBB101_88
.LBB101_107:
	v_cmp_ne_u32_e32 vcc_lo, 1, v70
	v_lshlrev_b64 v[16:17], 2, v[8:9]
	s_cbranch_vccnz .LBB101_109
; %bb.108:
	v_add_co_u32 v58, vcc_lo, v68, v16
	v_add_co_ci_u32_e64 v59, null, v69, v17, vcc_lo
	global_load_dword v58, v[58:59], off
	s_waitcnt vmcnt(0)
	v_mul_f32_e32 v58, s22, v58
	s_branch .LBB101_110
.LBB101_109:
	v_mov_b32_e32 v58, 0
.LBB101_110:
	v_add_f32_e32 v56, v56, v57
	v_add_co_u32 v16, vcc_lo, v66, v16
	v_add_co_ci_u32_e64 v17, null, v67, v17, vcc_lo
	v_add_f32_e32 v56, v56, v58
	global_store_dword v[16:17], v56, off
	s_or_b32 exec_lo, exec_lo, s12
	s_and_b32 s15, s5, s8
	s_and_saveexec_b32 s12, s15
	s_cbranch_execz .LBB101_89
.LBB101_111:
	v_cmp_ne_u32_e32 vcc_lo, 1, v70
	v_lshlrev_b64 v[16:17], 2, v[10:11]
	s_cbranch_vccnz .LBB101_113
; %bb.112:
	v_add_co_u32 v56, vcc_lo, v68, v16
	v_add_co_ci_u32_e64 v57, null, v69, v17, vcc_lo
	global_load_dword v56, v[56:57], off
	s_waitcnt vmcnt(0)
	v_mul_f32_e32 v56, s22, v56
	s_branch .LBB101_114
.LBB101_113:
	v_mov_b32_e32 v56, 0
.LBB101_114:
	v_add_f32_e32 v54, v54, v55
	v_add_co_u32 v16, vcc_lo, v66, v16
	v_add_co_ci_u32_e64 v17, null, v67, v17, vcc_lo
	v_add_f32_e32 v54, v54, v56
	global_store_dword v[16:17], v54, off
	s_or_b32 exec_lo, exec_lo, s12
	s_and_b32 s15, s6, s8
	s_and_saveexec_b32 s12, s15
	s_cbranch_execz .LBB101_90
.LBB101_115:
	v_cmp_ne_u32_e32 vcc_lo, 1, v70
	v_lshlrev_b64 v[16:17], 2, v[12:13]
	s_cbranch_vccnz .LBB101_117
; %bb.116:
	v_add_co_u32 v54, vcc_lo, v68, v16
	v_add_co_ci_u32_e64 v55, null, v69, v17, vcc_lo
	global_load_dword v54, v[54:55], off
	s_waitcnt vmcnt(0)
	v_mul_f32_e32 v54, s22, v54
	s_branch .LBB101_118
.LBB101_117:
	v_mov_b32_e32 v54, 0
.LBB101_118:
	v_add_f32_e32 v52, v52, v53
	v_add_co_u32 v16, vcc_lo, v66, v16
	v_add_co_ci_u32_e64 v17, null, v67, v17, vcc_lo
	v_add_f32_e32 v52, v52, v54
	global_store_dword v[16:17], v52, off
	s_or_b32 exec_lo, exec_lo, s12
	s_and_b32 s12, s7, s8
	s_and_saveexec_b32 s8, s12
	s_cbranch_execz .LBB101_123
.LBB101_119:
	v_cmp_ne_u32_e32 vcc_lo, 1, v70
	v_lshlrev_b64 v[16:17], 2, v[14:15]
	s_cbranch_vccnz .LBB101_121
; %bb.120:
	v_add_co_u32 v52, vcc_lo, v68, v16
	v_add_co_ci_u32_e64 v53, null, v69, v17, vcc_lo
	global_load_dword v52, v[52:53], off
	s_waitcnt vmcnt(0)
	v_mul_f32_e32 v52, s22, v52
	s_branch .LBB101_122
.LBB101_121:
	v_mov_b32_e32 v52, 0
.LBB101_122:
	v_add_f32_e32 v50, v50, v51
	v_add_co_u32 v16, vcc_lo, v66, v16
	v_add_co_ci_u32_e64 v17, null, v67, v17, vcc_lo
	v_add_f32_e32 v50, v50, v52
	global_store_dword v[16:17], v50, off
.LBB101_123:
	s_or_b32 exec_lo, exec_lo, s8
	v_add_nc_u32_e32 v52, 64, v71
	v_mad_i64_i32 v[16:17], null, v52, s14, 0
	v_mad_i64_i32 v[50:51], null, v52, s9, 0
	v_cmp_gt_i32_e64 s8, s13, v52
	v_lshlrev_b64 v[16:17], 2, v[16:17]
	s_and_b32 s15, s0, s8
	v_lshlrev_b64 v[50:51], 2, v[50:51]
	v_add_co_u32 v52, vcc_lo, s16, v16
	v_add_co_ci_u32_e64 v53, null, s17, v17, vcc_lo
	v_add_co_u32 v50, vcc_lo, s10, v50
	v_add_co_ci_u32_e64 v51, null, s11, v51, vcc_lo
	s_and_saveexec_b32 s12, s15
	s_cbranch_execnz .LBB101_131
; %bb.124:
	s_or_b32 exec_lo, exec_lo, s12
	s_and_b32 s15, s1, s8
	s_and_saveexec_b32 s12, s15
	s_cbranch_execnz .LBB101_135
.LBB101_125:
	s_or_b32 exec_lo, exec_lo, s12
	s_and_b32 s15, s2, s8
	s_and_saveexec_b32 s12, s15
	s_cbranch_execnz .LBB101_139
.LBB101_126:
	s_or_b32 exec_lo, exec_lo, s12
	s_and_b32 s15, s3, s8
	s_and_saveexec_b32 s12, s15
	s_cbranch_execnz .LBB101_143
.LBB101_127:
	s_or_b32 exec_lo, exec_lo, s12
	s_and_b32 s15, s4, s8
	s_and_saveexec_b32 s12, s15
	s_cbranch_execnz .LBB101_147
.LBB101_128:
	s_or_b32 exec_lo, exec_lo, s12
	s_and_b32 s15, s5, s8
	s_and_saveexec_b32 s12, s15
	s_cbranch_execnz .LBB101_151
.LBB101_129:
	s_or_b32 exec_lo, exec_lo, s12
	s_and_b32 s15, s6, s8
	s_and_saveexec_b32 s12, s15
	s_cbranch_execnz .LBB101_155
.LBB101_130:
	s_or_b32 exec_lo, exec_lo, s12
	s_and_b32 s12, s7, s8
	s_and_saveexec_b32 s8, s12
	s_cbranch_execnz .LBB101_159
	s_branch .LBB101_163
.LBB101_131:
	v_cmp_ne_u32_e32 vcc_lo, 1, v70
	v_lshlrev_b64 v[16:17], 2, v[0:1]
	s_cbranch_vccnz .LBB101_133
; %bb.132:
	v_add_co_u32 v54, vcc_lo, v52, v16
	v_add_co_ci_u32_e64 v55, null, v53, v17, vcc_lo
	global_load_dword v54, v[54:55], off
	s_waitcnt vmcnt(0)
	v_mul_f32_e32 v54, s22, v54
	s_branch .LBB101_134
.LBB101_133:
	v_mov_b32_e32 v54, 0
.LBB101_134:
	v_add_f32_e32 v48, v48, v49
	v_add_co_u32 v16, vcc_lo, v50, v16
	v_add_co_ci_u32_e64 v17, null, v51, v17, vcc_lo
	v_add_f32_e32 v48, v48, v54
	global_store_dword v[16:17], v48, off
	s_or_b32 exec_lo, exec_lo, s12
	s_and_b32 s15, s1, s8
	s_and_saveexec_b32 s12, s15
	s_cbranch_execz .LBB101_125
.LBB101_135:
	v_cmp_ne_u32_e32 vcc_lo, 1, v70
	v_lshlrev_b64 v[16:17], 2, v[2:3]
	s_cbranch_vccnz .LBB101_137
; %bb.136:
	v_add_co_u32 v48, vcc_lo, v52, v16
	v_add_co_ci_u32_e64 v49, null, v53, v17, vcc_lo
	global_load_dword v48, v[48:49], off
	s_waitcnt vmcnt(0)
	v_mul_f32_e32 v48, s22, v48
	s_branch .LBB101_138
.LBB101_137:
	v_mov_b32_e32 v48, 0
.LBB101_138:
	v_add_f32_e32 v46, v46, v47
	v_add_co_u32 v16, vcc_lo, v50, v16
	v_add_co_ci_u32_e64 v17, null, v51, v17, vcc_lo
	v_add_f32_e32 v46, v46, v48
	global_store_dword v[16:17], v46, off
	s_or_b32 exec_lo, exec_lo, s12
	s_and_b32 s15, s2, s8
	s_and_saveexec_b32 s12, s15
	s_cbranch_execz .LBB101_126
.LBB101_139:
	v_cmp_ne_u32_e32 vcc_lo, 1, v70
	v_lshlrev_b64 v[16:17], 2, v[4:5]
	s_cbranch_vccnz .LBB101_141
; %bb.140:
	v_add_co_u32 v46, vcc_lo, v52, v16
	v_add_co_ci_u32_e64 v47, null, v53, v17, vcc_lo
	global_load_dword v46, v[46:47], off
	s_waitcnt vmcnt(0)
	v_mul_f32_e32 v46, s22, v46
	s_branch .LBB101_142
.LBB101_141:
	v_mov_b32_e32 v46, 0
.LBB101_142:
	v_add_f32_e32 v44, v44, v45
	v_add_co_u32 v16, vcc_lo, v50, v16
	v_add_co_ci_u32_e64 v17, null, v51, v17, vcc_lo
	v_add_f32_e32 v44, v44, v46
	global_store_dword v[16:17], v44, off
	s_or_b32 exec_lo, exec_lo, s12
	s_and_b32 s15, s3, s8
	s_and_saveexec_b32 s12, s15
	s_cbranch_execz .LBB101_127
.LBB101_143:
	v_cmp_ne_u32_e32 vcc_lo, 1, v70
	v_lshlrev_b64 v[16:17], 2, v[6:7]
	s_cbranch_vccnz .LBB101_145
; %bb.144:
	v_add_co_u32 v44, vcc_lo, v52, v16
	v_add_co_ci_u32_e64 v45, null, v53, v17, vcc_lo
	global_load_dword v44, v[44:45], off
	s_waitcnt vmcnt(0)
	v_mul_f32_e32 v44, s22, v44
	s_branch .LBB101_146
.LBB101_145:
	v_mov_b32_e32 v44, 0
.LBB101_146:
	v_add_f32_e32 v42, v42, v43
	v_add_co_u32 v16, vcc_lo, v50, v16
	v_add_co_ci_u32_e64 v17, null, v51, v17, vcc_lo
	v_add_f32_e32 v42, v42, v44
	global_store_dword v[16:17], v42, off
	s_or_b32 exec_lo, exec_lo, s12
	s_and_b32 s15, s4, s8
	s_and_saveexec_b32 s12, s15
	s_cbranch_execz .LBB101_128
.LBB101_147:
	v_cmp_ne_u32_e32 vcc_lo, 1, v70
	v_lshlrev_b64 v[16:17], 2, v[8:9]
	s_cbranch_vccnz .LBB101_149
; %bb.148:
	v_add_co_u32 v42, vcc_lo, v52, v16
	v_add_co_ci_u32_e64 v43, null, v53, v17, vcc_lo
	global_load_dword v42, v[42:43], off
	s_waitcnt vmcnt(0)
	v_mul_f32_e32 v42, s22, v42
	s_branch .LBB101_150
.LBB101_149:
	v_mov_b32_e32 v42, 0
.LBB101_150:
	v_add_f32_e32 v40, v40, v41
	v_add_co_u32 v16, vcc_lo, v50, v16
	v_add_co_ci_u32_e64 v17, null, v51, v17, vcc_lo
	v_add_f32_e32 v40, v40, v42
	global_store_dword v[16:17], v40, off
	s_or_b32 exec_lo, exec_lo, s12
	s_and_b32 s15, s5, s8
	s_and_saveexec_b32 s12, s15
	s_cbranch_execz .LBB101_129
.LBB101_151:
	v_cmp_ne_u32_e32 vcc_lo, 1, v70
	v_lshlrev_b64 v[16:17], 2, v[10:11]
	s_cbranch_vccnz .LBB101_153
; %bb.152:
	v_add_co_u32 v40, vcc_lo, v52, v16
	v_add_co_ci_u32_e64 v41, null, v53, v17, vcc_lo
	global_load_dword v40, v[40:41], off
	s_waitcnt vmcnt(0)
	v_mul_f32_e32 v40, s22, v40
	s_branch .LBB101_154
.LBB101_153:
	v_mov_b32_e32 v40, 0
.LBB101_154:
	v_add_f32_e32 v38, v38, v39
	v_add_co_u32 v16, vcc_lo, v50, v16
	v_add_co_ci_u32_e64 v17, null, v51, v17, vcc_lo
	v_add_f32_e32 v38, v38, v40
	global_store_dword v[16:17], v38, off
	s_or_b32 exec_lo, exec_lo, s12
	s_and_b32 s15, s6, s8
	s_and_saveexec_b32 s12, s15
	s_cbranch_execz .LBB101_130
.LBB101_155:
	v_cmp_ne_u32_e32 vcc_lo, 1, v70
	v_lshlrev_b64 v[16:17], 2, v[12:13]
	s_cbranch_vccnz .LBB101_157
; %bb.156:
	v_add_co_u32 v38, vcc_lo, v52, v16
	v_add_co_ci_u32_e64 v39, null, v53, v17, vcc_lo
	global_load_dword v38, v[38:39], off
	s_waitcnt vmcnt(0)
	v_mul_f32_e32 v38, s22, v38
	s_branch .LBB101_158
.LBB101_157:
	v_mov_b32_e32 v38, 0
.LBB101_158:
	v_add_f32_e32 v36, v36, v37
	v_add_co_u32 v16, vcc_lo, v50, v16
	v_add_co_ci_u32_e64 v17, null, v51, v17, vcc_lo
	v_add_f32_e32 v36, v36, v38
	global_store_dword v[16:17], v36, off
	s_or_b32 exec_lo, exec_lo, s12
	s_and_b32 s12, s7, s8
	s_and_saveexec_b32 s8, s12
	s_cbranch_execz .LBB101_163
.LBB101_159:
	v_cmp_ne_u32_e32 vcc_lo, 1, v70
	v_lshlrev_b64 v[16:17], 2, v[14:15]
	s_cbranch_vccnz .LBB101_161
; %bb.160:
	v_add_co_u32 v36, vcc_lo, v52, v16
	v_add_co_ci_u32_e64 v37, null, v53, v17, vcc_lo
	global_load_dword v36, v[36:37], off
	s_waitcnt vmcnt(0)
	v_mul_f32_e32 v36, s22, v36
	s_branch .LBB101_162
.LBB101_161:
	v_mov_b32_e32 v36, 0
.LBB101_162:
	v_add_f32_e32 v34, v34, v35
	v_add_co_u32 v16, vcc_lo, v50, v16
	v_add_co_ci_u32_e64 v17, null, v51, v17, vcc_lo
	v_add_f32_e32 v34, v34, v36
	global_store_dword v[16:17], v34, off
.LBB101_163:
	s_or_b32 exec_lo, exec_lo, s8
	v_add_nc_u32_e32 v36, 0x60, v71
	v_mad_i64_i32 v[16:17], null, v36, s14, 0
	v_mad_i64_i32 v[34:35], null, v36, s9, 0
	v_cmp_gt_i32_e64 s8, s13, v36
	v_lshlrev_b64 v[16:17], 2, v[16:17]
	s_and_b32 s9, s0, s8
	v_lshlrev_b64 v[36:37], 2, v[34:35]
	v_add_co_u32 v34, vcc_lo, s16, v16
	v_add_co_ci_u32_e64 v35, null, s17, v17, vcc_lo
	v_add_co_u32 v16, vcc_lo, s10, v36
	v_add_co_ci_u32_e64 v17, null, s11, v37, vcc_lo
	s_and_saveexec_b32 s0, s9
	s_cbranch_execnz .LBB101_172
; %bb.164:
	s_or_b32 exec_lo, exec_lo, s0
	s_and_b32 s1, s1, s8
	s_and_saveexec_b32 s0, s1
	s_cbranch_execnz .LBB101_176
.LBB101_165:
	s_or_b32 exec_lo, exec_lo, s0
	s_and_b32 s1, s2, s8
	s_and_saveexec_b32 s0, s1
	s_cbranch_execnz .LBB101_180
.LBB101_166:
	s_or_b32 exec_lo, exec_lo, s0
	s_and_b32 s1, s3, s8
	s_and_saveexec_b32 s0, s1
	s_cbranch_execnz .LBB101_184
.LBB101_167:
	s_or_b32 exec_lo, exec_lo, s0
	s_and_b32 s1, s4, s8
	s_and_saveexec_b32 s0, s1
	s_cbranch_execnz .LBB101_188
.LBB101_168:
	s_or_b32 exec_lo, exec_lo, s0
	s_and_b32 s1, s5, s8
	s_and_saveexec_b32 s0, s1
	s_cbranch_execnz .LBB101_192
.LBB101_169:
	s_or_b32 exec_lo, exec_lo, s0
	s_and_b32 s1, s6, s8
	s_and_saveexec_b32 s0, s1
	s_cbranch_execnz .LBB101_196
.LBB101_170:
	s_or_b32 exec_lo, exec_lo, s0
	s_and_b32 s0, s7, s8
	s_and_saveexec_b32 s1, s0
	s_cbranch_execnz .LBB101_200
.LBB101_171:
	s_endpgm
.LBB101_172:
	v_cmp_ne_u32_e32 vcc_lo, 1, v70
	v_lshlrev_b64 v[0:1], 2, v[0:1]
	s_cbranch_vccnz .LBB101_174
; %bb.173:
	v_add_co_u32 v36, vcc_lo, v34, v0
	v_add_co_ci_u32_e64 v37, null, v35, v1, vcc_lo
	global_load_dword v36, v[36:37], off
	s_waitcnt vmcnt(0)
	v_mul_f32_e32 v36, s22, v36
	s_branch .LBB101_175
.LBB101_174:
	v_mov_b32_e32 v36, 0
.LBB101_175:
	v_add_f32_e32 v32, v32, v33
	v_add_co_u32 v0, vcc_lo, v16, v0
	v_add_co_ci_u32_e64 v1, null, v17, v1, vcc_lo
	v_add_f32_e32 v32, v32, v36
	global_store_dword v[0:1], v32, off
	s_or_b32 exec_lo, exec_lo, s0
	s_and_b32 s1, s1, s8
	s_and_saveexec_b32 s0, s1
	s_cbranch_execz .LBB101_165
.LBB101_176:
	v_cmp_ne_u32_e32 vcc_lo, 1, v70
	v_lshlrev_b64 v[0:1], 2, v[2:3]
	s_cbranch_vccnz .LBB101_178
; %bb.177:
	v_add_co_u32 v2, vcc_lo, v34, v0
	v_add_co_ci_u32_e64 v3, null, v35, v1, vcc_lo
	global_load_dword v2, v[2:3], off
	s_waitcnt vmcnt(0)
	v_mul_f32_e32 v2, s22, v2
	s_branch .LBB101_179
.LBB101_178:
	v_mov_b32_e32 v2, 0
.LBB101_179:
	v_add_f32_e32 v3, v30, v31
	v_add_co_u32 v0, vcc_lo, v16, v0
	v_add_co_ci_u32_e64 v1, null, v17, v1, vcc_lo
	v_add_f32_e32 v2, v3, v2
	global_store_dword v[0:1], v2, off
	s_or_b32 exec_lo, exec_lo, s0
	s_and_b32 s1, s2, s8
	s_and_saveexec_b32 s0, s1
	s_cbranch_execz .LBB101_166
.LBB101_180:
	v_cmp_ne_u32_e32 vcc_lo, 1, v70
	v_lshlrev_b64 v[0:1], 2, v[4:5]
	s_cbranch_vccnz .LBB101_182
; %bb.181:
	v_add_co_u32 v2, vcc_lo, v34, v0
	v_add_co_ci_u32_e64 v3, null, v35, v1, vcc_lo
	global_load_dword v2, v[2:3], off
	s_waitcnt vmcnt(0)
	v_mul_f32_e32 v2, s22, v2
	s_branch .LBB101_183
.LBB101_182:
	v_mov_b32_e32 v2, 0
.LBB101_183:
	v_add_f32_e32 v3, v28, v29
	v_add_co_u32 v0, vcc_lo, v16, v0
	v_add_co_ci_u32_e64 v1, null, v17, v1, vcc_lo
	v_add_f32_e32 v2, v3, v2
	global_store_dword v[0:1], v2, off
	s_or_b32 exec_lo, exec_lo, s0
	s_and_b32 s1, s3, s8
	s_and_saveexec_b32 s0, s1
	s_cbranch_execz .LBB101_167
.LBB101_184:
	v_cmp_ne_u32_e32 vcc_lo, 1, v70
	v_lshlrev_b64 v[0:1], 2, v[6:7]
	s_cbranch_vccnz .LBB101_186
; %bb.185:
	v_add_co_u32 v2, vcc_lo, v34, v0
	v_add_co_ci_u32_e64 v3, null, v35, v1, vcc_lo
	global_load_dword v2, v[2:3], off
	s_waitcnt vmcnt(0)
	v_mul_f32_e32 v2, s22, v2
	s_branch .LBB101_187
.LBB101_186:
	v_mov_b32_e32 v2, 0
.LBB101_187:
	v_add_f32_e32 v3, v26, v27
	v_add_co_u32 v0, vcc_lo, v16, v0
	v_add_co_ci_u32_e64 v1, null, v17, v1, vcc_lo
	v_add_f32_e32 v2, v3, v2
	global_store_dword v[0:1], v2, off
	s_or_b32 exec_lo, exec_lo, s0
	s_and_b32 s1, s4, s8
	s_and_saveexec_b32 s0, s1
	s_cbranch_execz .LBB101_168
.LBB101_188:
	v_cmp_ne_u32_e32 vcc_lo, 1, v70
	v_lshlrev_b64 v[0:1], 2, v[8:9]
	s_cbranch_vccnz .LBB101_190
; %bb.189:
	v_add_co_u32 v2, vcc_lo, v34, v0
	v_add_co_ci_u32_e64 v3, null, v35, v1, vcc_lo
	global_load_dword v2, v[2:3], off
	s_waitcnt vmcnt(0)
	v_mul_f32_e32 v2, s22, v2
	s_branch .LBB101_191
.LBB101_190:
	v_mov_b32_e32 v2, 0
.LBB101_191:
	v_add_f32_e32 v3, v24, v25
	v_add_co_u32 v0, vcc_lo, v16, v0
	v_add_co_ci_u32_e64 v1, null, v17, v1, vcc_lo
	v_add_f32_e32 v2, v3, v2
	global_store_dword v[0:1], v2, off
	s_or_b32 exec_lo, exec_lo, s0
	s_and_b32 s1, s5, s8
	s_and_saveexec_b32 s0, s1
	s_cbranch_execz .LBB101_169
.LBB101_192:
	v_cmp_ne_u32_e32 vcc_lo, 1, v70
	v_lshlrev_b64 v[0:1], 2, v[10:11]
	s_cbranch_vccnz .LBB101_194
; %bb.193:
	v_add_co_u32 v2, vcc_lo, v34, v0
	v_add_co_ci_u32_e64 v3, null, v35, v1, vcc_lo
	global_load_dword v2, v[2:3], off
	s_waitcnt vmcnt(0)
	v_mul_f32_e32 v2, s22, v2
	s_branch .LBB101_195
.LBB101_194:
	v_mov_b32_e32 v2, 0
.LBB101_195:
	v_add_f32_e32 v3, v22, v23
	v_add_co_u32 v0, vcc_lo, v16, v0
	v_add_co_ci_u32_e64 v1, null, v17, v1, vcc_lo
	v_add_f32_e32 v2, v3, v2
	global_store_dword v[0:1], v2, off
	s_or_b32 exec_lo, exec_lo, s0
	s_and_b32 s1, s6, s8
	s_and_saveexec_b32 s0, s1
	s_cbranch_execz .LBB101_170
.LBB101_196:
	v_cmp_ne_u32_e32 vcc_lo, 1, v70
	v_lshlrev_b64 v[0:1], 2, v[12:13]
	s_cbranch_vccnz .LBB101_198
; %bb.197:
	v_add_co_u32 v2, vcc_lo, v34, v0
	v_add_co_ci_u32_e64 v3, null, v35, v1, vcc_lo
	global_load_dword v2, v[2:3], off
	s_waitcnt vmcnt(0)
	v_mul_f32_e32 v2, s22, v2
	s_branch .LBB101_199
.LBB101_198:
	v_mov_b32_e32 v2, 0
.LBB101_199:
	v_add_f32_e32 v3, v20, v21
	v_add_co_u32 v0, vcc_lo, v16, v0
	v_add_co_ci_u32_e64 v1, null, v17, v1, vcc_lo
	v_add_f32_e32 v2, v3, v2
	global_store_dword v[0:1], v2, off
	s_or_b32 exec_lo, exec_lo, s0
	s_and_b32 s0, s7, s8
	s_and_saveexec_b32 s1, s0
	s_cbranch_execz .LBB101_171
.LBB101_200:
	v_cmp_ne_u32_e32 vcc_lo, 1, v70
	v_lshlrev_b64 v[0:1], 2, v[14:15]
	s_cbranch_vccnz .LBB101_202
; %bb.201:
	v_add_co_u32 v2, vcc_lo, v34, v0
	v_add_co_ci_u32_e64 v3, null, v35, v1, vcc_lo
	global_load_dword v2, v[2:3], off
	s_waitcnt vmcnt(0)
	v_mul_f32_e32 v2, s22, v2
	s_branch .LBB101_203
.LBB101_202:
	v_mov_b32_e32 v2, 0
.LBB101_203:
	v_add_f32_e32 v3, v18, v19
	v_add_co_u32 v0, vcc_lo, v16, v0
	v_add_co_ci_u32_e64 v1, null, v17, v1, vcc_lo
	v_add_f32_e32 v2, v3, v2
	global_store_dword v[0:1], v2, off
	s_endpgm
	.section	.rodata,"a",@progbits
	.p2align	6, 0x0
	.amdhsa_kernel _ZN12_GLOBAL__N_120geam_min_plus_kernelIf15HIP_vector_typeIfLj2EES2_Li8ELi32ELi64ELi128ELi4ELi4ELi64ELi64ELi4ELc84ELc84ELb0ELb1ELb0EfKffEEviiiT16_PT17_ilS6_ilS4_S6_ilPT18_ili26rocblas_geam_ex_operation_
		.amdhsa_group_segment_fixed_size 6144
		.amdhsa_private_segment_fixed_size 0
		.amdhsa_kernarg_size 128
		.amdhsa_user_sgpr_count 6
		.amdhsa_user_sgpr_private_segment_buffer 1
		.amdhsa_user_sgpr_dispatch_ptr 0
		.amdhsa_user_sgpr_queue_ptr 0
		.amdhsa_user_sgpr_kernarg_segment_ptr 1
		.amdhsa_user_sgpr_dispatch_id 0
		.amdhsa_user_sgpr_flat_scratch_init 0
		.amdhsa_user_sgpr_private_segment_size 0
		.amdhsa_wavefront_size32 1
		.amdhsa_uses_dynamic_stack 0
		.amdhsa_system_sgpr_private_segment_wavefront_offset 0
		.amdhsa_system_sgpr_workgroup_id_x 1
		.amdhsa_system_sgpr_workgroup_id_y 0
		.amdhsa_system_sgpr_workgroup_id_z 1
		.amdhsa_system_sgpr_workgroup_info 0
		.amdhsa_system_vgpr_workitem_id 1
		.amdhsa_next_free_vgpr 111
		.amdhsa_next_free_sgpr 29
		.amdhsa_reserve_vcc 1
		.amdhsa_reserve_flat_scratch 0
		.amdhsa_float_round_mode_32 0
		.amdhsa_float_round_mode_16_64 0
		.amdhsa_float_denorm_mode_32 3
		.amdhsa_float_denorm_mode_16_64 3
		.amdhsa_dx10_clamp 1
		.amdhsa_ieee_mode 1
		.amdhsa_fp16_overflow 0
		.amdhsa_workgroup_processor_mode 1
		.amdhsa_memory_ordered 1
		.amdhsa_forward_progress 1
		.amdhsa_shared_vgpr_count 0
		.amdhsa_exception_fp_ieee_invalid_op 0
		.amdhsa_exception_fp_denorm_src 0
		.amdhsa_exception_fp_ieee_div_zero 0
		.amdhsa_exception_fp_ieee_overflow 0
		.amdhsa_exception_fp_ieee_underflow 0
		.amdhsa_exception_fp_ieee_inexact 0
		.amdhsa_exception_int_div_zero 0
	.end_amdhsa_kernel
	.section	.text._ZN12_GLOBAL__N_120geam_min_plus_kernelIf15HIP_vector_typeIfLj2EES2_Li8ELi32ELi64ELi128ELi4ELi4ELi64ELi64ELi4ELc84ELc84ELb0ELb1ELb0EfKffEEviiiT16_PT17_ilS6_ilS4_S6_ilPT18_ili26rocblas_geam_ex_operation_,"axG",@progbits,_ZN12_GLOBAL__N_120geam_min_plus_kernelIf15HIP_vector_typeIfLj2EES2_Li8ELi32ELi64ELi128ELi4ELi4ELi64ELi64ELi4ELc84ELc84ELb0ELb1ELb0EfKffEEviiiT16_PT17_ilS6_ilS4_S6_ilPT18_ili26rocblas_geam_ex_operation_,comdat
.Lfunc_end101:
	.size	_ZN12_GLOBAL__N_120geam_min_plus_kernelIf15HIP_vector_typeIfLj2EES2_Li8ELi32ELi64ELi128ELi4ELi4ELi64ELi64ELi4ELc84ELc84ELb0ELb1ELb0EfKffEEviiiT16_PT17_ilS6_ilS4_S6_ilPT18_ili26rocblas_geam_ex_operation_, .Lfunc_end101-_ZN12_GLOBAL__N_120geam_min_plus_kernelIf15HIP_vector_typeIfLj2EES2_Li8ELi32ELi64ELi128ELi4ELi4ELi64ELi64ELi4ELc84ELc84ELb0ELb1ELb0EfKffEEviiiT16_PT17_ilS6_ilS4_S6_ilPT18_ili26rocblas_geam_ex_operation_
                                        ; -- End function
	.set _ZN12_GLOBAL__N_120geam_min_plus_kernelIf15HIP_vector_typeIfLj2EES2_Li8ELi32ELi64ELi128ELi4ELi4ELi64ELi64ELi4ELc84ELc84ELb0ELb1ELb0EfKffEEviiiT16_PT17_ilS6_ilS4_S6_ilPT18_ili26rocblas_geam_ex_operation_.num_vgpr, 111
	.set _ZN12_GLOBAL__N_120geam_min_plus_kernelIf15HIP_vector_typeIfLj2EES2_Li8ELi32ELi64ELi128ELi4ELi4ELi64ELi64ELi4ELc84ELc84ELb0ELb1ELb0EfKffEEviiiT16_PT17_ilS6_ilS4_S6_ilPT18_ili26rocblas_geam_ex_operation_.num_agpr, 0
	.set _ZN12_GLOBAL__N_120geam_min_plus_kernelIf15HIP_vector_typeIfLj2EES2_Li8ELi32ELi64ELi128ELi4ELi4ELi64ELi64ELi4ELc84ELc84ELb0ELb1ELb0EfKffEEviiiT16_PT17_ilS6_ilS4_S6_ilPT18_ili26rocblas_geam_ex_operation_.numbered_sgpr, 29
	.set _ZN12_GLOBAL__N_120geam_min_plus_kernelIf15HIP_vector_typeIfLj2EES2_Li8ELi32ELi64ELi128ELi4ELi4ELi64ELi64ELi4ELc84ELc84ELb0ELb1ELb0EfKffEEviiiT16_PT17_ilS6_ilS4_S6_ilPT18_ili26rocblas_geam_ex_operation_.num_named_barrier, 0
	.set _ZN12_GLOBAL__N_120geam_min_plus_kernelIf15HIP_vector_typeIfLj2EES2_Li8ELi32ELi64ELi128ELi4ELi4ELi64ELi64ELi4ELc84ELc84ELb0ELb1ELb0EfKffEEviiiT16_PT17_ilS6_ilS4_S6_ilPT18_ili26rocblas_geam_ex_operation_.private_seg_size, 0
	.set _ZN12_GLOBAL__N_120geam_min_plus_kernelIf15HIP_vector_typeIfLj2EES2_Li8ELi32ELi64ELi128ELi4ELi4ELi64ELi64ELi4ELc84ELc84ELb0ELb1ELb0EfKffEEviiiT16_PT17_ilS6_ilS4_S6_ilPT18_ili26rocblas_geam_ex_operation_.uses_vcc, 1
	.set _ZN12_GLOBAL__N_120geam_min_plus_kernelIf15HIP_vector_typeIfLj2EES2_Li8ELi32ELi64ELi128ELi4ELi4ELi64ELi64ELi4ELc84ELc84ELb0ELb1ELb0EfKffEEviiiT16_PT17_ilS6_ilS4_S6_ilPT18_ili26rocblas_geam_ex_operation_.uses_flat_scratch, 0
	.set _ZN12_GLOBAL__N_120geam_min_plus_kernelIf15HIP_vector_typeIfLj2EES2_Li8ELi32ELi64ELi128ELi4ELi4ELi64ELi64ELi4ELc84ELc84ELb0ELb1ELb0EfKffEEviiiT16_PT17_ilS6_ilS4_S6_ilPT18_ili26rocblas_geam_ex_operation_.has_dyn_sized_stack, 0
	.set _ZN12_GLOBAL__N_120geam_min_plus_kernelIf15HIP_vector_typeIfLj2EES2_Li8ELi32ELi64ELi128ELi4ELi4ELi64ELi64ELi4ELc84ELc84ELb0ELb1ELb0EfKffEEviiiT16_PT17_ilS6_ilS4_S6_ilPT18_ili26rocblas_geam_ex_operation_.has_recursion, 0
	.set _ZN12_GLOBAL__N_120geam_min_plus_kernelIf15HIP_vector_typeIfLj2EES2_Li8ELi32ELi64ELi128ELi4ELi4ELi64ELi64ELi4ELc84ELc84ELb0ELb1ELb0EfKffEEviiiT16_PT17_ilS6_ilS4_S6_ilPT18_ili26rocblas_geam_ex_operation_.has_indirect_call, 0
	.section	.AMDGPU.csdata,"",@progbits
; Kernel info:
; codeLenInByte = 9032
; TotalNumSgprs: 31
; NumVgprs: 111
; ScratchSize: 0
; MemoryBound: 0
; FloatMode: 240
; IeeeMode: 1
; LDSByteSize: 6144 bytes/workgroup (compile time only)
; SGPRBlocks: 0
; VGPRBlocks: 13
; NumSGPRsForWavesPerEU: 31
; NumVGPRsForWavesPerEU: 111
; Occupancy: 9
; WaveLimiterHint : 0
; COMPUTE_PGM_RSRC2:SCRATCH_EN: 0
; COMPUTE_PGM_RSRC2:USER_SGPR: 6
; COMPUTE_PGM_RSRC2:TRAP_HANDLER: 0
; COMPUTE_PGM_RSRC2:TGID_X_EN: 1
; COMPUTE_PGM_RSRC2:TGID_Y_EN: 0
; COMPUTE_PGM_RSRC2:TGID_Z_EN: 1
; COMPUTE_PGM_RSRC2:TIDIG_COMP_CNT: 1
	.section	.text._ZN12_GLOBAL__N_120geam_ex_scale_kernelILi32ELi32EddPKPKdPKPdEEviiT2_T3_lilT4_lil,"axG",@progbits,_ZN12_GLOBAL__N_120geam_ex_scale_kernelILi32ELi32EddPKPKdPKPdEEviiT2_T3_lilT4_lil,comdat
	.globl	_ZN12_GLOBAL__N_120geam_ex_scale_kernelILi32ELi32EddPKPKdPKPdEEviiT2_T3_lilT4_lil ; -- Begin function _ZN12_GLOBAL__N_120geam_ex_scale_kernelILi32ELi32EddPKPKdPKPdEEviiT2_T3_lilT4_lil
	.p2align	8
	.type	_ZN12_GLOBAL__N_120geam_ex_scale_kernelILi32ELi32EddPKPKdPKPdEEviiT2_T3_lilT4_lil,@function
_ZN12_GLOBAL__N_120geam_ex_scale_kernelILi32ELi32EddPKPKdPKPdEEviiT2_T3_lilT4_lil: ; @_ZN12_GLOBAL__N_120geam_ex_scale_kernelILi32ELi32EddPKPKdPKPdEEviiT2_T3_lilT4_lil
; %bb.0:
	s_load_dwordx4 s[8:11], s[4:5], 0x8
	s_mov_b32 s14, s7
	s_mov_b64 s[12:13], 0
	s_mov_b32 s15, 0
	s_waitcnt lgkmcnt(0)
	v_cmp_eq_f64_e64 s7, s[8:9], 0
	s_and_b32 vcc_lo, exec_lo, s7
	s_cbranch_vccnz .LBB102_2
; %bb.1:
	s_lshl_b64 s[0:1], s[14:15], 3
	s_load_dwordx2 s[2:3], s[4:5], 0x18
	s_add_u32 s0, s10, s0
	s_addc_u32 s1, s11, s1
	s_load_dwordx2 s[0:1], s[0:1], 0x0
	s_waitcnt lgkmcnt(0)
	s_lshl_b64 s[2:3], s[2:3], 3
	s_add_u32 s12, s0, s2
	s_addc_u32 s13, s1, s3
.LBB102_2:
	s_load_dwordx2 s[0:1], s[4:5], 0x0
	s_waitcnt lgkmcnt(0)
	s_add_i32 s2, s0, -1
	s_ashr_i32 s3, s2, 31
	s_lshr_b32 s3, s3, 27
	s_add_i32 s2, s2, s3
	s_ashr_i32 s2, s2, 5
	s_add_i32 s3, s2, 1
	s_not_b32 s2, s2
	v_cvt_f32_u32_e32 v2, s3
	v_rcp_iflag_f32_e32 v2, v2
	v_mul_f32_e32 v2, 0x4f7ffffe, v2
	v_cvt_u32_f32_e32 v2, v2
	v_readfirstlane_b32 s10, v2
	s_mul_i32 s2, s2, s10
	s_mul_hi_u32 s2, s10, s2
	s_add_i32 s10, s10, s2
	s_mul_hi_u32 s2, s6, s10
	s_mul_i32 s10, s2, s3
	s_add_i32 s11, s2, 1
	s_sub_i32 s10, s6, s10
	s_sub_i32 s16, s10, s3
	s_cmp_ge_u32 s10, s3
	s_cselect_b32 s2, s11, s2
	s_cselect_b32 s10, s16, s10
	s_add_i32 s11, s2, 1
	s_cmp_ge_u32 s10, s3
	s_cselect_b32 s2, s11, s2
	s_mul_i32 s3, s2, s3
	v_lshl_add_u32 v4, s2, 5, v1
	s_sub_i32 s3, s6, s3
	s_mov_b32 s6, -1
	v_lshl_add_u32 v0, s3, 5, v0
	v_cmp_gt_u32_e32 vcc_lo, s0, v0
	v_cmp_gt_u32_e64 s0, s1, v4
	s_and_b32 s0, vcc_lo, s0
	s_and_saveexec_b32 s1, s0
	s_cbranch_execz .LBB102_8
; %bb.3:
	s_load_dwordx4 s[0:3], s[4:5], 0x30
	s_lshl_b64 s[10:11], s[14:15], 3
	v_mov_b32_e32 v1, 0
	s_waitcnt lgkmcnt(0)
	s_add_u32 s0, s0, s10
	s_addc_u32 s1, s1, s11
	s_andn2_b32 vcc_lo, exec_lo, s7
	s_load_dwordx2 s[0:1], s[0:1], 0x0
	s_cbranch_vccnz .LBB102_5
; %bb.4:
	s_mov_b32 s6, 0
.LBB102_5:
	v_mov_b32_e32 v2, 0
	v_mov_b32_e32 v3, 0
	s_andn2_b32 vcc_lo, exec_lo, s6
	s_cbranch_vccnz .LBB102_7
; %bb.6:
	s_load_dword s6, s[4:5], 0x20
	s_waitcnt lgkmcnt(0)
	v_mad_u64_u32 v[2:3], null, v4, s6, 0
	s_ashr_i32 s6, s6, 31
	v_mad_u64_u32 v[5:6], null, v4, s6, v[3:4]
	v_mov_b32_e32 v3, v5
	v_lshlrev_b64 v[5:6], 3, v[0:1]
	v_lshlrev_b64 v[2:3], 3, v[2:3]
	v_add_co_u32 v2, vcc_lo, s12, v2
	v_add_co_ci_u32_e64 v3, null, s13, v3, vcc_lo
	v_add_co_u32 v2, vcc_lo, v2, v5
	v_add_co_ci_u32_e64 v3, null, v3, v6, vcc_lo
	flat_load_dwordx2 v[2:3], v[2:3]
	s_waitcnt vmcnt(0) lgkmcnt(0)
	v_mul_f64 v[2:3], s[8:9], v[2:3]
.LBB102_7:
	s_load_dword s4, s[4:5], 0x40
	s_lshl_b64 s[2:3], s[2:3], 3
	v_lshlrev_b64 v[0:1], 3, v[0:1]
	s_waitcnt lgkmcnt(0)
	s_add_u32 s0, s0, s2
	s_addc_u32 s1, s1, s3
	v_mad_u64_u32 v[5:6], null, v4, s4, 0
	s_ashr_i32 s2, s4, 31
	v_mad_u64_u32 v[6:7], null, v4, s2, v[6:7]
	v_lshlrev_b64 v[4:5], 3, v[5:6]
	v_add_co_u32 v4, vcc_lo, s0, v4
	v_add_co_ci_u32_e64 v5, null, s1, v5, vcc_lo
	v_add_co_u32 v0, vcc_lo, v4, v0
	v_add_co_ci_u32_e64 v1, null, v5, v1, vcc_lo
	flat_store_dwordx2 v[0:1], v[2:3]
.LBB102_8:
	s_endpgm
	.section	.rodata,"a",@progbits
	.p2align	6, 0x0
	.amdhsa_kernel _ZN12_GLOBAL__N_120geam_ex_scale_kernelILi32ELi32EddPKPKdPKPdEEviiT2_T3_lilT4_lil
		.amdhsa_group_segment_fixed_size 0
		.amdhsa_private_segment_fixed_size 0
		.amdhsa_kernarg_size 80
		.amdhsa_user_sgpr_count 6
		.amdhsa_user_sgpr_private_segment_buffer 1
		.amdhsa_user_sgpr_dispatch_ptr 0
		.amdhsa_user_sgpr_queue_ptr 0
		.amdhsa_user_sgpr_kernarg_segment_ptr 1
		.amdhsa_user_sgpr_dispatch_id 0
		.amdhsa_user_sgpr_flat_scratch_init 0
		.amdhsa_user_sgpr_private_segment_size 0
		.amdhsa_wavefront_size32 1
		.amdhsa_uses_dynamic_stack 0
		.amdhsa_system_sgpr_private_segment_wavefront_offset 0
		.amdhsa_system_sgpr_workgroup_id_x 1
		.amdhsa_system_sgpr_workgroup_id_y 0
		.amdhsa_system_sgpr_workgroup_id_z 1
		.amdhsa_system_sgpr_workgroup_info 0
		.amdhsa_system_vgpr_workitem_id 1
		.amdhsa_next_free_vgpr 8
		.amdhsa_next_free_sgpr 17
		.amdhsa_reserve_vcc 1
		.amdhsa_reserve_flat_scratch 0
		.amdhsa_float_round_mode_32 0
		.amdhsa_float_round_mode_16_64 0
		.amdhsa_float_denorm_mode_32 3
		.amdhsa_float_denorm_mode_16_64 3
		.amdhsa_dx10_clamp 1
		.amdhsa_ieee_mode 1
		.amdhsa_fp16_overflow 0
		.amdhsa_workgroup_processor_mode 1
		.amdhsa_memory_ordered 1
		.amdhsa_forward_progress 1
		.amdhsa_shared_vgpr_count 0
		.amdhsa_exception_fp_ieee_invalid_op 0
		.amdhsa_exception_fp_denorm_src 0
		.amdhsa_exception_fp_ieee_div_zero 0
		.amdhsa_exception_fp_ieee_overflow 0
		.amdhsa_exception_fp_ieee_underflow 0
		.amdhsa_exception_fp_ieee_inexact 0
		.amdhsa_exception_int_div_zero 0
	.end_amdhsa_kernel
	.section	.text._ZN12_GLOBAL__N_120geam_ex_scale_kernelILi32ELi32EddPKPKdPKPdEEviiT2_T3_lilT4_lil,"axG",@progbits,_ZN12_GLOBAL__N_120geam_ex_scale_kernelILi32ELi32EddPKPKdPKPdEEviiT2_T3_lilT4_lil,comdat
.Lfunc_end102:
	.size	_ZN12_GLOBAL__N_120geam_ex_scale_kernelILi32ELi32EddPKPKdPKPdEEviiT2_T3_lilT4_lil, .Lfunc_end102-_ZN12_GLOBAL__N_120geam_ex_scale_kernelILi32ELi32EddPKPKdPKPdEEviiT2_T3_lilT4_lil
                                        ; -- End function
	.set _ZN12_GLOBAL__N_120geam_ex_scale_kernelILi32ELi32EddPKPKdPKPdEEviiT2_T3_lilT4_lil.num_vgpr, 8
	.set _ZN12_GLOBAL__N_120geam_ex_scale_kernelILi32ELi32EddPKPKdPKPdEEviiT2_T3_lilT4_lil.num_agpr, 0
	.set _ZN12_GLOBAL__N_120geam_ex_scale_kernelILi32ELi32EddPKPKdPKPdEEviiT2_T3_lilT4_lil.numbered_sgpr, 17
	.set _ZN12_GLOBAL__N_120geam_ex_scale_kernelILi32ELi32EddPKPKdPKPdEEviiT2_T3_lilT4_lil.num_named_barrier, 0
	.set _ZN12_GLOBAL__N_120geam_ex_scale_kernelILi32ELi32EddPKPKdPKPdEEviiT2_T3_lilT4_lil.private_seg_size, 0
	.set _ZN12_GLOBAL__N_120geam_ex_scale_kernelILi32ELi32EddPKPKdPKPdEEviiT2_T3_lilT4_lil.uses_vcc, 1
	.set _ZN12_GLOBAL__N_120geam_ex_scale_kernelILi32ELi32EddPKPKdPKPdEEviiT2_T3_lilT4_lil.uses_flat_scratch, 0
	.set _ZN12_GLOBAL__N_120geam_ex_scale_kernelILi32ELi32EddPKPKdPKPdEEviiT2_T3_lilT4_lil.has_dyn_sized_stack, 0
	.set _ZN12_GLOBAL__N_120geam_ex_scale_kernelILi32ELi32EddPKPKdPKPdEEviiT2_T3_lilT4_lil.has_recursion, 0
	.set _ZN12_GLOBAL__N_120geam_ex_scale_kernelILi32ELi32EddPKPKdPKPdEEviiT2_T3_lilT4_lil.has_indirect_call, 0
	.section	.AMDGPU.csdata,"",@progbits
; Kernel info:
; codeLenInByte = 528
; TotalNumSgprs: 19
; NumVgprs: 8
; ScratchSize: 0
; MemoryBound: 0
; FloatMode: 240
; IeeeMode: 1
; LDSByteSize: 0 bytes/workgroup (compile time only)
; SGPRBlocks: 0
; VGPRBlocks: 0
; NumSGPRsForWavesPerEU: 19
; NumVGPRsForWavesPerEU: 8
; Occupancy: 16
; WaveLimiterHint : 1
; COMPUTE_PGM_RSRC2:SCRATCH_EN: 0
; COMPUTE_PGM_RSRC2:USER_SGPR: 6
; COMPUTE_PGM_RSRC2:TRAP_HANDLER: 0
; COMPUTE_PGM_RSRC2:TGID_X_EN: 1
; COMPUTE_PGM_RSRC2:TGID_Y_EN: 0
; COMPUTE_PGM_RSRC2:TGID_Z_EN: 1
; COMPUTE_PGM_RSRC2:TIDIG_COMP_CNT: 1
	.section	.text._ZN12_GLOBAL__N_120geam_ex_scale_kernelILi32ELi32EdPKdPKS2_PKPdEEviiT2_T3_lilT4_lil,"axG",@progbits,_ZN12_GLOBAL__N_120geam_ex_scale_kernelILi32ELi32EdPKdPKS2_PKPdEEviiT2_T3_lilT4_lil,comdat
	.globl	_ZN12_GLOBAL__N_120geam_ex_scale_kernelILi32ELi32EdPKdPKS2_PKPdEEviiT2_T3_lilT4_lil ; -- Begin function _ZN12_GLOBAL__N_120geam_ex_scale_kernelILi32ELi32EdPKdPKS2_PKPdEEviiT2_T3_lilT4_lil
	.p2align	8
	.type	_ZN12_GLOBAL__N_120geam_ex_scale_kernelILi32ELi32EdPKdPKS2_PKPdEEviiT2_T3_lilT4_lil,@function
_ZN12_GLOBAL__N_120geam_ex_scale_kernelILi32ELi32EdPKdPKS2_PKPdEEviiT2_T3_lilT4_lil: ; @_ZN12_GLOBAL__N_120geam_ex_scale_kernelILi32ELi32EdPKdPKS2_PKPdEEviiT2_T3_lilT4_lil
; %bb.0:
	s_load_dwordx4 s[0:3], s[4:5], 0x8
	s_mov_b32 s12, s7
	s_mov_b64 s[10:11], 0
	s_mov_b32 s13, 0
	s_waitcnt lgkmcnt(0)
	s_load_dwordx2 s[8:9], s[0:1], 0x0
	s_waitcnt lgkmcnt(0)
	v_cmp_eq_f64_e64 s7, s[8:9], 0
	s_and_b32 vcc_lo, exec_lo, s7
	s_cbranch_vccnz .LBB103_2
; %bb.1:
	s_lshl_b64 s[0:1], s[12:13], 3
	s_load_dwordx2 s[10:11], s[4:5], 0x18
	s_add_u32 s0, s2, s0
	s_addc_u32 s1, s3, s1
	s_load_dwordx2 s[0:1], s[0:1], 0x0
	s_waitcnt lgkmcnt(0)
	s_lshl_b64 s[2:3], s[10:11], 3
	s_add_u32 s10, s0, s2
	s_addc_u32 s11, s1, s3
.LBB103_2:
	s_load_dwordx2 s[0:1], s[4:5], 0x0
	s_waitcnt lgkmcnt(0)
	s_add_i32 s2, s0, -1
	s_ashr_i32 s3, s2, 31
	s_lshr_b32 s3, s3, 27
	s_add_i32 s2, s2, s3
	s_ashr_i32 s2, s2, 5
	s_add_i32 s3, s2, 1
	s_not_b32 s2, s2
	v_cvt_f32_u32_e32 v2, s3
	v_rcp_iflag_f32_e32 v2, v2
	v_mul_f32_e32 v2, 0x4f7ffffe, v2
	v_cvt_u32_f32_e32 v2, v2
	v_readfirstlane_b32 s14, v2
	s_mul_i32 s2, s2, s14
	s_mul_hi_u32 s2, s14, s2
	s_add_i32 s14, s14, s2
	s_mul_hi_u32 s2, s6, s14
	s_mul_i32 s14, s2, s3
	s_add_i32 s15, s2, 1
	s_sub_i32 s14, s6, s14
	s_sub_i32 s16, s14, s3
	s_cmp_ge_u32 s14, s3
	s_cselect_b32 s2, s15, s2
	s_cselect_b32 s14, s16, s14
	s_add_i32 s15, s2, 1
	s_cmp_ge_u32 s14, s3
	s_cselect_b32 s2, s15, s2
	s_mul_i32 s3, s2, s3
	v_lshl_add_u32 v4, s2, 5, v1
	s_sub_i32 s3, s6, s3
	s_mov_b32 s6, -1
	v_lshl_add_u32 v0, s3, 5, v0
	v_cmp_gt_u32_e32 vcc_lo, s0, v0
	v_cmp_gt_u32_e64 s0, s1, v4
	s_and_b32 s0, vcc_lo, s0
	s_and_saveexec_b32 s1, s0
	s_cbranch_execz .LBB103_8
; %bb.3:
	s_load_dwordx4 s[0:3], s[4:5], 0x30
	s_lshl_b64 s[12:13], s[12:13], 3
	v_mov_b32_e32 v1, 0
	s_waitcnt lgkmcnt(0)
	s_add_u32 s0, s0, s12
	s_addc_u32 s1, s1, s13
	s_andn2_b32 vcc_lo, exec_lo, s7
	s_load_dwordx2 s[0:1], s[0:1], 0x0
	s_cbranch_vccnz .LBB103_5
; %bb.4:
	s_mov_b32 s6, 0
.LBB103_5:
	v_mov_b32_e32 v2, 0
	v_mov_b32_e32 v3, 0
	s_andn2_b32 vcc_lo, exec_lo, s6
	s_cbranch_vccnz .LBB103_7
; %bb.6:
	s_load_dword s6, s[4:5], 0x20
	s_waitcnt lgkmcnt(0)
	v_mad_u64_u32 v[2:3], null, v4, s6, 0
	s_ashr_i32 s6, s6, 31
	v_mad_u64_u32 v[5:6], null, v4, s6, v[3:4]
	v_mov_b32_e32 v3, v5
	v_lshlrev_b64 v[5:6], 3, v[0:1]
	v_lshlrev_b64 v[2:3], 3, v[2:3]
	v_add_co_u32 v2, vcc_lo, s10, v2
	v_add_co_ci_u32_e64 v3, null, s11, v3, vcc_lo
	v_add_co_u32 v2, vcc_lo, v2, v5
	v_add_co_ci_u32_e64 v3, null, v3, v6, vcc_lo
	flat_load_dwordx2 v[2:3], v[2:3]
	s_waitcnt vmcnt(0) lgkmcnt(0)
	v_mul_f64 v[2:3], s[8:9], v[2:3]
.LBB103_7:
	s_load_dword s4, s[4:5], 0x40
	s_lshl_b64 s[2:3], s[2:3], 3
	v_lshlrev_b64 v[0:1], 3, v[0:1]
	s_waitcnt lgkmcnt(0)
	s_add_u32 s0, s0, s2
	s_addc_u32 s1, s1, s3
	v_mad_u64_u32 v[5:6], null, v4, s4, 0
	s_ashr_i32 s2, s4, 31
	v_mad_u64_u32 v[6:7], null, v4, s2, v[6:7]
	v_lshlrev_b64 v[4:5], 3, v[5:6]
	v_add_co_u32 v4, vcc_lo, s0, v4
	v_add_co_ci_u32_e64 v5, null, s1, v5, vcc_lo
	v_add_co_u32 v0, vcc_lo, v4, v0
	v_add_co_ci_u32_e64 v1, null, v5, v1, vcc_lo
	flat_store_dwordx2 v[0:1], v[2:3]
.LBB103_8:
	s_endpgm
	.section	.rodata,"a",@progbits
	.p2align	6, 0x0
	.amdhsa_kernel _ZN12_GLOBAL__N_120geam_ex_scale_kernelILi32ELi32EdPKdPKS2_PKPdEEviiT2_T3_lilT4_lil
		.amdhsa_group_segment_fixed_size 0
		.amdhsa_private_segment_fixed_size 0
		.amdhsa_kernarg_size 80
		.amdhsa_user_sgpr_count 6
		.amdhsa_user_sgpr_private_segment_buffer 1
		.amdhsa_user_sgpr_dispatch_ptr 0
		.amdhsa_user_sgpr_queue_ptr 0
		.amdhsa_user_sgpr_kernarg_segment_ptr 1
		.amdhsa_user_sgpr_dispatch_id 0
		.amdhsa_user_sgpr_flat_scratch_init 0
		.amdhsa_user_sgpr_private_segment_size 0
		.amdhsa_wavefront_size32 1
		.amdhsa_uses_dynamic_stack 0
		.amdhsa_system_sgpr_private_segment_wavefront_offset 0
		.amdhsa_system_sgpr_workgroup_id_x 1
		.amdhsa_system_sgpr_workgroup_id_y 0
		.amdhsa_system_sgpr_workgroup_id_z 1
		.amdhsa_system_sgpr_workgroup_info 0
		.amdhsa_system_vgpr_workitem_id 1
		.amdhsa_next_free_vgpr 8
		.amdhsa_next_free_sgpr 17
		.amdhsa_reserve_vcc 1
		.amdhsa_reserve_flat_scratch 0
		.amdhsa_float_round_mode_32 0
		.amdhsa_float_round_mode_16_64 0
		.amdhsa_float_denorm_mode_32 3
		.amdhsa_float_denorm_mode_16_64 3
		.amdhsa_dx10_clamp 1
		.amdhsa_ieee_mode 1
		.amdhsa_fp16_overflow 0
		.amdhsa_workgroup_processor_mode 1
		.amdhsa_memory_ordered 1
		.amdhsa_forward_progress 1
		.amdhsa_shared_vgpr_count 0
		.amdhsa_exception_fp_ieee_invalid_op 0
		.amdhsa_exception_fp_denorm_src 0
		.amdhsa_exception_fp_ieee_div_zero 0
		.amdhsa_exception_fp_ieee_overflow 0
		.amdhsa_exception_fp_ieee_underflow 0
		.amdhsa_exception_fp_ieee_inexact 0
		.amdhsa_exception_int_div_zero 0
	.end_amdhsa_kernel
	.section	.text._ZN12_GLOBAL__N_120geam_ex_scale_kernelILi32ELi32EdPKdPKS2_PKPdEEviiT2_T3_lilT4_lil,"axG",@progbits,_ZN12_GLOBAL__N_120geam_ex_scale_kernelILi32ELi32EdPKdPKS2_PKPdEEviiT2_T3_lilT4_lil,comdat
.Lfunc_end103:
	.size	_ZN12_GLOBAL__N_120geam_ex_scale_kernelILi32ELi32EdPKdPKS2_PKPdEEviiT2_T3_lilT4_lil, .Lfunc_end103-_ZN12_GLOBAL__N_120geam_ex_scale_kernelILi32ELi32EdPKdPKS2_PKPdEEviiT2_T3_lilT4_lil
                                        ; -- End function
	.set _ZN12_GLOBAL__N_120geam_ex_scale_kernelILi32ELi32EdPKdPKS2_PKPdEEviiT2_T3_lilT4_lil.num_vgpr, 8
	.set _ZN12_GLOBAL__N_120geam_ex_scale_kernelILi32ELi32EdPKdPKS2_PKPdEEviiT2_T3_lilT4_lil.num_agpr, 0
	.set _ZN12_GLOBAL__N_120geam_ex_scale_kernelILi32ELi32EdPKdPKS2_PKPdEEviiT2_T3_lilT4_lil.numbered_sgpr, 17
	.set _ZN12_GLOBAL__N_120geam_ex_scale_kernelILi32ELi32EdPKdPKS2_PKPdEEviiT2_T3_lilT4_lil.num_named_barrier, 0
	.set _ZN12_GLOBAL__N_120geam_ex_scale_kernelILi32ELi32EdPKdPKS2_PKPdEEviiT2_T3_lilT4_lil.private_seg_size, 0
	.set _ZN12_GLOBAL__N_120geam_ex_scale_kernelILi32ELi32EdPKdPKS2_PKPdEEviiT2_T3_lilT4_lil.uses_vcc, 1
	.set _ZN12_GLOBAL__N_120geam_ex_scale_kernelILi32ELi32EdPKdPKS2_PKPdEEviiT2_T3_lilT4_lil.uses_flat_scratch, 0
	.set _ZN12_GLOBAL__N_120geam_ex_scale_kernelILi32ELi32EdPKdPKS2_PKPdEEviiT2_T3_lilT4_lil.has_dyn_sized_stack, 0
	.set _ZN12_GLOBAL__N_120geam_ex_scale_kernelILi32ELi32EdPKdPKS2_PKPdEEviiT2_T3_lilT4_lil.has_recursion, 0
	.set _ZN12_GLOBAL__N_120geam_ex_scale_kernelILi32ELi32EdPKdPKS2_PKPdEEviiT2_T3_lilT4_lil.has_indirect_call, 0
	.section	.AMDGPU.csdata,"",@progbits
; Kernel info:
; codeLenInByte = 540
; TotalNumSgprs: 19
; NumVgprs: 8
; ScratchSize: 0
; MemoryBound: 0
; FloatMode: 240
; IeeeMode: 1
; LDSByteSize: 0 bytes/workgroup (compile time only)
; SGPRBlocks: 0
; VGPRBlocks: 0
; NumSGPRsForWavesPerEU: 19
; NumVGPRsForWavesPerEU: 8
; Occupancy: 16
; WaveLimiterHint : 1
; COMPUTE_PGM_RSRC2:SCRATCH_EN: 0
; COMPUTE_PGM_RSRC2:USER_SGPR: 6
; COMPUTE_PGM_RSRC2:TRAP_HANDLER: 0
; COMPUTE_PGM_RSRC2:TGID_X_EN: 1
; COMPUTE_PGM_RSRC2:TGID_Y_EN: 0
; COMPUTE_PGM_RSRC2:TGID_Z_EN: 1
; COMPUTE_PGM_RSRC2:TIDIG_COMP_CNT: 1
	.section	.text._ZN12_GLOBAL__N_120geam_ex_round_kernelILi32ELi32EddPKPKdPKPdEEviiT2_T3_lilT4_lil,"axG",@progbits,_ZN12_GLOBAL__N_120geam_ex_round_kernelILi32ELi32EddPKPKdPKPdEEviiT2_T3_lilT4_lil,comdat
	.globl	_ZN12_GLOBAL__N_120geam_ex_round_kernelILi32ELi32EddPKPKdPKPdEEviiT2_T3_lilT4_lil ; -- Begin function _ZN12_GLOBAL__N_120geam_ex_round_kernelILi32ELi32EddPKPKdPKPdEEviiT2_T3_lilT4_lil
	.p2align	8
	.type	_ZN12_GLOBAL__N_120geam_ex_round_kernelILi32ELi32EddPKPKdPKPdEEviiT2_T3_lilT4_lil,@function
_ZN12_GLOBAL__N_120geam_ex_round_kernelILi32ELi32EddPKPKdPKPdEEviiT2_T3_lilT4_lil: ; @_ZN12_GLOBAL__N_120geam_ex_round_kernelILi32ELi32EddPKPKdPKPdEEviiT2_T3_lilT4_lil
; %bb.0:
	s_load_dwordx4 s[8:11], s[4:5], 0x8
	s_mov_b32 s14, s7
	s_mov_b64 s[12:13], 0
	s_mov_b32 s15, 0
	s_waitcnt lgkmcnt(0)
	v_cmp_eq_f64_e64 s7, s[8:9], 0
	s_and_b32 vcc_lo, exec_lo, s7
	s_cbranch_vccnz .LBB104_2
; %bb.1:
	s_lshl_b64 s[0:1], s[14:15], 3
	s_load_dwordx2 s[2:3], s[4:5], 0x18
	s_add_u32 s0, s10, s0
	s_addc_u32 s1, s11, s1
	s_load_dwordx2 s[0:1], s[0:1], 0x0
	s_waitcnt lgkmcnt(0)
	s_lshl_b64 s[2:3], s[2:3], 3
	s_add_u32 s12, s0, s2
	s_addc_u32 s13, s1, s3
.LBB104_2:
	s_load_dwordx2 s[0:1], s[4:5], 0x0
	s_waitcnt lgkmcnt(0)
	s_add_i32 s2, s0, -1
	s_ashr_i32 s3, s2, 31
	s_lshr_b32 s3, s3, 27
	s_add_i32 s2, s2, s3
	s_ashr_i32 s2, s2, 5
	s_add_i32 s3, s2, 1
	s_not_b32 s2, s2
	v_cvt_f32_u32_e32 v2, s3
	v_rcp_iflag_f32_e32 v2, v2
	v_mul_f32_e32 v2, 0x4f7ffffe, v2
	v_cvt_u32_f32_e32 v2, v2
	v_readfirstlane_b32 s10, v2
	s_mul_i32 s2, s2, s10
	s_mul_hi_u32 s2, s10, s2
	s_add_i32 s10, s10, s2
	s_mul_hi_u32 s2, s6, s10
	s_mul_i32 s10, s2, s3
	s_add_i32 s11, s2, 1
	s_sub_i32 s10, s6, s10
	s_sub_i32 s16, s10, s3
	s_cmp_ge_u32 s10, s3
	s_cselect_b32 s2, s11, s2
	s_cselect_b32 s10, s16, s10
	s_add_i32 s11, s2, 1
	s_cmp_ge_u32 s10, s3
	s_cselect_b32 s2, s11, s2
	s_mul_i32 s3, s2, s3
	v_lshl_add_u32 v4, s2, 5, v1
	s_sub_i32 s3, s6, s3
	s_mov_b32 s6, -1
	v_lshl_add_u32 v0, s3, 5, v0
	v_cmp_gt_u32_e32 vcc_lo, s0, v0
	v_cmp_gt_u32_e64 s0, s1, v4
	s_and_b32 s0, vcc_lo, s0
	s_and_saveexec_b32 s1, s0
	s_cbranch_execz .LBB104_8
; %bb.3:
	s_load_dwordx4 s[0:3], s[4:5], 0x30
	s_lshl_b64 s[10:11], s[14:15], 3
	v_mov_b32_e32 v1, 0
	s_waitcnt lgkmcnt(0)
	s_add_u32 s0, s0, s10
	s_addc_u32 s1, s1, s11
	s_andn2_b32 vcc_lo, exec_lo, s7
	s_load_dwordx2 s[0:1], s[0:1], 0x0
	s_cbranch_vccnz .LBB104_5
; %bb.4:
	s_mov_b32 s6, 0
.LBB104_5:
	v_mov_b32_e32 v2, 0
	v_mov_b32_e32 v3, 0
	s_andn2_b32 vcc_lo, exec_lo, s6
	s_cbranch_vccnz .LBB104_7
; %bb.6:
	s_load_dword s6, s[4:5], 0x20
	s_waitcnt lgkmcnt(0)
	v_mad_u64_u32 v[2:3], null, v4, s6, 0
	s_ashr_i32 s6, s6, 31
	v_mad_u64_u32 v[5:6], null, v4, s6, v[3:4]
	v_mov_b32_e32 v3, v5
	v_lshlrev_b64 v[5:6], 3, v[0:1]
	v_lshlrev_b64 v[2:3], 3, v[2:3]
	v_add_co_u32 v2, vcc_lo, s12, v2
	v_add_co_ci_u32_e64 v3, null, s13, v3, vcc_lo
	v_add_co_u32 v2, vcc_lo, v2, v5
	v_add_co_ci_u32_e64 v3, null, v3, v6, vcc_lo
	flat_load_dwordx2 v[2:3], v[2:3]
	s_waitcnt vmcnt(0) lgkmcnt(0)
	v_mul_f64 v[2:3], s[8:9], v[2:3]
.LBB104_7:
	s_load_dword s4, s[4:5], 0x40
	s_lshl_b64 s[2:3], s[2:3], 3
	v_cmp_nlt_f64_e32 vcc_lo, 0, v[2:3]
	s_waitcnt lgkmcnt(0)
	s_add_u32 s0, s0, s2
	s_addc_u32 s1, s1, s3
	v_lshlrev_b64 v[0:1], 3, v[0:1]
	v_mad_u64_u32 v[5:6], null, v4, s4, 0
	s_ashr_i32 s2, s4, 31
	v_cndmask_b32_e32 v3, 0, v3, vcc_lo
	v_cndmask_b32_e32 v2, 0, v2, vcc_lo
	v_mad_u64_u32 v[6:7], null, v4, s2, v[6:7]
	v_lshlrev_b64 v[4:5], 3, v[5:6]
	v_add_co_u32 v4, s0, s0, v4
	v_add_co_ci_u32_e64 v5, null, s1, v5, s0
	v_add_co_u32 v0, s0, v4, v0
	v_add_co_ci_u32_e64 v1, null, v5, v1, s0
	flat_store_dwordx2 v[0:1], v[2:3]
.LBB104_8:
	s_endpgm
	.section	.rodata,"a",@progbits
	.p2align	6, 0x0
	.amdhsa_kernel _ZN12_GLOBAL__N_120geam_ex_round_kernelILi32ELi32EddPKPKdPKPdEEviiT2_T3_lilT4_lil
		.amdhsa_group_segment_fixed_size 0
		.amdhsa_private_segment_fixed_size 0
		.amdhsa_kernarg_size 80
		.amdhsa_user_sgpr_count 6
		.amdhsa_user_sgpr_private_segment_buffer 1
		.amdhsa_user_sgpr_dispatch_ptr 0
		.amdhsa_user_sgpr_queue_ptr 0
		.amdhsa_user_sgpr_kernarg_segment_ptr 1
		.amdhsa_user_sgpr_dispatch_id 0
		.amdhsa_user_sgpr_flat_scratch_init 0
		.amdhsa_user_sgpr_private_segment_size 0
		.amdhsa_wavefront_size32 1
		.amdhsa_uses_dynamic_stack 0
		.amdhsa_system_sgpr_private_segment_wavefront_offset 0
		.amdhsa_system_sgpr_workgroup_id_x 1
		.amdhsa_system_sgpr_workgroup_id_y 0
		.amdhsa_system_sgpr_workgroup_id_z 1
		.amdhsa_system_sgpr_workgroup_info 0
		.amdhsa_system_vgpr_workitem_id 1
		.amdhsa_next_free_vgpr 8
		.amdhsa_next_free_sgpr 17
		.amdhsa_reserve_vcc 1
		.amdhsa_reserve_flat_scratch 0
		.amdhsa_float_round_mode_32 0
		.amdhsa_float_round_mode_16_64 0
		.amdhsa_float_denorm_mode_32 3
		.amdhsa_float_denorm_mode_16_64 3
		.amdhsa_dx10_clamp 1
		.amdhsa_ieee_mode 1
		.amdhsa_fp16_overflow 0
		.amdhsa_workgroup_processor_mode 1
		.amdhsa_memory_ordered 1
		.amdhsa_forward_progress 1
		.amdhsa_shared_vgpr_count 0
		.amdhsa_exception_fp_ieee_invalid_op 0
		.amdhsa_exception_fp_denorm_src 0
		.amdhsa_exception_fp_ieee_div_zero 0
		.amdhsa_exception_fp_ieee_overflow 0
		.amdhsa_exception_fp_ieee_underflow 0
		.amdhsa_exception_fp_ieee_inexact 0
		.amdhsa_exception_int_div_zero 0
	.end_amdhsa_kernel
	.section	.text._ZN12_GLOBAL__N_120geam_ex_round_kernelILi32ELi32EddPKPKdPKPdEEviiT2_T3_lilT4_lil,"axG",@progbits,_ZN12_GLOBAL__N_120geam_ex_round_kernelILi32ELi32EddPKPKdPKPdEEviiT2_T3_lilT4_lil,comdat
.Lfunc_end104:
	.size	_ZN12_GLOBAL__N_120geam_ex_round_kernelILi32ELi32EddPKPKdPKPdEEviiT2_T3_lilT4_lil, .Lfunc_end104-_ZN12_GLOBAL__N_120geam_ex_round_kernelILi32ELi32EddPKPKdPKPdEEviiT2_T3_lilT4_lil
                                        ; -- End function
	.set _ZN12_GLOBAL__N_120geam_ex_round_kernelILi32ELi32EddPKPKdPKPdEEviiT2_T3_lilT4_lil.num_vgpr, 8
	.set _ZN12_GLOBAL__N_120geam_ex_round_kernelILi32ELi32EddPKPKdPKPdEEviiT2_T3_lilT4_lil.num_agpr, 0
	.set _ZN12_GLOBAL__N_120geam_ex_round_kernelILi32ELi32EddPKPKdPKPdEEviiT2_T3_lilT4_lil.numbered_sgpr, 17
	.set _ZN12_GLOBAL__N_120geam_ex_round_kernelILi32ELi32EddPKPKdPKPdEEviiT2_T3_lilT4_lil.num_named_barrier, 0
	.set _ZN12_GLOBAL__N_120geam_ex_round_kernelILi32ELi32EddPKPKdPKPdEEviiT2_T3_lilT4_lil.private_seg_size, 0
	.set _ZN12_GLOBAL__N_120geam_ex_round_kernelILi32ELi32EddPKPKdPKPdEEviiT2_T3_lilT4_lil.uses_vcc, 1
	.set _ZN12_GLOBAL__N_120geam_ex_round_kernelILi32ELi32EddPKPKdPKPdEEviiT2_T3_lilT4_lil.uses_flat_scratch, 0
	.set _ZN12_GLOBAL__N_120geam_ex_round_kernelILi32ELi32EddPKPKdPKPdEEviiT2_T3_lilT4_lil.has_dyn_sized_stack, 0
	.set _ZN12_GLOBAL__N_120geam_ex_round_kernelILi32ELi32EddPKPKdPKPdEEviiT2_T3_lilT4_lil.has_recursion, 0
	.set _ZN12_GLOBAL__N_120geam_ex_round_kernelILi32ELi32EddPKPKdPKPdEEviiT2_T3_lilT4_lil.has_indirect_call, 0
	.section	.AMDGPU.csdata,"",@progbits
; Kernel info:
; codeLenInByte = 540
; TotalNumSgprs: 19
; NumVgprs: 8
; ScratchSize: 0
; MemoryBound: 0
; FloatMode: 240
; IeeeMode: 1
; LDSByteSize: 0 bytes/workgroup (compile time only)
; SGPRBlocks: 0
; VGPRBlocks: 0
; NumSGPRsForWavesPerEU: 19
; NumVGPRsForWavesPerEU: 8
; Occupancy: 16
; WaveLimiterHint : 1
; COMPUTE_PGM_RSRC2:SCRATCH_EN: 0
; COMPUTE_PGM_RSRC2:USER_SGPR: 6
; COMPUTE_PGM_RSRC2:TRAP_HANDLER: 0
; COMPUTE_PGM_RSRC2:TGID_X_EN: 1
; COMPUTE_PGM_RSRC2:TGID_Y_EN: 0
; COMPUTE_PGM_RSRC2:TGID_Z_EN: 1
; COMPUTE_PGM_RSRC2:TIDIG_COMP_CNT: 1
	.section	.text._ZN12_GLOBAL__N_120geam_min_plus_kernelId15HIP_vector_typeIdLj2EEdLi32ELi8ELi256ELi64ELi4ELi64ELi4ELi4ELi64ELc78ELc78ELb0ELb0ELb1EPKdKS4_KPdEEviiiT16_PT17_ilSA_ilS8_SA_ilPT18_ili26rocblas_geam_ex_operation_,"axG",@progbits,_ZN12_GLOBAL__N_120geam_min_plus_kernelId15HIP_vector_typeIdLj2EEdLi32ELi8ELi256ELi64ELi4ELi64ELi4ELi4ELi64ELc78ELc78ELb0ELb0ELb1EPKdKS4_KPdEEviiiT16_PT17_ilSA_ilS8_SA_ilPT18_ili26rocblas_geam_ex_operation_,comdat
	.globl	_ZN12_GLOBAL__N_120geam_min_plus_kernelId15HIP_vector_typeIdLj2EEdLi32ELi8ELi256ELi64ELi4ELi64ELi4ELi4ELi64ELc78ELc78ELb0ELb0ELb1EPKdKS4_KPdEEviiiT16_PT17_ilSA_ilS8_SA_ilPT18_ili26rocblas_geam_ex_operation_ ; -- Begin function _ZN12_GLOBAL__N_120geam_min_plus_kernelId15HIP_vector_typeIdLj2EEdLi32ELi8ELi256ELi64ELi4ELi64ELi4ELi4ELi64ELc78ELc78ELb0ELb0ELb1EPKdKS4_KPdEEviiiT16_PT17_ilSA_ilS8_SA_ilPT18_ili26rocblas_geam_ex_operation_
	.p2align	8
	.type	_ZN12_GLOBAL__N_120geam_min_plus_kernelId15HIP_vector_typeIdLj2EEdLi32ELi8ELi256ELi64ELi4ELi64ELi4ELi4ELi64ELc78ELc78ELb0ELb0ELb1EPKdKS4_KPdEEviiiT16_PT17_ilSA_ilS8_SA_ilPT18_ili26rocblas_geam_ex_operation_,@function
_ZN12_GLOBAL__N_120geam_min_plus_kernelId15HIP_vector_typeIdLj2EEdLi32ELi8ELi256ELi64ELi4ELi64ELi4ELi4ELi64ELc78ELc78ELb0ELb0ELb1EPKdKS4_KPdEEviiiT16_PT17_ilSA_ilS8_SA_ilPT18_ili26rocblas_geam_ex_operation_: ; @_ZN12_GLOBAL__N_120geam_min_plus_kernelId15HIP_vector_typeIdLj2EEdLi32ELi8ELi256ELi64ELi4ELi64ELi4ELi4ELi64ELc78ELc78ELb0ELb0ELb1EPKdKS4_KPdEEviiiT16_PT17_ilSA_ilS8_SA_ilPT18_ili26rocblas_geam_ex_operation_
; %bb.0:
	s_load_dwordx4 s[12:15], s[4:5], 0x10
	s_mov_b32 s0, s7
	s_mov_b32 s1, 0
	s_load_dwordx2 s[24:25], s[4:5], 0x50
	s_lshl_b64 s[22:23], s[0:1], 3
	s_load_dwordx4 s[0:3], s[4:5], 0x28
	s_mov_b64 s[20:21], 0
	s_mov_b64 s[18:19], 0
	s_waitcnt lgkmcnt(0)
	s_add_u32 s8, s12, s22
	s_addc_u32 s9, s13, s23
	s_load_dwordx2 s[16:17], s[8:9], 0x0
	s_load_dwordx4 s[8:11], s[4:5], 0x40
	s_waitcnt lgkmcnt(0)
	v_cmp_eq_f64_e64 s12, s[16:17], 0
	v_cmp_neq_f64_e64 s7, s[16:17], 0
	s_add_u32 s10, s10, s22
	s_addc_u32 s11, s11, s23
	s_and_b32 vcc_lo, exec_lo, s12
	s_cbranch_vccnz .LBB105_2
; %bb.1:
	s_add_u32 s12, s14, s22
	s_addc_u32 s13, s15, s23
	s_lshl_b64 s[0:1], s[0:1], 3
	s_load_dwordx2 s[12:13], s[12:13], 0x0
	s_waitcnt lgkmcnt(0)
	s_add_u32 s18, s12, s0
	s_addc_u32 s19, s13, s1
.LBB105_2:
	s_load_dwordx2 s[12:13], s[10:11], 0x0
	v_cndmask_b32_e64 v2, 0, 1, s7
	s_andn2_b32 vcc_lo, exec_lo, s7
	v_cmp_ne_u32_e64 s1, 1, v2
	s_cbranch_vccnz .LBB105_4
; %bb.3:
	s_add_u32 s2, s2, s22
	s_addc_u32 s3, s3, s23
	s_lshl_b64 s[8:9], s[8:9], 3
	s_load_dwordx2 s[2:3], s[2:3], 0x0
	s_waitcnt lgkmcnt(0)
	s_add_u32 s20, s2, s8
	s_addc_u32 s21, s3, s9
.LBB105_4:
	s_waitcnt lgkmcnt(0)
	v_cmp_eq_f64_e64 s0, s[12:13], 0
	s_load_dwordx4 s[8:11], s[4:5], 0x60
	s_mov_b64 s[2:3], 0
	s_and_b32 s0, exec_lo, s0
	s_mov_b32 vcc_lo, s0
	s_cbranch_vccnz .LBB105_6
; %bb.5:
	s_add_u32 s2, s24, s22
	s_addc_u32 s3, s25, s23
	s_waitcnt lgkmcnt(0)
	s_lshl_b64 s[8:9], s[8:9], 3
	s_load_dwordx2 s[2:3], s[2:3], 0x0
	s_waitcnt lgkmcnt(0)
	s_add_u32 s2, s2, s8
	s_addc_u32 s3, s3, s9
.LBB105_6:
	s_clause 0x1
	s_load_dword s14, s[4:5], 0x20
	s_load_dword s7, s[4:5], 0x0
	v_lshl_add_u32 v12, v1, 5, v0
	v_mov_b32_e32 v4, 0
	v_mov_b32_e32 v6, 0
	;; [unrolled: 1-line block ×4, first 2 shown]
	v_lshrrev_b32_e32 v76, 6, v12
	v_and_b32_e32 v77, 63, v12
	s_waitcnt lgkmcnt(0)
	s_ashr_i32 s15, s14, 31
	s_add_u32 s8, s10, s22
	s_addc_u32 s9, s11, s23
	s_add_i32 s7, s7, -1
	s_ashr_i32 s10, s7, 31
	s_lshr_b32 s10, s10, 24
	s_add_i32 s7, s7, s10
	s_ashr_i32 s7, s7, 8
	s_add_i32 s10, s7, 1
	s_not_b32 s7, s7
	v_cvt_f32_u32_e32 v2, s10
	v_rcp_iflag_f32_e32 v2, v2
	v_mul_f32_e32 v2, 0x4f7ffffe, v2
	v_cvt_u32_f32_e32 v2, v2
	v_readfirstlane_b32 s11, v2
	v_mad_i64_i32 v[2:3], null, s14, v76, 0
	s_mul_i32 s7, s7, s11
	s_mul_hi_u32 s7, s11, s7
	s_add_i32 s11, s11, s7
	v_lshlrev_b64 v[2:3], 3, v[2:3]
	s_mul_hi_u32 s7, s6, s11
	s_mul_i32 s11, s7, s10
	s_add_i32 s22, s7, 1
	s_sub_i32 s11, s6, s11
	v_add_co_u32 v13, vcc_lo, s18, v2
	s_sub_i32 s23, s11, s10
	s_cmp_ge_u32 s11, s10
	v_add_co_ci_u32_e64 v14, null, s19, v3, vcc_lo
	s_cselect_b32 s7, s22, s7
	s_cselect_b32 s11, s23, s11
	s_add_i32 s22, s7, 1
	s_cmp_ge_u32 s11, s10
	v_mov_b32_e32 v2, 0
	s_cselect_b32 s11, s22, s7
	v_mov_b32_e32 v3, 0
	s_mul_i32 s7, s11, s10
	s_and_b32 vcc_lo, exec_lo, s1
	s_sub_i32 s10, s6, s7
	s_lshl_b32 s10, s10, 8
	v_or_b32_e32 v10, s10, v77
	v_ashrrev_i32_e32 v11, 31, v10
	s_cbranch_vccnz .LBB105_8
; %bb.7:
	v_lshlrev_b64 v[4:5], 3, v[10:11]
	v_add_co_u32 v4, vcc_lo, v13, v4
	v_add_co_ci_u32_e64 v5, null, v14, v5, vcc_lo
	s_clause 0x1
	flat_load_dwordx2 v[6:7], v[4:5]
	flat_load_dwordx2 v[8:9], v[4:5] offset:512
	s_waitcnt vmcnt(1) lgkmcnt(1)
	v_mul_f64 v[4:5], s[16:17], v[6:7]
	s_waitcnt vmcnt(0) lgkmcnt(0)
	v_mul_f64 v[6:7], s[16:17], v[8:9]
.LBB105_8:
	v_mov_b32_e32 v8, 0
	v_mov_b32_e32 v9, 0
	s_and_b32 vcc_lo, exec_lo, s1
	s_cbranch_vccnz .LBB105_10
; %bb.9:
	v_lshlrev_b64 v[2:3], 3, v[10:11]
	v_add_co_u32 v2, vcc_lo, v13, v2
	v_add_co_ci_u32_e64 v3, null, v14, v3, vcc_lo
	s_clause 0x1
	flat_load_dwordx2 v[8:9], v[2:3] offset:1024
	flat_load_dwordx2 v[13:14], v[2:3] offset:1536
	s_waitcnt vmcnt(1) lgkmcnt(1)
	v_mul_f64 v[2:3], s[16:17], v[8:9]
	s_waitcnt vmcnt(0) lgkmcnt(0)
	v_mul_f64 v[8:9], s[16:17], v[13:14]
.LBB105_10:
	s_load_dword s22, s[4:5], 0x38
	v_lshrrev_b32_e32 v14, 2, v12
	v_and_b32_e32 v15, 3, v0
	s_lshl_b32 s11, s11, 6
	v_mov_b32_e32 v68, 0
	v_mov_b32_e32 v12, 0
	;; [unrolled: 1-line block ×3, first 2 shown]
	v_add_nc_u32_e32 v79, s11, v14
	v_mov_b32_e32 v13, 0
	v_lshlrev_b32_e32 v78, 3, v15
	s_and_b32 vcc_lo, exec_lo, s1
	s_cbranch_vccnz .LBB105_12
; %bb.11:
	s_waitcnt lgkmcnt(0)
	v_mad_i64_i32 v[12:13], null, v79, s22, 0
	v_lshlrev_b64 v[12:13], 3, v[12:13]
	v_add_co_u32 v12, vcc_lo, s20, v12
	v_add_co_ci_u32_e64 v13, null, s21, v13, vcc_lo
	v_add_co_u32 v12, vcc_lo, v12, v78
	v_add_co_ci_u32_e64 v13, null, 0, v13, vcc_lo
	flat_load_dwordx2 v[12:13], v[12:13]
	s_waitcnt vmcnt(0) lgkmcnt(0)
	v_mul_f64 v[12:13], s[16:17], v[12:13]
.LBB105_12:
	v_add_nc_u32_e32 v15, 4, v76
	v_mov_b32_e32 v70, 0
	v_mov_b32_e32 v71, 0
	v_mad_i64_i32 v[15:16], null, s14, v15, 0
	v_lshlrev_b64 v[15:16], 3, v[15:16]
	v_add_co_u32 v15, vcc_lo, s18, v15
	v_add_co_ci_u32_e64 v16, null, s19, v16, vcc_lo
	s_and_b32 vcc_lo, exec_lo, s1
	s_cbranch_vccnz .LBB105_14
; %bb.13:
	v_lshlrev_b64 v[17:18], 3, v[10:11]
	v_add_co_u32 v17, vcc_lo, v15, v17
	v_add_co_ci_u32_e64 v18, null, v16, v18, vcc_lo
	s_clause 0x1
	flat_load_dwordx2 v[19:20], v[17:18]
	flat_load_dwordx2 v[17:18], v[17:18] offset:512
	s_waitcnt vmcnt(1) lgkmcnt(0)
	v_mul_f64 v[68:69], s[16:17], v[19:20]
	s_waitcnt vmcnt(0)
	v_mul_f64 v[70:71], s[16:17], v[17:18]
.LBB105_14:
	v_mov_b32_e32 v66, 0
	v_mov_b32_e32 v72, 0
	v_mov_b32_e32 v74, 0
	v_mov_b32_e32 v67, 0
	v_mov_b32_e32 v73, 0
	v_mov_b32_e32 v75, 0
	s_and_b32 vcc_lo, exec_lo, s1
	s_cbranch_vccnz .LBB105_16
; %bb.15:
	v_lshlrev_b64 v[10:11], 3, v[10:11]
	v_add_co_u32 v10, vcc_lo, v15, v10
	v_add_co_ci_u32_e64 v11, null, v16, v11, vcc_lo
	s_clause 0x1
	flat_load_dwordx2 v[15:16], v[10:11] offset:1024
	flat_load_dwordx2 v[10:11], v[10:11] offset:1536
	s_waitcnt vmcnt(1) lgkmcnt(0)
	v_mul_f64 v[72:73], s[16:17], v[15:16]
	s_waitcnt vmcnt(0)
	v_mul_f64 v[74:75], s[16:17], v[10:11]
.LBB105_16:
	s_and_b32 vcc_lo, exec_lo, s1
	s_cbranch_vccnz .LBB105_18
; %bb.17:
	s_waitcnt lgkmcnt(0)
	v_mad_i64_i32 v[10:11], null, v79, s22, 0
	v_lshlrev_b64 v[10:11], 3, v[10:11]
	v_add_co_u32 v10, vcc_lo, s20, v10
	v_add_co_ci_u32_e64 v11, null, s21, v11, vcc_lo
	v_add_co_u32 v10, vcc_lo, v10, v78
	v_add_co_ci_u32_e64 v11, null, 0, v11, vcc_lo
	flat_load_dwordx2 v[10:11], v[10:11] offset:32
	s_waitcnt vmcnt(0) lgkmcnt(0)
	v_mul_f64 v[66:67], s[16:17], v[10:11]
.LBB105_18:
	v_lshlrev_b32_e32 v10, 5, v77
	v_lshl_or_b32 v80, v14, 5, v78
	v_lshlrev_b32_e32 v149, 5, v0
	s_load_dwordx2 s[8:9], s[8:9], 0x0
	s_load_dword s23, s[4:5], 0x8
	v_lshlrev_b32_e32 v148, 5, v1
	v_lshl_add_u32 v150, v76, 3, v10
	ds_write2st64_b64 v150, v[4:5], v[6:7] offset1:4
	ds_write2st64_b64 v150, v[2:3], v[8:9] offset0:8 offset1:12
	ds_write_b64 v80, v[12:13] offset:16384
	s_waitcnt lgkmcnt(0)
	s_barrier
	buffer_gl0_inv
	ds_read_b128 v[10:13], v149 offset:1024
	ds_read_b128 v[14:17], v149 offset:2048
	;; [unrolled: 1-line block ×14, first 2 shown]
	ds_read_b128 v[81:84], v149
	ds_read_b128 v[2:5], v149 offset:16
	ds_read_b128 v[85:88], v148 offset:16384
	;; [unrolled: 1-line block ×3, first 2 shown]
	s_cmp_lt_i32 s23, 9
	s_waitcnt lgkmcnt(1)
	v_add_f64 v[89:90], v[83:84], v[87:88]
	v_add_f64 v[91:92], v[81:82], v[85:86]
	s_waitcnt lgkmcnt(0)
	v_add_f64 v[145:146], v[4:5], v[8:9]
	v_add_f64 v[151:152], v[2:3], v[6:7]
	v_cvt_f32_f64_e32 v89, v[89:90]
	v_cvt_f32_f64_e32 v91, v[91:92]
	;; [unrolled: 1-line block ×4, first 2 shown]
	v_min3_f32 v144, v91, v89, 0x7f800000
	v_add_f64 v[89:90], v[12:13], v[87:88]
	v_add_f64 v[91:92], v[10:11], v[85:86]
	v_min3_f32 v222, v147, v145, v144
	v_cvt_f32_f64_e32 v89, v[89:90]
	v_cvt_f32_f64_e32 v91, v[91:92]
	v_min3_f32 v143, v91, v89, 0x7f800000
	v_add_f64 v[89:90], v[16:17], v[87:88]
	v_add_f64 v[91:92], v[14:15], v[85:86]
	v_cvt_f32_f64_e32 v89, v[89:90]
	v_cvt_f32_f64_e32 v91, v[91:92]
	v_min3_f32 v142, v91, v89, 0x7f800000
	v_add_f64 v[89:90], v[20:21], v[87:88]
	v_add_f64 v[91:92], v[18:19], v[85:86]
	;; [unrolled: 5-line block ×5, first 2 shown]
	v_add_f64 v[87:88], v[36:37], v[87:88]
	v_add_f64 v[85:86], v[34:35], v[85:86]
	v_cvt_f32_f64_e32 v89, v[89:90]
	v_cvt_f32_f64_e32 v91, v[91:92]
	;; [unrolled: 1-line block ×4, first 2 shown]
	v_add_f64 v[87:88], v[81:82], v[38:39]
	v_min3_f32 v138, v91, v89, 0x7f800000
	v_min3_f32 v137, v85, v86, 0x7f800000
	v_add_f64 v[85:86], v[83:84], v[40:41]
	v_cvt_f32_f64_e32 v87, v[87:88]
	v_cvt_f32_f64_e32 v85, v[85:86]
	v_min3_f32 v136, v87, v85, 0x7f800000
	v_add_f64 v[85:86], v[12:13], v[40:41]
	v_add_f64 v[87:88], v[10:11], v[38:39]
	v_cvt_f32_f64_e32 v85, v[85:86]
	v_cvt_f32_f64_e32 v87, v[87:88]
	v_min3_f32 v135, v87, v85, 0x7f800000
	v_add_f64 v[85:86], v[16:17], v[40:41]
	;; [unrolled: 5-line block ×6, first 2 shown]
	v_add_f64 v[87:88], v[30:31], v[38:39]
	v_add_f64 v[40:41], v[36:37], v[40:41]
	;; [unrolled: 1-line block ×3, first 2 shown]
	v_cvt_f32_f64_e32 v85, v[85:86]
	v_cvt_f32_f64_e32 v87, v[87:88]
	;; [unrolled: 1-line block ×4, first 2 shown]
	v_add_f64 v[40:41], v[81:82], v[42:43]
	v_min3_f32 v130, v87, v85, 0x7f800000
	v_min3_f32 v129, v38, v39, 0x7f800000
	v_add_f64 v[38:39], v[83:84], v[44:45]
	v_cvt_f32_f64_e32 v40, v[40:41]
	v_cvt_f32_f64_e32 v38, v[38:39]
	v_min3_f32 v128, v40, v38, 0x7f800000
	v_add_f64 v[38:39], v[12:13], v[44:45]
	v_add_f64 v[40:41], v[10:11], v[42:43]
	v_cvt_f32_f64_e32 v38, v[38:39]
	v_cvt_f32_f64_e32 v40, v[40:41]
	v_min3_f32 v127, v40, v38, 0x7f800000
	v_add_f64 v[38:39], v[16:17], v[44:45]
	;; [unrolled: 5-line block ×33, first 2 shown]
	v_add_f64 v[40:41], v[10:11], v[58:59]
	v_add_f64 v[12:13], v[12:13], v[64:65]
	v_add_f64 v[10:11], v[10:11], v[62:63]
	v_cvt_f32_f64_e32 v38, v[38:39]
	v_cvt_f32_f64_e32 v40, v[40:41]
	;; [unrolled: 1-line block ×4, first 2 shown]
	v_add_f64 v[12:13], v[14:15], v[62:63]
	v_min3_f32 v95, v40, v38, 0x7f800000
	v_add_f64 v[38:39], v[16:17], v[60:61]
	v_add_f64 v[40:41], v[14:15], v[58:59]
	v_min3_f32 v87, v10, v11, 0x7f800000
	v_add_f64 v[10:11], v[16:17], v[64:65]
	v_cvt_f32_f64_e32 v12, v[12:13]
	v_cvt_f32_f64_e32 v38, v[38:39]
	;; [unrolled: 1-line block ×4, first 2 shown]
	v_min3_f32 v94, v40, v38, 0x7f800000
	v_add_f64 v[38:39], v[20:21], v[60:61]
	v_add_f64 v[40:41], v[18:19], v[58:59]
	v_min3_f32 v86, v12, v10, 0x7f800000
	v_add_f64 v[10:11], v[20:21], v[64:65]
	v_add_f64 v[12:13], v[18:19], v[62:63]
	v_cvt_f32_f64_e32 v38, v[38:39]
	v_cvt_f32_f64_e32 v40, v[40:41]
	;; [unrolled: 1-line block ×4, first 2 shown]
	v_min3_f32 v93, v40, v38, 0x7f800000
	v_add_f64 v[38:39], v[24:25], v[60:61]
	v_add_f64 v[40:41], v[22:23], v[58:59]
	v_min3_f32 v85, v12, v10, 0x7f800000
	v_add_f64 v[10:11], v[24:25], v[64:65]
	v_add_f64 v[12:13], v[22:23], v[62:63]
	v_cvt_f32_f64_e32 v38, v[38:39]
	v_cvt_f32_f64_e32 v40, v[40:41]
	;; [unrolled: 1-line block ×4, first 2 shown]
	v_min3_f32 v92, v40, v38, 0x7f800000
	v_add_f64 v[38:39], v[28:29], v[60:61]
	v_add_f64 v[40:41], v[26:27], v[58:59]
	v_cvt_f32_f64_e32 v38, v[38:39]
	v_cvt_f32_f64_e32 v40, v[40:41]
	v_min3_f32 v91, v40, v38, 0x7f800000
	v_add_f64 v[38:39], v[32:33], v[60:61]
	v_add_f64 v[40:41], v[30:31], v[58:59]
	v_cvt_f32_f64_e32 v38, v[38:39]
	v_cvt_f32_f64_e32 v40, v[40:41]
	;; [unrolled: 5-line block ×3, first 2 shown]
	v_min3_f32 v89, v40, v38, 0x7f800000
	v_add_f64 v[38:39], v[83:84], v[64:65]
	v_min3_f32 v84, v12, v10, 0x7f800000
	v_add_f64 v[10:11], v[28:29], v[64:65]
	v_add_f64 v[12:13], v[26:27], v[62:63]
	;; [unrolled: 1-line block ×3, first 2 shown]
	v_cvt_f32_f64_e32 v38, v[38:39]
	v_cvt_f32_f64_e32 v10, v[10:11]
	;; [unrolled: 1-line block ×4, first 2 shown]
	v_min3_f32 v83, v12, v10, 0x7f800000
	v_add_f64 v[10:11], v[32:33], v[64:65]
	v_add_f64 v[12:13], v[30:31], v[62:63]
	v_min3_f32 v88, v40, v38, 0x7f800000
	v_cvt_f32_f64_e32 v10, v[10:11]
	v_cvt_f32_f64_e32 v12, v[12:13]
	v_min3_f32 v82, v12, v10, 0x7f800000
	v_add_f64 v[10:11], v[36:37], v[64:65]
	v_add_f64 v[12:13], v[34:35], v[62:63]
	v_cvt_f32_f64_e32 v10, v[10:11]
	v_cvt_f32_f64_e32 v12, v[12:13]
	v_min3_f32 v81, v12, v10, 0x7f800000
	ds_read_b128 v[34:37], v149 offset:1040
	ds_read_b128 v[30:33], v149 offset:2064
	;; [unrolled: 1-line block ×14, first 2 shown]
	ds_write2st64_b64 v150, v[68:69], v[70:71] offset0:16 offset1:20
	ds_write2st64_b64 v150, v[72:73], v[74:75] offset0:24 offset1:28
	ds_write_b64 v80, v[66:67] offset:18432
	s_waitcnt lgkmcnt(0)
	s_barrier
	buffer_gl0_inv
	v_add_f64 v[144:145], v[36:37], v[8:9]
	v_add_f64 v[146:147], v[34:35], v[6:7]
	v_cvt_f32_f64_e32 v144, v[144:145]
	v_cvt_f32_f64_e32 v146, v[146:147]
	v_min3_f32 v220, v146, v144, v143
	v_add_f64 v[143:144], v[32:33], v[8:9]
	v_add_f64 v[145:146], v[30:31], v[6:7]
	v_cvt_f32_f64_e32 v143, v[143:144]
	v_cvt_f32_f64_e32 v145, v[145:146]
	v_min3_f32 v221, v145, v143, v142
	;; [unrolled: 5-line block ×5, first 2 shown]
	v_add_f64 v[139:140], v[16:17], v[8:9]
	v_add_f64 v[141:142], v[14:15], v[6:7]
	;; [unrolled: 1-line block ×4, first 2 shown]
	v_cvt_f32_f64_e32 v139, v[139:140]
	v_cvt_f32_f64_e32 v141, v[141:142]
	;; [unrolled: 1-line block ×4, first 2 shown]
	v_add_f64 v[8:9], v[2:3], v[62:63]
	v_min3_f32 v217, v141, v139, v138
	v_min3_f32 v214, v6, v7, v137
	v_add_f64 v[6:7], v[4:5], v[64:65]
	v_cvt_f32_f64_e32 v8, v[8:9]
	v_cvt_f32_f64_e32 v6, v[6:7]
	v_min3_f32 v215, v8, v6, v136
	v_add_f64 v[6:7], v[36:37], v[64:65]
	v_add_f64 v[8:9], v[34:35], v[62:63]
	v_cvt_f32_f64_e32 v6, v[6:7]
	v_cvt_f32_f64_e32 v8, v[8:9]
	v_min3_f32 v212, v8, v6, v135
	v_add_f64 v[6:7], v[32:33], v[64:65]
	;; [unrolled: 5-line block ×40, first 2 shown]
	v_add_f64 v[8:9], v[2:3], v[42:43]
	v_add_f64 v[4:5], v[4:5], v[40:41]
	;; [unrolled: 1-line block ×3, first 2 shown]
	v_cvt_f32_f64_e32 v6, v[6:7]
	v_cvt_f32_f64_e32 v8, v[8:9]
	;; [unrolled: 1-line block ×4, first 2 shown]
	v_add_f64 v[4:5], v[34:35], v[38:39]
	v_min3_f32 v173, v8, v6, v96
	v_add_f64 v[6:7], v[36:37], v[44:45]
	v_add_f64 v[8:9], v[34:35], v[42:43]
	v_min3_f32 v158, v2, v3, v88
	v_add_f64 v[2:3], v[36:37], v[40:41]
	v_cvt_f32_f64_e32 v4, v[4:5]
	v_cvt_f32_f64_e32 v6, v[6:7]
	v_cvt_f32_f64_e32 v8, v[8:9]
	v_cvt_f32_f64_e32 v2, v[2:3]
	v_min3_f32 v164, v8, v6, v95
	v_add_f64 v[6:7], v[32:33], v[44:45]
	v_add_f64 v[8:9], v[30:31], v[42:43]
	v_min3_f32 v157, v4, v2, v87
	v_add_f64 v[2:3], v[32:33], v[40:41]
	v_add_f64 v[4:5], v[30:31], v[38:39]
	v_cvt_f32_f64_e32 v6, v[6:7]
	v_cvt_f32_f64_e32 v8, v[8:9]
	v_cvt_f32_f64_e32 v2, v[2:3]
	v_cvt_f32_f64_e32 v4, v[4:5]
	v_min3_f32 v165, v8, v6, v94
	v_add_f64 v[6:7], v[28:29], v[44:45]
	v_add_f64 v[8:9], v[26:27], v[42:43]
	v_min3_f32 v156, v4, v2, v86
	v_add_f64 v[2:3], v[28:29], v[40:41]
	;; [unrolled: 10-line block ×6, first 2 shown]
	v_add_f64 v[4:5], v[10:11], v[38:39]
	v_cvt_f32_f64_e32 v6, v[6:7]
	v_cvt_f32_f64_e32 v8, v[8:9]
	;; [unrolled: 1-line block ×4, first 2 shown]
	v_min3_f32 v159, v8, v6, v89
	v_min3_f32 v151, v4, v2, v81
	s_cbranch_scc1 .LBB105_33
; %bb.19:
	v_mad_i64_i32 v[2:3], null, s22, v79, 0
	v_lshl_or_b32 v4, s6, 8, v77
	s_lshl_b32 s6, s7, 8
	v_add_nc_u32_e32 v5, 12, v76
	v_add_nc_u32_e32 v6, 8, v76
	v_add_nc_u32_e32 v166, 0x4000, v80
	v_subrev_nc_u32_e32 v4, s6, v4
	v_lshlrev_b64 v[2:3], 3, v[2:3]
	v_or_b32_e32 v167, 0x4000, v148
	v_mad_i64_i32 v[6:7], null, v6, s14, 0
	v_or_b32_e32 v168, 0x2000, v150
	v_add_nc_u32_e32 v169, 0x4800, v80
	v_add_co_u32 v8, vcc_lo, v2, v78
	v_add_co_ci_u32_e64 v9, null, 0, v3, vcc_lo
	v_mad_i64_i32 v[2:3], null, v5, s14, 0
	v_ashrrev_i32_e32 v5, 31, v4
	v_add_co_u32 v8, vcc_lo, s20, v8
	v_add_co_ci_u32_e64 v9, null, s21, v9, vcc_lo
	v_lshlrev_b64 v[4:5], 3, v[4:5]
	v_add_co_u32 v130, vcc_lo, v8, 64
	v_add_co_ci_u32_e64 v131, null, 0, v9, vcc_lo
	v_lshlrev_b64 v[132:133], 3, v[2:3]
	v_add_co_u32 v174, vcc_lo, s18, v4
	v_lshlrev_b64 v[134:135], 3, v[6:7]
	v_lshl_or_b32 v170, v0, 5, 0x2000
	v_lshl_add_u32 v172, v1, 5, 0x4800
	v_add_co_ci_u32_e64 v175, null, s19, v5, vcc_lo
	s_add_i32 s18, s23, -8
	s_lshl_b64 s[6:7], s[14:15], 6
	s_mov_b32 s14, 0
	s_branch .LBB105_21
.LBB105_20:                             ;   in Loop: Header=BB105_21 Depth=1
	v_add_f64 v[146:147], v[100:101], v[128:129]
	v_add_f64 v[223:224], v[98:99], v[126:127]
	v_add_co_u32 v130, vcc_lo, v130, 64
	v_add_co_ci_u32_e64 v131, null, 0, v131, vcc_lo
	v_add_co_u32 v174, vcc_lo, v174, s6
	v_add_co_ci_u32_e64 v175, null, s7, v175, vcc_lo
	s_add_i32 s14, s14, 8
	s_cmp_ge_i32 s14, s18
	v_cvt_f32_f64_e32 v146, v[146:147]
	v_cvt_f32_f64_e32 v223, v[223:224]
	v_min3_f32 v222, v223, v146, v222
	v_add_f64 v[146:147], v[96:97], v[128:129]
	v_add_f64 v[223:224], v[94:95], v[126:127]
	v_cvt_f32_f64_e32 v146, v[146:147]
	v_cvt_f32_f64_e32 v223, v[223:224]
	v_min3_f32 v220, v223, v146, v220
	v_add_f64 v[146:147], v[92:93], v[128:129]
	v_add_f64 v[223:224], v[90:91], v[126:127]
	;; [unrolled: 5-line block ×3, first 2 shown]
	v_cvt_f32_f64_e32 v146, v[146:147]
	v_cvt_f32_f64_e32 v223, v[223:224]
	v_add_f64 v[224:225], v[82:83], v[126:127]
	v_min3_f32 v223, v223, v146, v218
	v_add_f64 v[146:147], v[84:85], v[128:129]
	v_cvt_f32_f64_e32 v218, v[224:225]
	v_add_f64 v[224:225], v[78:79], v[126:127]
	v_cvt_f32_f64_e32 v146, v[146:147]
	v_min3_f32 v219, v218, v146, v219
	v_add_f64 v[146:147], v[80:81], v[128:129]
	v_cvt_f32_f64_e32 v218, v[224:225]
	v_add_f64 v[224:225], v[70:71], v[126:127]
	v_add_f64 v[126:127], v[66:67], v[126:127]
	v_cvt_f32_f64_e32 v146, v[146:147]
	v_cvt_f32_f64_e32 v126, v[126:127]
	v_min3_f32 v216, v218, v146, v216
	v_add_f64 v[146:147], v[72:73], v[128:129]
	v_add_f64 v[128:129], v[68:69], v[128:129]
	v_cvt_f32_f64_e32 v218, v[224:225]
	v_cvt_f32_f64_e32 v146, v[146:147]
	v_cvt_f32_f64_e32 v127, v[128:129]
	v_add_f64 v[128:129], v[98:99], v[122:123]
	v_min3_f32 v217, v218, v146, v217
	v_min3_f32 v214, v126, v127, v214
	v_add_f64 v[126:127], v[100:101], v[124:125]
	v_cvt_f32_f64_e32 v128, v[128:129]
	v_add_f64 v[146:147], v[82:83], v[106:107]
	v_cvt_f32_f64_e32 v126, v[126:127]
	v_min3_f32 v218, v128, v126, v215
	v_add_f64 v[126:127], v[96:97], v[124:125]
	v_add_f64 v[128:129], v[94:95], v[122:123]
	v_cvt_f32_f64_e32 v126, v[126:127]
	v_cvt_f32_f64_e32 v128, v[128:129]
	v_min3_f32 v215, v128, v126, v212
	v_add_f64 v[126:127], v[92:93], v[124:125]
	v_add_f64 v[128:129], v[90:91], v[122:123]
	v_cvt_f32_f64_e32 v126, v[126:127]
	;; [unrolled: 5-line block ×5, first 2 shown]
	v_cvt_f32_f64_e32 v128, v[128:129]
	v_min3_f32 v208, v128, v126, v208
	v_add_f64 v[126:127], v[72:73], v[124:125]
	v_add_f64 v[128:129], v[70:71], v[122:123]
	;; [unrolled: 1-line block ×4, first 2 shown]
	v_cvt_f32_f64_e32 v126, v[126:127]
	v_cvt_f32_f64_e32 v128, v[128:129]
	;; [unrolled: 1-line block ×4, first 2 shown]
	v_add_f64 v[124:125], v[98:99], v[118:119]
	v_min3_f32 v209, v128, v126, v209
	v_min3_f32 v207, v122, v123, v207
	v_add_f64 v[122:123], v[100:101], v[120:121]
	v_cvt_f32_f64_e32 v124, v[124:125]
	v_cvt_f32_f64_e32 v122, v[122:123]
	v_min3_f32 v206, v124, v122, v206
	v_add_f64 v[122:123], v[96:97], v[120:121]
	v_add_f64 v[124:125], v[94:95], v[118:119]
	v_cvt_f32_f64_e32 v122, v[122:123]
	v_cvt_f32_f64_e32 v124, v[124:125]
	v_min3_f32 v204, v124, v122, v204
	v_add_f64 v[122:123], v[92:93], v[120:121]
	;; [unrolled: 5-line block ×6, first 2 shown]
	v_add_f64 v[124:125], v[70:71], v[118:119]
	v_add_f64 v[120:121], v[68:69], v[120:121]
	;; [unrolled: 1-line block ×3, first 2 shown]
	v_cvt_f32_f64_e32 v122, v[122:123]
	v_cvt_f32_f64_e32 v124, v[124:125]
	v_cvt_f32_f64_e32 v118, v[118:119]
	v_cvt_f32_f64_e32 v119, v[120:121]
	v_add_f64 v[120:121], v[98:99], v[114:115]
	v_min3_f32 v201, v124, v122, v201
	v_min3_f32 v198, v118, v119, v198
	v_add_f64 v[118:119], v[100:101], v[116:117]
	v_cvt_f32_f64_e32 v120, v[120:121]
	v_cvt_f32_f64_e32 v118, v[118:119]
	v_min3_f32 v199, v120, v118, v199
	v_add_f64 v[118:119], v[96:97], v[116:117]
	v_add_f64 v[120:121], v[94:95], v[114:115]
	v_cvt_f32_f64_e32 v118, v[118:119]
	v_cvt_f32_f64_e32 v120, v[120:121]
	v_min3_f32 v196, v120, v118, v196
	v_add_f64 v[118:119], v[92:93], v[116:117]
	;; [unrolled: 5-line block ×3, first 2 shown]
	v_add_f64 v[120:121], v[86:87], v[114:115]
	v_cvt_f32_f64_e32 v118, v[118:119]
	v_cvt_f32_f64_e32 v120, v[120:121]
	v_add_f64 v[121:122], v[82:83], v[114:115]
	v_min3_f32 v118, v120, v118, v194
	v_add_f64 v[119:120], v[84:85], v[116:117]
	v_cvt_f32_f64_e32 v121, v[121:122]
	v_add_f64 v[122:123], v[78:79], v[114:115]
	v_cvt_f32_f64_e32 v119, v[119:120]
	v_cvt_f32_f64_e32 v122, v[122:123]
	v_add_f64 v[123:124], v[70:71], v[114:115]
	v_add_f64 v[114:115], v[66:67], v[114:115]
	v_min3_f32 v119, v121, v119, v195
	v_add_f64 v[120:121], v[80:81], v[116:117]
	v_cvt_f32_f64_e32 v123, v[123:124]
	v_cvt_f32_f64_e32 v114, v[114:115]
	v_add_f64 v[124:125], v[90:91], v[110:111]
	v_cvt_f32_f64_e32 v120, v[120:121]
	v_min3_f32 v120, v122, v120, v192
	v_add_f64 v[121:122], v[72:73], v[116:117]
	v_add_f64 v[116:117], v[68:69], v[116:117]
	v_cvt_f32_f64_e32 v121, v[121:122]
	v_cvt_f32_f64_e32 v115, v[116:117]
	v_min3_f32 v121, v123, v121, v193
	v_min3_f32 v114, v114, v115, v190
	v_add_f64 v[115:116], v[100:101], v[112:113]
	v_add_f64 v[122:123], v[98:99], v[110:111]
	v_cvt_f32_f64_e32 v115, v[115:116]
	v_cvt_f32_f64_e32 v117, v[122:123]
	v_add_f64 v[122:123], v[94:95], v[110:111]
	v_min3_f32 v115, v117, v115, v191
	v_add_f64 v[116:117], v[96:97], v[112:113]
	v_cvt_f32_f64_e32 v122, v[122:123]
	v_cvt_f32_f64_e32 v116, v[116:117]
	;; [unrolled: 1-line block ×3, first 2 shown]
	v_add_f64 v[124:125], v[86:87], v[110:111]
	v_min3_f32 v116, v122, v116, v188
	v_add_f64 v[122:123], v[92:93], v[112:113]
	v_cvt_f32_f64_e32 v124, v[124:125]
	v_add_f64 v[125:126], v[82:83], v[110:111]
	v_cvt_f32_f64_e32 v122, v[122:123]
	v_cvt_f32_f64_e32 v125, v[125:126]
	v_add_f64 v[126:127], v[78:79], v[110:111]
	v_min3_f32 v117, v117, v122, v189
	v_add_f64 v[122:123], v[88:89], v[112:113]
	v_cvt_f32_f64_e32 v126, v[126:127]
	v_add_f64 v[127:128], v[70:71], v[110:111]
	v_add_f64 v[110:111], v[66:67], v[110:111]
	v_cvt_f32_f64_e32 v122, v[122:123]
	v_cvt_f32_f64_e32 v127, v[127:128]
	;; [unrolled: 1-line block ×3, first 2 shown]
	v_min3_f32 v122, v124, v122, v186
	v_add_f64 v[123:124], v[84:85], v[112:113]
	v_cvt_f32_f64_e32 v123, v[123:124]
	v_min3_f32 v123, v125, v123, v187
	v_add_f64 v[124:125], v[80:81], v[112:113]
	v_cvt_f32_f64_e32 v124, v[124:125]
	v_min3_f32 v124, v126, v124, v185
	v_add_f64 v[125:126], v[72:73], v[112:113]
	v_add_f64 v[112:113], v[68:69], v[112:113]
	v_cvt_f32_f64_e32 v125, v[125:126]
	v_cvt_f32_f64_e32 v111, v[112:113]
	v_min3_f32 v125, v127, v125, v184
	v_min3_f32 v112, v110, v111, v182
	v_add_f64 v[110:111], v[100:101], v[108:109]
	v_add_f64 v[126:127], v[98:99], v[106:107]
	v_cvt_f32_f64_e32 v110, v[110:111]
	v_cvt_f32_f64_e32 v113, v[126:127]
	v_add_f64 v[126:127], v[94:95], v[106:107]
	v_min3_f32 v113, v113, v110, v183
	v_add_f64 v[110:111], v[96:97], v[108:109]
	v_cvt_f32_f64_e32 v126, v[126:127]
	v_add_f64 v[127:128], v[90:91], v[106:107]
	v_cvt_f32_f64_e32 v110, v[110:111]
	v_cvt_f32_f64_e32 v127, v[127:128]
	v_add_f64 v[128:129], v[86:87], v[106:107]
	v_min3_f32 v126, v126, v110, v180
	v_add_f64 v[110:111], v[92:93], v[108:109]
	v_cvt_f32_f64_e32 v128, v[128:129]
	v_cvt_f32_f64_e32 v129, v[146:147]
	v_add_f64 v[146:147], v[78:79], v[106:107]
	v_cvt_f32_f64_e32 v110, v[110:111]
	v_cvt_f32_f64_e32 v146, v[146:147]
	v_min3_f32 v127, v127, v110, v181
	v_add_f64 v[110:111], v[88:89], v[108:109]
	v_cvt_f32_f64_e32 v110, v[110:111]
	v_min3_f32 v128, v128, v110, v178
	v_add_f64 v[110:111], v[84:85], v[108:109]
	;; [unrolled: 3-line block ×3, first 2 shown]
	v_add_f64 v[178:179], v[70:71], v[106:107]
	v_add_f64 v[106:107], v[66:67], v[106:107]
	v_cvt_f32_f64_e32 v110, v[110:111]
	v_cvt_f32_f64_e32 v147, v[178:179]
	v_cvt_f32_f64_e32 v106, v[106:107]
	v_min3_f32 v146, v146, v110, v176
	v_add_f64 v[110:111], v[72:73], v[108:109]
	v_add_f64 v[108:109], v[68:69], v[108:109]
	v_cvt_f32_f64_e32 v110, v[110:111]
	v_cvt_f32_f64_e32 v107, v[108:109]
	v_add_f64 v[108:109], v[98:99], v[102:103]
	v_add_f64 v[98:99], v[98:99], v[74:75]
	v_min3_f32 v147, v147, v110, v177
	v_min3_f32 v171, v106, v107, v171
	v_add_f64 v[106:107], v[100:101], v[104:105]
	v_cvt_f32_f64_e32 v108, v[108:109]
	v_add_f64 v[100:101], v[100:101], v[76:77]
	v_cvt_f32_f64_e32 v98, v[98:99]
	v_cvt_f32_f64_e32 v106, v[106:107]
	;; [unrolled: 1-line block ×3, first 2 shown]
	v_min3_f32 v173, v108, v106, v173
	v_add_f64 v[106:107], v[96:97], v[104:105]
	v_add_f64 v[108:109], v[94:95], v[102:103]
	;; [unrolled: 1-line block ×4, first 2 shown]
	v_min3_f32 v98, v98, v99, v158
	v_add_f64 v[99:100], v[10:11], v[46:47]
	v_cvt_f32_f64_e32 v106, v[106:107]
	v_cvt_f32_f64_e32 v108, v[108:109]
	v_add_f64 v[109:110], v[90:91], v[102:103]
	v_add_f64 v[90:91], v[90:91], v[74:75]
	v_cvt_f32_f64_e32 v94, v[94:95]
	v_cvt_f32_f64_e32 v95, v[96:97]
	v_min3_f32 v106, v108, v106, v164
	v_add_f64 v[107:108], v[92:93], v[104:105]
	v_cvt_f32_f64_e32 v109, v[109:110]
	v_add_f64 v[110:111], v[86:87], v[102:103]
	v_add_f64 v[86:87], v[86:87], v[74:75]
	;; [unrolled: 1-line block ×3, first 2 shown]
	v_cvt_f32_f64_e32 v90, v[90:91]
	v_min3_f32 v94, v94, v95, v157
	v_add_f64 v[95:96], v[6:7], v[50:51]
	v_cvt_f32_f64_e32 v107, v[107:108]
	v_cvt_f32_f64_e32 v110, v[110:111]
	;; [unrolled: 1-line block ×4, first 2 shown]
	v_min3_f32 v107, v109, v107, v165
	v_add_f64 v[108:109], v[88:89], v[104:105]
	v_add_f64 v[164:165], v[82:83], v[102:103]
	v_add_f64 v[82:83], v[82:83], v[74:75]
	v_add_f64 v[88:89], v[88:89], v[76:77]
	v_min3_f32 v90, v90, v91, v156
	v_add_f64 v[91:92], v[26:27], v[50:51]
	v_cvt_f32_f64_e32 v108, v[108:109]
	v_cvt_f32_f64_e32 v111, v[164:165]
	v_add_f64 v[164:165], v[70:71], v[102:103]
	v_add_f64 v[70:71], v[70:71], v[74:75]
	v_cvt_f32_f64_e32 v82, v[82:83]
	v_cvt_f32_f64_e32 v87, v[88:89]
	v_min3_f32 v108, v110, v108, v162
	v_add_f64 v[109:110], v[84:85], v[104:105]
	v_add_f64 v[84:85], v[84:85], v[76:77]
	v_cvt_f32_f64_e32 v70, v[70:71]
	v_min3_f32 v86, v86, v87, v154
	v_add_f64 v[87:88], v[14:15], v[54:55]
	v_cvt_f32_f64_e32 v109, v[109:110]
	v_cvt_f32_f64_e32 v83, v[84:85]
	v_min3_f32 v109, v111, v109, v163
	v_add_f64 v[110:111], v[80:81], v[104:105]
	v_add_f64 v[162:163], v[78:79], v[102:103]
	;; [unrolled: 1-line block ×7, first 2 shown]
	v_min3_f32 v82, v82, v83, v155
	v_add_f64 v[83:84], v[10:11], v[58:59]
	v_cvt_f32_f64_e32 v110, v[110:111]
	v_cvt_f32_f64_e32 v162, v[162:163]
	;; [unrolled: 1-line block ×7, first 2 shown]
	v_min3_f32 v110, v162, v110, v160
	v_add_f64 v[162:163], v[72:73], v[104:105]
	v_add_f64 v[104:105], v[68:69], v[104:105]
	;; [unrolled: 1-line block ×5, first 2 shown]
	v_min3_f32 v78, v78, v79, v152
	v_add_f64 v[79:80], v[26:27], v[58:59]
	v_cvt_f32_f64_e32 v160, v[162:163]
	v_cvt_f32_f64_e32 v103, v[104:105]
	;; [unrolled: 1-line block ×4, first 2 shown]
	v_add_f64 v[68:69], v[34:35], v[62:63]
	v_min3_f32 v111, v111, v160, v161
	v_min3_f32 v102, v102, v103, v159
	;; [unrolled: 1-line block ×3, first 2 shown]
	v_add_f64 v[66:67], v[36:37], v[64:65]
	v_cvt_f32_f64_e32 v68, v[68:69]
	v_min3_f32 v71, v70, v71, v153
	v_add_f64 v[69:70], v[30:31], v[62:63]
	v_cvt_f32_f64_e32 v66, v[66:67]
	v_cvt_f32_f64_e32 v69, v[69:70]
	;; [unrolled: 1-line block ×3, first 2 shown]
	v_add_f64 v[74:75], v[18:19], v[62:63]
	v_min3_f32 v66, v68, v66, v222
	v_add_f64 v[67:68], v[32:33], v[64:65]
	v_cvt_f32_f64_e32 v72, v[74:75]
	v_add_f64 v[74:75], v[16:17], v[64:65]
	v_cvt_f32_f64_e32 v67, v[67:68]
	v_min3_f32 v67, v69, v67, v220
	v_add_f64 v[68:69], v[28:29], v[64:65]
	v_cvt_f32_f64_e32 v68, v[68:69]
	v_min3_f32 v68, v70, v68, v221
	v_add_f64 v[69:70], v[20:21], v[64:65]
	v_cvt_f32_f64_e32 v69, v[69:70]
	v_cvt_f32_f64_e32 v70, v[76:77]
	v_add_f64 v[76:77], v[10:11], v[62:63]
	v_min3_f32 v69, v72, v69, v223
	v_cvt_f32_f64_e32 v72, v[74:75]
	v_add_f64 v[74:75], v[12:13], v[64:65]
	v_min3_f32 v70, v70, v72, v219
	v_cvt_f32_f64_e32 v72, v[76:77]
	v_cvt_f32_f64_e32 v74, v[74:75]
	v_add_f64 v[76:77], v[6:7], v[62:63]
	v_add_f64 v[62:63], v[2:3], v[62:63]
	v_min3_f32 v72, v72, v74, v216
	v_add_f64 v[74:75], v[8:9], v[64:65]
	v_add_f64 v[64:65], v[4:5], v[64:65]
	v_cvt_f32_f64_e32 v76, v[76:77]
	v_cvt_f32_f64_e32 v62, v[62:63]
	;; [unrolled: 1-line block ×4, first 2 shown]
	v_min3_f32 v74, v76, v74, v217
	v_min3_f32 v62, v62, v63, v214
	v_add_f64 v[63:64], v[36:37], v[60:61]
	v_add_f64 v[75:76], v[34:35], v[58:59]
	v_cvt_f32_f64_e32 v63, v[63:64]
	v_cvt_f32_f64_e32 v65, v[75:76]
	v_add_f64 v[75:76], v[30:31], v[58:59]
	v_min3_f32 v63, v65, v63, v218
	v_add_f64 v[64:65], v[32:33], v[60:61]
	v_cvt_f32_f64_e32 v75, v[75:76]
	v_cvt_f32_f64_e32 v64, v[64:65]
	v_cvt_f32_f64_e32 v65, v[79:80]
	v_add_f64 v[79:80], v[18:19], v[58:59]
	v_min3_f32 v64, v75, v64, v215
	v_add_f64 v[75:76], v[28:29], v[60:61]
	v_cvt_f32_f64_e32 v77, v[79:80]
	v_add_f64 v[79:80], v[14:15], v[58:59]
	v_cvt_f32_f64_e32 v75, v[75:76]
	v_cvt_f32_f64_e32 v79, v[79:80]
	v_min3_f32 v65, v65, v75, v213
	v_add_f64 v[75:76], v[20:21], v[60:61]
	v_cvt_f32_f64_e32 v75, v[75:76]
	v_min3_f32 v75, v77, v75, v212
	v_add_f64 v[76:77], v[16:17], v[60:61]
	v_cvt_f32_f64_e32 v76, v[76:77]
	v_cvt_f32_f64_e32 v77, v[83:84]
	v_add_f64 v[83:84], v[6:7], v[58:59]
	v_add_f64 v[58:59], v[2:3], v[58:59]
	v_min3_f32 v76, v79, v76, v210
	v_add_f64 v[79:80], v[12:13], v[60:61]
	v_cvt_f32_f64_e32 v81, v[83:84]
	v_cvt_f32_f64_e32 v58, v[58:59]
	v_add_f64 v[83:84], v[26:27], v[54:55]
	v_cvt_f32_f64_e32 v79, v[79:80]
	v_min3_f32 v77, v77, v79, v208
	v_add_f64 v[79:80], v[8:9], v[60:61]
	v_add_f64 v[60:61], v[4:5], v[60:61]
	v_cvt_f32_f64_e32 v79, v[79:80]
	v_cvt_f32_f64_e32 v59, v[60:61]
	v_min3_f32 v79, v81, v79, v209
	v_min3_f32 v58, v58, v59, v207
	v_add_f64 v[59:60], v[36:37], v[56:57]
	v_add_f64 v[80:81], v[34:35], v[54:55]
	v_cvt_f32_f64_e32 v59, v[59:60]
	v_cvt_f32_f64_e32 v61, v[80:81]
	v_add_f64 v[80:81], v[30:31], v[54:55]
	v_min3_f32 v59, v61, v59, v206
	v_add_f64 v[60:61], v[32:33], v[56:57]
	v_cvt_f32_f64_e32 v80, v[80:81]
	v_cvt_f32_f64_e32 v60, v[60:61]
	;; [unrolled: 1-line block ×3, first 2 shown]
	v_add_f64 v[83:84], v[18:19], v[54:55]
	v_min3_f32 v60, v80, v60, v204
	v_add_f64 v[80:81], v[28:29], v[56:57]
	v_cvt_f32_f64_e32 v83, v[83:84]
	v_cvt_f32_f64_e32 v80, v[80:81]
	v_min3_f32 v61, v61, v80, v205
	v_add_f64 v[80:81], v[20:21], v[56:57]
	v_cvt_f32_f64_e32 v80, v[80:81]
	v_cvt_f32_f64_e32 v81, v[87:88]
	v_add_f64 v[87:88], v[10:11], v[54:55]
	v_min3_f32 v80, v83, v80, v202
	v_add_f64 v[83:84], v[16:17], v[56:57]
	v_cvt_f32_f64_e32 v85, v[87:88]
	v_add_f64 v[87:88], v[6:7], v[54:55]
	v_add_f64 v[54:55], v[2:3], v[54:55]
	v_cvt_f32_f64_e32 v83, v[83:84]
	v_cvt_f32_f64_e32 v87, v[87:88]
	;; [unrolled: 1-line block ×3, first 2 shown]
	v_min3_f32 v81, v81, v83, v203
	v_add_f64 v[83:84], v[12:13], v[56:57]
	v_cvt_f32_f64_e32 v83, v[83:84]
	v_min3_f32 v83, v85, v83, v200
	v_add_f64 v[84:85], v[8:9], v[56:57]
	v_add_f64 v[56:57], v[4:5], v[56:57]
	v_cvt_f32_f64_e32 v84, v[84:85]
	v_cvt_f32_f64_e32 v55, v[56:57]
	v_min3_f32 v84, v87, v84, v201
	v_min3_f32 v54, v54, v55, v198
	v_add_f64 v[55:56], v[36:37], v[52:53]
	v_add_f64 v[87:88], v[34:35], v[50:51]
	v_cvt_f32_f64_e32 v55, v[55:56]
	v_cvt_f32_f64_e32 v57, v[87:88]
	v_add_f64 v[87:88], v[30:31], v[50:51]
	v_min3_f32 v55, v57, v55, v199
	v_add_f64 v[56:57], v[32:33], v[52:53]
	v_cvt_f32_f64_e32 v85, v[87:88]
	v_add_f64 v[87:88], v[28:29], v[52:53]
	v_cvt_f32_f64_e32 v56, v[56:57]
	v_cvt_f32_f64_e32 v57, v[91:92]
	v_add_f64 v[91:92], v[18:19], v[50:51]
	v_min3_f32 v56, v85, v56, v196
	v_cvt_f32_f64_e32 v85, v[87:88]
	v_add_f64 v[87:88], v[20:21], v[52:53]
	v_min3_f32 v57, v57, v85, v197
	v_cvt_f32_f64_e32 v85, v[91:92]
	v_cvt_f32_f64_e32 v87, v[87:88]
	v_add_f64 v[91:92], v[14:15], v[50:51]
	v_min3_f32 v85, v85, v87, v118
	v_add_f64 v[87:88], v[16:17], v[52:53]
	v_cvt_f32_f64_e32 v89, v[91:92]
	v_add_f64 v[91:92], v[10:11], v[50:51]
	v_add_f64 v[50:51], v[2:3], v[50:51]
	v_cvt_f32_f64_e32 v87, v[87:88]
	v_cvt_f32_f64_e32 v91, v[91:92]
	;; [unrolled: 1-line block ×3, first 2 shown]
	v_min3_f32 v87, v89, v87, v119
	v_add_f64 v[88:89], v[12:13], v[52:53]
	v_cvt_f32_f64_e32 v88, v[88:89]
	v_cvt_f32_f64_e32 v89, v[95:96]
	v_add_f64 v[95:96], v[26:27], v[46:47]
	v_min3_f32 v88, v91, v88, v120
	v_add_f64 v[91:92], v[8:9], v[52:53]
	v_add_f64 v[52:53], v[4:5], v[52:53]
	v_cvt_f32_f64_e32 v91, v[91:92]
	v_cvt_f32_f64_e32 v51, v[52:53]
	v_min3_f32 v89, v89, v91, v121
	v_min3_f32 v50, v50, v51, v114
	v_add_f64 v[51:52], v[36:37], v[48:49]
	v_add_f64 v[91:92], v[34:35], v[46:47]
	v_cvt_f32_f64_e32 v51, v[51:52]
	v_cvt_f32_f64_e32 v53, v[91:92]
	v_add_f64 v[91:92], v[30:31], v[46:47]
	v_min3_f32 v51, v53, v51, v115
	v_add_f64 v[52:53], v[32:33], v[48:49]
	v_cvt_f32_f64_e32 v91, v[91:92]
	v_cvt_f32_f64_e32 v52, v[52:53]
	;; [unrolled: 1-line block ×3, first 2 shown]
	v_add_f64 v[95:96], v[18:19], v[46:47]
	v_min3_f32 v52, v91, v52, v116
	v_add_f64 v[91:92], v[28:29], v[48:49]
	v_cvt_f32_f64_e32 v93, v[95:96]
	v_add_f64 v[95:96], v[14:15], v[46:47]
	v_cvt_f32_f64_e32 v91, v[91:92]
	v_cvt_f32_f64_e32 v95, v[95:96]
	v_min3_f32 v53, v53, v91, v117
	v_add_f64 v[91:92], v[20:21], v[48:49]
	v_cvt_f32_f64_e32 v91, v[91:92]
	v_min3_f32 v91, v93, v91, v122
	v_add_f64 v[92:93], v[16:17], v[48:49]
	v_cvt_f32_f64_e32 v92, v[92:93]
	v_cvt_f32_f64_e32 v93, v[99:100]
	v_add_f64 v[99:100], v[6:7], v[46:47]
	v_add_f64 v[46:47], v[2:3], v[46:47]
	v_min3_f32 v92, v95, v92, v123
	v_add_f64 v[95:96], v[12:13], v[48:49]
	v_cvt_f32_f64_e32 v46, v[46:47]
	v_cvt_f32_f64_e32 v95, v[95:96]
	v_min3_f32 v151, v93, v95, v124
	v_add_f64 v[95:96], v[8:9], v[48:49]
	v_add_f64 v[48:49], v[4:5], v[48:49]
	v_cvt_f32_f64_e32 v93, v[99:100]
	v_add_f64 v[99:100], v[26:27], v[42:43]
	v_cvt_f32_f64_e32 v95, v[95:96]
	v_cvt_f32_f64_e32 v47, v[48:49]
	v_min3_f32 v152, v93, v95, v125
	v_min3_f32 v46, v46, v47, v112
	v_add_f64 v[47:48], v[36:37], v[44:45]
	v_add_f64 v[95:96], v[34:35], v[42:43]
	v_cvt_f32_f64_e32 v47, v[47:48]
	v_cvt_f32_f64_e32 v49, v[95:96]
	v_add_f64 v[95:96], v[30:31], v[42:43]
	v_min3_f32 v47, v49, v47, v113
	v_add_f64 v[48:49], v[32:33], v[44:45]
	v_cvt_f32_f64_e32 v93, v[95:96]
	v_add_f64 v[95:96], v[28:29], v[44:45]
	v_cvt_f32_f64_e32 v48, v[48:49]
	v_cvt_f32_f64_e32 v49, v[99:100]
	v_add_f64 v[99:100], v[18:19], v[42:43]
	v_min3_f32 v48, v93, v48, v126
	v_cvt_f32_f64_e32 v93, v[95:96]
	v_add_f64 v[95:96], v[20:21], v[44:45]
	v_min3_f32 v49, v49, v93, v127
	v_cvt_f32_f64_e32 v93, v[99:100]
	v_cvt_f32_f64_e32 v95, v[95:96]
	v_add_f64 v[99:100], v[14:15], v[42:43]
	v_min3_f32 v153, v93, v95, v128
	v_add_f64 v[95:96], v[16:17], v[44:45]
	v_cvt_f32_f64_e32 v93, v[99:100]
	v_add_f64 v[99:100], v[10:11], v[42:43]
	v_cvt_f32_f64_e32 v95, v[95:96]
	v_min3_f32 v154, v93, v95, v129
	v_add_f64 v[95:96], v[12:13], v[44:45]
	v_cvt_f32_f64_e32 v93, v[99:100]
	v_add_f64 v[99:100], v[6:7], v[42:43]
	v_add_f64 v[42:43], v[2:3], v[42:43]
	v_cvt_f32_f64_e32 v95, v[95:96]
	v_cvt_f32_f64_e32 v42, v[42:43]
	v_min3_f32 v146, v93, v95, v146
	v_add_f64 v[95:96], v[8:9], v[44:45]
	v_add_f64 v[44:45], v[4:5], v[44:45]
	v_cvt_f32_f64_e32 v93, v[99:100]
	v_add_f64 v[99:100], v[26:27], v[38:39]
	v_add_f64 v[26:27], v[26:27], v[22:23]
	v_cvt_f32_f64_e32 v95, v[95:96]
	v_cvt_f32_f64_e32 v43, v[44:45]
	;; [unrolled: 1-line block ×3, first 2 shown]
	v_min3_f32 v147, v93, v95, v147
	v_min3_f32 v42, v42, v43, v171
	v_add_f64 v[43:44], v[36:37], v[40:41]
	v_add_f64 v[95:96], v[34:35], v[38:39]
	;; [unrolled: 1-line block ×4, first 2 shown]
	v_cvt_f32_f64_e32 v43, v[43:44]
	v_cvt_f32_f64_e32 v45, v[95:96]
	v_add_f64 v[95:96], v[30:31], v[38:39]
	v_add_f64 v[30:31], v[30:31], v[22:23]
	v_cvt_f32_f64_e32 v34, v[34:35]
	v_cvt_f32_f64_e32 v35, v[36:37]
	v_min3_f32 v43, v45, v43, v173
	v_add_f64 v[44:45], v[32:33], v[40:41]
	v_cvt_f32_f64_e32 v93, v[95:96]
	v_add_f64 v[95:96], v[28:29], v[40:41]
	v_add_f64 v[32:33], v[32:33], v[24:25]
	;; [unrolled: 1-line block ×3, first 2 shown]
	v_cvt_f32_f64_e32 v30, v[30:31]
	v_min3_f32 v192, v34, v35, v98
	v_cvt_f32_f64_e32 v44, v[44:45]
	v_cvt_f32_f64_e32 v45, v[99:100]
	v_add_f64 v[99:100], v[18:19], v[38:39]
	v_add_f64 v[18:19], v[18:19], v[22:23]
	v_cvt_f32_f64_e32 v31, v[32:33]
	v_cvt_f32_f64_e32 v27, v[28:29]
	v_min3_f32 v44, v93, v44, v106
	v_cvt_f32_f64_e32 v93, v[95:96]
	v_add_f64 v[95:96], v[20:21], v[40:41]
	v_add_f64 v[20:21], v[20:21], v[24:25]
	v_cvt_f32_f64_e32 v18, v[18:19]
	v_min3_f32 v193, v30, v31, v94
	v_min3_f32 v194, v26, v27, v90
	;; [unrolled: 1-line block ×3, first 2 shown]
	v_cvt_f32_f64_e32 v93, v[99:100]
	v_cvt_f32_f64_e32 v95, v[95:96]
	v_add_f64 v[99:100], v[14:15], v[38:39]
	v_add_f64 v[14:15], v[14:15], v[22:23]
	v_cvt_f32_f64_e32 v19, v[20:21]
	v_min3_f32 v155, v93, v95, v108
	v_add_f64 v[95:96], v[16:17], v[40:41]
	v_cvt_f32_f64_e32 v93, v[99:100]
	v_add_f64 v[99:100], v[10:11], v[38:39]
	v_add_f64 v[16:17], v[16:17], v[24:25]
	;; [unrolled: 1-line block ×3, first 2 shown]
	v_cvt_f32_f64_e32 v14, v[14:15]
	v_min3_f32 v195, v18, v19, v86
	v_cvt_f32_f64_e32 v95, v[95:96]
	v_cvt_f32_f64_e32 v15, v[16:17]
	;; [unrolled: 1-line block ×3, first 2 shown]
	v_min3_f32 v156, v93, v95, v109
	v_add_f64 v[95:96], v[12:13], v[40:41]
	v_cvt_f32_f64_e32 v93, v[99:100]
	v_add_f64 v[99:100], v[6:7], v[38:39]
	v_add_f64 v[38:39], v[2:3], v[38:39]
	;; [unrolled: 1-line block ×5, first 2 shown]
	v_min3_f32 v196, v14, v15, v82
	v_cvt_f32_f64_e32 v95, v[95:96]
	v_cvt_f32_f64_e32 v38, v[38:39]
	v_cvt_f32_f64_e32 v11, v[12:13]
	v_cvt_f32_f64_e32 v6, v[6:7]
	v_cvt_f32_f64_e32 v2, v[2:3]
	v_min3_f32 v157, v93, v95, v110
	v_add_f64 v[95:96], v[8:9], v[40:41]
	v_add_f64 v[40:41], v[4:5], v[40:41]
	;; [unrolled: 1-line block ×4, first 2 shown]
	v_cvt_f32_f64_e32 v93, v[99:100]
	v_min3_f32 v197, v10, v11, v78
	v_cvt_f32_f64_e32 v95, v[95:96]
	v_cvt_f32_f64_e32 v39, v[40:41]
	;; [unrolled: 1-line block ×4, first 2 shown]
	v_min3_f32 v171, v93, v95, v111
	v_min3_f32 v173, v38, v39, v102
	;; [unrolled: 1-line block ×4, first 2 shown]
	ds_read_b128 v[6:9], v149 offset:1024
	ds_read_b128 v[10:13], v149 offset:2048
	;; [unrolled: 1-line block ×14, first 2 shown]
	ds_read_b128 v[97:100], v167
	ds_read_b128 v[34:37], v167 offset:16
	ds_read_b128 v[188:191], v149
	ds_read_b128 v[2:5], v149 offset:16
	s_waitcnt lgkmcnt(1)
	v_add_f64 v[101:102], v[190:191], v[99:100]
	v_add_f64 v[103:104], v[188:189], v[97:98]
	v_cvt_f32_f64_e32 v73, v[101:102]
	v_cvt_f32_f64_e32 v71, v[103:104]
	v_add_f64 v[101:102], v[8:9], v[99:100]
	v_add_f64 v[103:104], v[6:7], v[97:98]
	v_min3_f32 v129, v71, v73, v66
	v_cvt_f32_f64_e32 v71, v[101:102]
	v_cvt_f32_f64_e32 v66, v[103:104]
	v_add_f64 v[101:102], v[10:11], v[97:98]
	v_min3_f32 v128, v66, v71, v67
	v_add_f64 v[66:67], v[12:13], v[99:100]
	v_cvt_f32_f64_e32 v71, v[101:102]
	v_add_f64 v[101:102], v[14:15], v[97:98]
	v_cvt_f32_f64_e32 v66, v[66:67]
	v_min3_f32 v127, v71, v66, v68
	v_add_f64 v[66:67], v[16:17], v[99:100]
	v_cvt_f32_f64_e32 v68, v[101:102]
	v_cvt_f32_f64_e32 v66, v[66:67]
	v_min3_f32 v126, v68, v66, v69
	v_add_f64 v[66:67], v[20:21], v[99:100]
	v_add_f64 v[68:69], v[18:19], v[97:98]
	v_cvt_f32_f64_e32 v66, v[66:67]
	v_cvt_f32_f64_e32 v68, v[68:69]
	v_min3_f32 v125, v68, v66, v70
	v_add_f64 v[66:67], v[24:25], v[99:100]
	;; [unrolled: 5-line block ×11, first 2 shown]
	v_add_f64 v[64:65], v[26:27], v[38:39]
	v_add_f64 v[40:41], v[32:33], v[40:41]
	;; [unrolled: 1-line block ×3, first 2 shown]
	v_cvt_f32_f64_e32 v62, v[62:63]
	v_cvt_f32_f64_e32 v64, v[64:65]
	;; [unrolled: 1-line block ×4, first 2 shown]
	v_add_f64 v[40:41], v[188:189], v[93:94]
	v_min3_f32 v115, v64, v62, v79
	v_min3_f32 v114, v38, v39, v58
	v_add_f64 v[38:39], v[190:191], v[95:96]
	v_cvt_f32_f64_e32 v40, v[40:41]
	v_cvt_f32_f64_e32 v38, v[38:39]
	v_min3_f32 v113, v40, v38, v59
	v_add_f64 v[38:39], v[8:9], v[95:96]
	v_add_f64 v[40:41], v[6:7], v[93:94]
	v_cvt_f32_f64_e32 v38, v[38:39]
	v_cvt_f32_f64_e32 v40, v[40:41]
	v_min3_f32 v112, v40, v38, v60
	v_add_f64 v[38:39], v[12:13], v[95:96]
	;; [unrolled: 5-line block ×23, first 2 shown]
	v_add_f64 v[40:41], v[30:31], v[162:163]
	s_waitcnt lgkmcnt(0)
	v_add_f64 v[151:152], v[2:3], v[34:35]
	v_cvt_f32_f64_e32 v38, v[38:39]
	v_cvt_f32_f64_e32 v40, v[40:41]
	;; [unrolled: 1-line block ×3, first 2 shown]
	v_min3_f32 v90, v40, v38, v46
	v_add_f64 v[38:39], v[190:191], v[178:179]
	v_add_f64 v[40:41], v[188:189], v[176:177]
	v_cvt_f32_f64_e32 v38, v[38:39]
	v_cvt_f32_f64_e32 v40, v[40:41]
	v_min3_f32 v89, v40, v38, v47
	v_add_f64 v[38:39], v[8:9], v[178:179]
	v_add_f64 v[40:41], v[6:7], v[176:177]
	v_cvt_f32_f64_e32 v38, v[38:39]
	v_cvt_f32_f64_e32 v40, v[40:41]
	v_min3_f32 v88, v40, v38, v48
	v_add_f64 v[38:39], v[12:13], v[178:179]
	v_add_f64 v[40:41], v[10:11], v[176:177]
	v_cvt_f32_f64_e32 v38, v[38:39]
	v_cvt_f32_f64_e32 v40, v[40:41]
	v_min3_f32 v87, v40, v38, v49
	v_add_f64 v[38:39], v[16:17], v[178:179]
	v_add_f64 v[40:41], v[14:15], v[176:177]
	v_cvt_f32_f64_e32 v38, v[38:39]
	v_cvt_f32_f64_e32 v40, v[40:41]
	v_min3_f32 v86, v40, v38, v153
	v_add_f64 v[38:39], v[20:21], v[178:179]
	v_add_f64 v[40:41], v[18:19], v[176:177]
	v_cvt_f32_f64_e32 v38, v[38:39]
	v_cvt_f32_f64_e32 v40, v[40:41]
	v_min3_f32 v85, v40, v38, v154
	v_add_f64 v[38:39], v[24:25], v[178:179]
	v_add_f64 v[40:41], v[22:23], v[176:177]
	v_cvt_f32_f64_e32 v38, v[38:39]
	v_cvt_f32_f64_e32 v40, v[40:41]
	v_min3_f32 v84, v40, v38, v146
	v_add_f64 v[38:39], v[28:29], v[178:179]
	v_add_f64 v[40:41], v[26:27], v[176:177]
	v_cvt_f32_f64_e32 v38, v[38:39]
	v_cvt_f32_f64_e32 v40, v[40:41]
	v_min3_f32 v83, v40, v38, v147
	v_add_f64 v[38:39], v[32:33], v[178:179]
	v_add_f64 v[40:41], v[30:31], v[176:177]
	;; [unrolled: 1-line block ×3, first 2 shown]
	v_cvt_f32_f64_e32 v38, v[38:39]
	v_cvt_f32_f64_e32 v40, v[40:41]
	;; [unrolled: 1-line block ×3, first 2 shown]
	v_min3_f32 v82, v40, v38, v42
	v_add_f64 v[38:39], v[190:191], v[182:183]
	v_add_f64 v[40:41], v[188:189], v[180:181]
	v_min3_f32 v222, v151, v146, v129
	v_cvt_f32_f64_e32 v38, v[38:39]
	v_cvt_f32_f64_e32 v40, v[40:41]
	v_min3_f32 v81, v40, v38, v43
	v_add_f64 v[38:39], v[8:9], v[182:183]
	v_add_f64 v[40:41], v[6:7], v[180:181]
	v_add_f64 v[8:9], v[8:9], v[186:187]
	v_add_f64 v[6:7], v[6:7], v[184:185]
	v_cvt_f32_f64_e32 v38, v[38:39]
	v_cvt_f32_f64_e32 v40, v[40:41]
	;; [unrolled: 1-line block ×4, first 2 shown]
	v_add_f64 v[8:9], v[10:11], v[184:185]
	v_min3_f32 v80, v40, v38, v44
	v_add_f64 v[38:39], v[12:13], v[182:183]
	v_add_f64 v[40:41], v[10:11], v[180:181]
	v_min3_f32 v72, v6, v7, v193
	v_add_f64 v[6:7], v[12:13], v[186:187]
	v_cvt_f32_f64_e32 v8, v[8:9]
	v_cvt_f32_f64_e32 v38, v[38:39]
	v_cvt_f32_f64_e32 v40, v[40:41]
	v_cvt_f32_f64_e32 v6, v[6:7]
	v_min3_f32 v79, v40, v38, v45
	v_add_f64 v[38:39], v[16:17], v[182:183]
	v_add_f64 v[40:41], v[14:15], v[180:181]
	v_min3_f32 v71, v8, v6, v194
	v_add_f64 v[6:7], v[16:17], v[186:187]
	v_add_f64 v[8:9], v[14:15], v[184:185]
	v_cvt_f32_f64_e32 v38, v[38:39]
	v_cvt_f32_f64_e32 v40, v[40:41]
	v_cvt_f32_f64_e32 v6, v[6:7]
	v_cvt_f32_f64_e32 v8, v[8:9]
	v_min3_f32 v78, v40, v38, v155
	v_add_f64 v[38:39], v[20:21], v[182:183]
	v_add_f64 v[40:41], v[18:19], v[180:181]
	v_min3_f32 v70, v8, v6, v195
	v_add_f64 v[6:7], v[20:21], v[186:187]
	;; [unrolled: 10-line block ×5, first 2 shown]
	v_add_f64 v[8:9], v[30:31], v[184:185]
	v_cvt_f32_f64_e32 v38, v[38:39]
	v_cvt_f32_f64_e32 v40, v[40:41]
	;; [unrolled: 1-line block ×4, first 2 shown]
	v_min3_f32 v74, v40, v38, v173
	v_add_f64 v[38:39], v[190:191], v[186:187]
	v_add_f64 v[40:41], v[188:189], v[184:185]
	v_min3_f32 v66, v8, v6, v199
	v_cvt_f32_f64_e32 v38, v[38:39]
	v_cvt_f32_f64_e32 v40, v[40:41]
	v_min3_f32 v73, v40, v38, v192
	ds_read_b128 v[22:25], v149 offset:1040
	ds_read_b128 v[18:21], v149 offset:2064
	;; [unrolled: 1-line block ×14, first 2 shown]
	ds_write2st64_b64 v168, v[138:139], v[140:141] offset1:4
	ds_write2st64_b64 v168, v[142:143], v[144:145] offset0:8 offset1:12
	ds_write_b64 v169, v[136:137]
	s_waitcnt lgkmcnt(0)
	s_barrier
	buffer_gl0_inv
	v_add_f64 v[146:147], v[24:25], v[36:37]
	v_add_f64 v[151:152], v[22:23], v[34:35]
	v_cvt_f32_f64_e32 v146, v[146:147]
	v_cvt_f32_f64_e32 v129, v[151:152]
	v_min3_f32 v220, v129, v146, v128
	v_add_f64 v[128:129], v[20:21], v[36:37]
	v_add_f64 v[146:147], v[18:19], v[34:35]
	v_cvt_f32_f64_e32 v128, v[128:129]
	v_cvt_f32_f64_e32 v146, v[146:147]
	v_min3_f32 v221, v146, v128, v127
	;; [unrolled: 5-line block ×5, first 2 shown]
	v_add_f64 v[124:125], v[32:33], v[36:37]
	v_add_f64 v[126:127], v[30:31], v[34:35]
	v_add_f64 v[36:37], v[28:29], v[36:37]
	v_add_f64 v[34:35], v[26:27], v[34:35]
	v_cvt_f32_f64_e32 v124, v[124:125]
	v_cvt_f32_f64_e32 v126, v[126:127]
	;; [unrolled: 1-line block ×4, first 2 shown]
	v_add_f64 v[36:37], v[2:3], v[62:63]
	v_min3_f32 v217, v126, v124, v123
	v_min3_f32 v214, v34, v35, v122
	v_add_f64 v[34:35], v[4:5], v[64:65]
	v_cvt_f32_f64_e32 v36, v[36:37]
	v_cvt_f32_f64_e32 v34, v[34:35]
	v_min3_f32 v215, v36, v34, v121
	v_add_f64 v[34:35], v[24:25], v[64:65]
	v_add_f64 v[36:37], v[22:23], v[62:63]
	v_cvt_f32_f64_e32 v34, v[34:35]
	v_cvt_f32_f64_e32 v36, v[36:37]
	v_min3_f32 v212, v36, v34, v120
	v_add_f64 v[34:35], v[20:21], v[64:65]
	;; [unrolled: 5-line block ×40, first 2 shown]
	v_add_f64 v[36:37], v[2:3], v[42:43]
	v_add_f64 v[4:5], v[4:5], v[40:41]
	;; [unrolled: 1-line block ×3, first 2 shown]
	v_cvt_f32_f64_e32 v34, v[34:35]
	v_cvt_f32_f64_e32 v36, v[36:37]
	;; [unrolled: 1-line block ×4, first 2 shown]
	v_add_f64 v[4:5], v[22:23], v[38:39]
	v_min3_f32 v173, v36, v34, v81
	v_add_f64 v[34:35], v[24:25], v[44:45]
	v_add_f64 v[36:37], v[22:23], v[42:43]
	v_min3_f32 v158, v2, v3, v73
	v_add_f64 v[2:3], v[24:25], v[40:41]
	v_cvt_f32_f64_e32 v4, v[4:5]
	v_cvt_f32_f64_e32 v34, v[34:35]
	v_cvt_f32_f64_e32 v36, v[36:37]
	v_cvt_f32_f64_e32 v2, v[2:3]
	v_min3_f32 v164, v36, v34, v80
	v_add_f64 v[34:35], v[20:21], v[44:45]
	v_add_f64 v[36:37], v[18:19], v[42:43]
	v_min3_f32 v157, v4, v2, v72
	v_add_f64 v[2:3], v[20:21], v[40:41]
	v_add_f64 v[4:5], v[18:19], v[38:39]
	v_cvt_f32_f64_e32 v34, v[34:35]
	v_cvt_f32_f64_e32 v36, v[36:37]
	v_cvt_f32_f64_e32 v2, v[2:3]
	v_cvt_f32_f64_e32 v4, v[4:5]
	v_min3_f32 v165, v36, v34, v79
	v_add_f64 v[34:35], v[16:17], v[44:45]
	v_add_f64 v[36:37], v[14:15], v[42:43]
	v_min3_f32 v156, v4, v2, v71
	v_add_f64 v[2:3], v[16:17], v[40:41]
	v_add_f64 v[4:5], v[14:15], v[38:39]
	v_cvt_f32_f64_e32 v34, v[34:35]
	v_cvt_f32_f64_e32 v36, v[36:37]
	v_cvt_f32_f64_e32 v2, v[2:3]
	v_cvt_f32_f64_e32 v4, v[4:5]
	v_min3_f32 v162, v36, v34, v78
	v_add_f64 v[34:35], v[12:13], v[44:45]
	v_add_f64 v[36:37], v[10:11], v[42:43]
	v_min3_f32 v154, v4, v2, v70
	v_add_f64 v[2:3], v[12:13], v[40:41]
	v_add_f64 v[4:5], v[10:11], v[38:39]
	v_cvt_f32_f64_e32 v34, v[34:35]
	v_cvt_f32_f64_e32 v36, v[36:37]
	v_cvt_f32_f64_e32 v2, v[2:3]
	v_cvt_f32_f64_e32 v4, v[4:5]
	v_min3_f32 v163, v36, v34, v77
	v_add_f64 v[34:35], v[8:9], v[44:45]
	v_add_f64 v[36:37], v[6:7], v[42:43]
	v_min3_f32 v155, v4, v2, v69
	v_add_f64 v[2:3], v[8:9], v[40:41]
	v_add_f64 v[4:5], v[6:7], v[38:39]
	v_cvt_f32_f64_e32 v34, v[34:35]
	v_cvt_f32_f64_e32 v36, v[36:37]
	v_cvt_f32_f64_e32 v2, v[2:3]
	v_cvt_f32_f64_e32 v4, v[4:5]
	v_min3_f32 v160, v36, v34, v76
	v_add_f64 v[34:35], v[32:33], v[44:45]
	v_add_f64 v[36:37], v[30:31], v[42:43]
	v_min3_f32 v152, v4, v2, v68
	v_add_f64 v[2:3], v[32:33], v[40:41]
	v_add_f64 v[4:5], v[30:31], v[38:39]
	v_cvt_f32_f64_e32 v34, v[34:35]
	v_cvt_f32_f64_e32 v36, v[36:37]
	v_cvt_f32_f64_e32 v2, v[2:3]
	v_cvt_f32_f64_e32 v4, v[4:5]
	v_min3_f32 v161, v36, v34, v75
	v_add_f64 v[34:35], v[28:29], v[44:45]
	v_add_f64 v[36:37], v[26:27], v[42:43]
	v_min3_f32 v153, v4, v2, v67
	v_add_f64 v[2:3], v[28:29], v[40:41]
	v_add_f64 v[4:5], v[26:27], v[38:39]
	v_cvt_f32_f64_e32 v34, v[34:35]
	v_cvt_f32_f64_e32 v36, v[36:37]
	;; [unrolled: 1-line block ×4, first 2 shown]
	v_min3_f32 v159, v36, v34, v74
	v_min3_f32 v151, v4, v2, v66
	s_cbranch_scc1 .LBB105_33
.LBB105_21:                             ; =>This Inner Loop Header: Depth=1
	v_mov_b32_e32 v136, 0
	v_mov_b32_e32 v140, 0
	v_mov_b32_e32 v142, 0
	v_mov_b32_e32 v137, 0
	v_mov_b32_e32 v141, 0
	v_mov_b32_e32 v143, 0
	s_and_b32 vcc_lo, exec_lo, s1
	s_cbranch_vccnz .LBB105_23
; %bb.22:                               ;   in Loop: Header=BB105_21 Depth=1
	v_add_co_u32 v2, vcc_lo, v174, v134
	v_add_co_ci_u32_e64 v3, null, v175, v135, vcc_lo
	s_clause 0x1
	flat_load_dwordx2 v[4:5], v[2:3]
	flat_load_dwordx2 v[2:3], v[2:3] offset:512
	s_waitcnt vmcnt(1) lgkmcnt(1)
	v_mul_f64 v[140:141], s[16:17], v[4:5]
	s_waitcnt vmcnt(0) lgkmcnt(0)
	v_mul_f64 v[142:143], s[16:17], v[2:3]
.LBB105_23:                             ;   in Loop: Header=BB105_21 Depth=1
	v_mov_b32_e32 v144, 0
	v_mov_b32_e32 v145, 0
	s_and_b32 vcc_lo, exec_lo, s1
	s_cbranch_vccnz .LBB105_25
; %bb.24:                               ;   in Loop: Header=BB105_21 Depth=1
	v_add_co_u32 v2, vcc_lo, v174, v134
	v_add_co_ci_u32_e64 v3, null, v175, v135, vcc_lo
	s_clause 0x1
	flat_load_dwordx2 v[4:5], v[2:3] offset:1024
	flat_load_dwordx2 v[2:3], v[2:3] offset:1536
	s_waitcnt vmcnt(1) lgkmcnt(1)
	v_mul_f64 v[136:137], s[16:17], v[4:5]
	s_waitcnt vmcnt(0) lgkmcnt(0)
	v_mul_f64 v[144:145], s[16:17], v[2:3]
.LBB105_25:                             ;   in Loop: Header=BB105_21 Depth=1
	v_mov_b32_e32 v138, 0
	v_mov_b32_e32 v146, 0
	;; [unrolled: 1-line block ×4, first 2 shown]
	s_and_b32 vcc_lo, exec_lo, s1
	s_cbranch_vccnz .LBB105_27
; %bb.26:                               ;   in Loop: Header=BB105_21 Depth=1
	flat_load_dwordx2 v[2:3], v[130:131]
	s_waitcnt vmcnt(0) lgkmcnt(0)
	v_mul_f64 v[146:147], s[16:17], v[2:3]
.LBB105_27:                             ;   in Loop: Header=BB105_21 Depth=1
	ds_read_b128 v[126:129], v172
	ds_read_b128 v[62:65], v172 offset:16
	ds_read_b128 v[98:101], v170
	ds_read_b128 v[34:37], v170 offset:16
	ds_read_b128 v[94:97], v170 offset:1024
	;; [unrolled: 1-line block ×29, first 2 shown]
	ds_write2st64_b64 v150, v[140:141], v[142:143] offset1:4
	ds_write2st64_b64 v150, v[136:137], v[144:145] offset0:8 offset1:12
	v_mov_b32_e32 v140, 0
	v_mov_b32_e32 v141, 0
	s_and_b32 vcc_lo, exec_lo, s1
	ds_write_b64 v166, v[146:147]
	s_waitcnt lgkmcnt(0)
	s_barrier
	buffer_gl0_inv
	s_cbranch_vccnz .LBB105_29
; %bb.28:                               ;   in Loop: Header=BB105_21 Depth=1
	v_add_co_u32 v136, vcc_lo, v174, v132
	v_add_co_ci_u32_e64 v137, null, v175, v133, vcc_lo
	s_clause 0x1
	flat_load_dwordx2 v[138:139], v[136:137]
	flat_load_dwordx2 v[136:137], v[136:137] offset:512
	s_waitcnt vmcnt(1) lgkmcnt(1)
	v_mul_f64 v[138:139], s[16:17], v[138:139]
	s_waitcnt vmcnt(0) lgkmcnt(0)
	v_mul_f64 v[140:141], s[16:17], v[136:137]
.LBB105_29:                             ;   in Loop: Header=BB105_21 Depth=1
	v_mov_b32_e32 v136, 0
	v_mov_b32_e32 v142, 0
	;; [unrolled: 1-line block ×6, first 2 shown]
	s_and_b32 vcc_lo, exec_lo, s1
	s_cbranch_vccnz .LBB105_31
; %bb.30:                               ;   in Loop: Header=BB105_21 Depth=1
	v_add_co_u32 v142, vcc_lo, v174, v132
	v_add_co_ci_u32_e64 v143, null, v175, v133, vcc_lo
	s_clause 0x1
	flat_load_dwordx2 v[144:145], v[142:143] offset:1024
	flat_load_dwordx2 v[146:147], v[142:143] offset:1536
	s_waitcnt vmcnt(1) lgkmcnt(1)
	v_mul_f64 v[142:143], s[16:17], v[144:145]
	s_waitcnt vmcnt(0) lgkmcnt(0)
	v_mul_f64 v[144:145], s[16:17], v[146:147]
.LBB105_31:                             ;   in Loop: Header=BB105_21 Depth=1
	s_and_b32 vcc_lo, exec_lo, s1
	s_cbranch_vccnz .LBB105_20
; %bb.32:                               ;   in Loop: Header=BB105_21 Depth=1
	flat_load_dwordx2 v[136:137], v[130:131] offset:32
	s_waitcnt vmcnt(0) lgkmcnt(0)
	v_mul_f64 v[136:137], s[16:17], v[136:137]
	s_branch .LBB105_20
.LBB105_33:
	ds_read_b128 v[126:129], v148 offset:18432
	ds_read_b128 v[70:73], v149 offset:8192
	;; [unrolled: 1-line block ×4, first 2 shown]
	s_clause 0x2
	s_load_dword s1, s[4:5], 0x58
	s_load_dword s6, s[4:5], 0x70
	s_load_dwordx2 s[4:5], s[4:5], 0x78
	ds_read_b128 v[62:65], v149 offset:9216
	ds_read_b128 v[58:61], v149 offset:9232
	;; [unrolled: 1-line block ×23, first 2 shown]
	v_add_nc_u32_e32 v144, s11, v1
	ds_read_b128 v[82:85], v148 offset:19728
	v_add_nc_u32_e32 v138, s10, v0
	s_mov_b32 s7, -1
	v_ashrrev_i32_e32 v139, 31, v138
	v_add_nc_u32_e32 v0, 32, v138
	v_ashrrev_i32_e32 v1, 31, v0
	s_waitcnt lgkmcnt(0)
	v_add_f64 v[10:11], v[70:71], v[126:127]
	v_add_f64 v[12:13], v[72:73], v[128:129]
	;; [unrolled: 1-line block ×4, first 2 shown]
	v_mad_i64_i32 v[130:131], null, v144, s6, 0
	v_mad_i64_i32 v[132:133], null, v144, s1, 0
	s_lshl_b64 s[4:5], s[4:5], 3
	s_add_u32 s4, s8, s4
	s_addc_u32 s5, s9, s5
	v_lshlrev_b64 v[130:131], 3, v[130:131]
	v_lshlrev_b64 v[132:133], 3, v[132:133]
	v_add_co_u32 v145, vcc_lo, s4, v130
	v_add_co_ci_u32_e64 v146, null, s5, v131, vcc_lo
	v_cvt_f32_f64_e32 v134, v[10:11]
	v_cvt_f32_f64_e32 v135, v[12:13]
	;; [unrolled: 1-line block ×4, first 2 shown]
	ds_read_b128 v[78:81], v148 offset:19968
	ds_read_b128 v[74:77], v148 offset:19984
	;; [unrolled: 1-line block ×4, first 2 shown]
	v_add_co_u32 v147, vcc_lo, s2, v132
	v_add_co_ci_u32_e64 v148, null, s3, v133, vcc_lo
	s_mov_b32 vcc_lo, s0
	v_min3_f32 v134, v134, v135, v222
	v_min3_f32 v130, v136, v137, v134
	v_lshlrev_b64 v[134:135], 3, v[138:139]
	v_max_f32_e32 v131, v130, v130
	s_cbranch_vccz .LBB105_35
; %bb.34:
	v_min_f32_e32 v130, 0, v131
	v_add_co_u32 v136, vcc_lo, v145, v134
	v_add_co_ci_u32_e64 v137, null, v146, v135, vcc_lo
	v_cvt_f64_f32_e32 v[132:133], v130
	s_mov_b32 s7, 0
	flat_store_dwordx2 v[136:137], v[132:133]
.LBB105_35:
	v_lshlrev_b64 v[0:1], 3, v[0:1]
	v_mov_b32_e32 v130, 0
	s_andn2_b32 vcc_lo, exec_lo, s7
	s_cbranch_vccnz .LBB105_37
; %bb.36:
	v_add_co_u32 v132, vcc_lo, v147, v134
	v_add_co_ci_u32_e64 v133, null, v148, v135, vcc_lo
	flat_load_dwordx2 v[132:133], v[132:133]
	s_waitcnt vmcnt(0) lgkmcnt(0)
	v_mul_f64 v[132:133], s[12:13], v[132:133]
	v_cvt_f32_f64_e32 v130, v[132:133]
	v_add_co_u32 v132, vcc_lo, v145, v134
	v_add_co_ci_u32_e64 v133, null, v146, v135, vcc_lo
	v_add_co_u32 v136, vcc_lo, v147, v0
	v_add_co_ci_u32_e64 v137, null, v148, v1, vcc_lo
	v_min_f32_e32 v130, v130, v131
	v_cvt_f64_f32_e32 v[130:131], v130
	flat_store_dwordx2 v[132:133], v[130:131]
	flat_load_dwordx2 v[130:131], v[136:137]
	s_waitcnt vmcnt(0) lgkmcnt(0)
	v_mul_f64 v[130:131], s[12:13], v[130:131]
	v_cvt_f32_f64_e32 v130, v[130:131]
.LBB105_37:
	v_add_f64 v[131:132], v[62:63], v[126:127]
	v_add_f64 v[136:137], v[64:65], v[128:129]
	;; [unrolled: 1-line block ×7, first 2 shown]
	s_mov_b32 s7, -1
	v_cvt_f32_f64_e32 v133, v[131:132]
	v_cvt_f32_f64_e32 v136, v[136:137]
	;; [unrolled: 1-line block ×4, first 2 shown]
	v_add_f64 v[131:132], v[52:53], v[124:125]
	v_cvt_f32_f64_e32 v141, v[166:167]
	v_cvt_f32_f64_e32 v142, v[149:150]
	;; [unrolled: 1-line block ×3, first 2 shown]
	v_min3_f32 v133, v133, v136, v220
	v_min_f32_e32 v136, v137, v139
	v_cvt_f32_f64_e32 v131, v[131:132]
	v_add_nc_u32_e32 v132, 64, v138
	v_min3_f32 v130, v130, v136, v133
	v_min3_f32 v136, v141, v142, v221
	v_ashrrev_i32_e32 v133, 31, v132
	v_add_co_u32 v141, vcc_lo, v145, v0
	v_cvt_f64_f32_e32 v[139:140], v130
	v_add_nc_u32_e32 v130, 0x60, v138
	v_add_co_ci_u32_e64 v142, null, v146, v1, vcc_lo
	s_mov_b32 vcc_lo, s0
	v_min3_f32 v143, v143, v131, v136
	v_lshlrev_b64 v[136:137], 3, v[132:133]
	v_ashrrev_i32_e32 v131, 31, v130
	v_max_f32_e32 v133, v143, v143
	flat_store_dwordx2 v[141:142], v[139:140]
	s_cbranch_vccz .LBB105_39
; %bb.38:
	v_min_f32_e32 v132, 0, v133
	v_add_co_u32 v141, vcc_lo, v145, v136
	v_add_co_ci_u32_e64 v142, null, v146, v137, vcc_lo
	v_cvt_f64_f32_e32 v[139:140], v132
	s_mov_b32 s7, 0
	flat_store_dwordx2 v[141:142], v[139:140]
.LBB105_39:
	v_lshlrev_b64 v[130:131], 3, v[130:131]
	v_mov_b32_e32 v132, 0
	s_andn2_b32 vcc_lo, exec_lo, s7
	s_cbranch_vccnz .LBB105_41
; %bb.40:
	v_add_co_u32 v139, vcc_lo, v147, v136
	v_add_co_ci_u32_e64 v140, null, v148, v137, vcc_lo
	flat_load_dwordx2 v[139:140], v[139:140]
	s_waitcnt vmcnt(0) lgkmcnt(0)
	v_mul_f64 v[139:140], s[12:13], v[139:140]
	v_cvt_f32_f64_e32 v132, v[139:140]
	v_add_co_u32 v139, vcc_lo, v145, v136
	v_add_co_ci_u32_e64 v140, null, v146, v137, vcc_lo
	v_add_co_u32 v141, vcc_lo, v147, v130
	v_add_co_ci_u32_e64 v142, null, v148, v131, vcc_lo
	v_min_f32_e32 v132, v132, v133
	v_cvt_f64_f32_e32 v[132:133], v132
	flat_store_dwordx2 v[139:140], v[132:133]
	flat_load_dwordx2 v[132:133], v[141:142]
	s_waitcnt vmcnt(0) lgkmcnt(0)
	v_mul_f64 v[132:133], s[12:13], v[132:133]
	v_cvt_f32_f64_e32 v132, v[132:133]
.LBB105_41:
	v_add_f64 v[139:140], v[46:47], v[126:127]
	v_add_f64 v[141:142], v[48:49], v[128:129]
	;; [unrolled: 1-line block ×7, first 2 shown]
	s_mov_b32 s7, -1
	v_cvt_f32_f64_e32 v133, v[139:140]
	v_cvt_f32_f64_e32 v141, v[141:142]
	;; [unrolled: 1-line block ×4, first 2 shown]
	v_add_f64 v[139:140], v[36:37], v[124:125]
	v_cvt_f32_f64_e32 v166, v[174:175]
	v_cvt_f32_f64_e32 v167, v[168:169]
	;; [unrolled: 1-line block ×3, first 2 shown]
	v_min3_f32 v133, v133, v141, v218
	v_min_f32_e32 v141, v142, v143
	v_cvt_f32_f64_e32 v142, v[139:140]
	v_add_nc_u32_e32 v139, 0x80, v138
	v_min3_f32 v132, v132, v141, v133
	v_min3_f32 v133, v166, v167, v219
	v_ashrrev_i32_e32 v140, 31, v139
	v_add_co_u32 v166, vcc_lo, v145, v130
	v_cvt_f64_f32_e32 v[149:150], v132
	v_add_nc_u32_e32 v132, 0xa0, v138
	v_lshlrev_b64 v[140:141], 3, v[139:140]
	v_add_co_ci_u32_e64 v167, null, v146, v131, vcc_lo
	s_mov_b32 vcc_lo, s0
	v_min3_f32 v142, v168, v142, v133
	v_ashrrev_i32_e32 v133, 31, v132
	v_max_f32_e32 v142, v142, v142
	flat_store_dwordx2 v[166:167], v[149:150]
	s_cbranch_vccz .LBB105_43
; %bb.42:
	v_min_f32_e32 v139, 0, v142
	v_add_co_u32 v166, vcc_lo, v145, v140
	v_add_co_ci_u32_e64 v167, null, v146, v141, vcc_lo
	v_cvt_f64_f32_e32 v[149:150], v139
	s_mov_b32 s7, 0
	flat_store_dwordx2 v[166:167], v[149:150]
.LBB105_43:
	v_lshlrev_b64 v[132:133], 3, v[132:133]
	v_mov_b32_e32 v139, 0
	s_andn2_b32 vcc_lo, exec_lo, s7
	s_cbranch_vccnz .LBB105_45
; %bb.44:
	v_add_co_u32 v149, vcc_lo, v147, v140
	v_add_co_ci_u32_e64 v150, null, v148, v141, vcc_lo
	flat_load_dwordx2 v[149:150], v[149:150]
	s_waitcnt vmcnt(0) lgkmcnt(0)
	v_mul_f64 v[149:150], s[12:13], v[149:150]
	v_cvt_f32_f64_e32 v139, v[149:150]
	v_add_co_u32 v149, vcc_lo, v145, v140
	v_add_co_ci_u32_e64 v150, null, v146, v141, vcc_lo
	v_add_co_u32 v166, vcc_lo, v147, v132
	v_add_co_ci_u32_e64 v167, null, v148, v133, vcc_lo
	v_min_f32_e32 v139, v139, v142
	v_cvt_f64_f32_e32 v[142:143], v139
	flat_store_dwordx2 v[149:150], v[142:143]
	flat_load_dwordx2 v[142:143], v[166:167]
	s_waitcnt vmcnt(0) lgkmcnt(0)
	v_mul_f64 v[142:143], s[12:13], v[142:143]
	v_cvt_f32_f64_e32 v139, v[142:143]
.LBB105_45:
	v_add_f64 v[142:143], v[30:31], v[126:127]
	v_add_f64 v[149:150], v[32:33], v[128:129]
	;; [unrolled: 1-line block ×7, first 2 shown]
	s_mov_b32 s7, -1
	v_cvt_f32_f64_e32 v170, v[142:143]
	v_cvt_f32_f64_e32 v149, v[149:150]
	;; [unrolled: 1-line block ×4, first 2 shown]
	v_add_f64 v[142:143], v[20:21], v[124:125]
	v_cvt_f32_f64_e32 v168, v[218:219]
	v_cvt_f32_f64_e32 v169, v[174:175]
	;; [unrolled: 1-line block ×3, first 2 shown]
	v_min3_f32 v149, v170, v149, v216
	v_min_f32_e32 v150, v150, v166
	v_cvt_f32_f64_e32 v170, v[142:143]
	v_add_nc_u32_e32 v142, 0xc0, v138
	v_add_nc_u32_e32 v138, 0xe0, v138
	v_min3_f32 v139, v139, v150, v149
	v_ashrrev_i32_e32 v143, 31, v142
	v_cvt_f64_f32_e32 v[166:167], v139
	v_min3_f32 v139, v168, v169, v217
	v_add_co_u32 v168, vcc_lo, v145, v132
	v_lshlrev_b64 v[142:143], 3, v[142:143]
	v_add_co_ci_u32_e64 v169, null, v146, v133, vcc_lo
	s_mov_b32 vcc_lo, s0
	v_min3_f32 v149, v172, v170, v139
	v_ashrrev_i32_e32 v139, 31, v138
	v_max_f32_e32 v150, v149, v149
	flat_store_dwordx2 v[168:169], v[166:167]
	s_cbranch_vccz .LBB105_47
; %bb.46:
	v_min_f32_e32 v149, 0, v150
	v_add_co_u32 v168, vcc_lo, v145, v142
	v_add_co_ci_u32_e64 v169, null, v146, v143, vcc_lo
	v_cvt_f64_f32_e32 v[166:167], v149
	s_mov_b32 s7, 0
	flat_store_dwordx2 v[168:169], v[166:167]
.LBB105_47:
	v_lshlrev_b64 v[138:139], 3, v[138:139]
	v_mov_b32_e32 v149, 0
	s_andn2_b32 vcc_lo, exec_lo, s7
	s_cbranch_vccnz .LBB105_49
; %bb.48:
	v_add_co_u32 v166, vcc_lo, v147, v142
	v_add_co_ci_u32_e64 v167, null, v148, v143, vcc_lo
	flat_load_dwordx2 v[166:167], v[166:167]
	s_waitcnt vmcnt(0) lgkmcnt(0)
	v_mul_f64 v[166:167], s[12:13], v[166:167]
	v_cvt_f32_f64_e32 v149, v[166:167]
	v_add_co_u32 v166, vcc_lo, v145, v142
	v_add_co_ci_u32_e64 v167, null, v146, v143, vcc_lo
	v_add_co_u32 v147, vcc_lo, v147, v138
	v_add_co_ci_u32_e64 v148, null, v148, v139, vcc_lo
	v_min_f32_e32 v149, v149, v150
	v_cvt_f64_f32_e32 v[149:150], v149
	flat_store_dwordx2 v[166:167], v[149:150]
	flat_load_dwordx2 v[147:148], v[147:148]
	s_waitcnt vmcnt(0) lgkmcnt(0)
	v_mul_f64 v[147:148], s[12:13], v[147:148]
	v_cvt_f32_f64_e32 v149, v[147:148]
.LBB105_49:
	v_add_f64 v[126:127], v[2:3], v[126:127]
	v_add_f64 v[128:129], v[4:5], v[128:129]
	;; [unrolled: 1-line block ×6, first 2 shown]
	v_add_co_u32 v145, vcc_lo, v145, v138
	v_add_co_ci_u32_e64 v146, null, v146, v139, vcc_lo
	s_mov_b32 s7, -1
	v_cvt_f32_f64_e32 v126, v[126:127]
	v_cvt_f32_f64_e32 v127, v[128:129]
	;; [unrolled: 1-line block ×4, first 2 shown]
	v_add_f64 v[122:123], v[66:67], v[114:115]
	v_add_f64 v[124:125], v[68:69], v[116:117]
	v_cvt_f32_f64_e32 v150, v[166:167]
	v_cvt_f32_f64_e32 v147, v[147:148]
	v_add_nc_u32_e32 v148, 8, v144
	v_min3_f32 v126, v126, v127, v214
	v_min_f32_e32 v127, v128, v129
	v_cvt_f32_f64_e32 v166, v[122:123]
	v_cvt_f32_f64_e32 v167, v[124:125]
	v_mad_i64_i32 v[122:123], null, v148, s6, 0
	v_min3_f32 v124, v149, v127, v126
	v_min3_f32 v126, v150, v147, v215
	v_cvt_f64_f32_e32 v[128:129], v124
	v_mad_i64_i32 v[124:125], null, v148, s1, 0
	v_lshlrev_b64 v[122:123], 3, v[122:123]
	v_add_co_u32 v122, vcc_lo, s4, v122
	v_lshlrev_b64 v[124:125], 3, v[124:125]
	v_add_co_ci_u32_e64 v123, null, s5, v123, vcc_lo
	v_min3_f32 v126, v166, v167, v126
	v_add_co_u32 v124, vcc_lo, s2, v124
	v_add_co_ci_u32_e64 v125, null, s3, v125, vcc_lo
	v_max_f32_e32 v127, v126, v126
	s_mov_b32 vcc_lo, s0
	flat_store_dwordx2 v[145:146], v[128:129]
	s_cbranch_vccz .LBB105_51
; %bb.50:
	v_min_f32_e32 v126, 0, v127
	v_add_co_u32 v145, vcc_lo, v122, v134
	v_add_co_ci_u32_e64 v146, null, v123, v135, vcc_lo
	v_cvt_f64_f32_e32 v[128:129], v126
	s_mov_b32 s7, 0
	flat_store_dwordx2 v[145:146], v[128:129]
.LBB105_51:
	v_mov_b32_e32 v126, 0
	s_andn2_b32 vcc_lo, exec_lo, s7
	s_cbranch_vccnz .LBB105_53
; %bb.52:
	v_add_co_u32 v128, vcc_lo, v124, v134
	v_add_co_ci_u32_e64 v129, null, v125, v135, vcc_lo
	flat_load_dwordx2 v[128:129], v[128:129]
	s_waitcnt vmcnt(0) lgkmcnt(0)
	v_mul_f64 v[128:129], s[12:13], v[128:129]
	v_cvt_f32_f64_e32 v126, v[128:129]
	v_add_co_u32 v128, vcc_lo, v122, v134
	v_add_co_ci_u32_e64 v129, null, v123, v135, vcc_lo
	v_add_co_u32 v145, vcc_lo, v124, v0
	v_add_co_ci_u32_e64 v146, null, v125, v1, vcc_lo
	v_min_f32_e32 v126, v126, v127
	v_cvt_f64_f32_e32 v[126:127], v126
	flat_store_dwordx2 v[128:129], v[126:127]
	flat_load_dwordx2 v[126:127], v[145:146]
	s_waitcnt vmcnt(0) lgkmcnt(0)
	v_mul_f64 v[126:127], s[12:13], v[126:127]
	v_cvt_f32_f64_e32 v126, v[126:127]
.LBB105_53:
	v_add_f64 v[127:128], v[62:63], v[118:119]
	v_add_f64 v[145:146], v[64:65], v[120:121]
	v_add_f64 v[147:148], v[58:59], v[114:115]
	v_add_f64 v[149:150], v[60:61], v[116:117]
	v_add_f64 v[166:167], v[56:57], v[120:121]
	v_add_f64 v[168:169], v[54:55], v[118:119]
	v_add_f64 v[174:175], v[50:51], v[114:115]
	s_mov_b32 s7, -1
	v_cvt_f32_f64_e32 v129, v[127:128]
	v_cvt_f32_f64_e32 v145, v[145:146]
	v_cvt_f32_f64_e32 v146, v[147:148]
	v_cvt_f32_f64_e32 v147, v[149:150]
	v_add_f64 v[127:128], v[52:53], v[116:117]
	v_cvt_f32_f64_e32 v148, v[168:169]
	v_cvt_f32_f64_e32 v149, v[166:167]
	v_cvt_f32_f64_e32 v150, v[174:175]
	v_min3_f32 v129, v129, v145, v212
	v_min_f32_e32 v145, v146, v147
	v_cvt_f32_f64_e32 v127, v[127:128]
	v_min3_f32 v126, v126, v145, v129
	v_add_co_u32 v145, vcc_lo, v122, v0
	v_add_co_ci_u32_e64 v146, null, v123, v1, vcc_lo
	v_cvt_f64_f32_e32 v[128:129], v126
	v_min3_f32 v126, v148, v149, v213
	s_mov_b32 vcc_lo, s0
	v_min3_f32 v126, v150, v127, v126
	v_max_f32_e32 v127, v126, v126
	flat_store_dwordx2 v[145:146], v[128:129]
	s_cbranch_vccz .LBB105_55
; %bb.54:
	v_min_f32_e32 v126, 0, v127
	v_add_co_u32 v145, vcc_lo, v122, v136
	v_add_co_ci_u32_e64 v146, null, v123, v137, vcc_lo
	v_cvt_f64_f32_e32 v[128:129], v126
	s_mov_b32 s7, 0
	flat_store_dwordx2 v[145:146], v[128:129]
.LBB105_55:
	v_mov_b32_e32 v126, 0
	s_andn2_b32 vcc_lo, exec_lo, s7
	s_cbranch_vccnz .LBB105_57
; %bb.56:
	v_add_co_u32 v128, vcc_lo, v124, v136
	v_add_co_ci_u32_e64 v129, null, v125, v137, vcc_lo
	flat_load_dwordx2 v[128:129], v[128:129]
	s_waitcnt vmcnt(0) lgkmcnt(0)
	v_mul_f64 v[128:129], s[12:13], v[128:129]
	v_cvt_f32_f64_e32 v126, v[128:129]
	v_add_co_u32 v128, vcc_lo, v122, v136
	v_add_co_ci_u32_e64 v129, null, v123, v137, vcc_lo
	v_add_co_u32 v145, vcc_lo, v124, v130
	v_add_co_ci_u32_e64 v146, null, v125, v131, vcc_lo
	v_min_f32_e32 v126, v126, v127
	v_cvt_f64_f32_e32 v[126:127], v126
	flat_store_dwordx2 v[128:129], v[126:127]
	flat_load_dwordx2 v[126:127], v[145:146]
	s_waitcnt vmcnt(0) lgkmcnt(0)
	v_mul_f64 v[126:127], s[12:13], v[126:127]
	v_cvt_f32_f64_e32 v126, v[126:127]
.LBB105_57:
	v_add_f64 v[127:128], v[46:47], v[118:119]
	v_add_f64 v[145:146], v[48:49], v[120:121]
	v_add_f64 v[147:148], v[42:43], v[114:115]
	v_add_f64 v[149:150], v[44:45], v[116:117]
	v_add_f64 v[166:167], v[40:41], v[120:121]
	v_add_f64 v[168:169], v[38:39], v[118:119]
	v_add_f64 v[174:175], v[34:35], v[114:115]
	s_mov_b32 s7, -1
	v_cvt_f32_f64_e32 v129, v[127:128]
	v_cvt_f32_f64_e32 v145, v[145:146]
	v_cvt_f32_f64_e32 v146, v[147:148]
	v_cvt_f32_f64_e32 v147, v[149:150]
	v_add_f64 v[127:128], v[36:37], v[116:117]
	v_cvt_f32_f64_e32 v148, v[168:169]
	v_cvt_f32_f64_e32 v149, v[166:167]
	v_cvt_f32_f64_e32 v150, v[174:175]
	v_min3_f32 v129, v129, v145, v210
	v_min_f32_e32 v145, v146, v147
	v_cvt_f32_f64_e32 v127, v[127:128]
	v_min3_f32 v126, v126, v145, v129
	v_add_co_u32 v145, vcc_lo, v122, v130
	v_add_co_ci_u32_e64 v146, null, v123, v131, vcc_lo
	v_cvt_f64_f32_e32 v[128:129], v126
	v_min3_f32 v126, v148, v149, v211
	s_mov_b32 vcc_lo, s0
	v_min3_f32 v126, v150, v127, v126
	v_max_f32_e32 v127, v126, v126
	;; [unrolled: 59-line block ×3, first 2 shown]
	flat_store_dwordx2 v[145:146], v[128:129]
	s_cbranch_vccz .LBB105_63
; %bb.62:
	v_min_f32_e32 v126, 0, v127
	v_add_co_u32 v145, vcc_lo, v122, v142
	v_add_co_ci_u32_e64 v146, null, v123, v143, vcc_lo
	v_cvt_f64_f32_e32 v[128:129], v126
	s_mov_b32 s7, 0
	flat_store_dwordx2 v[145:146], v[128:129]
.LBB105_63:
	v_mov_b32_e32 v126, 0
	s_andn2_b32 vcc_lo, exec_lo, s7
	s_cbranch_vccnz .LBB105_65
; %bb.64:
	v_add_co_u32 v128, vcc_lo, v124, v142
	v_add_co_ci_u32_e64 v129, null, v125, v143, vcc_lo
	flat_load_dwordx2 v[128:129], v[128:129]
	s_waitcnt vmcnt(0) lgkmcnt(0)
	v_mul_f64 v[128:129], s[12:13], v[128:129]
	v_cvt_f32_f64_e32 v126, v[128:129]
	v_add_co_u32 v128, vcc_lo, v122, v142
	v_add_co_ci_u32_e64 v129, null, v123, v143, vcc_lo
	v_add_co_u32 v124, vcc_lo, v124, v138
	v_add_co_ci_u32_e64 v125, null, v125, v139, vcc_lo
	v_min_f32_e32 v126, v126, v127
	v_cvt_f64_f32_e32 v[126:127], v126
	flat_store_dwordx2 v[128:129], v[126:127]
	flat_load_dwordx2 v[124:125], v[124:125]
	s_waitcnt vmcnt(0) lgkmcnt(0)
	v_mul_f64 v[124:125], s[12:13], v[124:125]
	v_cvt_f32_f64_e32 v126, v[124:125]
.LBB105_65:
	v_add_f64 v[118:119], v[2:3], v[118:119]
	v_add_f64 v[120:121], v[4:5], v[120:121]
	;; [unrolled: 1-line block ×6, first 2 shown]
	v_add_co_u32 v122, vcc_lo, v122, v138
	v_add_co_ci_u32_e64 v123, null, v123, v139, vcc_lo
	s_mov_b32 s7, -1
	v_cvt_f32_f64_e32 v118, v[118:119]
	v_cvt_f32_f64_e32 v119, v[120:121]
	;; [unrolled: 1-line block ×4, first 2 shown]
	v_add_f64 v[114:115], v[66:67], v[106:107]
	v_add_f64 v[116:117], v[68:69], v[108:109]
	v_cvt_f32_f64_e32 v127, v[127:128]
	v_cvt_f32_f64_e32 v124, v[124:125]
	v_add_nc_u32_e32 v125, 16, v144
	v_min3_f32 v118, v118, v119, v207
	v_min_f32_e32 v119, v120, v121
	v_cvt_f32_f64_e32 v128, v[114:115]
	v_cvt_f32_f64_e32 v129, v[116:117]
	v_mad_i64_i32 v[114:115], null, v125, s6, 0
	v_min3_f32 v116, v126, v119, v118
	v_min3_f32 v118, v127, v124, v206
	v_cvt_f64_f32_e32 v[120:121], v116
	v_mad_i64_i32 v[116:117], null, v125, s1, 0
	v_lshlrev_b64 v[114:115], 3, v[114:115]
	v_add_co_u32 v114, vcc_lo, s4, v114
	v_lshlrev_b64 v[116:117], 3, v[116:117]
	v_add_co_ci_u32_e64 v115, null, s5, v115, vcc_lo
	v_min3_f32 v118, v128, v129, v118
	v_add_co_u32 v116, vcc_lo, s2, v116
	v_add_co_ci_u32_e64 v117, null, s3, v117, vcc_lo
	v_max_f32_e32 v119, v118, v118
	s_mov_b32 vcc_lo, s0
	flat_store_dwordx2 v[122:123], v[120:121]
	s_cbranch_vccz .LBB105_67
; %bb.66:
	v_min_f32_e32 v118, 0, v119
	v_add_co_u32 v122, vcc_lo, v114, v134
	v_add_co_ci_u32_e64 v123, null, v115, v135, vcc_lo
	v_cvt_f64_f32_e32 v[120:121], v118
	s_mov_b32 s7, 0
	flat_store_dwordx2 v[122:123], v[120:121]
.LBB105_67:
	v_mov_b32_e32 v118, 0
	s_andn2_b32 vcc_lo, exec_lo, s7
	s_cbranch_vccnz .LBB105_69
; %bb.68:
	v_add_co_u32 v120, vcc_lo, v116, v134
	v_add_co_ci_u32_e64 v121, null, v117, v135, vcc_lo
	flat_load_dwordx2 v[120:121], v[120:121]
	s_waitcnt vmcnt(0) lgkmcnt(0)
	v_mul_f64 v[120:121], s[12:13], v[120:121]
	v_cvt_f32_f64_e32 v118, v[120:121]
	v_add_co_u32 v120, vcc_lo, v114, v134
	v_add_co_ci_u32_e64 v121, null, v115, v135, vcc_lo
	v_add_co_u32 v122, vcc_lo, v116, v0
	v_add_co_ci_u32_e64 v123, null, v117, v1, vcc_lo
	v_min_f32_e32 v118, v118, v119
	v_cvt_f64_f32_e32 v[118:119], v118
	flat_store_dwordx2 v[120:121], v[118:119]
	flat_load_dwordx2 v[118:119], v[122:123]
	s_waitcnt vmcnt(0) lgkmcnt(0)
	v_mul_f64 v[118:119], s[12:13], v[118:119]
	v_cvt_f32_f64_e32 v118, v[118:119]
.LBB105_69:
	v_add_f64 v[119:120], v[62:63], v[110:111]
	v_add_f64 v[121:122], v[64:65], v[112:113]
	v_add_f64 v[123:124], v[58:59], v[106:107]
	v_add_f64 v[125:126], v[60:61], v[108:109]
	v_add_f64 v[127:128], v[56:57], v[112:113]
	v_add_f64 v[145:146], v[54:55], v[110:111]
	v_add_f64 v[147:148], v[50:51], v[106:107]
	s_mov_b32 s7, -1
	v_cvt_f32_f64_e32 v129, v[119:120]
	v_cvt_f32_f64_e32 v121, v[121:122]
	v_cvt_f32_f64_e32 v122, v[123:124]
	v_cvt_f32_f64_e32 v123, v[125:126]
	v_add_f64 v[119:120], v[52:53], v[108:109]
	v_cvt_f32_f64_e32 v124, v[145:146]
	v_cvt_f32_f64_e32 v125, v[127:128]
	v_cvt_f32_f64_e32 v126, v[147:148]
	v_min3_f32 v121, v129, v121, v204
	v_min_f32_e32 v122, v122, v123
	v_cvt_f32_f64_e32 v119, v[119:120]
	v_min3_f32 v118, v118, v122, v121
	v_add_co_u32 v122, vcc_lo, v114, v0
	v_add_co_ci_u32_e64 v123, null, v115, v1, vcc_lo
	v_cvt_f64_f32_e32 v[120:121], v118
	v_min3_f32 v118, v124, v125, v205
	s_mov_b32 vcc_lo, s0
	v_min3_f32 v118, v126, v119, v118
	v_max_f32_e32 v119, v118, v118
	flat_store_dwordx2 v[122:123], v[120:121]
	s_cbranch_vccz .LBB105_71
; %bb.70:
	v_min_f32_e32 v118, 0, v119
	v_add_co_u32 v122, vcc_lo, v114, v136
	v_add_co_ci_u32_e64 v123, null, v115, v137, vcc_lo
	v_cvt_f64_f32_e32 v[120:121], v118
	s_mov_b32 s7, 0
	flat_store_dwordx2 v[122:123], v[120:121]
.LBB105_71:
	v_mov_b32_e32 v118, 0
	s_andn2_b32 vcc_lo, exec_lo, s7
	s_cbranch_vccnz .LBB105_73
; %bb.72:
	v_add_co_u32 v120, vcc_lo, v116, v136
	v_add_co_ci_u32_e64 v121, null, v117, v137, vcc_lo
	flat_load_dwordx2 v[120:121], v[120:121]
	s_waitcnt vmcnt(0) lgkmcnt(0)
	v_mul_f64 v[120:121], s[12:13], v[120:121]
	v_cvt_f32_f64_e32 v118, v[120:121]
	v_add_co_u32 v120, vcc_lo, v114, v136
	v_add_co_ci_u32_e64 v121, null, v115, v137, vcc_lo
	v_add_co_u32 v122, vcc_lo, v116, v130
	v_add_co_ci_u32_e64 v123, null, v117, v131, vcc_lo
	v_min_f32_e32 v118, v118, v119
	v_cvt_f64_f32_e32 v[118:119], v118
	flat_store_dwordx2 v[120:121], v[118:119]
	flat_load_dwordx2 v[118:119], v[122:123]
	s_waitcnt vmcnt(0) lgkmcnt(0)
	v_mul_f64 v[118:119], s[12:13], v[118:119]
	v_cvt_f32_f64_e32 v118, v[118:119]
.LBB105_73:
	v_add_f64 v[119:120], v[46:47], v[110:111]
	v_add_f64 v[121:122], v[48:49], v[112:113]
	v_add_f64 v[123:124], v[42:43], v[106:107]
	v_add_f64 v[125:126], v[44:45], v[108:109]
	v_add_f64 v[127:128], v[40:41], v[112:113]
	v_add_f64 v[145:146], v[38:39], v[110:111]
	v_add_f64 v[147:148], v[34:35], v[106:107]
	s_mov_b32 s7, -1
	v_cvt_f32_f64_e32 v129, v[119:120]
	v_cvt_f32_f64_e32 v121, v[121:122]
	v_cvt_f32_f64_e32 v122, v[123:124]
	v_cvt_f32_f64_e32 v123, v[125:126]
	v_add_f64 v[119:120], v[36:37], v[108:109]
	v_cvt_f32_f64_e32 v124, v[145:146]
	v_cvt_f32_f64_e32 v125, v[127:128]
	v_cvt_f32_f64_e32 v126, v[147:148]
	v_min3_f32 v121, v129, v121, v202
	v_min_f32_e32 v122, v122, v123
	v_cvt_f32_f64_e32 v119, v[119:120]
	v_min3_f32 v118, v118, v122, v121
	v_add_co_u32 v122, vcc_lo, v114, v130
	v_add_co_ci_u32_e64 v123, null, v115, v131, vcc_lo
	v_cvt_f64_f32_e32 v[120:121], v118
	v_min3_f32 v118, v124, v125, v203
	s_mov_b32 vcc_lo, s0
	v_min3_f32 v118, v126, v119, v118
	v_max_f32_e32 v119, v118, v118
	;; [unrolled: 59-line block ×3, first 2 shown]
	flat_store_dwordx2 v[122:123], v[120:121]
	s_cbranch_vccz .LBB105_79
; %bb.78:
	v_min_f32_e32 v118, 0, v119
	v_add_co_u32 v122, vcc_lo, v114, v142
	v_add_co_ci_u32_e64 v123, null, v115, v143, vcc_lo
	v_cvt_f64_f32_e32 v[120:121], v118
	s_mov_b32 s7, 0
	flat_store_dwordx2 v[122:123], v[120:121]
.LBB105_79:
	v_mov_b32_e32 v118, 0
	s_andn2_b32 vcc_lo, exec_lo, s7
	s_cbranch_vccnz .LBB105_81
; %bb.80:
	v_add_co_u32 v120, vcc_lo, v116, v142
	v_add_co_ci_u32_e64 v121, null, v117, v143, vcc_lo
	flat_load_dwordx2 v[120:121], v[120:121]
	s_waitcnt vmcnt(0) lgkmcnt(0)
	v_mul_f64 v[120:121], s[12:13], v[120:121]
	v_cvt_f32_f64_e32 v118, v[120:121]
	v_add_co_u32 v120, vcc_lo, v114, v142
	v_add_co_ci_u32_e64 v121, null, v115, v143, vcc_lo
	v_add_co_u32 v116, vcc_lo, v116, v138
	v_add_co_ci_u32_e64 v117, null, v117, v139, vcc_lo
	v_min_f32_e32 v118, v118, v119
	v_cvt_f64_f32_e32 v[118:119], v118
	flat_store_dwordx2 v[120:121], v[118:119]
	flat_load_dwordx2 v[116:117], v[116:117]
	s_waitcnt vmcnt(0) lgkmcnt(0)
	v_mul_f64 v[116:117], s[12:13], v[116:117]
	v_cvt_f32_f64_e32 v118, v[116:117]
.LBB105_81:
	v_add_f64 v[110:111], v[2:3], v[110:111]
	v_add_f64 v[112:113], v[4:5], v[112:113]
	;; [unrolled: 1-line block ×6, first 2 shown]
	v_add_co_u32 v114, vcc_lo, v114, v138
	v_add_co_ci_u32_e64 v115, null, v115, v139, vcc_lo
	s_mov_b32 s7, -1
	v_cvt_f32_f64_e32 v110, v[110:111]
	v_cvt_f32_f64_e32 v111, v[112:113]
	v_cvt_f32_f64_e32 v112, v[106:107]
	v_cvt_f32_f64_e32 v113, v[108:109]
	v_add_f64 v[106:107], v[66:67], v[98:99]
	v_add_f64 v[108:109], v[68:69], v[100:101]
	v_cvt_f32_f64_e32 v119, v[119:120]
	v_cvt_f32_f64_e32 v116, v[116:117]
	v_add_nc_u32_e32 v117, 24, v144
	v_min3_f32 v110, v110, v111, v198
	v_min_f32_e32 v111, v112, v113
	v_cvt_f32_f64_e32 v120, v[106:107]
	v_cvt_f32_f64_e32 v121, v[108:109]
	v_mad_i64_i32 v[106:107], null, v117, s6, 0
	v_min3_f32 v108, v118, v111, v110
	v_min3_f32 v110, v119, v116, v199
	v_cvt_f64_f32_e32 v[112:113], v108
	v_mad_i64_i32 v[108:109], null, v117, s1, 0
	v_lshlrev_b64 v[106:107], 3, v[106:107]
	v_add_co_u32 v106, vcc_lo, s4, v106
	v_lshlrev_b64 v[108:109], 3, v[108:109]
	v_add_co_ci_u32_e64 v107, null, s5, v107, vcc_lo
	v_min3_f32 v110, v120, v121, v110
	v_add_co_u32 v108, vcc_lo, s2, v108
	v_add_co_ci_u32_e64 v109, null, s3, v109, vcc_lo
	v_max_f32_e32 v111, v110, v110
	s_mov_b32 vcc_lo, s0
	flat_store_dwordx2 v[114:115], v[112:113]
	s_cbranch_vccz .LBB105_83
; %bb.82:
	v_min_f32_e32 v110, 0, v111
	v_add_co_u32 v114, vcc_lo, v106, v134
	v_add_co_ci_u32_e64 v115, null, v107, v135, vcc_lo
	v_cvt_f64_f32_e32 v[112:113], v110
	s_mov_b32 s7, 0
	flat_store_dwordx2 v[114:115], v[112:113]
.LBB105_83:
	v_mov_b32_e32 v110, 0
	s_andn2_b32 vcc_lo, exec_lo, s7
	s_cbranch_vccnz .LBB105_85
; %bb.84:
	v_add_co_u32 v112, vcc_lo, v108, v134
	v_add_co_ci_u32_e64 v113, null, v109, v135, vcc_lo
	flat_load_dwordx2 v[112:113], v[112:113]
	s_waitcnt vmcnt(0) lgkmcnt(0)
	v_mul_f64 v[112:113], s[12:13], v[112:113]
	v_cvt_f32_f64_e32 v110, v[112:113]
	v_add_co_u32 v112, vcc_lo, v106, v134
	v_add_co_ci_u32_e64 v113, null, v107, v135, vcc_lo
	v_add_co_u32 v114, vcc_lo, v108, v0
	v_add_co_ci_u32_e64 v115, null, v109, v1, vcc_lo
	v_min_f32_e32 v110, v110, v111
	v_cvt_f64_f32_e32 v[110:111], v110
	flat_store_dwordx2 v[112:113], v[110:111]
	flat_load_dwordx2 v[110:111], v[114:115]
	s_waitcnt vmcnt(0) lgkmcnt(0)
	v_mul_f64 v[110:111], s[12:13], v[110:111]
	v_cvt_f32_f64_e32 v110, v[110:111]
.LBB105_85:
	v_add_f64 v[111:112], v[62:63], v[102:103]
	v_add_f64 v[113:114], v[64:65], v[104:105]
	v_add_f64 v[115:116], v[58:59], v[98:99]
	v_add_f64 v[117:118], v[60:61], v[100:101]
	v_add_f64 v[119:120], v[56:57], v[104:105]
	v_add_f64 v[121:122], v[54:55], v[102:103]
	v_add_f64 v[123:124], v[50:51], v[98:99]
	s_mov_b32 s7, -1
	v_cvt_f32_f64_e32 v125, v[111:112]
	v_cvt_f32_f64_e32 v113, v[113:114]
	v_cvt_f32_f64_e32 v114, v[115:116]
	v_cvt_f32_f64_e32 v115, v[117:118]
	v_add_f64 v[111:112], v[52:53], v[100:101]
	v_cvt_f32_f64_e32 v116, v[121:122]
	v_cvt_f32_f64_e32 v117, v[119:120]
	v_cvt_f32_f64_e32 v118, v[123:124]
	v_min3_f32 v113, v125, v113, v196
	v_min_f32_e32 v114, v114, v115
	v_cvt_f32_f64_e32 v111, v[111:112]
	v_min3_f32 v110, v110, v114, v113
	v_add_co_u32 v114, vcc_lo, v106, v0
	v_add_co_ci_u32_e64 v115, null, v107, v1, vcc_lo
	v_cvt_f64_f32_e32 v[112:113], v110
	v_min3_f32 v110, v116, v117, v197
	s_mov_b32 vcc_lo, s0
	v_min3_f32 v110, v118, v111, v110
	v_max_f32_e32 v111, v110, v110
	flat_store_dwordx2 v[114:115], v[112:113]
	s_cbranch_vccz .LBB105_87
; %bb.86:
	v_min_f32_e32 v110, 0, v111
	v_add_co_u32 v114, vcc_lo, v106, v136
	v_add_co_ci_u32_e64 v115, null, v107, v137, vcc_lo
	v_cvt_f64_f32_e32 v[112:113], v110
	s_mov_b32 s7, 0
	flat_store_dwordx2 v[114:115], v[112:113]
.LBB105_87:
	v_mov_b32_e32 v110, 0
	s_andn2_b32 vcc_lo, exec_lo, s7
	s_cbranch_vccnz .LBB105_89
; %bb.88:
	v_add_co_u32 v112, vcc_lo, v108, v136
	v_add_co_ci_u32_e64 v113, null, v109, v137, vcc_lo
	flat_load_dwordx2 v[112:113], v[112:113]
	s_waitcnt vmcnt(0) lgkmcnt(0)
	v_mul_f64 v[112:113], s[12:13], v[112:113]
	v_cvt_f32_f64_e32 v110, v[112:113]
	v_add_co_u32 v112, vcc_lo, v106, v136
	v_add_co_ci_u32_e64 v113, null, v107, v137, vcc_lo
	v_add_co_u32 v114, vcc_lo, v108, v130
	v_add_co_ci_u32_e64 v115, null, v109, v131, vcc_lo
	v_min_f32_e32 v110, v110, v111
	v_cvt_f64_f32_e32 v[110:111], v110
	flat_store_dwordx2 v[112:113], v[110:111]
	flat_load_dwordx2 v[110:111], v[114:115]
	s_waitcnt vmcnt(0) lgkmcnt(0)
	v_mul_f64 v[110:111], s[12:13], v[110:111]
	v_cvt_f32_f64_e32 v110, v[110:111]
.LBB105_89:
	v_add_f64 v[111:112], v[46:47], v[102:103]
	v_add_f64 v[113:114], v[48:49], v[104:105]
	v_add_f64 v[115:116], v[42:43], v[98:99]
	v_add_f64 v[117:118], v[44:45], v[100:101]
	v_add_f64 v[119:120], v[40:41], v[104:105]
	v_add_f64 v[121:122], v[38:39], v[102:103]
	v_add_f64 v[123:124], v[34:35], v[98:99]
	s_mov_b32 s7, -1
	v_cvt_f32_f64_e32 v125, v[111:112]
	v_cvt_f32_f64_e32 v113, v[113:114]
	v_cvt_f32_f64_e32 v114, v[115:116]
	v_cvt_f32_f64_e32 v115, v[117:118]
	v_add_f64 v[111:112], v[36:37], v[100:101]
	v_cvt_f32_f64_e32 v116, v[121:122]
	v_cvt_f32_f64_e32 v117, v[119:120]
	v_cvt_f32_f64_e32 v118, v[123:124]
	v_min3_f32 v113, v125, v113, v194
	v_min_f32_e32 v114, v114, v115
	v_cvt_f32_f64_e32 v111, v[111:112]
	v_min3_f32 v110, v110, v114, v113
	v_add_co_u32 v114, vcc_lo, v106, v130
	v_add_co_ci_u32_e64 v115, null, v107, v131, vcc_lo
	v_cvt_f64_f32_e32 v[112:113], v110
	v_min3_f32 v110, v116, v117, v195
	s_mov_b32 vcc_lo, s0
	v_min3_f32 v110, v118, v111, v110
	v_max_f32_e32 v111, v110, v110
	;; [unrolled: 59-line block ×3, first 2 shown]
	flat_store_dwordx2 v[114:115], v[112:113]
	s_cbranch_vccz .LBB105_95
; %bb.94:
	v_min_f32_e32 v110, 0, v111
	v_add_co_u32 v114, vcc_lo, v106, v142
	v_add_co_ci_u32_e64 v115, null, v107, v143, vcc_lo
	v_cvt_f64_f32_e32 v[112:113], v110
	s_mov_b32 s7, 0
	flat_store_dwordx2 v[114:115], v[112:113]
.LBB105_95:
	v_mov_b32_e32 v110, 0
	s_andn2_b32 vcc_lo, exec_lo, s7
	s_cbranch_vccnz .LBB105_97
; %bb.96:
	v_add_co_u32 v112, vcc_lo, v108, v142
	v_add_co_ci_u32_e64 v113, null, v109, v143, vcc_lo
	flat_load_dwordx2 v[112:113], v[112:113]
	s_waitcnt vmcnt(0) lgkmcnt(0)
	v_mul_f64 v[112:113], s[12:13], v[112:113]
	v_cvt_f32_f64_e32 v110, v[112:113]
	v_add_co_u32 v112, vcc_lo, v106, v142
	v_add_co_ci_u32_e64 v113, null, v107, v143, vcc_lo
	v_add_co_u32 v108, vcc_lo, v108, v138
	v_add_co_ci_u32_e64 v109, null, v109, v139, vcc_lo
	v_min_f32_e32 v110, v110, v111
	v_cvt_f64_f32_e32 v[110:111], v110
	flat_store_dwordx2 v[112:113], v[110:111]
	flat_load_dwordx2 v[108:109], v[108:109]
	s_waitcnt vmcnt(0) lgkmcnt(0)
	v_mul_f64 v[108:109], s[12:13], v[108:109]
	v_cvt_f32_f64_e32 v110, v[108:109]
.LBB105_97:
	v_add_f64 v[102:103], v[2:3], v[102:103]
	v_add_f64 v[104:105], v[4:5], v[104:105]
	;; [unrolled: 1-line block ×6, first 2 shown]
	v_add_co_u32 v106, vcc_lo, v106, v138
	v_add_co_ci_u32_e64 v107, null, v107, v139, vcc_lo
	s_mov_b32 s7, -1
	v_cvt_f32_f64_e32 v102, v[102:103]
	v_cvt_f32_f64_e32 v103, v[104:105]
	v_cvt_f32_f64_e32 v104, v[98:99]
	v_cvt_f32_f64_e32 v105, v[100:101]
	v_add_f64 v[98:99], v[66:67], v[90:91]
	v_add_f64 v[100:101], v[68:69], v[92:93]
	v_cvt_f32_f64_e32 v111, v[111:112]
	v_cvt_f32_f64_e32 v108, v[108:109]
	v_add_nc_u32_e32 v109, 32, v144
	v_min3_f32 v102, v102, v103, v190
	v_min_f32_e32 v103, v104, v105
	v_cvt_f32_f64_e32 v112, v[98:99]
	v_cvt_f32_f64_e32 v113, v[100:101]
	v_mad_i64_i32 v[98:99], null, v109, s6, 0
	v_min3_f32 v100, v110, v103, v102
	v_min3_f32 v102, v111, v108, v191
	v_cvt_f64_f32_e32 v[104:105], v100
	v_mad_i64_i32 v[100:101], null, v109, s1, 0
	v_lshlrev_b64 v[98:99], 3, v[98:99]
	v_add_co_u32 v98, vcc_lo, s4, v98
	v_lshlrev_b64 v[100:101], 3, v[100:101]
	v_add_co_ci_u32_e64 v99, null, s5, v99, vcc_lo
	v_min3_f32 v102, v112, v113, v102
	v_add_co_u32 v100, vcc_lo, s2, v100
	v_add_co_ci_u32_e64 v101, null, s3, v101, vcc_lo
	v_max_f32_e32 v103, v102, v102
	s_mov_b32 vcc_lo, s0
	flat_store_dwordx2 v[106:107], v[104:105]
	s_cbranch_vccz .LBB105_99
; %bb.98:
	v_min_f32_e32 v102, 0, v103
	v_add_co_u32 v106, vcc_lo, v98, v134
	v_add_co_ci_u32_e64 v107, null, v99, v135, vcc_lo
	v_cvt_f64_f32_e32 v[104:105], v102
	s_mov_b32 s7, 0
	flat_store_dwordx2 v[106:107], v[104:105]
.LBB105_99:
	v_mov_b32_e32 v102, 0
	s_andn2_b32 vcc_lo, exec_lo, s7
	s_cbranch_vccnz .LBB105_101
; %bb.100:
	v_add_co_u32 v104, vcc_lo, v100, v134
	v_add_co_ci_u32_e64 v105, null, v101, v135, vcc_lo
	flat_load_dwordx2 v[104:105], v[104:105]
	s_waitcnt vmcnt(0) lgkmcnt(0)
	v_mul_f64 v[104:105], s[12:13], v[104:105]
	v_cvt_f32_f64_e32 v102, v[104:105]
	v_add_co_u32 v104, vcc_lo, v98, v134
	v_add_co_ci_u32_e64 v105, null, v99, v135, vcc_lo
	v_add_co_u32 v106, vcc_lo, v100, v0
	v_add_co_ci_u32_e64 v107, null, v101, v1, vcc_lo
	v_min_f32_e32 v102, v102, v103
	v_cvt_f64_f32_e32 v[102:103], v102
	flat_store_dwordx2 v[104:105], v[102:103]
	flat_load_dwordx2 v[102:103], v[106:107]
	s_waitcnt vmcnt(0) lgkmcnt(0)
	v_mul_f64 v[102:103], s[12:13], v[102:103]
	v_cvt_f32_f64_e32 v102, v[102:103]
.LBB105_101:
	v_add_f64 v[103:104], v[62:63], v[94:95]
	v_add_f64 v[105:106], v[64:65], v[96:97]
	v_add_f64 v[107:108], v[58:59], v[90:91]
	v_add_f64 v[109:110], v[60:61], v[92:93]
	v_add_f64 v[111:112], v[56:57], v[96:97]
	v_add_f64 v[113:114], v[54:55], v[94:95]
	v_add_f64 v[115:116], v[50:51], v[90:91]
	s_mov_b32 s7, -1
	v_cvt_f32_f64_e32 v117, v[103:104]
	v_cvt_f32_f64_e32 v105, v[105:106]
	v_cvt_f32_f64_e32 v106, v[107:108]
	v_cvt_f32_f64_e32 v107, v[109:110]
	v_add_f64 v[103:104], v[52:53], v[92:93]
	v_cvt_f32_f64_e32 v108, v[113:114]
	v_cvt_f32_f64_e32 v109, v[111:112]
	v_cvt_f32_f64_e32 v110, v[115:116]
	v_min3_f32 v105, v117, v105, v188
	v_min_f32_e32 v106, v106, v107
	v_cvt_f32_f64_e32 v103, v[103:104]
	v_min3_f32 v102, v102, v106, v105
	v_add_co_u32 v106, vcc_lo, v98, v0
	v_add_co_ci_u32_e64 v107, null, v99, v1, vcc_lo
	v_cvt_f64_f32_e32 v[104:105], v102
	v_min3_f32 v102, v108, v109, v189
	s_mov_b32 vcc_lo, s0
	v_min3_f32 v102, v110, v103, v102
	v_max_f32_e32 v103, v102, v102
	flat_store_dwordx2 v[106:107], v[104:105]
	s_cbranch_vccz .LBB105_103
; %bb.102:
	v_min_f32_e32 v102, 0, v103
	v_add_co_u32 v106, vcc_lo, v98, v136
	v_add_co_ci_u32_e64 v107, null, v99, v137, vcc_lo
	v_cvt_f64_f32_e32 v[104:105], v102
	s_mov_b32 s7, 0
	flat_store_dwordx2 v[106:107], v[104:105]
.LBB105_103:
	v_mov_b32_e32 v102, 0
	s_andn2_b32 vcc_lo, exec_lo, s7
	s_cbranch_vccnz .LBB105_105
; %bb.104:
	v_add_co_u32 v104, vcc_lo, v100, v136
	v_add_co_ci_u32_e64 v105, null, v101, v137, vcc_lo
	flat_load_dwordx2 v[104:105], v[104:105]
	s_waitcnt vmcnt(0) lgkmcnt(0)
	v_mul_f64 v[104:105], s[12:13], v[104:105]
	v_cvt_f32_f64_e32 v102, v[104:105]
	v_add_co_u32 v104, vcc_lo, v98, v136
	v_add_co_ci_u32_e64 v105, null, v99, v137, vcc_lo
	v_add_co_u32 v106, vcc_lo, v100, v130
	v_add_co_ci_u32_e64 v107, null, v101, v131, vcc_lo
	v_min_f32_e32 v102, v102, v103
	v_cvt_f64_f32_e32 v[102:103], v102
	flat_store_dwordx2 v[104:105], v[102:103]
	flat_load_dwordx2 v[102:103], v[106:107]
	s_waitcnt vmcnt(0) lgkmcnt(0)
	v_mul_f64 v[102:103], s[12:13], v[102:103]
	v_cvt_f32_f64_e32 v102, v[102:103]
.LBB105_105:
	v_add_f64 v[103:104], v[46:47], v[94:95]
	v_add_f64 v[105:106], v[48:49], v[96:97]
	v_add_f64 v[107:108], v[42:43], v[90:91]
	v_add_f64 v[109:110], v[44:45], v[92:93]
	v_add_f64 v[111:112], v[40:41], v[96:97]
	v_add_f64 v[113:114], v[38:39], v[94:95]
	v_add_f64 v[115:116], v[34:35], v[90:91]
	s_mov_b32 s7, -1
	v_cvt_f32_f64_e32 v117, v[103:104]
	v_cvt_f32_f64_e32 v105, v[105:106]
	v_cvt_f32_f64_e32 v106, v[107:108]
	v_cvt_f32_f64_e32 v107, v[109:110]
	v_add_f64 v[103:104], v[36:37], v[92:93]
	v_cvt_f32_f64_e32 v108, v[113:114]
	v_cvt_f32_f64_e32 v109, v[111:112]
	v_cvt_f32_f64_e32 v110, v[115:116]
	v_min3_f32 v105, v117, v105, v186
	v_min_f32_e32 v106, v106, v107
	v_cvt_f32_f64_e32 v103, v[103:104]
	v_min3_f32 v102, v102, v106, v105
	v_add_co_u32 v106, vcc_lo, v98, v130
	v_add_co_ci_u32_e64 v107, null, v99, v131, vcc_lo
	v_cvt_f64_f32_e32 v[104:105], v102
	v_min3_f32 v102, v108, v109, v187
	s_mov_b32 vcc_lo, s0
	v_min3_f32 v102, v110, v103, v102
	v_max_f32_e32 v103, v102, v102
	;; [unrolled: 59-line block ×3, first 2 shown]
	flat_store_dwordx2 v[106:107], v[104:105]
	s_cbranch_vccz .LBB105_111
; %bb.110:
	v_min_f32_e32 v102, 0, v103
	v_add_co_u32 v106, vcc_lo, v98, v142
	v_add_co_ci_u32_e64 v107, null, v99, v143, vcc_lo
	v_cvt_f64_f32_e32 v[104:105], v102
	s_mov_b32 s7, 0
	flat_store_dwordx2 v[106:107], v[104:105]
.LBB105_111:
	v_mov_b32_e32 v102, 0
	s_andn2_b32 vcc_lo, exec_lo, s7
	s_cbranch_vccnz .LBB105_113
; %bb.112:
	v_add_co_u32 v104, vcc_lo, v100, v142
	v_add_co_ci_u32_e64 v105, null, v101, v143, vcc_lo
	flat_load_dwordx2 v[104:105], v[104:105]
	s_waitcnt vmcnt(0) lgkmcnt(0)
	v_mul_f64 v[104:105], s[12:13], v[104:105]
	v_cvt_f32_f64_e32 v102, v[104:105]
	v_add_co_u32 v104, vcc_lo, v98, v142
	v_add_co_ci_u32_e64 v105, null, v99, v143, vcc_lo
	v_add_co_u32 v100, vcc_lo, v100, v138
	v_add_co_ci_u32_e64 v101, null, v101, v139, vcc_lo
	v_min_f32_e32 v102, v102, v103
	v_cvt_f64_f32_e32 v[102:103], v102
	flat_store_dwordx2 v[104:105], v[102:103]
	flat_load_dwordx2 v[100:101], v[100:101]
	s_waitcnt vmcnt(0) lgkmcnt(0)
	v_mul_f64 v[100:101], s[12:13], v[100:101]
	v_cvt_f32_f64_e32 v102, v[100:101]
.LBB105_113:
	v_add_f64 v[94:95], v[2:3], v[94:95]
	v_add_f64 v[96:97], v[4:5], v[96:97]
	v_add_f64 v[90:91], v[6:7], v[90:91]
	v_add_f64 v[92:93], v[8:9], v[92:93]
	v_add_f64 v[100:101], v[72:73], v[88:89]
	v_add_f64 v[103:104], v[70:71], v[86:87]
	v_add_co_u32 v98, vcc_lo, v98, v138
	v_add_co_ci_u32_e64 v99, null, v99, v139, vcc_lo
	s_mov_b32 s7, -1
	v_cvt_f32_f64_e32 v94, v[94:95]
	v_cvt_f32_f64_e32 v95, v[96:97]
	;; [unrolled: 1-line block ×4, first 2 shown]
	v_add_f64 v[90:91], v[66:67], v[82:83]
	v_add_f64 v[92:93], v[68:69], v[84:85]
	v_cvt_f32_f64_e32 v103, v[103:104]
	v_cvt_f32_f64_e32 v100, v[100:101]
	v_add_nc_u32_e32 v101, 40, v144
	v_min3_f32 v94, v94, v95, v182
	v_min_f32_e32 v95, v96, v97
	v_cvt_f32_f64_e32 v104, v[90:91]
	v_cvt_f32_f64_e32 v105, v[92:93]
	v_mad_i64_i32 v[90:91], null, v101, s6, 0
	v_min3_f32 v92, v102, v95, v94
	v_min3_f32 v94, v103, v100, v183
	v_cvt_f64_f32_e32 v[96:97], v92
	v_mad_i64_i32 v[92:93], null, v101, s1, 0
	v_lshlrev_b64 v[90:91], 3, v[90:91]
	v_add_co_u32 v90, vcc_lo, s4, v90
	v_lshlrev_b64 v[92:93], 3, v[92:93]
	v_add_co_ci_u32_e64 v91, null, s5, v91, vcc_lo
	v_min3_f32 v94, v104, v105, v94
	v_add_co_u32 v92, vcc_lo, s2, v92
	v_add_co_ci_u32_e64 v93, null, s3, v93, vcc_lo
	v_max_f32_e32 v95, v94, v94
	s_mov_b32 vcc_lo, s0
	flat_store_dwordx2 v[98:99], v[96:97]
	s_cbranch_vccz .LBB105_115
; %bb.114:
	v_min_f32_e32 v94, 0, v95
	v_add_co_u32 v98, vcc_lo, v90, v134
	v_add_co_ci_u32_e64 v99, null, v91, v135, vcc_lo
	v_cvt_f64_f32_e32 v[96:97], v94
	s_mov_b32 s7, 0
	flat_store_dwordx2 v[98:99], v[96:97]
.LBB105_115:
	v_mov_b32_e32 v94, 0
	s_andn2_b32 vcc_lo, exec_lo, s7
	s_cbranch_vccnz .LBB105_117
; %bb.116:
	v_add_co_u32 v96, vcc_lo, v92, v134
	v_add_co_ci_u32_e64 v97, null, v93, v135, vcc_lo
	flat_load_dwordx2 v[96:97], v[96:97]
	s_waitcnt vmcnt(0) lgkmcnt(0)
	v_mul_f64 v[96:97], s[12:13], v[96:97]
	v_cvt_f32_f64_e32 v94, v[96:97]
	v_add_co_u32 v96, vcc_lo, v90, v134
	v_add_co_ci_u32_e64 v97, null, v91, v135, vcc_lo
	v_add_co_u32 v98, vcc_lo, v92, v0
	v_add_co_ci_u32_e64 v99, null, v93, v1, vcc_lo
	v_min_f32_e32 v94, v94, v95
	v_cvt_f64_f32_e32 v[94:95], v94
	flat_store_dwordx2 v[96:97], v[94:95]
	flat_load_dwordx2 v[94:95], v[98:99]
	s_waitcnt vmcnt(0) lgkmcnt(0)
	v_mul_f64 v[94:95], s[12:13], v[94:95]
	v_cvt_f32_f64_e32 v94, v[94:95]
.LBB105_117:
	v_add_f64 v[95:96], v[62:63], v[86:87]
	v_add_f64 v[97:98], v[64:65], v[88:89]
	v_add_f64 v[99:100], v[58:59], v[82:83]
	v_add_f64 v[101:102], v[60:61], v[84:85]
	v_add_f64 v[103:104], v[56:57], v[88:89]
	v_add_f64 v[105:106], v[54:55], v[86:87]
	v_add_f64 v[107:108], v[50:51], v[82:83]
	s_mov_b32 s7, -1
	v_cvt_f32_f64_e32 v109, v[95:96]
	v_cvt_f32_f64_e32 v97, v[97:98]
	v_cvt_f32_f64_e32 v98, v[99:100]
	v_cvt_f32_f64_e32 v99, v[101:102]
	v_add_f64 v[95:96], v[52:53], v[84:85]
	v_cvt_f32_f64_e32 v100, v[105:106]
	v_cvt_f32_f64_e32 v101, v[103:104]
	v_cvt_f32_f64_e32 v102, v[107:108]
	v_min3_f32 v97, v109, v97, v180
	v_min_f32_e32 v98, v98, v99
	v_cvt_f32_f64_e32 v95, v[95:96]
	v_min3_f32 v94, v94, v98, v97
	v_add_co_u32 v98, vcc_lo, v90, v0
	v_add_co_ci_u32_e64 v99, null, v91, v1, vcc_lo
	v_cvt_f64_f32_e32 v[96:97], v94
	v_min3_f32 v94, v100, v101, v181
	s_mov_b32 vcc_lo, s0
	v_min3_f32 v94, v102, v95, v94
	v_max_f32_e32 v95, v94, v94
	flat_store_dwordx2 v[98:99], v[96:97]
	s_cbranch_vccz .LBB105_119
; %bb.118:
	v_min_f32_e32 v94, 0, v95
	v_add_co_u32 v98, vcc_lo, v90, v136
	v_add_co_ci_u32_e64 v99, null, v91, v137, vcc_lo
	v_cvt_f64_f32_e32 v[96:97], v94
	s_mov_b32 s7, 0
	flat_store_dwordx2 v[98:99], v[96:97]
.LBB105_119:
	v_mov_b32_e32 v94, 0
	s_andn2_b32 vcc_lo, exec_lo, s7
	s_cbranch_vccnz .LBB105_121
; %bb.120:
	v_add_co_u32 v96, vcc_lo, v92, v136
	v_add_co_ci_u32_e64 v97, null, v93, v137, vcc_lo
	flat_load_dwordx2 v[96:97], v[96:97]
	s_waitcnt vmcnt(0) lgkmcnt(0)
	v_mul_f64 v[96:97], s[12:13], v[96:97]
	v_cvt_f32_f64_e32 v94, v[96:97]
	v_add_co_u32 v96, vcc_lo, v90, v136
	v_add_co_ci_u32_e64 v97, null, v91, v137, vcc_lo
	v_add_co_u32 v98, vcc_lo, v92, v130
	v_add_co_ci_u32_e64 v99, null, v93, v131, vcc_lo
	v_min_f32_e32 v94, v94, v95
	v_cvt_f64_f32_e32 v[94:95], v94
	flat_store_dwordx2 v[96:97], v[94:95]
	flat_load_dwordx2 v[94:95], v[98:99]
	s_waitcnt vmcnt(0) lgkmcnt(0)
	v_mul_f64 v[94:95], s[12:13], v[94:95]
	v_cvt_f32_f64_e32 v94, v[94:95]
.LBB105_121:
	v_add_f64 v[95:96], v[46:47], v[86:87]
	v_add_f64 v[97:98], v[48:49], v[88:89]
	v_add_f64 v[99:100], v[42:43], v[82:83]
	v_add_f64 v[101:102], v[44:45], v[84:85]
	v_add_f64 v[103:104], v[40:41], v[88:89]
	v_add_f64 v[105:106], v[38:39], v[86:87]
	v_add_f64 v[107:108], v[34:35], v[82:83]
	s_mov_b32 s7, -1
	v_cvt_f32_f64_e32 v109, v[95:96]
	v_cvt_f32_f64_e32 v97, v[97:98]
	v_cvt_f32_f64_e32 v98, v[99:100]
	v_cvt_f32_f64_e32 v99, v[101:102]
	v_add_f64 v[95:96], v[36:37], v[84:85]
	v_cvt_f32_f64_e32 v100, v[105:106]
	v_cvt_f32_f64_e32 v101, v[103:104]
	v_cvt_f32_f64_e32 v102, v[107:108]
	v_min3_f32 v97, v109, v97, v178
	v_min_f32_e32 v98, v98, v99
	v_cvt_f32_f64_e32 v95, v[95:96]
	v_min3_f32 v94, v94, v98, v97
	v_add_co_u32 v98, vcc_lo, v90, v130
	v_add_co_ci_u32_e64 v99, null, v91, v131, vcc_lo
	v_cvt_f64_f32_e32 v[96:97], v94
	v_min3_f32 v94, v100, v101, v179
	s_mov_b32 vcc_lo, s0
	v_min3_f32 v94, v102, v95, v94
	v_max_f32_e32 v95, v94, v94
	;; [unrolled: 59-line block ×3, first 2 shown]
	flat_store_dwordx2 v[98:99], v[96:97]
	s_cbranch_vccz .LBB105_127
; %bb.126:
	v_min_f32_e32 v94, 0, v95
	v_add_co_u32 v98, vcc_lo, v90, v142
	v_add_co_ci_u32_e64 v99, null, v91, v143, vcc_lo
	v_cvt_f64_f32_e32 v[96:97], v94
	s_mov_b32 s7, 0
	flat_store_dwordx2 v[98:99], v[96:97]
.LBB105_127:
	v_mov_b32_e32 v94, 0
	s_andn2_b32 vcc_lo, exec_lo, s7
	s_cbranch_vccnz .LBB105_129
; %bb.128:
	v_add_co_u32 v96, vcc_lo, v92, v142
	v_add_co_ci_u32_e64 v97, null, v93, v143, vcc_lo
	flat_load_dwordx2 v[96:97], v[96:97]
	s_waitcnt vmcnt(0) lgkmcnt(0)
	v_mul_f64 v[96:97], s[12:13], v[96:97]
	v_cvt_f32_f64_e32 v94, v[96:97]
	v_add_co_u32 v96, vcc_lo, v90, v142
	v_add_co_ci_u32_e64 v97, null, v91, v143, vcc_lo
	v_add_co_u32 v92, vcc_lo, v92, v138
	v_add_co_ci_u32_e64 v93, null, v93, v139, vcc_lo
	v_min_f32_e32 v94, v94, v95
	v_cvt_f64_f32_e32 v[94:95], v94
	flat_store_dwordx2 v[96:97], v[94:95]
	flat_load_dwordx2 v[92:93], v[92:93]
	s_waitcnt vmcnt(0) lgkmcnt(0)
	v_mul_f64 v[92:93], s[12:13], v[92:93]
	v_cvt_f32_f64_e32 v94, v[92:93]
.LBB105_129:
	v_add_f64 v[86:87], v[2:3], v[86:87]
	v_add_f64 v[88:89], v[4:5], v[88:89]
	;; [unrolled: 1-line block ×4, first 2 shown]
	s_waitcnt lgkmcnt(26)
	v_add_f64 v[92:93], v[72:73], v[80:81]
	v_add_f64 v[95:96], v[70:71], v[78:79]
	v_add_co_u32 v90, vcc_lo, v90, v138
	v_add_co_ci_u32_e64 v91, null, v91, v139, vcc_lo
	s_mov_b32 s7, -1
	v_cvt_f32_f64_e32 v86, v[86:87]
	v_cvt_f32_f64_e32 v87, v[88:89]
	;; [unrolled: 1-line block ×4, first 2 shown]
	s_waitcnt lgkmcnt(25)
	v_add_f64 v[82:83], v[66:67], v[74:75]
	v_add_f64 v[84:85], v[68:69], v[76:77]
	v_cvt_f32_f64_e32 v95, v[95:96]
	v_cvt_f32_f64_e32 v92, v[92:93]
	v_add_nc_u32_e32 v93, 48, v144
	v_min3_f32 v86, v86, v87, v171
	v_min_f32_e32 v87, v88, v89
	v_cvt_f32_f64_e32 v96, v[82:83]
	v_cvt_f32_f64_e32 v97, v[84:85]
	v_mad_i64_i32 v[82:83], null, v93, s6, 0
	v_min3_f32 v84, v94, v87, v86
	v_min3_f32 v86, v95, v92, v173
	v_cvt_f64_f32_e32 v[88:89], v84
	v_mad_i64_i32 v[84:85], null, v93, s1, 0
	v_lshlrev_b64 v[82:83], 3, v[82:83]
	v_add_co_u32 v82, vcc_lo, s4, v82
	v_lshlrev_b64 v[84:85], 3, v[84:85]
	v_add_co_ci_u32_e64 v83, null, s5, v83, vcc_lo
	v_min3_f32 v86, v96, v97, v86
	v_add_co_u32 v84, vcc_lo, s2, v84
	v_add_co_ci_u32_e64 v85, null, s3, v85, vcc_lo
	v_max_f32_e32 v87, v86, v86
	s_mov_b32 vcc_lo, s0
	flat_store_dwordx2 v[90:91], v[88:89]
	s_cbranch_vccz .LBB105_131
; %bb.130:
	v_min_f32_e32 v86, 0, v87
	v_add_co_u32 v90, vcc_lo, v82, v134
	v_add_co_ci_u32_e64 v91, null, v83, v135, vcc_lo
	v_cvt_f64_f32_e32 v[88:89], v86
	s_mov_b32 s7, 0
	flat_store_dwordx2 v[90:91], v[88:89]
.LBB105_131:
	v_mov_b32_e32 v86, 0
	s_andn2_b32 vcc_lo, exec_lo, s7
	s_cbranch_vccnz .LBB105_133
; %bb.132:
	v_add_co_u32 v88, vcc_lo, v84, v134
	v_add_co_ci_u32_e64 v89, null, v85, v135, vcc_lo
	flat_load_dwordx2 v[88:89], v[88:89]
	s_waitcnt vmcnt(0) lgkmcnt(0)
	v_mul_f64 v[88:89], s[12:13], v[88:89]
	v_cvt_f32_f64_e32 v86, v[88:89]
	v_add_co_u32 v88, vcc_lo, v82, v134
	v_add_co_ci_u32_e64 v89, null, v83, v135, vcc_lo
	v_add_co_u32 v90, vcc_lo, v84, v0
	v_add_co_ci_u32_e64 v91, null, v85, v1, vcc_lo
	v_min_f32_e32 v86, v86, v87
	v_cvt_f64_f32_e32 v[86:87], v86
	flat_store_dwordx2 v[88:89], v[86:87]
	flat_load_dwordx2 v[86:87], v[90:91]
	s_waitcnt vmcnt(0) lgkmcnt(0)
	v_mul_f64 v[86:87], s[12:13], v[86:87]
	v_cvt_f32_f64_e32 v86, v[86:87]
.LBB105_133:
	v_add_f64 v[87:88], v[62:63], v[78:79]
	v_add_f64 v[89:90], v[64:65], v[80:81]
	v_add_f64 v[91:92], v[58:59], v[74:75]
	v_add_f64 v[93:94], v[60:61], v[76:77]
	v_add_f64 v[95:96], v[56:57], v[80:81]
	v_add_f64 v[97:98], v[54:55], v[78:79]
	v_add_f64 v[99:100], v[50:51], v[74:75]
	s_mov_b32 s7, -1
	v_cvt_f32_f64_e32 v101, v[87:88]
	v_cvt_f32_f64_e32 v89, v[89:90]
	v_cvt_f32_f64_e32 v90, v[91:92]
	v_cvt_f32_f64_e32 v91, v[93:94]
	v_add_f64 v[87:88], v[52:53], v[76:77]
	v_cvt_f32_f64_e32 v92, v[97:98]
	v_cvt_f32_f64_e32 v93, v[95:96]
	v_cvt_f32_f64_e32 v94, v[99:100]
	v_min3_f32 v89, v101, v89, v164
	v_min_f32_e32 v90, v90, v91
	v_cvt_f32_f64_e32 v87, v[87:88]
	v_min3_f32 v86, v86, v90, v89
	v_add_co_u32 v90, vcc_lo, v82, v0
	v_add_co_ci_u32_e64 v91, null, v83, v1, vcc_lo
	v_cvt_f64_f32_e32 v[88:89], v86
	v_min3_f32 v86, v92, v93, v165
	s_mov_b32 vcc_lo, s0
	v_min3_f32 v86, v94, v87, v86
	v_max_f32_e32 v87, v86, v86
	flat_store_dwordx2 v[90:91], v[88:89]
	s_cbranch_vccz .LBB105_135
; %bb.134:
	v_min_f32_e32 v86, 0, v87
	v_add_co_u32 v90, vcc_lo, v82, v136
	v_add_co_ci_u32_e64 v91, null, v83, v137, vcc_lo
	v_cvt_f64_f32_e32 v[88:89], v86
	s_mov_b32 s7, 0
	flat_store_dwordx2 v[90:91], v[88:89]
.LBB105_135:
	v_mov_b32_e32 v86, 0
	s_andn2_b32 vcc_lo, exec_lo, s7
	s_cbranch_vccnz .LBB105_137
; %bb.136:
	v_add_co_u32 v88, vcc_lo, v84, v136
	v_add_co_ci_u32_e64 v89, null, v85, v137, vcc_lo
	flat_load_dwordx2 v[88:89], v[88:89]
	s_waitcnt vmcnt(0) lgkmcnt(0)
	v_mul_f64 v[88:89], s[12:13], v[88:89]
	v_cvt_f32_f64_e32 v86, v[88:89]
	v_add_co_u32 v88, vcc_lo, v82, v136
	v_add_co_ci_u32_e64 v89, null, v83, v137, vcc_lo
	v_add_co_u32 v90, vcc_lo, v84, v130
	v_add_co_ci_u32_e64 v91, null, v85, v131, vcc_lo
	v_min_f32_e32 v86, v86, v87
	v_cvt_f64_f32_e32 v[86:87], v86
	flat_store_dwordx2 v[88:89], v[86:87]
	flat_load_dwordx2 v[86:87], v[90:91]
	s_waitcnt vmcnt(0) lgkmcnt(0)
	v_mul_f64 v[86:87], s[12:13], v[86:87]
	v_cvt_f32_f64_e32 v86, v[86:87]
.LBB105_137:
	v_add_f64 v[87:88], v[46:47], v[78:79]
	v_add_f64 v[89:90], v[48:49], v[80:81]
	v_add_f64 v[91:92], v[42:43], v[74:75]
	v_add_f64 v[93:94], v[44:45], v[76:77]
	v_add_f64 v[95:96], v[40:41], v[80:81]
	v_add_f64 v[97:98], v[38:39], v[78:79]
	v_add_f64 v[99:100], v[34:35], v[74:75]
	s_mov_b32 s7, -1
	v_cvt_f32_f64_e32 v101, v[87:88]
	v_cvt_f32_f64_e32 v89, v[89:90]
	v_cvt_f32_f64_e32 v90, v[91:92]
	v_cvt_f32_f64_e32 v91, v[93:94]
	v_add_f64 v[87:88], v[36:37], v[76:77]
	v_cvt_f32_f64_e32 v92, v[97:98]
	v_cvt_f32_f64_e32 v93, v[95:96]
	v_cvt_f32_f64_e32 v94, v[99:100]
	v_min3_f32 v89, v101, v89, v162
	v_min_f32_e32 v90, v90, v91
	v_cvt_f32_f64_e32 v87, v[87:88]
	v_min3_f32 v86, v86, v90, v89
	v_add_co_u32 v90, vcc_lo, v82, v130
	v_add_co_ci_u32_e64 v91, null, v83, v131, vcc_lo
	v_cvt_f64_f32_e32 v[88:89], v86
	v_min3_f32 v86, v92, v93, v163
	s_mov_b32 vcc_lo, s0
	v_min3_f32 v86, v94, v87, v86
	v_max_f32_e32 v87, v86, v86
	;; [unrolled: 59-line block ×3, first 2 shown]
	flat_store_dwordx2 v[90:91], v[88:89]
	s_cbranch_vccz .LBB105_143
; %bb.142:
	v_min_f32_e32 v86, 0, v87
	v_add_co_u32 v90, vcc_lo, v82, v142
	v_add_co_ci_u32_e64 v91, null, v83, v143, vcc_lo
	v_cvt_f64_f32_e32 v[88:89], v86
	s_mov_b32 s7, 0
	flat_store_dwordx2 v[90:91], v[88:89]
.LBB105_143:
	v_mov_b32_e32 v86, 0
	s_andn2_b32 vcc_lo, exec_lo, s7
	s_cbranch_vccnz .LBB105_145
; %bb.144:
	v_add_co_u32 v88, vcc_lo, v84, v142
	v_add_co_ci_u32_e64 v89, null, v85, v143, vcc_lo
	flat_load_dwordx2 v[88:89], v[88:89]
	s_waitcnt vmcnt(0) lgkmcnt(0)
	v_mul_f64 v[88:89], s[12:13], v[88:89]
	v_cvt_f32_f64_e32 v86, v[88:89]
	v_add_co_u32 v88, vcc_lo, v82, v142
	v_add_co_ci_u32_e64 v89, null, v83, v143, vcc_lo
	v_add_co_u32 v84, vcc_lo, v84, v138
	v_add_co_ci_u32_e64 v85, null, v85, v139, vcc_lo
	v_min_f32_e32 v86, v86, v87
	v_cvt_f64_f32_e32 v[86:87], v86
	flat_store_dwordx2 v[88:89], v[86:87]
	flat_load_dwordx2 v[84:85], v[84:85]
	s_waitcnt vmcnt(0) lgkmcnt(0)
	v_mul_f64 v[84:85], s[12:13], v[84:85]
	v_cvt_f32_f64_e32 v86, v[84:85]
.LBB105_145:
	v_add_f64 v[78:79], v[2:3], v[78:79]
	v_add_f64 v[80:81], v[4:5], v[80:81]
	;; [unrolled: 1-line block ×4, first 2 shown]
	s_waitcnt lgkmcnt(28)
	v_add_f64 v[72:73], v[72:73], v[12:13]
	v_add_f64 v[70:71], v[70:71], v[10:11]
	s_waitcnt lgkmcnt(27)
	v_add_f64 v[66:67], v[66:67], v[14:15]
	v_add_f64 v[68:69], v[68:69], v[16:17]
	v_cvt_f32_f64_e32 v78, v[78:79]
	v_cvt_f32_f64_e32 v79, v[80:81]
	;; [unrolled: 1-line block ×8, first 2 shown]
	v_min3_f32 v72, v78, v79, v159
	v_min_f32_e32 v73, v74, v75
	v_add_nc_u32_e32 v74, 56, v144
	v_min3_f32 v70, v70, v71, v158
	v_min3_f32 v68, v86, v73, v72
	v_mad_i64_i32 v[66:67], null, v74, s6, 0
	v_min3_f32 v70, v76, v77, v70
	v_cvt_f64_f32_e32 v[72:73], v68
	v_mad_i64_i32 v[68:69], null, v74, s1, 0
	v_add_co_u32 v74, vcc_lo, v82, v138
	v_lshlrev_b64 v[66:67], 3, v[66:67]
	v_add_co_ci_u32_e64 v75, null, v83, v139, vcc_lo
	v_max_f32_e32 v71, v70, v70
	v_lshlrev_b64 v[68:69], 3, v[68:69]
	s_mov_b32 s1, -1
	v_add_co_u32 v66, vcc_lo, s4, v66
	v_add_co_ci_u32_e64 v67, null, s5, v67, vcc_lo
	v_add_co_u32 v68, vcc_lo, s2, v68
	v_add_co_ci_u32_e64 v69, null, s3, v69, vcc_lo
	s_mov_b32 vcc_lo, s0
	flat_store_dwordx2 v[74:75], v[72:73]
	s_cbranch_vccz .LBB105_147
; %bb.146:
	v_min_f32_e32 v70, 0, v71
	v_add_co_u32 v74, vcc_lo, v66, v134
	v_add_co_ci_u32_e64 v75, null, v67, v135, vcc_lo
	v_cvt_f64_f32_e32 v[72:73], v70
	s_mov_b32 s1, 0
	flat_store_dwordx2 v[74:75], v[72:73]
.LBB105_147:
	v_mov_b32_e32 v70, 0
	s_andn2_b32 vcc_lo, exec_lo, s1
	s_cbranch_vccnz .LBB105_149
; %bb.148:
	v_add_co_u32 v72, vcc_lo, v68, v134
	v_add_co_ci_u32_e64 v73, null, v69, v135, vcc_lo
	flat_load_dwordx2 v[72:73], v[72:73]
	s_waitcnt vmcnt(0) lgkmcnt(0)
	v_mul_f64 v[72:73], s[12:13], v[72:73]
	v_cvt_f32_f64_e32 v70, v[72:73]
	v_add_co_u32 v72, vcc_lo, v66, v134
	v_add_co_ci_u32_e64 v73, null, v67, v135, vcc_lo
	v_add_co_u32 v74, vcc_lo, v68, v0
	v_add_co_ci_u32_e64 v75, null, v69, v1, vcc_lo
	v_min_f32_e32 v70, v70, v71
	v_cvt_f64_f32_e32 v[70:71], v70
	flat_store_dwordx2 v[72:73], v[70:71]
	flat_load_dwordx2 v[70:71], v[74:75]
	s_waitcnt vmcnt(0) lgkmcnt(0)
	v_mul_f64 v[70:71], s[12:13], v[70:71]
	v_cvt_f32_f64_e32 v70, v[70:71]
.LBB105_149:
	v_add_f64 v[62:63], v[62:63], v[10:11]
	v_add_f64 v[64:65], v[64:65], v[12:13]
	;; [unrolled: 1-line block ×8, first 2 shown]
	s_mov_b32 s1, -1
	v_cvt_f32_f64_e32 v62, v[62:63]
	v_cvt_f32_f64_e32 v63, v[64:65]
	;; [unrolled: 1-line block ×8, first 2 shown]
	v_min3_f32 v50, v62, v63, v157
	v_min_f32_e32 v51, v58, v59
	v_min3_f32 v53, v54, v55, v156
	v_min3_f32 v50, v70, v51, v50
	;; [unrolled: 1-line block ×3, first 2 shown]
	v_add_co_u32 v52, vcc_lo, v66, v0
	v_cvt_f64_f32_e32 v[50:51], v50
	v_add_co_ci_u32_e64 v53, null, v67, v1, vcc_lo
	v_max_f32_e32 v1, v54, v54
	s_mov_b32 vcc_lo, s0
	flat_store_dwordx2 v[52:53], v[50:51]
	s_cbranch_vccz .LBB105_151
; %bb.150:
	v_min_f32_e32 v0, 0, v1
	v_add_co_u32 v52, vcc_lo, v66, v136
	v_add_co_ci_u32_e64 v53, null, v67, v137, vcc_lo
	v_cvt_f64_f32_e32 v[50:51], v0
	s_mov_b32 s1, 0
	flat_store_dwordx2 v[52:53], v[50:51]
.LBB105_151:
	v_mov_b32_e32 v0, 0
	s_andn2_b32 vcc_lo, exec_lo, s1
	s_cbranch_vccnz .LBB105_153
; %bb.152:
	v_add_co_u32 v50, vcc_lo, v68, v136
	v_add_co_ci_u32_e64 v51, null, v69, v137, vcc_lo
	flat_load_dwordx2 v[50:51], v[50:51]
	s_waitcnt vmcnt(0) lgkmcnt(0)
	v_mul_f64 v[50:51], s[12:13], v[50:51]
	v_cvt_f32_f64_e32 v0, v[50:51]
	v_add_co_u32 v50, vcc_lo, v66, v136
	v_add_co_ci_u32_e64 v51, null, v67, v137, vcc_lo
	v_add_co_u32 v52, vcc_lo, v68, v130
	v_add_co_ci_u32_e64 v53, null, v69, v131, vcc_lo
	v_min_f32_e32 v0, v0, v1
	v_cvt_f64_f32_e32 v[0:1], v0
	flat_store_dwordx2 v[50:51], v[0:1]
	flat_load_dwordx2 v[0:1], v[52:53]
	s_waitcnt vmcnt(0) lgkmcnt(0)
	v_mul_f64 v[0:1], s[12:13], v[0:1]
	v_cvt_f32_f64_e32 v0, v[0:1]
.LBB105_153:
	v_add_f64 v[46:47], v[46:47], v[10:11]
	v_add_f64 v[48:49], v[48:49], v[12:13]
	v_add_f64 v[42:43], v[42:43], v[14:15]
	v_add_f64 v[44:45], v[44:45], v[16:17]
	v_add_f64 v[40:41], v[40:41], v[12:13]
	v_add_f64 v[38:39], v[38:39], v[10:11]
	v_add_f64 v[34:35], v[34:35], v[14:15]
	v_add_f64 v[36:37], v[36:37], v[16:17]
	s_mov_b32 s1, -1
	v_cvt_f32_f64_e32 v1, v[46:47]
	v_cvt_f32_f64_e32 v46, v[48:49]
	;; [unrolled: 1-line block ×8, first 2 shown]
	v_min3_f32 v1, v1, v46, v154
	v_min_f32_e32 v34, v42, v43
	v_min3_f32 v0, v0, v34, v1
	v_cvt_f64_f32_e32 v[34:35], v0
	v_min3_f32 v0, v38, v39, v155
	v_min3_f32 v0, v40, v36, v0
	v_add_co_u32 v36, vcc_lo, v66, v130
	v_add_co_ci_u32_e64 v37, null, v67, v131, vcc_lo
	v_max_f32_e32 v1, v0, v0
	s_mov_b32 vcc_lo, s0
	flat_store_dwordx2 v[36:37], v[34:35]
	s_cbranch_vccz .LBB105_155
; %bb.154:
	v_min_f32_e32 v0, 0, v1
	v_add_co_u32 v36, vcc_lo, v66, v140
	v_add_co_ci_u32_e64 v37, null, v67, v141, vcc_lo
	v_cvt_f64_f32_e32 v[34:35], v0
	s_mov_b32 s1, 0
	flat_store_dwordx2 v[36:37], v[34:35]
.LBB105_155:
	v_mov_b32_e32 v0, 0
	s_andn2_b32 vcc_lo, exec_lo, s1
	s_cbranch_vccnz .LBB105_157
; %bb.156:
	v_add_co_u32 v34, vcc_lo, v68, v140
	v_add_co_ci_u32_e64 v35, null, v69, v141, vcc_lo
	flat_load_dwordx2 v[34:35], v[34:35]
	s_waitcnt vmcnt(0) lgkmcnt(0)
	v_mul_f64 v[34:35], s[12:13], v[34:35]
	v_cvt_f32_f64_e32 v0, v[34:35]
	v_add_co_u32 v34, vcc_lo, v66, v140
	v_add_co_ci_u32_e64 v35, null, v67, v141, vcc_lo
	v_add_co_u32 v36, vcc_lo, v68, v132
	v_add_co_ci_u32_e64 v37, null, v69, v133, vcc_lo
	v_min_f32_e32 v0, v0, v1
	v_cvt_f64_f32_e32 v[0:1], v0
	flat_store_dwordx2 v[34:35], v[0:1]
	flat_load_dwordx2 v[0:1], v[36:37]
	s_waitcnt vmcnt(0) lgkmcnt(0)
	v_mul_f64 v[0:1], s[12:13], v[0:1]
	v_cvt_f32_f64_e32 v0, v[0:1]
.LBB105_157:
	v_add_f64 v[30:31], v[30:31], v[10:11]
	v_add_f64 v[32:33], v[32:33], v[12:13]
	;; [unrolled: 1-line block ×8, first 2 shown]
	s_mov_b32 s1, -1
	v_cvt_f32_f64_e32 v1, v[30:31]
	v_cvt_f32_f64_e32 v30, v[32:33]
	;; [unrolled: 1-line block ×8, first 2 shown]
	v_min3_f32 v1, v1, v30, v152
	v_min_f32_e32 v18, v26, v27
	v_min3_f32 v0, v0, v18, v1
	v_cvt_f64_f32_e32 v[18:19], v0
	v_min3_f32 v0, v22, v23, v153
	v_min3_f32 v0, v24, v20, v0
	v_add_co_u32 v20, vcc_lo, v66, v132
	v_add_co_ci_u32_e64 v21, null, v67, v133, vcc_lo
	v_max_f32_e32 v1, v0, v0
	s_mov_b32 vcc_lo, s0
	flat_store_dwordx2 v[20:21], v[18:19]
	s_cbranch_vccz .LBB105_159
; %bb.158:
	v_min_f32_e32 v0, 0, v1
	v_add_co_u32 v20, vcc_lo, v66, v142
	v_add_co_ci_u32_e64 v21, null, v67, v143, vcc_lo
	v_cvt_f64_f32_e32 v[18:19], v0
	s_mov_b32 s1, 0
	flat_store_dwordx2 v[20:21], v[18:19]
.LBB105_159:
	v_mov_b32_e32 v0, 0
	s_andn2_b32 vcc_lo, exec_lo, s1
	s_cbranch_vccnz .LBB105_161
; %bb.160:
	v_add_co_u32 v18, vcc_lo, v68, v142
	v_add_co_ci_u32_e64 v19, null, v69, v143, vcc_lo
	flat_load_dwordx2 v[18:19], v[18:19]
	s_waitcnt vmcnt(0) lgkmcnt(0)
	v_mul_f64 v[18:19], s[12:13], v[18:19]
	v_cvt_f32_f64_e32 v0, v[18:19]
	v_add_co_u32 v18, vcc_lo, v66, v142
	v_add_co_ci_u32_e64 v19, null, v67, v143, vcc_lo
	v_add_co_u32 v20, vcc_lo, v68, v138
	v_add_co_ci_u32_e64 v21, null, v69, v139, vcc_lo
	v_min_f32_e32 v0, v0, v1
	v_cvt_f64_f32_e32 v[0:1], v0
	flat_store_dwordx2 v[18:19], v[0:1]
	flat_load_dwordx2 v[0:1], v[20:21]
	s_waitcnt vmcnt(0) lgkmcnt(0)
	v_mul_f64 v[0:1], s[12:13], v[0:1]
	v_cvt_f32_f64_e32 v0, v[0:1]
.LBB105_161:
	v_add_f64 v[6:7], v[6:7], v[14:15]
	v_add_f64 v[8:9], v[8:9], v[16:17]
	;; [unrolled: 1-line block ×4, first 2 shown]
	v_cvt_f32_f64_e32 v5, v[6:7]
	v_cvt_f32_f64_e32 v6, v[8:9]
	;; [unrolled: 1-line block ×4, first 2 shown]
	v_min_f32_e32 v3, v5, v6
	v_min3_f32 v1, v1, v2, v151
	v_add_co_u32 v2, vcc_lo, v66, v138
	v_min3_f32 v0, v0, v3, v1
	v_add_co_ci_u32_e64 v3, null, v67, v139, vcc_lo
	v_cvt_f64_f32_e32 v[0:1], v0
	flat_store_dwordx2 v[2:3], v[0:1]
	s_endpgm
	.section	.rodata,"a",@progbits
	.p2align	6, 0x0
	.amdhsa_kernel _ZN12_GLOBAL__N_120geam_min_plus_kernelId15HIP_vector_typeIdLj2EEdLi32ELi8ELi256ELi64ELi4ELi64ELi4ELi4ELi64ELc78ELc78ELb0ELb0ELb1EPKdKS4_KPdEEviiiT16_PT17_ilSA_ilS8_SA_ilPT18_ili26rocblas_geam_ex_operation_
		.amdhsa_group_segment_fixed_size 20480
		.amdhsa_private_segment_fixed_size 0
		.amdhsa_kernarg_size 136
		.amdhsa_user_sgpr_count 6
		.amdhsa_user_sgpr_private_segment_buffer 1
		.amdhsa_user_sgpr_dispatch_ptr 0
		.amdhsa_user_sgpr_queue_ptr 0
		.amdhsa_user_sgpr_kernarg_segment_ptr 1
		.amdhsa_user_sgpr_dispatch_id 0
		.amdhsa_user_sgpr_flat_scratch_init 0
		.amdhsa_user_sgpr_private_segment_size 0
		.amdhsa_wavefront_size32 1
		.amdhsa_uses_dynamic_stack 0
		.amdhsa_system_sgpr_private_segment_wavefront_offset 0
		.amdhsa_system_sgpr_workgroup_id_x 1
		.amdhsa_system_sgpr_workgroup_id_y 0
		.amdhsa_system_sgpr_workgroup_id_z 1
		.amdhsa_system_sgpr_workgroup_info 0
		.amdhsa_system_vgpr_workitem_id 1
		.amdhsa_next_free_vgpr 226
		.amdhsa_next_free_sgpr 26
		.amdhsa_reserve_vcc 1
		.amdhsa_reserve_flat_scratch 1
		.amdhsa_float_round_mode_32 0
		.amdhsa_float_round_mode_16_64 0
		.amdhsa_float_denorm_mode_32 3
		.amdhsa_float_denorm_mode_16_64 3
		.amdhsa_dx10_clamp 1
		.amdhsa_ieee_mode 1
		.amdhsa_fp16_overflow 0
		.amdhsa_workgroup_processor_mode 1
		.amdhsa_memory_ordered 1
		.amdhsa_forward_progress 1
		.amdhsa_shared_vgpr_count 0
		.amdhsa_exception_fp_ieee_invalid_op 0
		.amdhsa_exception_fp_denorm_src 0
		.amdhsa_exception_fp_ieee_div_zero 0
		.amdhsa_exception_fp_ieee_overflow 0
		.amdhsa_exception_fp_ieee_underflow 0
		.amdhsa_exception_fp_ieee_inexact 0
		.amdhsa_exception_int_div_zero 0
	.end_amdhsa_kernel
	.section	.text._ZN12_GLOBAL__N_120geam_min_plus_kernelId15HIP_vector_typeIdLj2EEdLi32ELi8ELi256ELi64ELi4ELi64ELi4ELi4ELi64ELc78ELc78ELb0ELb0ELb1EPKdKS4_KPdEEviiiT16_PT17_ilSA_ilS8_SA_ilPT18_ili26rocblas_geam_ex_operation_,"axG",@progbits,_ZN12_GLOBAL__N_120geam_min_plus_kernelId15HIP_vector_typeIdLj2EEdLi32ELi8ELi256ELi64ELi4ELi64ELi4ELi4ELi64ELc78ELc78ELb0ELb0ELb1EPKdKS4_KPdEEviiiT16_PT17_ilSA_ilS8_SA_ilPT18_ili26rocblas_geam_ex_operation_,comdat
.Lfunc_end105:
	.size	_ZN12_GLOBAL__N_120geam_min_plus_kernelId15HIP_vector_typeIdLj2EEdLi32ELi8ELi256ELi64ELi4ELi64ELi4ELi4ELi64ELc78ELc78ELb0ELb0ELb1EPKdKS4_KPdEEviiiT16_PT17_ilSA_ilS8_SA_ilPT18_ili26rocblas_geam_ex_operation_, .Lfunc_end105-_ZN12_GLOBAL__N_120geam_min_plus_kernelId15HIP_vector_typeIdLj2EEdLi32ELi8ELi256ELi64ELi4ELi64ELi4ELi4ELi64ELc78ELc78ELb0ELb0ELb1EPKdKS4_KPdEEviiiT16_PT17_ilSA_ilS8_SA_ilPT18_ili26rocblas_geam_ex_operation_
                                        ; -- End function
	.set _ZN12_GLOBAL__N_120geam_min_plus_kernelId15HIP_vector_typeIdLj2EEdLi32ELi8ELi256ELi64ELi4ELi64ELi4ELi4ELi64ELc78ELc78ELb0ELb0ELb1EPKdKS4_KPdEEviiiT16_PT17_ilSA_ilS8_SA_ilPT18_ili26rocblas_geam_ex_operation_.num_vgpr, 226
	.set _ZN12_GLOBAL__N_120geam_min_plus_kernelId15HIP_vector_typeIdLj2EEdLi32ELi8ELi256ELi64ELi4ELi64ELi4ELi4ELi64ELc78ELc78ELb0ELb0ELb1EPKdKS4_KPdEEviiiT16_PT17_ilSA_ilS8_SA_ilPT18_ili26rocblas_geam_ex_operation_.num_agpr, 0
	.set _ZN12_GLOBAL__N_120geam_min_plus_kernelId15HIP_vector_typeIdLj2EEdLi32ELi8ELi256ELi64ELi4ELi64ELi4ELi4ELi64ELc78ELc78ELb0ELb0ELb1EPKdKS4_KPdEEviiiT16_PT17_ilSA_ilS8_SA_ilPT18_ili26rocblas_geam_ex_operation_.numbered_sgpr, 26
	.set _ZN12_GLOBAL__N_120geam_min_plus_kernelId15HIP_vector_typeIdLj2EEdLi32ELi8ELi256ELi64ELi4ELi64ELi4ELi4ELi64ELc78ELc78ELb0ELb0ELb1EPKdKS4_KPdEEviiiT16_PT17_ilSA_ilS8_SA_ilPT18_ili26rocblas_geam_ex_operation_.num_named_barrier, 0
	.set _ZN12_GLOBAL__N_120geam_min_plus_kernelId15HIP_vector_typeIdLj2EEdLi32ELi8ELi256ELi64ELi4ELi64ELi4ELi4ELi64ELc78ELc78ELb0ELb0ELb1EPKdKS4_KPdEEviiiT16_PT17_ilSA_ilS8_SA_ilPT18_ili26rocblas_geam_ex_operation_.private_seg_size, 0
	.set _ZN12_GLOBAL__N_120geam_min_plus_kernelId15HIP_vector_typeIdLj2EEdLi32ELi8ELi256ELi64ELi4ELi64ELi4ELi4ELi64ELc78ELc78ELb0ELb0ELb1EPKdKS4_KPdEEviiiT16_PT17_ilSA_ilS8_SA_ilPT18_ili26rocblas_geam_ex_operation_.uses_vcc, 1
	.set _ZN12_GLOBAL__N_120geam_min_plus_kernelId15HIP_vector_typeIdLj2EEdLi32ELi8ELi256ELi64ELi4ELi64ELi4ELi4ELi64ELc78ELc78ELb0ELb0ELb1EPKdKS4_KPdEEviiiT16_PT17_ilSA_ilS8_SA_ilPT18_ili26rocblas_geam_ex_operation_.uses_flat_scratch, 1
	.set _ZN12_GLOBAL__N_120geam_min_plus_kernelId15HIP_vector_typeIdLj2EEdLi32ELi8ELi256ELi64ELi4ELi64ELi4ELi4ELi64ELc78ELc78ELb0ELb0ELb1EPKdKS4_KPdEEviiiT16_PT17_ilSA_ilS8_SA_ilPT18_ili26rocblas_geam_ex_operation_.has_dyn_sized_stack, 0
	.set _ZN12_GLOBAL__N_120geam_min_plus_kernelId15HIP_vector_typeIdLj2EEdLi32ELi8ELi256ELi64ELi4ELi64ELi4ELi4ELi64ELc78ELc78ELb0ELb0ELb1EPKdKS4_KPdEEviiiT16_PT17_ilSA_ilS8_SA_ilPT18_ili26rocblas_geam_ex_operation_.has_recursion, 0
	.set _ZN12_GLOBAL__N_120geam_min_plus_kernelId15HIP_vector_typeIdLj2EEdLi32ELi8ELi256ELi64ELi4ELi64ELi4ELi4ELi64ELc78ELc78ELb0ELb0ELb1EPKdKS4_KPdEEviiiT16_PT17_ilSA_ilS8_SA_ilPT18_ili26rocblas_geam_ex_operation_.has_indirect_call, 0
	.section	.AMDGPU.csdata,"",@progbits
; Kernel info:
; codeLenInByte = 27076
; TotalNumSgprs: 28
; NumVgprs: 226
; ScratchSize: 0
; MemoryBound: 1
; FloatMode: 240
; IeeeMode: 1
; LDSByteSize: 20480 bytes/workgroup (compile time only)
; SGPRBlocks: 0
; VGPRBlocks: 28
; NumSGPRsForWavesPerEU: 28
; NumVGPRsForWavesPerEU: 226
; Occupancy: 4
; WaveLimiterHint : 1
; COMPUTE_PGM_RSRC2:SCRATCH_EN: 0
; COMPUTE_PGM_RSRC2:USER_SGPR: 6
; COMPUTE_PGM_RSRC2:TRAP_HANDLER: 0
; COMPUTE_PGM_RSRC2:TGID_X_EN: 1
; COMPUTE_PGM_RSRC2:TGID_Y_EN: 0
; COMPUTE_PGM_RSRC2:TGID_Z_EN: 1
; COMPUTE_PGM_RSRC2:TIDIG_COMP_CNT: 1
	.section	.text._ZN12_GLOBAL__N_120geam_min_plus_kernelId15HIP_vector_typeIdLj2EEdLi32ELi8ELi256ELi64ELi4ELi64ELi4ELi4ELi64ELc78ELc78ELb1ELb0ELb1EdKPKdKPdEEviiiT16_PT17_ilSA_ilS8_SA_ilPT18_ili26rocblas_geam_ex_operation_,"axG",@progbits,_ZN12_GLOBAL__N_120geam_min_plus_kernelId15HIP_vector_typeIdLj2EEdLi32ELi8ELi256ELi64ELi4ELi64ELi4ELi4ELi64ELc78ELc78ELb1ELb0ELb1EdKPKdKPdEEviiiT16_PT17_ilSA_ilS8_SA_ilPT18_ili26rocblas_geam_ex_operation_,comdat
	.globl	_ZN12_GLOBAL__N_120geam_min_plus_kernelId15HIP_vector_typeIdLj2EEdLi32ELi8ELi256ELi64ELi4ELi64ELi4ELi4ELi64ELc78ELc78ELb1ELb0ELb1EdKPKdKPdEEviiiT16_PT17_ilSA_ilS8_SA_ilPT18_ili26rocblas_geam_ex_operation_ ; -- Begin function _ZN12_GLOBAL__N_120geam_min_plus_kernelId15HIP_vector_typeIdLj2EEdLi32ELi8ELi256ELi64ELi4ELi64ELi4ELi4ELi64ELc78ELc78ELb1ELb0ELb1EdKPKdKPdEEviiiT16_PT17_ilSA_ilS8_SA_ilPT18_ili26rocblas_geam_ex_operation_
	.p2align	8
	.type	_ZN12_GLOBAL__N_120geam_min_plus_kernelId15HIP_vector_typeIdLj2EEdLi32ELi8ELi256ELi64ELi4ELi64ELi4ELi4ELi64ELc78ELc78ELb1ELb0ELb1EdKPKdKPdEEviiiT16_PT17_ilSA_ilS8_SA_ilPT18_ili26rocblas_geam_ex_operation_,@function
_ZN12_GLOBAL__N_120geam_min_plus_kernelId15HIP_vector_typeIdLj2EEdLi32ELi8ELi256ELi64ELi4ELi64ELi4ELi4ELi64ELc78ELc78ELb1ELb0ELb1EdKPKdKPdEEviiiT16_PT17_ilSA_ilS8_SA_ilPT18_ili26rocblas_geam_ex_operation_: ; @_ZN12_GLOBAL__N_120geam_min_plus_kernelId15HIP_vector_typeIdLj2EEdLi32ELi8ELi256ELi64ELi4ELi64ELi4ELi4ELi64ELc78ELc78ELb1ELb0ELb1EdKPKdKPdEEviiiT16_PT17_ilSA_ilS8_SA_ilPT18_ili26rocblas_geam_ex_operation_
; %bb.0:
	s_clause 0x1
	s_load_dwordx4 s[0:3], s[4:5], 0x10
	s_load_dwordx4 s[8:11], s[4:5], 0x28
	s_mov_b32 s20, s7
	s_mov_b64 s[14:15], 0
	s_waitcnt lgkmcnt(0)
	v_cmp_eq_f64_e64 s7, s[0:1], 0
	s_and_b32 vcc_lo, exec_lo, s7
	s_cbranch_vccnz .LBB106_2
; %bb.1:
	s_mov_b32 s21, 0
	s_lshl_b64 s[0:1], s[20:21], 3
	s_add_u32 s0, s2, s0
	s_addc_u32 s1, s3, s1
	s_lshl_b64 s[2:3], s[8:9], 3
	s_load_dwordx2 s[0:1], s[0:1], 0x0
	s_waitcnt lgkmcnt(0)
	s_add_u32 s14, s0, s2
	s_addc_u32 s15, s1, s3
.LBB106_2:
	s_clause 0x1
	s_load_dwordx4 s[0:3], s[4:5], 0x40
	s_load_dwordx2 s[18:19], s[4:5], 0x50
	s_andn2_b32 vcc_lo, exec_lo, s7
	s_mov_b32 s21, 0
	s_cbranch_vccnz .LBB106_4
; %bb.3:
	s_mov_b32 s7, s21
	s_mov_b64 s[12:13], 0
	s_andn2_b32 vcc_lo, exec_lo, s7
	s_mov_b64 s[16:17], 0
	s_cbranch_vccz .LBB106_5
	s_branch .LBB106_6
.LBB106_4:
	s_mov_b64 s[12:13], 0
	s_mov_b64 s[16:17], 0
.LBB106_5:
	s_lshl_b64 s[8:9], s[20:21], 3
	s_add_u32 s8, s10, s8
	s_addc_u32 s9, s11, s9
	s_waitcnt lgkmcnt(0)
	s_lshl_b64 s[0:1], s[0:1], 3
	s_load_dwordx2 s[8:9], s[8:9], 0x0
	s_waitcnt lgkmcnt(0)
	s_add_u32 s16, s8, s0
	s_addc_u32 s17, s9, s1
.LBB106_6:
	s_waitcnt lgkmcnt(0)
	v_cmp_eq_f64_e64 s0, s[2:3], 0
	s_load_dwordx4 s[8:11], s[4:5], 0x60
	s_and_b32 s0, exec_lo, s0
	s_mov_b32 vcc_lo, s0
	s_cbranch_vccnz .LBB106_8
; %bb.7:
	s_lshl_b64 s[12:13], s[20:21], 3
	s_add_u32 s12, s18, s12
	s_addc_u32 s13, s19, s13
	s_waitcnt lgkmcnt(0)
	s_lshl_b64 s[8:9], s[8:9], 3
	s_load_dwordx2 s[12:13], s[12:13], 0x0
	s_waitcnt lgkmcnt(0)
	s_add_u32 s12, s12, s8
	s_addc_u32 s13, s13, s9
.LBB106_8:
	s_clause 0x3
	s_load_dword s1, s[4:5], 0x0
	s_load_dword s7, s[4:5], 0x8
	;; [unrolled: 1-line block ×4, first 2 shown]
	s_waitcnt lgkmcnt(0)
	s_lshl_b64 s[8:9], s[20:21], 3
	v_lshlrev_b32_e32 v130, 5, v1
	s_add_u32 s8, s10, s8
	s_addc_u32 s9, s11, s9
	v_and_b32_e32 v12, 3, v0
	s_load_dwordx2 s[8:9], s[8:9], 0x0
	v_lshlrev_b32_e32 v82, 5, v0
	v_lshlrev_b32_e32 v81, 3, v12
	s_add_i32 s1, s1, -1
	s_ashr_i32 s10, s1, 31
	s_lshr_b32 s10, s10, 24
	s_add_i32 s1, s1, s10
	s_ashr_i32 s1, s1, 8
	s_add_i32 s10, s1, 1
	s_not_b32 s1, s1
	v_cvt_f32_u32_e32 v2, s10
	v_rcp_iflag_f32_e32 v2, v2
	v_mul_f32_e32 v2, 0x4f7ffffe, v2
	v_cvt_u32_f32_e32 v2, v2
	v_readfirstlane_b32 s11, v2
	v_add_nc_u32_e32 v2, v130, v0
	s_mul_i32 s1, s1, s11
	v_lshrrev_b32_e32 v80, 6, v2
	s_mul_hi_u32 s1, s11, s1
	v_lshrrev_b32_e32 v17, 2, v2
	s_add_i32 s11, s11, s1
	v_and_b32_e32 v16, 63, v2
	s_mul_hi_u32 s1, s6, s11
	v_mad_i64_i32 v[3:4], null, s18, v80, 0
	s_mul_i32 s11, s1, s10
	s_add_i32 s20, s1, 1
	s_sub_i32 s11, s6, s11
	v_add_nc_u32_e32 v14, 4, v80
	s_sub_i32 s21, s11, s10
	s_cmp_ge_u32 s11, s10
	v_lshlrev_b64 v[3:4], 3, v[3:4]
	s_cselect_b32 s1, s20, s1
	s_cselect_b32 s11, s21, s11
	s_add_i32 s20, s1, 1
	s_cmp_ge_u32 s11, s10
	v_mad_i64_i32 v[14:15], null, s18, v14, 0
	s_cselect_b32 s11, s20, s1
	v_add_co_u32 v5, vcc_lo, s14, v3
	s_mul_i32 s1, s11, s10
	s_lshl_b32 s10, s11, 6
	s_sub_i32 s1, s6, s1
	v_add_nc_u32_e32 v10, s10, v17
	s_lshl_b32 s1, s1, 8
	v_add_co_ci_u32_e64 v4, null, s15, v4, vcc_lo
	v_or_b32_e32 v2, s1, v16
	v_mad_i64_i32 v[10:11], null, v10, s19, 0
	v_lshlrev_b64 v[14:15], 3, v[14:15]
	v_lshl_or_b32 v87, v17, 5, v81
	v_ashrrev_i32_e32 v3, 31, v2
	s_cmp_lt_i32 s7, 9
	v_lshlrev_b64 v[68:69], 3, v[10:11]
	v_lshlrev_b64 v[66:67], 3, v[2:3]
	v_add_co_u32 v2, vcc_lo, v5, v66
	v_add_co_ci_u32_e64 v3, null, v4, v67, vcc_lo
	v_add_co_u32 v10, vcc_lo, s16, v68
	v_add_co_ci_u32_e64 v11, null, s17, v69, vcc_lo
	s_clause 0x3
	flat_load_dwordx2 v[4:5], v[2:3]
	flat_load_dwordx2 v[6:7], v[2:3] offset:512
	flat_load_dwordx2 v[8:9], v[2:3] offset:1024
	;; [unrolled: 1-line block ×3, first 2 shown]
	v_add_co_u32 v10, vcc_lo, v10, v81
	v_add_co_ci_u32_e64 v11, null, 0, v11, vcc_lo
	v_add_co_u32 v14, vcc_lo, s14, v14
	v_add_co_ci_u32_e64 v15, null, s15, v15, vcc_lo
	flat_load_dwordx2 v[12:13], v[10:11]
	v_add_co_u32 v14, vcc_lo, v14, v66
	v_add_co_ci_u32_e64 v15, null, v15, v67, vcc_lo
	s_clause 0x3
	flat_load_dwordx2 v[76:77], v[14:15]
	flat_load_dwordx2 v[78:79], v[14:15] offset:512
	flat_load_dwordx2 v[72:73], v[14:15] offset:1024
	;; [unrolled: 1-line block ×4, first 2 shown]
	v_lshlrev_b32_e32 v10, 5, v16
	v_lshl_add_u32 v83, v80, 3, v10
	s_waitcnt vmcnt(8) lgkmcnt(0)
	ds_write2st64_b64 v83, v[4:5], v[6:7] offset1:4
	s_waitcnt vmcnt(6)
	ds_write2st64_b64 v83, v[8:9], v[2:3] offset0:8 offset1:12
	s_waitcnt vmcnt(5)
	ds_write_b64 v87, v[12:13] offset:16384
	s_waitcnt vmcnt(0) lgkmcnt(0)
	s_barrier
	buffer_gl0_inv
	ds_read_b128 v[10:13], v82 offset:1024
	ds_read_b128 v[14:17], v82 offset:2048
	;; [unrolled: 1-line block ×14, first 2 shown]
	ds_read_b128 v[88:91], v82
	ds_read_b128 v[2:5], v82 offset:16
	ds_read_b128 v[92:95], v130 offset:16384
	;; [unrolled: 1-line block ×3, first 2 shown]
	s_waitcnt lgkmcnt(1)
	v_add_f64 v[84:85], v[90:91], v[94:95]
	v_add_f64 v[96:97], v[88:89], v[92:93]
	s_waitcnt lgkmcnt(0)
	v_add_f64 v[150:151], v[4:5], v[8:9]
	v_add_f64 v[152:153], v[2:3], v[6:7]
	v_cvt_f32_f64_e32 v84, v[84:85]
	v_cvt_f32_f64_e32 v86, v[96:97]
	v_add_f64 v[96:97], v[10:11], v[92:93]
	v_cvt_f32_f64_e32 v152, v[152:153]
	v_cvt_f32_f64_e32 v150, v[150:151]
	v_min3_f32 v134, v86, v84, 0x7f800000
	v_add_f64 v[84:85], v[12:13], v[94:95]
	v_cvt_f32_f64_e32 v86, v[96:97]
	v_add_f64 v[96:97], v[14:15], v[92:93]
	v_min3_f32 v134, v152, v150, v134
	v_cvt_f32_f64_e32 v84, v[84:85]
	v_min3_f32 v131, v86, v84, 0x7f800000
	v_add_f64 v[84:85], v[16:17], v[94:95]
	v_cvt_f32_f64_e32 v86, v[96:97]
	v_add_f64 v[96:97], v[18:19], v[92:93]
	v_cvt_f32_f64_e32 v84, v[84:85]
	v_min3_f32 v136, v86, v84, 0x7f800000
	v_add_f64 v[84:85], v[20:21], v[94:95]
	v_cvt_f32_f64_e32 v86, v[96:97]
	v_add_f64 v[96:97], v[22:23], v[92:93]
	;; [unrolled: 5-line block ×4, first 2 shown]
	v_add_f64 v[92:93], v[34:35], v[92:93]
	v_cvt_f32_f64_e32 v84, v[84:85]
	v_min3_f32 v142, v86, v84, 0x7f800000
	v_add_f64 v[84:85], v[32:33], v[94:95]
	v_cvt_f32_f64_e32 v86, v[96:97]
	v_cvt_f32_f64_e32 v84, v[84:85]
	v_min3_f32 v143, v86, v84, 0x7f800000
	v_add_f64 v[84:85], v[36:37], v[94:95]
	v_cvt_f32_f64_e32 v86, v[92:93]
	v_add_f64 v[92:93], v[88:89], v[38:39]
	v_cvt_f32_f64_e32 v84, v[84:85]
	v_min3_f32 v149, v86, v84, 0x7f800000
	v_add_f64 v[84:85], v[90:91], v[40:41]
	v_cvt_f32_f64_e32 v86, v[92:93]
	v_add_f64 v[92:93], v[10:11], v[38:39]
	;; [unrolled: 5-line block ×7, first 2 shown]
	v_add_f64 v[38:39], v[34:35], v[38:39]
	v_cvt_f32_f64_e32 v84, v[84:85]
	v_cvt_f32_f64_e32 v38, v[38:39]
	v_min3_f32 v141, v86, v84, 0x7f800000
	v_add_f64 v[84:85], v[32:33], v[40:41]
	v_add_f64 v[40:41], v[36:37], v[40:41]
	v_cvt_f32_f64_e32 v86, v[92:93]
	v_cvt_f32_f64_e32 v84, v[84:85]
	;; [unrolled: 1-line block ×3, first 2 shown]
	v_add_f64 v[40:41], v[88:89], v[42:43]
	v_min3_f32 v140, v86, v84, 0x7f800000
	v_min3_f32 v139, v38, v39, 0x7f800000
	v_add_f64 v[38:39], v[90:91], v[44:45]
	v_cvt_f32_f64_e32 v40, v[40:41]
	v_cvt_f32_f64_e32 v38, v[38:39]
	v_min3_f32 v138, v40, v38, 0x7f800000
	v_add_f64 v[38:39], v[12:13], v[44:45]
	v_add_f64 v[40:41], v[10:11], v[42:43]
	v_cvt_f32_f64_e32 v38, v[38:39]
	v_cvt_f32_f64_e32 v40, v[40:41]
	v_min3_f32 v137, v40, v38, 0x7f800000
	v_add_f64 v[38:39], v[16:17], v[44:45]
	;; [unrolled: 5-line block ×33, first 2 shown]
	v_add_f64 v[40:41], v[10:11], v[58:59]
	v_add_f64 v[12:13], v[12:13], v[64:65]
	;; [unrolled: 1-line block ×3, first 2 shown]
	v_cvt_f32_f64_e32 v38, v[38:39]
	v_cvt_f32_f64_e32 v40, v[40:41]
	;; [unrolled: 1-line block ×4, first 2 shown]
	v_add_f64 v[12:13], v[14:15], v[62:63]
	v_min3_f32 v99, v40, v38, 0x7f800000
	v_add_f64 v[38:39], v[16:17], v[60:61]
	v_add_f64 v[40:41], v[14:15], v[58:59]
	v_cvt_f32_f64_e32 v12, v[12:13]
	v_cvt_f32_f64_e32 v38, v[38:39]
	;; [unrolled: 1-line block ×3, first 2 shown]
	v_min3_f32 v98, v40, v38, 0x7f800000
	v_add_f64 v[38:39], v[20:21], v[60:61]
	v_add_f64 v[40:41], v[18:19], v[58:59]
	v_cvt_f32_f64_e32 v38, v[38:39]
	v_cvt_f32_f64_e32 v40, v[40:41]
	v_min3_f32 v97, v40, v38, 0x7f800000
	v_add_f64 v[38:39], v[24:25], v[60:61]
	v_add_f64 v[40:41], v[22:23], v[58:59]
	v_cvt_f32_f64_e32 v38, v[38:39]
	v_cvt_f32_f64_e32 v40, v[40:41]
	;; [unrolled: 5-line block ×5, first 2 shown]
	v_min3_f32 v93, v40, v38, 0x7f800000
	v_add_f64 v[38:39], v[90:91], v[64:65]
	v_min3_f32 v91, v10, v11, 0x7f800000
	v_add_f64 v[10:11], v[16:17], v[64:65]
	v_add_f64 v[40:41], v[88:89], v[62:63]
	v_cvt_f32_f64_e32 v38, v[38:39]
	v_cvt_f32_f64_e32 v10, v[10:11]
	;; [unrolled: 1-line block ×3, first 2 shown]
	v_min3_f32 v90, v12, v10, 0x7f800000
	v_add_f64 v[10:11], v[20:21], v[64:65]
	v_add_f64 v[12:13], v[18:19], v[62:63]
	v_min3_f32 v92, v40, v38, 0x7f800000
	v_cvt_f32_f64_e32 v10, v[10:11]
	v_cvt_f32_f64_e32 v12, v[12:13]
	v_min3_f32 v89, v12, v10, 0x7f800000
	v_add_f64 v[10:11], v[24:25], v[64:65]
	v_add_f64 v[12:13], v[22:23], v[62:63]
	v_cvt_f32_f64_e32 v10, v[10:11]
	v_cvt_f32_f64_e32 v12, v[12:13]
	v_min3_f32 v88, v12, v10, 0x7f800000
	v_add_f64 v[10:11], v[28:29], v[64:65]
	v_add_f64 v[12:13], v[26:27], v[62:63]
	;; [unrolled: 5-line block ×4, first 2 shown]
	v_cvt_f32_f64_e32 v10, v[10:11]
	v_cvt_f32_f64_e32 v12, v[12:13]
	v_min3_f32 v84, v12, v10, 0x7f800000
	ds_read_b128 v[34:37], v82 offset:1040
	ds_read_b128 v[30:33], v82 offset:2064
	ds_read_b128 v[26:29], v82 offset:3088
	ds_read_b128 v[22:25], v82 offset:4112
	ds_read_b128 v[18:21], v82 offset:5136
	ds_read_b128 v[14:17], v82 offset:6160
	ds_read_b128 v[10:13], v82 offset:7184
	ds_read_b128 v[62:65], v130 offset:16656
	ds_read_b128 v[58:61], v130 offset:16912
	ds_read_b128 v[54:57], v130 offset:17168
	ds_read_b128 v[50:53], v130 offset:17424
	ds_read_b128 v[46:49], v130 offset:17680
	ds_read_b128 v[42:45], v130 offset:17936
	ds_read_b128 v[38:41], v130 offset:18192
	ds_write2st64_b64 v83, v[76:77], v[78:79] offset0:16 offset1:20
	ds_write2st64_b64 v83, v[72:73], v[74:75] offset0:24 offset1:28
	ds_write_b64 v87, v[70:71] offset:18432
	s_waitcnt lgkmcnt(0)
	s_barrier
	buffer_gl0_inv
	v_add_f64 v[150:151], v[36:37], v[8:9]
	v_add_f64 v[152:153], v[34:35], v[6:7]
	v_cvt_f32_f64_e32 v150, v[150:151]
	v_cvt_f32_f64_e32 v152, v[152:153]
	v_min3_f32 v131, v152, v150, v131
	v_add_f64 v[150:151], v[32:33], v[8:9]
	v_add_f64 v[152:153], v[30:31], v[6:7]
	v_cvt_f32_f64_e32 v150, v[150:151]
	v_cvt_f32_f64_e32 v152, v[152:153]
	v_min3_f32 v136, v152, v150, v136
	;; [unrolled: 5-line block ×5, first 2 shown]
	v_add_f64 v[150:151], v[16:17], v[8:9]
	v_add_f64 v[152:153], v[14:15], v[6:7]
	v_add_f64 v[8:9], v[12:13], v[8:9]
	v_add_f64 v[6:7], v[10:11], v[6:7]
	v_cvt_f32_f64_e32 v150, v[150:151]
	v_cvt_f32_f64_e32 v152, v[152:153]
	;; [unrolled: 1-line block ×4, first 2 shown]
	v_add_f64 v[8:9], v[2:3], v[62:63]
	v_min3_f32 v143, v152, v150, v143
	v_min3_f32 v199, v6, v7, v149
	v_add_f64 v[6:7], v[4:5], v[64:65]
	v_cvt_f32_f64_e32 v8, v[8:9]
	v_cvt_f32_f64_e32 v6, v[6:7]
	v_min3_f32 v200, v8, v6, v148
	v_add_f64 v[6:7], v[36:37], v[64:65]
	v_add_f64 v[8:9], v[34:35], v[62:63]
	v_cvt_f32_f64_e32 v6, v[6:7]
	v_cvt_f32_f64_e32 v8, v[8:9]
	v_min3_f32 v197, v8, v6, v147
	v_add_f64 v[6:7], v[32:33], v[64:65]
	;; [unrolled: 5-line block ×40, first 2 shown]
	v_add_f64 v[8:9], v[2:3], v[42:43]
	v_add_f64 v[4:5], v[4:5], v[40:41]
	;; [unrolled: 1-line block ×3, first 2 shown]
	v_cvt_f32_f64_e32 v6, v[6:7]
	v_cvt_f32_f64_e32 v8, v[8:9]
	;; [unrolled: 1-line block ×4, first 2 shown]
	v_add_f64 v[4:5], v[34:35], v[38:39]
	v_min3_f32 v160, v8, v6, v100
	v_add_f64 v[6:7], v[36:37], v[44:45]
	v_add_f64 v[8:9], v[34:35], v[42:43]
	v_min3_f32 v152, v2, v3, v92
	v_add_f64 v[2:3], v[36:37], v[40:41]
	v_cvt_f32_f64_e32 v4, v[4:5]
	v_cvt_f32_f64_e32 v6, v[6:7]
	v_cvt_f32_f64_e32 v8, v[8:9]
	v_cvt_f32_f64_e32 v2, v[2:3]
	v_min3_f32 v157, v8, v6, v99
	v_add_f64 v[6:7], v[32:33], v[44:45]
	v_add_f64 v[8:9], v[30:31], v[42:43]
	v_min3_f32 v149, v4, v2, v91
	v_add_f64 v[2:3], v[32:33], v[40:41]
	v_add_f64 v[4:5], v[30:31], v[38:39]
	v_cvt_f32_f64_e32 v6, v[6:7]
	v_cvt_f32_f64_e32 v8, v[8:9]
	v_cvt_f32_f64_e32 v2, v[2:3]
	v_cvt_f32_f64_e32 v4, v[4:5]
	v_min3_f32 v158, v8, v6, v98
	v_add_f64 v[6:7], v[28:29], v[44:45]
	v_add_f64 v[8:9], v[26:27], v[42:43]
	v_min3_f32 v150, v4, v2, v90
	v_add_f64 v[2:3], v[28:29], v[40:41]
	v_add_f64 v[4:5], v[26:27], v[38:39]
	v_cvt_f32_f64_e32 v6, v[6:7]
	v_cvt_f32_f64_e32 v8, v[8:9]
	v_cvt_f32_f64_e32 v2, v[2:3]
	v_cvt_f32_f64_e32 v4, v[4:5]
	v_min3_f32 v155, v8, v6, v97
	v_add_f64 v[6:7], v[24:25], v[44:45]
	v_add_f64 v[8:9], v[22:23], v[42:43]
	v_min3_f32 v147, v4, v2, v89
	v_add_f64 v[2:3], v[24:25], v[40:41]
	v_add_f64 v[4:5], v[22:23], v[38:39]
	v_cvt_f32_f64_e32 v6, v[6:7]
	v_cvt_f32_f64_e32 v8, v[8:9]
	v_cvt_f32_f64_e32 v2, v[2:3]
	v_cvt_f32_f64_e32 v4, v[4:5]
	v_min3_f32 v156, v8, v6, v96
	v_add_f64 v[6:7], v[20:21], v[44:45]
	v_add_f64 v[8:9], v[18:19], v[42:43]
	v_min3_f32 v148, v4, v2, v88
	v_add_f64 v[2:3], v[20:21], v[40:41]
	v_add_f64 v[4:5], v[18:19], v[38:39]
	v_cvt_f32_f64_e32 v6, v[6:7]
	v_cvt_f32_f64_e32 v8, v[8:9]
	v_cvt_f32_f64_e32 v2, v[2:3]
	v_cvt_f32_f64_e32 v4, v[4:5]
	v_min3_f32 v153, v8, v6, v95
	v_add_f64 v[6:7], v[16:17], v[44:45]
	v_add_f64 v[8:9], v[14:15], v[42:43]
	v_min3_f32 v145, v4, v2, v86
	v_add_f64 v[2:3], v[16:17], v[40:41]
	v_add_f64 v[4:5], v[14:15], v[38:39]
	v_cvt_f32_f64_e32 v6, v[6:7]
	v_cvt_f32_f64_e32 v8, v[8:9]
	v_cvt_f32_f64_e32 v2, v[2:3]
	v_cvt_f32_f64_e32 v4, v[4:5]
	v_min3_f32 v154, v8, v6, v94
	v_add_f64 v[6:7], v[12:13], v[44:45]
	v_add_f64 v[8:9], v[10:11], v[42:43]
	v_min3_f32 v146, v4, v2, v85
	v_add_f64 v[2:3], v[12:13], v[40:41]
	v_add_f64 v[4:5], v[10:11], v[38:39]
	v_cvt_f32_f64_e32 v6, v[6:7]
	v_cvt_f32_f64_e32 v8, v[8:9]
	;; [unrolled: 1-line block ×4, first 2 shown]
	v_min3_f32 v151, v8, v6, v93
	v_min3_f32 v144, v4, v2, v84
	s_cbranch_scc1 .LBB106_11
; %bb.9:
	v_add_nc_u32_e32 v2, 8, v80
	v_add_nc_u32_e32 v4, 12, v80
	v_add_co_u32 v6, vcc_lo, v68, v81
	v_add_co_ci_u32_e64 v7, null, 0, v69, vcc_lo
	v_mad_i64_i32 v[2:3], null, v2, s18, 0
	v_mad_i64_i32 v[4:5], null, v4, s18, 0
	v_add_co_u32 v90, vcc_lo, s14, v66
	v_add_co_ci_u32_e64 v91, null, s15, v67, vcc_lo
	v_add_co_u32 v6, vcc_lo, s16, v6
	v_add_co_ci_u32_e64 v7, null, s17, v7, vcc_lo
	v_lshlrev_b64 v[66:67], 3, v[2:3]
	v_add_co_u32 v70, vcc_lo, 0x60, v6
	v_lshlrev_b64 v[68:69], 3, v[4:5]
	v_add_nc_u32_e32 v84, 0x4000, v87
	v_or_b32_e32 v85, 0x4000, v130
	v_add_nc_u32_e32 v86, 0x2000, v83
	v_add_nc_u32_e32 v87, 0x4800, v87
	v_lshl_or_b32 v88, v0, 5, 0x2000
	v_add_nc_u32_e32 v89, 0x4800, v130
	v_add_co_ci_u32_e64 v71, null, 0, v7, vcc_lo
	s_ashr_i32 s19, s18, 31
	s_add_i32 s11, s7, -8
	s_lshl_b64 s[6:7], s[18:19], 6
	s_mov_b32 s14, 0
.LBB106_10:                             ; =>This Inner Loop Header: Depth=1
	v_add_co_u32 v2, vcc_lo, v90, v66
	v_add_co_ci_u32_e64 v3, null, v91, v67, vcc_lo
	s_add_i32 s14, s14, 8
	s_clause 0x3
	flat_load_dwordx2 v[78:79], v[2:3]
	flat_load_dwordx2 v[80:81], v[2:3] offset:512
	flat_load_dwordx2 v[74:75], v[2:3] offset:1024
	;; [unrolled: 1-line block ×3, first 2 shown]
	v_add_co_u32 v2, vcc_lo, 0xffffffe0, v70
	v_add_co_ci_u32_e64 v3, null, -1, v71, vcc_lo
	s_cmp_ge_i32 s14, s11
	flat_load_dwordx2 v[72:73], v[2:3]
	ds_read_b128 v[10:13], v88 offset:1024
	ds_read_b128 v[14:17], v88 offset:2048
	;; [unrolled: 1-line block ×14, first 2 shown]
	ds_read_b128 v[92:95], v89
	ds_read_b128 v[6:9], v89 offset:16
	ds_read_b128 v[96:99], v88
	ds_read_b128 v[2:5], v88 offset:16
	s_waitcnt lgkmcnt(1)
	v_add_f64 v[100:101], v[98:99], v[94:95]
	v_add_f64 v[102:103], v[96:97], v[92:93]
	v_cvt_f32_f64_e32 v100, v[100:101]
	v_cvt_f32_f64_e32 v102, v[102:103]
	v_min3_f32 v208, v102, v100, v134
	v_add_f64 v[100:101], v[12:13], v[94:95]
	v_add_f64 v[102:103], v[10:11], v[92:93]
	v_cvt_f32_f64_e32 v100, v[100:101]
	v_cvt_f32_f64_e32 v102, v[102:103]
	v_min3_f32 v207, v102, v100, v131
	;; [unrolled: 5-line block ×6, first 2 shown]
	v_add_f64 v[100:101], v[32:33], v[94:95]
	v_add_f64 v[102:103], v[30:31], v[92:93]
	;; [unrolled: 1-line block ×4, first 2 shown]
	v_cvt_f32_f64_e32 v100, v[100:101]
	v_cvt_f32_f64_e32 v102, v[102:103]
	;; [unrolled: 1-line block ×4, first 2 shown]
	v_add_f64 v[94:95], v[96:97], v[38:39]
	v_min3_f32 v202, v102, v100, v143
	v_min3_f32 v201, v92, v93, v199
	v_add_f64 v[92:93], v[98:99], v[40:41]
	v_cvt_f32_f64_e32 v94, v[94:95]
	v_cvt_f32_f64_e32 v92, v[92:93]
	v_min3_f32 v200, v94, v92, v200
	v_add_f64 v[92:93], v[12:13], v[40:41]
	v_add_f64 v[94:95], v[10:11], v[38:39]
	v_cvt_f32_f64_e32 v92, v[92:93]
	v_cvt_f32_f64_e32 v94, v[94:95]
	v_min3_f32 v199, v94, v92, v197
	v_add_f64 v[92:93], v[16:17], v[40:41]
	;; [unrolled: 5-line block ×6, first 2 shown]
	v_add_f64 v[94:95], v[30:31], v[38:39]
	v_add_f64 v[40:41], v[36:37], v[40:41]
	;; [unrolled: 1-line block ×3, first 2 shown]
	v_cvt_f32_f64_e32 v92, v[92:93]
	v_cvt_f32_f64_e32 v94, v[94:95]
	;; [unrolled: 1-line block ×4, first 2 shown]
	v_add_f64 v[40:41], v[96:97], v[42:43]
	v_min3_f32 v142, v94, v92, v194
	v_min3_f32 v141, v38, v39, v191
	v_add_f64 v[38:39], v[98:99], v[44:45]
	v_cvt_f32_f64_e32 v40, v[40:41]
	v_cvt_f32_f64_e32 v38, v[38:39]
	v_min3_f32 v140, v40, v38, v192
	v_add_f64 v[38:39], v[12:13], v[44:45]
	v_add_f64 v[40:41], v[10:11], v[42:43]
	v_cvt_f32_f64_e32 v38, v[38:39]
	v_cvt_f32_f64_e32 v40, v[40:41]
	v_min3_f32 v139, v40, v38, v189
	v_add_f64 v[38:39], v[16:17], v[44:45]
	;; [unrolled: 5-line block ×33, first 2 shown]
	v_add_f64 v[40:41], v[10:11], v[58:59]
	v_add_f64 v[12:13], v[12:13], v[64:65]
	;; [unrolled: 1-line block ×3, first 2 shown]
	v_cvt_f32_f64_e32 v38, v[38:39]
	v_cvt_f32_f64_e32 v40, v[40:41]
	;; [unrolled: 1-line block ×4, first 2 shown]
	v_add_f64 v[12:13], v[14:15], v[62:63]
	v_min3_f32 v106, v40, v38, v157
	v_add_f64 v[38:39], v[16:17], v[60:61]
	v_add_f64 v[40:41], v[14:15], v[58:59]
	v_cvt_f32_f64_e32 v12, v[12:13]
	v_cvt_f32_f64_e32 v38, v[38:39]
	;; [unrolled: 1-line block ×3, first 2 shown]
	v_min3_f32 v105, v40, v38, v158
	v_add_f64 v[38:39], v[20:21], v[60:61]
	v_add_f64 v[40:41], v[18:19], v[58:59]
	v_cvt_f32_f64_e32 v38, v[38:39]
	v_cvt_f32_f64_e32 v40, v[40:41]
	v_min3_f32 v104, v40, v38, v155
	v_add_f64 v[38:39], v[24:25], v[60:61]
	v_add_f64 v[40:41], v[22:23], v[58:59]
	v_cvt_f32_f64_e32 v38, v[38:39]
	v_cvt_f32_f64_e32 v40, v[40:41]
	v_min3_f32 v103, v40, v38, v156
	v_add_f64 v[38:39], v[28:29], v[60:61]
	v_add_f64 v[40:41], v[26:27], v[58:59]
	v_cvt_f32_f64_e32 v38, v[38:39]
	v_cvt_f32_f64_e32 v40, v[40:41]
	v_min3_f32 v102, v40, v38, v153
	v_add_f64 v[38:39], v[32:33], v[60:61]
	v_add_f64 v[40:41], v[30:31], v[58:59]
	v_cvt_f32_f64_e32 v38, v[38:39]
	v_cvt_f32_f64_e32 v40, v[40:41]
	v_min3_f32 v101, v40, v38, v154
	v_add_f64 v[38:39], v[36:37], v[60:61]
	v_add_f64 v[40:41], v[34:35], v[58:59]
	v_cvt_f32_f64_e32 v38, v[38:39]
	v_cvt_f32_f64_e32 v40, v[40:41]
	v_min3_f32 v100, v40, v38, v151
	v_add_f64 v[38:39], v[98:99], v[64:65]
	v_min3_f32 v98, v10, v11, v149
	v_add_f64 v[10:11], v[16:17], v[64:65]
	v_add_f64 v[40:41], v[96:97], v[62:63]
	v_cvt_f32_f64_e32 v38, v[38:39]
	v_cvt_f32_f64_e32 v10, v[10:11]
	;; [unrolled: 1-line block ×3, first 2 shown]
	v_min3_f32 v97, v12, v10, v150
	v_add_f64 v[10:11], v[20:21], v[64:65]
	v_add_f64 v[12:13], v[18:19], v[62:63]
	v_min3_f32 v99, v40, v38, v152
	v_cvt_f32_f64_e32 v10, v[10:11]
	v_cvt_f32_f64_e32 v12, v[12:13]
	v_min3_f32 v96, v12, v10, v147
	v_add_f64 v[10:11], v[24:25], v[64:65]
	v_add_f64 v[12:13], v[22:23], v[62:63]
	v_cvt_f32_f64_e32 v10, v[10:11]
	v_cvt_f32_f64_e32 v12, v[12:13]
	v_min3_f32 v95, v12, v10, v148
	v_add_f64 v[10:11], v[28:29], v[64:65]
	v_add_f64 v[12:13], v[26:27], v[62:63]
	;; [unrolled: 5-line block ×4, first 2 shown]
	s_waitcnt lgkmcnt(0)
	v_add_f64 v[146:147], v[2:3], v[6:7]
	v_cvt_f32_f64_e32 v10, v[10:11]
	v_cvt_f32_f64_e32 v12, v[12:13]
	;; [unrolled: 1-line block ×3, first 2 shown]
	v_min3_f32 v92, v12, v10, v144
	v_add_f64 v[144:145], v[4:5], v[8:9]
	ds_read_b128 v[34:37], v88 offset:1040
	ds_read_b128 v[30:33], v88 offset:2064
	;; [unrolled: 1-line block ×14, first 2 shown]
	s_waitcnt vmcnt(3)
	ds_write2st64_b64 v83, v[78:79], v[80:81] offset1:4
	s_waitcnt vmcnt(1)
	ds_write2st64_b64 v83, v[74:75], v[76:77] offset0:8 offset1:12
	s_waitcnt vmcnt(0)
	ds_write_b64 v84, v[72:73]
	s_waitcnt lgkmcnt(0)
	s_barrier
	buffer_gl0_inv
	v_add_f64 v[147:148], v[34:35], v[6:7]
	v_cvt_f32_f64_e32 v144, v[144:145]
	v_cvt_f32_f64_e32 v147, v[147:148]
	v_add_f64 v[148:149], v[30:31], v[6:7]
	v_min3_f32 v144, v146, v144, v208
	v_add_f64 v[145:146], v[36:37], v[8:9]
	v_cvt_f32_f64_e32 v148, v[148:149]
	v_add_f64 v[149:150], v[26:27], v[6:7]
	v_cvt_f32_f64_e32 v145, v[145:146]
	v_cvt_f32_f64_e32 v149, v[149:150]
	v_add_f64 v[150:151], v[22:23], v[6:7]
	v_min3_f32 v145, v147, v145, v207
	v_add_f64 v[146:147], v[32:33], v[8:9]
	v_cvt_f32_f64_e32 v150, v[150:151]
	v_add_f64 v[151:152], v[18:19], v[6:7]
	v_cvt_f32_f64_e32 v146, v[146:147]
	v_cvt_f32_f64_e32 v151, v[151:152]
	v_add_f64 v[152:153], v[14:15], v[6:7]
	v_add_f64 v[6:7], v[10:11], v[6:7]
	v_min3_f32 v146, v148, v146, v206
	v_add_f64 v[147:148], v[28:29], v[8:9]
	v_cvt_f32_f64_e32 v152, v[152:153]
	v_cvt_f32_f64_e32 v6, v[6:7]
	v_add_f64 v[153:154], v[30:31], v[62:63]
	v_cvt_f32_f64_e32 v147, v[147:148]
	v_min3_f32 v147, v149, v147, v205
	v_add_f64 v[148:149], v[24:25], v[8:9]
	v_cvt_f32_f64_e32 v148, v[148:149]
	v_min3_f32 v148, v150, v148, v204
	;; [unrolled: 3-line block ×3, first 2 shown]
	v_add_f64 v[150:151], v[16:17], v[8:9]
	v_add_f64 v[8:9], v[12:13], v[8:9]
	v_cvt_f32_f64_e32 v150, v[150:151]
	v_cvt_f32_f64_e32 v7, v[8:9]
	v_min3_f32 v150, v152, v150, v202
	v_min3_f32 v6, v6, v7, v201
	v_add_f64 v[7:8], v[4:5], v[64:65]
	v_add_f64 v[151:152], v[2:3], v[62:63]
	v_cvt_f32_f64_e32 v7, v[7:8]
	v_cvt_f32_f64_e32 v9, v[151:152]
	v_add_f64 v[151:152], v[34:35], v[62:63]
	v_min3_f32 v7, v9, v7, v200
	v_add_f64 v[8:9], v[36:37], v[64:65]
	v_cvt_f32_f64_e32 v151, v[151:152]
	v_cvt_f32_f64_e32 v8, v[8:9]
	;; [unrolled: 1-line block ×3, first 2 shown]
	v_add_f64 v[153:154], v[26:27], v[62:63]
	v_min3_f32 v8, v151, v8, v199
	v_add_f64 v[151:152], v[32:33], v[64:65]
	v_cvt_f32_f64_e32 v153, v[153:154]
	v_add_f64 v[154:155], v[22:23], v[62:63]
	v_cvt_f32_f64_e32 v151, v[151:152]
	v_cvt_f32_f64_e32 v154, v[154:155]
	v_min3_f32 v9, v9, v151, v198
	v_add_f64 v[151:152], v[28:29], v[64:65]
	v_cvt_f32_f64_e32 v151, v[151:152]
	v_min3_f32 v151, v153, v151, v197
	v_add_f64 v[152:153], v[24:25], v[64:65]
	;; [unrolled: 3-line block ×3, first 2 shown]
	v_add_f64 v[154:155], v[18:19], v[62:63]
	v_cvt_f32_f64_e32 v152, v[152:153]
	v_cvt_f32_f64_e32 v154, v[154:155]
	v_min3_f32 v158, v154, v152, v143
	v_add_f64 v[152:153], v[16:17], v[64:65]
	v_add_f64 v[154:155], v[14:15], v[62:63]
	;; [unrolled: 1-line block ×4, first 2 shown]
	v_cvt_f32_f64_e32 v152, v[152:153]
	v_cvt_f32_f64_e32 v143, v[154:155]
	;; [unrolled: 1-line block ×4, first 2 shown]
	v_min3_f32 v159, v143, v152, v142
	v_min3_f32 v62, v62, v63, v141
	v_add_f64 v[63:64], v[4:5], v[60:61]
	v_add_f64 v[141:142], v[2:3], v[58:59]
	v_cvt_f32_f64_e32 v63, v[63:64]
	v_cvt_f32_f64_e32 v65, v[141:142]
	v_min3_f32 v63, v65, v63, v140
	v_add_f64 v[64:65], v[36:37], v[60:61]
	v_add_f64 v[140:141], v[34:35], v[58:59]
	v_cvt_f32_f64_e32 v64, v[64:65]
	v_cvt_f32_f64_e32 v140, v[140:141]
	v_add_f64 v[141:142], v[30:31], v[58:59]
	v_min3_f32 v64, v140, v64, v139
	v_add_f64 v[139:140], v[32:33], v[60:61]
	v_cvt_f32_f64_e32 v65, v[141:142]
	v_cvt_f32_f64_e32 v139, v[139:140]
	v_add_f64 v[140:141], v[26:27], v[58:59]
	v_min3_f32 v65, v65, v139, v138
	v_add_f64 v[138:139], v[28:29], v[60:61]
	v_cvt_f32_f64_e32 v140, v[140:141]
	v_cvt_f32_f64_e32 v138, v[138:139]
	v_min3_f32 v137, v140, v138, v137
	v_add_f64 v[138:139], v[24:25], v[60:61]
	v_add_f64 v[140:141], v[22:23], v[58:59]
	v_cvt_f32_f64_e32 v138, v[138:139]
	v_cvt_f32_f64_e32 v140, v[140:141]
	v_add_f64 v[141:142], v[18:19], v[58:59]
	v_min3_f32 v138, v140, v138, v136
	v_add_f64 v[139:140], v[20:21], v[60:61]
	v_cvt_f32_f64_e32 v136, v[141:142]
	v_add_f64 v[141:142], v[14:15], v[58:59]
	v_add_f64 v[58:59], v[10:11], v[58:59]
	v_cvt_f32_f64_e32 v139, v[139:140]
	v_cvt_f32_f64_e32 v58, v[58:59]
	v_min3_f32 v135, v136, v139, v135
	v_add_f64 v[139:140], v[16:17], v[60:61]
	v_add_f64 v[60:61], v[12:13], v[60:61]
	v_cvt_f32_f64_e32 v136, v[141:142]
	v_cvt_f32_f64_e32 v139, v[139:140]
	;; [unrolled: 1-line block ×3, first 2 shown]
	v_min3_f32 v139, v136, v139, v134
	v_min3_f32 v58, v58, v59, v133
	v_add_f64 v[59:60], v[4:5], v[56:57]
	v_add_f64 v[133:134], v[2:3], v[54:55]
	v_cvt_f32_f64_e32 v59, v[59:60]
	v_cvt_f32_f64_e32 v61, v[133:134]
	v_min3_f32 v59, v61, v59, v132
	v_add_f64 v[60:61], v[36:37], v[56:57]
	v_add_f64 v[132:133], v[34:35], v[54:55]
	v_cvt_f32_f64_e32 v60, v[60:61]
	v_cvt_f32_f64_e32 v132, v[132:133]
	v_add_f64 v[133:134], v[30:31], v[54:55]
	v_min3_f32 v60, v132, v60, v131
	v_add_f64 v[131:132], v[32:33], v[56:57]
	v_cvt_f32_f64_e32 v61, v[133:134]
	v_add_f64 v[133:134], v[26:27], v[54:55]
	v_cvt_f32_f64_e32 v131, v[131:132]
	v_min3_f32 v61, v61, v131, v129
	v_add_f64 v[131:132], v[28:29], v[56:57]
	v_cvt_f32_f64_e32 v129, v[133:134]
	v_add_f64 v[133:134], v[22:23], v[54:55]
	v_cvt_f32_f64_e32 v131, v[131:132]
	;; [unrolled: 5-line block ×3, first 2 shown]
	v_min3_f32 v127, v129, v131, v127
	v_add_f64 v[131:132], v[20:21], v[56:57]
	v_cvt_f32_f64_e32 v129, v[133:134]
	v_add_f64 v[133:134], v[14:15], v[54:55]
	v_add_f64 v[54:55], v[10:11], v[54:55]
	v_cvt_f32_f64_e32 v131, v[131:132]
	v_cvt_f32_f64_e32 v54, v[54:55]
	v_min3_f32 v126, v129, v131, v126
	v_add_f64 v[131:132], v[16:17], v[56:57]
	v_add_f64 v[56:57], v[12:13], v[56:57]
	v_cvt_f32_f64_e32 v129, v[133:134]
	v_cvt_f32_f64_e32 v131, v[131:132]
	;; [unrolled: 1-line block ×3, first 2 shown]
	v_min3_f32 v125, v129, v131, v125
	v_min3_f32 v54, v54, v55, v124
	v_add_f64 v[55:56], v[4:5], v[52:53]
	v_add_f64 v[131:132], v[2:3], v[50:51]
	v_cvt_f32_f64_e32 v55, v[55:56]
	v_cvt_f32_f64_e32 v57, v[131:132]
	v_add_f64 v[131:132], v[30:31], v[50:51]
	v_min3_f32 v55, v57, v55, v123
	v_add_f64 v[56:57], v[36:37], v[52:53]
	v_add_f64 v[123:124], v[34:35], v[50:51]
	v_cvt_f32_f64_e32 v56, v[56:57]
	v_cvt_f32_f64_e32 v123, v[123:124]
	;; [unrolled: 1-line block ×3, first 2 shown]
	v_min3_f32 v56, v123, v56, v122
	v_add_f64 v[122:123], v[32:33], v[52:53]
	v_cvt_f32_f64_e32 v122, v[122:123]
	v_add_f64 v[123:124], v[26:27], v[50:51]
	v_min3_f32 v57, v57, v122, v121
	v_add_f64 v[121:122], v[28:29], v[52:53]
	v_cvt_f32_f64_e32 v123, v[123:124]
	v_cvt_f32_f64_e32 v121, v[121:122]
	v_min3_f32 v120, v123, v121, v120
	v_add_f64 v[121:122], v[24:25], v[52:53]
	v_add_f64 v[123:124], v[22:23], v[50:51]
	v_cvt_f32_f64_e32 v121, v[121:122]
	v_cvt_f32_f64_e32 v123, v[123:124]
	v_min3_f32 v119, v123, v121, v119
	v_add_f64 v[121:122], v[20:21], v[52:53]
	;; [unrolled: 5-line block ×3, first 2 shown]
	v_add_f64 v[123:124], v[14:15], v[50:51]
	v_add_f64 v[52:53], v[12:13], v[52:53]
	;; [unrolled: 1-line block ×3, first 2 shown]
	v_cvt_f32_f64_e32 v121, v[121:122]
	v_cvt_f32_f64_e32 v123, v[123:124]
	;; [unrolled: 1-line block ×4, first 2 shown]
	v_min3_f32 v117, v123, v121, v117
	v_add_f64 v[121:122], v[2:3], v[46:47]
	v_min3_f32 v50, v50, v51, v116
	v_add_f64 v[51:52], v[4:5], v[48:49]
	v_cvt_f32_f64_e32 v53, v[121:122]
	v_add_f64 v[121:122], v[30:31], v[46:47]
	v_cvt_f32_f64_e32 v51, v[51:52]
	v_min3_f32 v51, v53, v51, v115
	v_add_f64 v[52:53], v[36:37], v[48:49]
	v_add_f64 v[115:116], v[34:35], v[46:47]
	v_cvt_f32_f64_e32 v52, v[52:53]
	v_cvt_f32_f64_e32 v115, v[115:116]
	;; [unrolled: 1-line block ×3, first 2 shown]
	v_min3_f32 v52, v115, v52, v114
	v_add_f64 v[114:115], v[32:33], v[48:49]
	v_cvt_f32_f64_e32 v114, v[114:115]
	v_add_f64 v[115:116], v[26:27], v[46:47]
	v_min3_f32 v53, v53, v114, v113
	v_add_f64 v[113:114], v[28:29], v[48:49]
	v_cvt_f32_f64_e32 v115, v[115:116]
	v_cvt_f32_f64_e32 v113, v[113:114]
	v_min3_f32 v112, v115, v113, v112
	v_add_f64 v[113:114], v[24:25], v[48:49]
	v_add_f64 v[115:116], v[22:23], v[46:47]
	v_cvt_f32_f64_e32 v113, v[113:114]
	v_cvt_f32_f64_e32 v115, v[115:116]
	v_min3_f32 v111, v115, v113, v111
	v_add_f64 v[113:114], v[20:21], v[48:49]
	;; [unrolled: 5-line block ×3, first 2 shown]
	v_add_f64 v[115:116], v[14:15], v[46:47]
	v_add_f64 v[48:49], v[12:13], v[48:49]
	;; [unrolled: 1-line block ×3, first 2 shown]
	v_cvt_f32_f64_e32 v113, v[113:114]
	v_cvt_f32_f64_e32 v115, v[115:116]
	;; [unrolled: 1-line block ×4, first 2 shown]
	v_min3_f32 v109, v115, v113, v109
	v_add_f64 v[113:114], v[2:3], v[42:43]
	v_add_f64 v[2:3], v[2:3], v[38:39]
	v_min3_f32 v46, v46, v47, v108
	v_add_f64 v[47:48], v[4:5], v[44:45]
	v_add_f64 v[4:5], v[4:5], v[40:41]
	v_cvt_f32_f64_e32 v49, v[113:114]
	v_add_f64 v[113:114], v[30:31], v[42:43]
	v_cvt_f32_f64_e32 v2, v[2:3]
	v_cvt_f32_f64_e32 v47, v[47:48]
	;; [unrolled: 1-line block ×3, first 2 shown]
	v_add_f64 v[4:5], v[34:35], v[38:39]
	v_min3_f32 v47, v49, v47, v107
	v_add_f64 v[48:49], v[36:37], v[44:45]
	v_add_f64 v[107:108], v[34:35], v[42:43]
	v_cvt_f32_f64_e32 v4, v[4:5]
	v_cvt_f32_f64_e32 v48, v[48:49]
	;; [unrolled: 1-line block ×4, first 2 shown]
	v_min3_f32 v48, v107, v48, v106
	v_add_f64 v[106:107], v[32:33], v[44:45]
	v_cvt_f32_f64_e32 v106, v[106:107]
	v_add_f64 v[107:108], v[26:27], v[42:43]
	v_min3_f32 v49, v49, v106, v105
	v_add_f64 v[105:106], v[28:29], v[44:45]
	v_cvt_f32_f64_e32 v107, v[107:108]
	v_cvt_f32_f64_e32 v105, v[105:106]
	v_min3_f32 v104, v107, v105, v104
	v_add_f64 v[105:106], v[24:25], v[44:45]
	v_add_f64 v[107:108], v[22:23], v[42:43]
	v_cvt_f32_f64_e32 v105, v[105:106]
	v_cvt_f32_f64_e32 v107, v[107:108]
	v_min3_f32 v103, v107, v105, v103
	v_add_f64 v[105:106], v[20:21], v[44:45]
	;; [unrolled: 5-line block ×3, first 2 shown]
	v_add_f64 v[107:108], v[14:15], v[42:43]
	v_add_f64 v[44:45], v[12:13], v[44:45]
	;; [unrolled: 1-line block ×3, first 2 shown]
	v_cvt_f32_f64_e32 v105, v[105:106]
	v_cvt_f32_f64_e32 v107, v[107:108]
	;; [unrolled: 1-line block ×4, first 2 shown]
	v_min3_f32 v101, v107, v105, v101
	v_min3_f32 v42, v42, v43, v100
	;; [unrolled: 1-line block ×3, first 2 shown]
	v_add_f64 v[2:3], v[36:37], v[40:41]
	v_cvt_f32_f64_e32 v2, v[2:3]
	v_min3_f32 v44, v4, v2, v98
	v_add_f64 v[2:3], v[32:33], v[40:41]
	v_add_f64 v[4:5], v[30:31], v[38:39]
	v_cvt_f32_f64_e32 v2, v[2:3]
	v_cvt_f32_f64_e32 v4, v[4:5]
	v_min3_f32 v30, v4, v2, v97
	v_add_f64 v[2:3], v[28:29], v[40:41]
	v_add_f64 v[4:5], v[26:27], v[38:39]
	v_cvt_f32_f64_e32 v2, v[2:3]
	;; [unrolled: 5-line block ×6, first 2 shown]
	v_cvt_f32_f64_e32 v4, v[4:5]
	v_min3_f32 v10, v4, v2, v92
	v_add_co_u32 v2, vcc_lo, v90, v68
	v_add_co_ci_u32_e64 v3, null, v91, v69, vcc_lo
	s_clause 0x3
	flat_load_dwordx2 v[76:77], v[2:3]
	flat_load_dwordx2 v[80:81], v[2:3] offset:512
	flat_load_dwordx2 v[74:75], v[2:3] offset:1024
	;; [unrolled: 1-line block ×3, first 2 shown]
	flat_load_dwordx2 v[72:73], v[70:71]
	ds_read_b128 v[38:41], v82 offset:1024
	ds_read_b128 v[92:95], v82 offset:2048
	;; [unrolled: 1-line block ×14, first 2 shown]
	ds_read_b128 v[196:199], v82
	ds_read_b128 v[2:5], v82 offset:16
	ds_read_b128 v[121:124], v85
	ds_read_b128 v[34:37], v85 offset:16
	v_add_co_u32 v70, vcc_lo, v70, 64
	v_add_co_ci_u32_e64 v71, null, 0, v71, vcc_lo
	v_add_co_u32 v90, vcc_lo, v90, s6
	v_add_co_ci_u32_e64 v91, null, s7, v91, vcc_lo
	s_waitcnt lgkmcnt(1)
	v_add_f64 v[11:12], v[198:199], v[123:124]
	v_add_f64 v[15:16], v[196:197], v[121:122]
	v_cvt_f32_f64_e32 v11, v[11:12]
	v_cvt_f32_f64_e32 v13, v[15:16]
	v_add_f64 v[15:16], v[38:39], v[121:122]
	v_min3_f32 v134, v13, v11, v144
	v_add_f64 v[11:12], v[40:41], v[123:124]
	v_cvt_f32_f64_e32 v13, v[15:16]
	v_add_f64 v[15:16], v[92:93], v[121:122]
	v_cvt_f32_f64_e32 v11, v[11:12]
	v_min3_f32 v131, v13, v11, v145
	v_add_f64 v[11:12], v[94:95], v[123:124]
	v_cvt_f32_f64_e32 v13, v[15:16]
	v_add_f64 v[15:16], v[160:161], v[121:122]
	v_cvt_f32_f64_e32 v11, v[11:12]
	;; [unrolled: 5-line block ×7, first 2 shown]
	v_min3_f32 v156, v13, v11, v6
	v_add_f64 v[11:12], v[198:199], v[98:99]
	v_cvt_f32_f64_e32 v6, v[15:16]
	v_cvt_f32_f64_e32 v11, v[11:12]
	v_min3_f32 v155, v6, v11, v7
	v_add_f64 v[6:7], v[40:41], v[98:99]
	v_add_f64 v[11:12], v[38:39], v[96:97]
	v_cvt_f32_f64_e32 v6, v[6:7]
	v_cvt_f32_f64_e32 v11, v[11:12]
	v_min3_f32 v154, v11, v6, v8
	v_add_f64 v[6:7], v[94:95], v[98:99]
	;; [unrolled: 5-line block ×6, first 2 shown]
	v_add_f64 v[8:9], v[172:173], v[96:97]
	s_waitcnt lgkmcnt(0)
	v_add_f64 v[157:158], v[4:5], v[36:37]
	v_cvt_f32_f64_e32 v6, v[6:7]
	v_cvt_f32_f64_e32 v8, v[8:9]
	;; [unrolled: 1-line block ×3, first 2 shown]
	v_min3_f32 v149, v8, v6, v159
	v_add_f64 v[6:7], v[178:179], v[98:99]
	v_add_f64 v[8:9], v[176:177], v[96:97]
	v_cvt_f32_f64_e32 v6, v[6:7]
	v_cvt_f32_f64_e32 v8, v[8:9]
	v_min3_f32 v148, v8, v6, v62
	v_add_f64 v[6:7], v[198:199], v[107:108]
	v_add_f64 v[8:9], v[196:197], v[105:106]
	v_cvt_f32_f64_e32 v6, v[6:7]
	v_cvt_f32_f64_e32 v8, v[8:9]
	;; [unrolled: 5-line block ×44, first 2 shown]
	v_min3_f32 v97, v8, v6, v30
	v_add_f64 v[6:7], v[162:163], v[194:195]
	v_add_f64 v[8:9], v[160:161], v[192:193]
	;; [unrolled: 1-line block ×3, first 2 shown]
	v_cvt_f32_f64_e32 v6, v[6:7]
	v_cvt_f32_f64_e32 v8, v[8:9]
	;; [unrolled: 1-line block ×3, first 2 shown]
	v_min3_f32 v96, v8, v6, v26
	v_add_f64 v[6:7], v[166:167], v[194:195]
	v_add_f64 v[8:9], v[164:165], v[192:193]
	v_min3_f32 v134, v159, v157, v134
	v_cvt_f32_f64_e32 v6, v[6:7]
	v_cvt_f32_f64_e32 v8, v[8:9]
	v_min3_f32 v95, v8, v6, v22
	v_add_f64 v[6:7], v[170:171], v[194:195]
	v_add_f64 v[8:9], v[168:169], v[192:193]
	v_cvt_f32_f64_e32 v6, v[6:7]
	v_cvt_f32_f64_e32 v8, v[8:9]
	v_min3_f32 v94, v8, v6, v18
	v_add_f64 v[6:7], v[174:175], v[194:195]
	v_add_f64 v[8:9], v[172:173], v[192:193]
	;; [unrolled: 5-line block ×3, first 2 shown]
	v_cvt_f32_f64_e32 v6, v[6:7]
	v_cvt_f32_f64_e32 v8, v[8:9]
	v_min3_f32 v92, v8, v6, v10
	ds_read_b128 v[30:33], v82 offset:1040
	ds_read_b128 v[26:29], v82 offset:2064
	;; [unrolled: 1-line block ×14, first 2 shown]
	s_waitcnt vmcnt(3)
	ds_write2st64_b64 v86, v[76:77], v[80:81] offset1:4
	s_waitcnt vmcnt(1)
	ds_write2st64_b64 v86, v[74:75], v[78:79] offset0:8 offset1:12
	s_waitcnt vmcnt(0)
	ds_write_b64 v87, v[72:73]
	s_waitcnt lgkmcnt(0)
	s_barrier
	buffer_gl0_inv
	v_add_f64 v[157:158], v[32:33], v[36:37]
	v_add_f64 v[159:160], v[30:31], v[34:35]
	v_cvt_f32_f64_e32 v157, v[157:158]
	v_cvt_f32_f64_e32 v159, v[159:160]
	v_min3_f32 v131, v159, v157, v131
	v_add_f64 v[157:158], v[28:29], v[36:37]
	v_add_f64 v[159:160], v[26:27], v[34:35]
	v_cvt_f32_f64_e32 v157, v[157:158]
	v_cvt_f32_f64_e32 v159, v[159:160]
	v_min3_f32 v136, v159, v157, v136
	;; [unrolled: 5-line block ×5, first 2 shown]
	v_add_f64 v[157:158], v[12:13], v[36:37]
	v_add_f64 v[159:160], v[10:11], v[34:35]
	;; [unrolled: 1-line block ×4, first 2 shown]
	v_cvt_f32_f64_e32 v157, v[157:158]
	v_cvt_f32_f64_e32 v159, v[159:160]
	;; [unrolled: 1-line block ×4, first 2 shown]
	v_add_f64 v[36:37], v[2:3], v[62:63]
	v_min3_f32 v143, v159, v157, v143
	v_min3_f32 v199, v34, v35, v156
	v_add_f64 v[34:35], v[4:5], v[64:65]
	v_cvt_f32_f64_e32 v36, v[36:37]
	v_cvt_f32_f64_e32 v34, v[34:35]
	v_min3_f32 v200, v36, v34, v155
	v_add_f64 v[34:35], v[32:33], v[64:65]
	v_add_f64 v[36:37], v[30:31], v[62:63]
	v_cvt_f32_f64_e32 v34, v[34:35]
	v_cvt_f32_f64_e32 v36, v[36:37]
	v_min3_f32 v197, v36, v34, v154
	v_add_f64 v[34:35], v[28:29], v[64:65]
	;; [unrolled: 5-line block ×40, first 2 shown]
	v_add_f64 v[36:37], v[2:3], v[42:43]
	v_add_f64 v[4:5], v[4:5], v[40:41]
	v_add_f64 v[2:3], v[2:3], v[38:39]
	v_cvt_f32_f64_e32 v34, v[34:35]
	v_cvt_f32_f64_e32 v36, v[36:37]
	;; [unrolled: 1-line block ×4, first 2 shown]
	v_add_f64 v[4:5], v[30:31], v[38:39]
	v_min3_f32 v160, v36, v34, v107
	v_add_f64 v[34:35], v[32:33], v[44:45]
	v_add_f64 v[36:37], v[30:31], v[42:43]
	v_min3_f32 v152, v2, v3, v99
	v_add_f64 v[2:3], v[32:33], v[40:41]
	v_cvt_f32_f64_e32 v4, v[4:5]
	v_cvt_f32_f64_e32 v34, v[34:35]
	v_cvt_f32_f64_e32 v36, v[36:37]
	v_cvt_f32_f64_e32 v2, v[2:3]
	v_min3_f32 v157, v36, v34, v106
	v_add_f64 v[34:35], v[28:29], v[44:45]
	v_add_f64 v[36:37], v[26:27], v[42:43]
	v_min3_f32 v149, v4, v2, v98
	v_add_f64 v[2:3], v[28:29], v[40:41]
	v_add_f64 v[4:5], v[26:27], v[38:39]
	v_cvt_f32_f64_e32 v34, v[34:35]
	v_cvt_f32_f64_e32 v36, v[36:37]
	v_cvt_f32_f64_e32 v2, v[2:3]
	v_cvt_f32_f64_e32 v4, v[4:5]
	v_min3_f32 v158, v36, v34, v105
	v_add_f64 v[34:35], v[24:25], v[44:45]
	v_add_f64 v[36:37], v[22:23], v[42:43]
	v_min3_f32 v150, v4, v2, v97
	v_add_f64 v[2:3], v[24:25], v[40:41]
	;; [unrolled: 10-line block ×6, first 2 shown]
	v_add_f64 v[4:5], v[6:7], v[38:39]
	v_cvt_f32_f64_e32 v34, v[34:35]
	v_cvt_f32_f64_e32 v36, v[36:37]
	;; [unrolled: 1-line block ×4, first 2 shown]
	v_min3_f32 v151, v36, v34, v100
	v_min3_f32 v144, v4, v2, v92
	s_cbranch_scc0 .LBB106_10
.LBB106_11:
	ds_read_b128 v[126:129], v130 offset:18432
	ds_read_b128 v[70:73], v82 offset:8192
	;; [unrolled: 1-line block ×4, first 2 shown]
	s_clause 0x2
	s_load_dword s6, s[4:5], 0x58
	s_load_dword s7, s[4:5], 0x70
	s_load_dwordx2 s[4:5], s[4:5], 0x78
	ds_read_b128 v[62:65], v82 offset:9216
	ds_read_b128 v[58:61], v82 offset:9232
	;; [unrolled: 1-line block ×23, first 2 shown]
	v_add_nc_u32_e32 v201, s10, v1
	ds_read_b128 v[82:85], v130 offset:19728
	v_add_nc_u32_e32 v138, s1, v0
	v_ashrrev_i32_e32 v139, 31, v138
	v_add_nc_u32_e32 v0, 32, v138
	v_ashrrev_i32_e32 v1, 31, v0
	s_waitcnt lgkmcnt(0)
	v_add_f64 v[10:11], v[70:71], v[126:127]
	v_add_f64 v[12:13], v[72:73], v[128:129]
	;; [unrolled: 1-line block ×4, first 2 shown]
	v_mad_i64_i32 v[140:141], null, v201, s7, 0
	v_mad_i64_i32 v[202:203], null, v201, s6, 0
	s_lshl_b64 s[4:5], s[4:5], 3
	s_add_u32 s1, s8, s4
	s_addc_u32 s4, s9, s5
	v_lshlrev_b64 v[140:141], 3, v[140:141]
	s_mov_b32 s5, -1
	v_lshlrev_b64 v[204:205], 3, v[202:203]
	v_add_co_u32 v202, vcc_lo, s1, v140
	v_add_co_ci_u32_e64 v203, null, s4, v141, vcc_lo
	v_cvt_f32_f64_e32 v135, v[10:11]
	v_cvt_f32_f64_e32 v137, v[12:13]
	;; [unrolled: 1-line block ×4, first 2 shown]
	ds_read_b128 v[78:81], v130 offset:19968
	ds_read_b128 v[74:77], v130 offset:19984
	;; [unrolled: 1-line block ×4, first 2 shown]
	v_add_co_u32 v204, vcc_lo, s12, v204
	v_add_co_ci_u32_e64 v205, null, s13, v205, vcc_lo
	s_mov_b32 vcc_lo, s0
	v_min3_f32 v130, v135, v137, v134
	v_lshlrev_b64 v[134:135], 3, v[138:139]
	v_min3_f32 v130, v206, v207, v130
	v_max_f32_e32 v137, v130, v130
	s_cbranch_vccz .LBB106_13
; %bb.12:
	v_min_f32_e32 v130, 0, v137
	v_add_co_u32 v206, vcc_lo, v202, v134
	v_add_co_ci_u32_e64 v207, null, v203, v135, vcc_lo
	v_cvt_f64_f32_e32 v[139:140], v130
	s_mov_b32 s5, 0
	flat_store_dwordx2 v[206:207], v[139:140]
.LBB106_13:
	v_lshlrev_b64 v[0:1], 3, v[0:1]
	v_mov_b32_e32 v130, 0
	s_andn2_b32 vcc_lo, exec_lo, s5
	s_cbranch_vccnz .LBB106_15
; %bb.14:
	v_add_co_u32 v139, vcc_lo, v204, v134
	v_add_co_ci_u32_e64 v140, null, v205, v135, vcc_lo
	v_add_co_u32 v206, vcc_lo, v202, v134
	v_add_co_ci_u32_e64 v207, null, v203, v135, vcc_lo
	flat_load_dwordx2 v[139:140], v[139:140]
	v_add_co_u32 v208, vcc_lo, v204, v0
	v_add_co_ci_u32_e64 v209, null, v205, v1, vcc_lo
	s_waitcnt vmcnt(0) lgkmcnt(0)
	v_mul_f64 v[139:140], s[2:3], v[139:140]
	v_cvt_f32_f64_e32 v130, v[139:140]
	v_min_f32_e32 v130, v130, v137
	v_cvt_f64_f32_e32 v[139:140], v130
	flat_store_dwordx2 v[206:207], v[139:140]
	flat_load_dwordx2 v[139:140], v[208:209]
	s_waitcnt vmcnt(0) lgkmcnt(0)
	v_mul_f64 v[139:140], s[2:3], v[139:140]
	v_cvt_f32_f64_e32 v130, v[139:140]
.LBB106_15:
	v_add_f64 v[139:140], v[62:63], v[126:127]
	v_add_f64 v[206:207], v[64:65], v[128:129]
	v_add_f64 v[208:209], v[58:59], v[122:123]
	v_add_f64 v[210:211], v[60:61], v[124:125]
	v_add_f64 v[212:213], v[56:57], v[128:129]
	v_add_f64 v[214:215], v[54:55], v[126:127]
	v_add_f64 v[216:217], v[50:51], v[122:123]
	s_mov_b32 s5, -1
	v_cvt_f32_f64_e32 v137, v[139:140]
	v_cvt_f32_f64_e32 v141, v[206:207]
	;; [unrolled: 1-line block ×4, first 2 shown]
	v_add_f64 v[139:140], v[52:53], v[124:125]
	v_cvt_f32_f64_e32 v208, v[214:215]
	v_cvt_f32_f64_e32 v209, v[212:213]
	;; [unrolled: 1-line block ×3, first 2 shown]
	v_min3_f32 v131, v137, v141, v131
	v_min_f32_e32 v137, v206, v207
	v_cvt_f32_f64_e32 v141, v[139:140]
	v_add_nc_u32_e32 v139, 64, v138
	v_min3_f32 v130, v130, v137, v131
	v_min3_f32 v131, v208, v209, v136
	v_ashrrev_i32_e32 v140, 31, v139
	v_add_co_u32 v208, vcc_lo, v202, v0
	v_cvt_f64_f32_e32 v[206:207], v130
	v_add_nc_u32_e32 v130, 0x60, v138
	v_lshlrev_b64 v[136:137], 3, v[139:140]
	v_add_co_ci_u32_e64 v209, null, v203, v1, vcc_lo
	s_mov_b32 vcc_lo, s0
	v_min3_f32 v141, v210, v141, v131
	v_ashrrev_i32_e32 v131, 31, v130
	v_max_f32_e32 v140, v141, v141
	flat_store_dwordx2 v[208:209], v[206:207]
	s_cbranch_vccz .LBB106_17
; %bb.16:
	v_min_f32_e32 v139, 0, v140
	v_add_co_u32 v208, vcc_lo, v202, v136
	v_add_co_ci_u32_e64 v209, null, v203, v137, vcc_lo
	v_cvt_f64_f32_e32 v[206:207], v139
	s_mov_b32 s5, 0
	flat_store_dwordx2 v[208:209], v[206:207]
.LBB106_17:
	v_lshlrev_b64 v[130:131], 3, v[130:131]
	v_mov_b32_e32 v139, 0
	s_andn2_b32 vcc_lo, exec_lo, s5
	s_cbranch_vccnz .LBB106_19
; %bb.18:
	v_add_co_u32 v206, vcc_lo, v204, v136
	v_add_co_ci_u32_e64 v207, null, v205, v137, vcc_lo
	flat_load_dwordx2 v[206:207], v[206:207]
	s_waitcnt vmcnt(0) lgkmcnt(0)
	v_mul_f64 v[206:207], s[2:3], v[206:207]
	v_cvt_f32_f64_e32 v139, v[206:207]
	v_add_co_u32 v206, vcc_lo, v202, v136
	v_add_co_ci_u32_e64 v207, null, v203, v137, vcc_lo
	v_add_co_u32 v208, vcc_lo, v204, v130
	v_add_co_ci_u32_e64 v209, null, v205, v131, vcc_lo
	v_min_f32_e32 v139, v139, v140
	v_cvt_f64_f32_e32 v[139:140], v139
	flat_store_dwordx2 v[206:207], v[139:140]
	flat_load_dwordx2 v[139:140], v[208:209]
	s_waitcnt vmcnt(0) lgkmcnt(0)
	v_mul_f64 v[139:140], s[2:3], v[139:140]
	v_cvt_f32_f64_e32 v139, v[139:140]
.LBB106_19:
	v_add_f64 v[140:141], v[46:47], v[126:127]
	v_add_f64 v[206:207], v[48:49], v[128:129]
	;; [unrolled: 1-line block ×7, first 2 shown]
	s_mov_b32 s5, -1
	v_cvt_f32_f64_e32 v218, v[140:141]
	v_cvt_f32_f64_e32 v206, v[206:207]
	;; [unrolled: 1-line block ×4, first 2 shown]
	v_add_f64 v[140:141], v[36:37], v[124:125]
	v_cvt_f32_f64_e32 v209, v[214:215]
	v_cvt_f32_f64_e32 v210, v[212:213]
	;; [unrolled: 1-line block ×3, first 2 shown]
	v_min3_f32 v132, v218, v206, v132
	v_min_f32_e32 v206, v207, v208
	v_cvt_f32_f64_e32 v141, v[140:141]
	v_min3_f32 v133, v209, v210, v133
	v_add_co_u32 v209, vcc_lo, v202, v130
	v_min3_f32 v132, v139, v206, v132
	v_add_nc_u32_e32 v139, 0x80, v138
	v_add_co_ci_u32_e64 v210, null, v203, v131, vcc_lo
	s_mov_b32 vcc_lo, s0
	v_cvt_f64_f32_e32 v[207:208], v132
	v_ashrrev_i32_e32 v140, 31, v139
	v_add_nc_u32_e32 v132, 0xa0, v138
	v_min3_f32 v206, v211, v141, v133
	v_lshlrev_b64 v[140:141], 3, v[139:140]
	v_ashrrev_i32_e32 v133, 31, v132
	v_max_f32_e32 v206, v206, v206
	flat_store_dwordx2 v[209:210], v[207:208]
	s_cbranch_vccz .LBB106_21
; %bb.20:
	v_min_f32_e32 v139, 0, v206
	v_add_co_u32 v209, vcc_lo, v202, v140
	v_add_co_ci_u32_e64 v210, null, v203, v141, vcc_lo
	v_cvt_f64_f32_e32 v[207:208], v139
	s_mov_b32 s5, 0
	flat_store_dwordx2 v[209:210], v[207:208]
.LBB106_21:
	v_lshlrev_b64 v[132:133], 3, v[132:133]
	v_mov_b32_e32 v139, 0
	s_andn2_b32 vcc_lo, exec_lo, s5
	s_cbranch_vccnz .LBB106_23
; %bb.22:
	v_add_co_u32 v207, vcc_lo, v204, v140
	v_add_co_ci_u32_e64 v208, null, v205, v141, vcc_lo
	flat_load_dwordx2 v[207:208], v[207:208]
	s_waitcnt vmcnt(0) lgkmcnt(0)
	v_mul_f64 v[207:208], s[2:3], v[207:208]
	v_cvt_f32_f64_e32 v139, v[207:208]
	v_add_co_u32 v208, vcc_lo, v202, v140
	v_add_co_ci_u32_e64 v209, null, v203, v141, vcc_lo
	v_add_co_u32 v210, vcc_lo, v204, v132
	v_add_co_ci_u32_e64 v211, null, v205, v133, vcc_lo
	v_min_f32_e32 v139, v139, v206
	v_cvt_f64_f32_e32 v[206:207], v139
	flat_store_dwordx2 v[208:209], v[206:207]
	flat_load_dwordx2 v[206:207], v[210:211]
	s_waitcnt vmcnt(0) lgkmcnt(0)
	v_mul_f64 v[206:207], s[2:3], v[206:207]
	v_cvt_f32_f64_e32 v139, v[206:207]
.LBB106_23:
	v_add_f64 v[206:207], v[30:31], v[126:127]
	v_add_f64 v[208:209], v[32:33], v[128:129]
	;; [unrolled: 1-line block ×7, first 2 shown]
	s_mov_b32 s5, -1
	v_cvt_f32_f64_e32 v220, v[206:207]
	v_cvt_f32_f64_e32 v208, v[208:209]
	;; [unrolled: 1-line block ×4, first 2 shown]
	v_add_f64 v[206:207], v[20:21], v[124:125]
	v_cvt_f32_f64_e32 v211, v[216:217]
	v_cvt_f32_f64_e32 v212, v[214:215]
	;; [unrolled: 1-line block ×3, first 2 shown]
	v_min3_f32 v142, v220, v208, v142
	v_min_f32_e32 v208, v209, v210
	v_cvt_f32_f64_e32 v206, v[206:207]
	v_add_co_u32 v210, vcc_lo, v202, v132
	v_min3_f32 v139, v139, v208, v142
	v_add_nc_u32_e32 v142, 0xc0, v138
	v_add_nc_u32_e32 v138, 0xe0, v138
	v_cvt_f64_f32_e32 v[208:209], v139
	v_min3_f32 v139, v211, v212, v143
	v_ashrrev_i32_e32 v143, 31, v142
	v_add_co_ci_u32_e64 v211, null, v203, v133, vcc_lo
	s_mov_b32 vcc_lo, s0
	v_lshlrev_b64 v[142:143], 3, v[142:143]
	v_min3_f32 v206, v213, v206, v139
	v_ashrrev_i32_e32 v139, 31, v138
	v_max_f32_e32 v207, v206, v206
	flat_store_dwordx2 v[210:211], v[208:209]
	s_cbranch_vccz .LBB106_25
; %bb.24:
	v_min_f32_e32 v206, 0, v207
	v_add_co_u32 v210, vcc_lo, v202, v142
	v_add_co_ci_u32_e64 v211, null, v203, v143, vcc_lo
	v_cvt_f64_f32_e32 v[208:209], v206
	s_mov_b32 s5, 0
	flat_store_dwordx2 v[210:211], v[208:209]
.LBB106_25:
	v_lshlrev_b64 v[138:139], 3, v[138:139]
	v_mov_b32_e32 v206, 0
	s_andn2_b32 vcc_lo, exec_lo, s5
	s_cbranch_vccnz .LBB106_27
; %bb.26:
	v_add_co_u32 v208, vcc_lo, v204, v142
	v_add_co_ci_u32_e64 v209, null, v205, v143, vcc_lo
	flat_load_dwordx2 v[208:209], v[208:209]
	s_waitcnt vmcnt(0) lgkmcnt(0)
	v_mul_f64 v[208:209], s[2:3], v[208:209]
	v_cvt_f32_f64_e32 v206, v[208:209]
	v_add_co_u32 v208, vcc_lo, v202, v142
	v_add_co_ci_u32_e64 v209, null, v203, v143, vcc_lo
	v_add_co_u32 v204, vcc_lo, v204, v138
	v_add_co_ci_u32_e64 v205, null, v205, v139, vcc_lo
	v_min_f32_e32 v206, v206, v207
	v_cvt_f64_f32_e32 v[206:207], v206
	flat_store_dwordx2 v[208:209], v[206:207]
	flat_load_dwordx2 v[204:205], v[204:205]
	s_waitcnt vmcnt(0) lgkmcnt(0)
	v_mul_f64 v[204:205], s[2:3], v[204:205]
	v_cvt_f32_f64_e32 v206, v[204:205]
.LBB106_27:
	v_add_f64 v[126:127], v[2:3], v[126:127]
	v_add_f64 v[128:129], v[4:5], v[128:129]
	;; [unrolled: 1-line block ×6, first 2 shown]
	v_add_co_u32 v202, vcc_lo, v202, v138
	v_add_co_ci_u32_e64 v203, null, v203, v139, vcc_lo
	s_mov_b32 s5, -1
	v_cvt_f32_f64_e32 v126, v[126:127]
	v_cvt_f32_f64_e32 v127, v[128:129]
	;; [unrolled: 1-line block ×4, first 2 shown]
	v_add_f64 v[122:123], v[66:67], v[114:115]
	v_add_f64 v[124:125], v[68:69], v[116:117]
	v_cvt_f32_f64_e32 v207, v[207:208]
	v_cvt_f32_f64_e32 v204, v[204:205]
	v_min3_f32 v126, v126, v127, v199
	v_add_nc_u32_e32 v199, 8, v201
	v_min_f32_e32 v127, v128, v129
	v_cvt_f32_f64_e32 v205, v[122:123]
	v_cvt_f32_f64_e32 v208, v[124:125]
	v_mad_i64_i32 v[122:123], null, v199, s7, 0
	v_min3_f32 v124, v206, v127, v126
	v_min3_f32 v126, v207, v204, v200
	v_cvt_f64_f32_e32 v[128:129], v124
	v_mad_i64_i32 v[124:125], null, v199, s6, 0
	v_lshlrev_b64 v[122:123], 3, v[122:123]
	v_lshlrev_b64 v[124:125], 3, v[124:125]
	v_add_co_u32 v122, vcc_lo, s1, v122
	v_add_co_ci_u32_e64 v123, null, s4, v123, vcc_lo
	v_min3_f32 v126, v205, v208, v126
	v_add_co_u32 v124, vcc_lo, s12, v124
	v_add_co_ci_u32_e64 v125, null, s13, v125, vcc_lo
	v_max_f32_e32 v127, v126, v126
	s_mov_b32 vcc_lo, s0
	flat_store_dwordx2 v[202:203], v[128:129]
	s_cbranch_vccz .LBB106_29
; %bb.28:
	v_min_f32_e32 v126, 0, v127
	v_add_co_u32 v199, vcc_lo, v122, v134
	v_add_co_ci_u32_e64 v200, null, v123, v135, vcc_lo
	v_cvt_f64_f32_e32 v[128:129], v126
	s_mov_b32 s5, 0
	flat_store_dwordx2 v[199:200], v[128:129]
.LBB106_29:
	v_mov_b32_e32 v126, 0
	s_andn2_b32 vcc_lo, exec_lo, s5
	s_cbranch_vccnz .LBB106_31
; %bb.30:
	v_add_co_u32 v128, vcc_lo, v124, v134
	v_add_co_ci_u32_e64 v129, null, v125, v135, vcc_lo
	flat_load_dwordx2 v[128:129], v[128:129]
	s_waitcnt vmcnt(0) lgkmcnt(0)
	v_mul_f64 v[128:129], s[2:3], v[128:129]
	v_cvt_f32_f64_e32 v126, v[128:129]
	v_add_co_u32 v128, vcc_lo, v122, v134
	v_add_co_ci_u32_e64 v129, null, v123, v135, vcc_lo
	v_add_co_u32 v199, vcc_lo, v124, v0
	v_add_co_ci_u32_e64 v200, null, v125, v1, vcc_lo
	v_min_f32_e32 v126, v126, v127
	v_cvt_f64_f32_e32 v[126:127], v126
	flat_store_dwordx2 v[128:129], v[126:127]
	flat_load_dwordx2 v[126:127], v[199:200]
	s_waitcnt vmcnt(0) lgkmcnt(0)
	v_mul_f64 v[126:127], s[2:3], v[126:127]
	v_cvt_f32_f64_e32 v126, v[126:127]
.LBB106_31:
	v_add_f64 v[127:128], v[62:63], v[118:119]
	v_add_f64 v[199:200], v[64:65], v[120:121]
	v_add_f64 v[202:203], v[58:59], v[114:115]
	v_add_f64 v[204:205], v[60:61], v[116:117]
	v_add_f64 v[206:207], v[56:57], v[120:121]
	v_add_f64 v[208:209], v[54:55], v[118:119]
	v_add_f64 v[210:211], v[50:51], v[114:115]
	s_mov_b32 s5, -1
	v_cvt_f32_f64_e32 v129, v[127:128]
	v_cvt_f32_f64_e32 v199, v[199:200]
	v_cvt_f32_f64_e32 v200, v[202:203]
	v_cvt_f32_f64_e32 v202, v[204:205]
	v_add_f64 v[127:128], v[52:53], v[116:117]
	v_cvt_f32_f64_e32 v203, v[208:209]
	v_cvt_f32_f64_e32 v204, v[206:207]
	v_cvt_f32_f64_e32 v205, v[210:211]
	v_min3_f32 v129, v129, v199, v197
	v_min_f32_e32 v197, v200, v202
	v_cvt_f32_f64_e32 v127, v[127:128]
	v_min3_f32 v126, v126, v197, v129
	v_add_co_u32 v197, vcc_lo, v122, v0
	v_cvt_f64_f32_e32 v[128:129], v126
	v_min3_f32 v126, v203, v204, v198
	v_add_co_ci_u32_e64 v198, null, v123, v1, vcc_lo
	s_mov_b32 vcc_lo, s0
	v_min3_f32 v126, v205, v127, v126
	v_max_f32_e32 v127, v126, v126
	flat_store_dwordx2 v[197:198], v[128:129]
	s_cbranch_vccz .LBB106_33
; %bb.32:
	v_min_f32_e32 v126, 0, v127
	v_add_co_u32 v197, vcc_lo, v122, v136
	v_add_co_ci_u32_e64 v198, null, v123, v137, vcc_lo
	v_cvt_f64_f32_e32 v[128:129], v126
	s_mov_b32 s5, 0
	flat_store_dwordx2 v[197:198], v[128:129]
.LBB106_33:
	v_mov_b32_e32 v126, 0
	s_andn2_b32 vcc_lo, exec_lo, s5
	s_cbranch_vccnz .LBB106_35
; %bb.34:
	v_add_co_u32 v128, vcc_lo, v124, v136
	v_add_co_ci_u32_e64 v129, null, v125, v137, vcc_lo
	flat_load_dwordx2 v[128:129], v[128:129]
	s_waitcnt vmcnt(0) lgkmcnt(0)
	v_mul_f64 v[128:129], s[2:3], v[128:129]
	v_cvt_f32_f64_e32 v126, v[128:129]
	v_add_co_u32 v128, vcc_lo, v122, v136
	v_add_co_ci_u32_e64 v129, null, v123, v137, vcc_lo
	v_add_co_u32 v197, vcc_lo, v124, v130
	v_add_co_ci_u32_e64 v198, null, v125, v131, vcc_lo
	v_min_f32_e32 v126, v126, v127
	v_cvt_f64_f32_e32 v[126:127], v126
	flat_store_dwordx2 v[128:129], v[126:127]
	flat_load_dwordx2 v[126:127], v[197:198]
	s_waitcnt vmcnt(0) lgkmcnt(0)
	v_mul_f64 v[126:127], s[2:3], v[126:127]
	v_cvt_f32_f64_e32 v126, v[126:127]
.LBB106_35:
	v_add_f64 v[127:128], v[46:47], v[118:119]
	v_add_f64 v[197:198], v[48:49], v[120:121]
	v_add_f64 v[199:200], v[42:43], v[114:115]
	v_add_f64 v[202:203], v[44:45], v[116:117]
	v_add_f64 v[204:205], v[40:41], v[120:121]
	v_add_f64 v[206:207], v[38:39], v[118:119]
	v_add_f64 v[208:209], v[34:35], v[114:115]
	s_mov_b32 s5, -1
	v_cvt_f32_f64_e32 v129, v[127:128]
	v_cvt_f32_f64_e32 v197, v[197:198]
	v_cvt_f32_f64_e32 v198, v[199:200]
	v_cvt_f32_f64_e32 v199, v[202:203]
	v_add_f64 v[127:128], v[36:37], v[116:117]
	v_cvt_f32_f64_e32 v200, v[206:207]
	v_cvt_f32_f64_e32 v202, v[204:205]
	v_cvt_f32_f64_e32 v203, v[208:209]
	v_min3_f32 v129, v129, v197, v195
	v_min_f32_e32 v195, v198, v199
	v_cvt_f32_f64_e32 v127, v[127:128]
	v_min3_f32 v126, v126, v195, v129
	v_add_co_u32 v195, vcc_lo, v122, v130
	v_cvt_f64_f32_e32 v[128:129], v126
	v_min3_f32 v126, v200, v202, v196
	v_add_co_ci_u32_e64 v196, null, v123, v131, vcc_lo
	s_mov_b32 vcc_lo, s0
	v_min3_f32 v126, v203, v127, v126
	v_max_f32_e32 v127, v126, v126
	;; [unrolled: 59-line block ×3, first 2 shown]
	flat_store_dwordx2 v[193:194], v[128:129]
	s_cbranch_vccz .LBB106_41
; %bb.40:
	v_min_f32_e32 v126, 0, v127
	v_add_co_u32 v193, vcc_lo, v122, v142
	v_add_co_ci_u32_e64 v194, null, v123, v143, vcc_lo
	v_cvt_f64_f32_e32 v[128:129], v126
	s_mov_b32 s5, 0
	flat_store_dwordx2 v[193:194], v[128:129]
.LBB106_41:
	v_mov_b32_e32 v126, 0
	s_andn2_b32 vcc_lo, exec_lo, s5
	s_cbranch_vccnz .LBB106_43
; %bb.42:
	v_add_co_u32 v128, vcc_lo, v124, v142
	v_add_co_ci_u32_e64 v129, null, v125, v143, vcc_lo
	flat_load_dwordx2 v[128:129], v[128:129]
	s_waitcnt vmcnt(0) lgkmcnt(0)
	v_mul_f64 v[128:129], s[2:3], v[128:129]
	v_cvt_f32_f64_e32 v126, v[128:129]
	v_add_co_u32 v128, vcc_lo, v122, v142
	v_add_co_ci_u32_e64 v129, null, v123, v143, vcc_lo
	v_add_co_u32 v124, vcc_lo, v124, v138
	v_add_co_ci_u32_e64 v125, null, v125, v139, vcc_lo
	v_min_f32_e32 v126, v126, v127
	v_cvt_f64_f32_e32 v[126:127], v126
	flat_store_dwordx2 v[128:129], v[126:127]
	flat_load_dwordx2 v[124:125], v[124:125]
	s_waitcnt vmcnt(0) lgkmcnt(0)
	v_mul_f64 v[124:125], s[2:3], v[124:125]
	v_cvt_f32_f64_e32 v126, v[124:125]
.LBB106_43:
	v_add_f64 v[118:119], v[2:3], v[118:119]
	v_add_f64 v[120:121], v[4:5], v[120:121]
	;; [unrolled: 1-line block ×6, first 2 shown]
	v_add_co_u32 v122, vcc_lo, v122, v138
	v_add_co_ci_u32_e64 v123, null, v123, v139, vcc_lo
	s_mov_b32 s5, -1
	v_cvt_f32_f64_e32 v118, v[118:119]
	v_cvt_f32_f64_e32 v119, v[120:121]
	;; [unrolled: 1-line block ×4, first 2 shown]
	v_add_f64 v[114:115], v[66:67], v[106:107]
	v_add_f64 v[116:117], v[68:69], v[108:109]
	v_cvt_f32_f64_e32 v127, v[127:128]
	v_cvt_f32_f64_e32 v124, v[124:125]
	v_add_nc_u32_e32 v125, 16, v201
	v_min3_f32 v118, v118, v119, v191
	v_min_f32_e32 v119, v120, v121
	v_cvt_f32_f64_e32 v128, v[114:115]
	v_cvt_f32_f64_e32 v129, v[116:117]
	v_mad_i64_i32 v[114:115], null, v125, s7, 0
	v_min3_f32 v116, v126, v119, v118
	v_min3_f32 v118, v127, v124, v192
	v_cvt_f64_f32_e32 v[120:121], v116
	v_mad_i64_i32 v[116:117], null, v125, s6, 0
	v_lshlrev_b64 v[114:115], 3, v[114:115]
	v_add_co_u32 v114, vcc_lo, s1, v114
	v_lshlrev_b64 v[116:117], 3, v[116:117]
	v_add_co_ci_u32_e64 v115, null, s4, v115, vcc_lo
	v_min3_f32 v118, v128, v129, v118
	v_add_co_u32 v116, vcc_lo, s12, v116
	v_add_co_ci_u32_e64 v117, null, s13, v117, vcc_lo
	v_max_f32_e32 v119, v118, v118
	s_mov_b32 vcc_lo, s0
	flat_store_dwordx2 v[122:123], v[120:121]
	s_cbranch_vccz .LBB106_45
; %bb.44:
	v_min_f32_e32 v118, 0, v119
	v_add_co_u32 v122, vcc_lo, v114, v134
	v_add_co_ci_u32_e64 v123, null, v115, v135, vcc_lo
	v_cvt_f64_f32_e32 v[120:121], v118
	s_mov_b32 s5, 0
	flat_store_dwordx2 v[122:123], v[120:121]
.LBB106_45:
	v_mov_b32_e32 v118, 0
	s_andn2_b32 vcc_lo, exec_lo, s5
	s_cbranch_vccnz .LBB106_47
; %bb.46:
	v_add_co_u32 v120, vcc_lo, v116, v134
	v_add_co_ci_u32_e64 v121, null, v117, v135, vcc_lo
	flat_load_dwordx2 v[120:121], v[120:121]
	s_waitcnt vmcnt(0) lgkmcnt(0)
	v_mul_f64 v[120:121], s[2:3], v[120:121]
	v_cvt_f32_f64_e32 v118, v[120:121]
	v_add_co_u32 v120, vcc_lo, v114, v134
	v_add_co_ci_u32_e64 v121, null, v115, v135, vcc_lo
	v_add_co_u32 v122, vcc_lo, v116, v0
	v_add_co_ci_u32_e64 v123, null, v117, v1, vcc_lo
	v_min_f32_e32 v118, v118, v119
	v_cvt_f64_f32_e32 v[118:119], v118
	flat_store_dwordx2 v[120:121], v[118:119]
	flat_load_dwordx2 v[118:119], v[122:123]
	s_waitcnt vmcnt(0) lgkmcnt(0)
	v_mul_f64 v[118:119], s[2:3], v[118:119]
	v_cvt_f32_f64_e32 v118, v[118:119]
.LBB106_47:
	v_add_f64 v[119:120], v[62:63], v[110:111]
	v_add_f64 v[121:122], v[64:65], v[112:113]
	v_add_f64 v[123:124], v[58:59], v[106:107]
	v_add_f64 v[125:126], v[60:61], v[108:109]
	v_add_f64 v[127:128], v[56:57], v[112:113]
	v_add_f64 v[191:192], v[54:55], v[110:111]
	v_add_f64 v[193:194], v[50:51], v[106:107]
	s_mov_b32 s5, -1
	v_cvt_f32_f64_e32 v129, v[119:120]
	v_cvt_f32_f64_e32 v121, v[121:122]
	v_cvt_f32_f64_e32 v122, v[123:124]
	v_cvt_f32_f64_e32 v123, v[125:126]
	v_add_f64 v[119:120], v[52:53], v[108:109]
	v_cvt_f32_f64_e32 v124, v[191:192]
	v_cvt_f32_f64_e32 v125, v[127:128]
	v_cvt_f32_f64_e32 v126, v[193:194]
	v_min3_f32 v121, v129, v121, v189
	v_min_f32_e32 v122, v122, v123
	v_cvt_f32_f64_e32 v119, v[119:120]
	v_min3_f32 v118, v118, v122, v121
	v_add_co_u32 v122, vcc_lo, v114, v0
	v_add_co_ci_u32_e64 v123, null, v115, v1, vcc_lo
	v_cvt_f64_f32_e32 v[120:121], v118
	v_min3_f32 v118, v124, v125, v190
	s_mov_b32 vcc_lo, s0
	v_min3_f32 v118, v126, v119, v118
	v_max_f32_e32 v119, v118, v118
	flat_store_dwordx2 v[122:123], v[120:121]
	s_cbranch_vccz .LBB106_49
; %bb.48:
	v_min_f32_e32 v118, 0, v119
	v_add_co_u32 v122, vcc_lo, v114, v136
	v_add_co_ci_u32_e64 v123, null, v115, v137, vcc_lo
	v_cvt_f64_f32_e32 v[120:121], v118
	s_mov_b32 s5, 0
	flat_store_dwordx2 v[122:123], v[120:121]
.LBB106_49:
	v_mov_b32_e32 v118, 0
	s_andn2_b32 vcc_lo, exec_lo, s5
	s_cbranch_vccnz .LBB106_51
; %bb.50:
	v_add_co_u32 v120, vcc_lo, v116, v136
	v_add_co_ci_u32_e64 v121, null, v117, v137, vcc_lo
	flat_load_dwordx2 v[120:121], v[120:121]
	s_waitcnt vmcnt(0) lgkmcnt(0)
	v_mul_f64 v[120:121], s[2:3], v[120:121]
	v_cvt_f32_f64_e32 v118, v[120:121]
	v_add_co_u32 v120, vcc_lo, v114, v136
	v_add_co_ci_u32_e64 v121, null, v115, v137, vcc_lo
	v_add_co_u32 v122, vcc_lo, v116, v130
	v_add_co_ci_u32_e64 v123, null, v117, v131, vcc_lo
	v_min_f32_e32 v118, v118, v119
	v_cvt_f64_f32_e32 v[118:119], v118
	flat_store_dwordx2 v[120:121], v[118:119]
	flat_load_dwordx2 v[118:119], v[122:123]
	s_waitcnt vmcnt(0) lgkmcnt(0)
	v_mul_f64 v[118:119], s[2:3], v[118:119]
	v_cvt_f32_f64_e32 v118, v[118:119]
.LBB106_51:
	v_add_f64 v[119:120], v[46:47], v[110:111]
	v_add_f64 v[121:122], v[48:49], v[112:113]
	v_add_f64 v[123:124], v[42:43], v[106:107]
	v_add_f64 v[125:126], v[44:45], v[108:109]
	v_add_f64 v[127:128], v[40:41], v[112:113]
	v_add_f64 v[189:190], v[38:39], v[110:111]
	v_add_f64 v[191:192], v[34:35], v[106:107]
	s_mov_b32 s5, -1
	v_cvt_f32_f64_e32 v129, v[119:120]
	v_cvt_f32_f64_e32 v121, v[121:122]
	v_cvt_f32_f64_e32 v122, v[123:124]
	v_cvt_f32_f64_e32 v123, v[125:126]
	v_add_f64 v[119:120], v[36:37], v[108:109]
	v_cvt_f32_f64_e32 v124, v[189:190]
	v_cvt_f32_f64_e32 v125, v[127:128]
	v_cvt_f32_f64_e32 v126, v[191:192]
	v_min3_f32 v121, v129, v121, v187
	v_min_f32_e32 v122, v122, v123
	v_cvt_f32_f64_e32 v119, v[119:120]
	v_min3_f32 v118, v118, v122, v121
	v_add_co_u32 v122, vcc_lo, v114, v130
	v_add_co_ci_u32_e64 v123, null, v115, v131, vcc_lo
	v_cvt_f64_f32_e32 v[120:121], v118
	v_min3_f32 v118, v124, v125, v188
	s_mov_b32 vcc_lo, s0
	v_min3_f32 v118, v126, v119, v118
	v_max_f32_e32 v119, v118, v118
	;; [unrolled: 59-line block ×3, first 2 shown]
	flat_store_dwordx2 v[122:123], v[120:121]
	s_cbranch_vccz .LBB106_57
; %bb.56:
	v_min_f32_e32 v118, 0, v119
	v_add_co_u32 v122, vcc_lo, v114, v142
	v_add_co_ci_u32_e64 v123, null, v115, v143, vcc_lo
	v_cvt_f64_f32_e32 v[120:121], v118
	s_mov_b32 s5, 0
	flat_store_dwordx2 v[122:123], v[120:121]
.LBB106_57:
	v_mov_b32_e32 v118, 0
	s_andn2_b32 vcc_lo, exec_lo, s5
	s_cbranch_vccnz .LBB106_59
; %bb.58:
	v_add_co_u32 v120, vcc_lo, v116, v142
	v_add_co_ci_u32_e64 v121, null, v117, v143, vcc_lo
	flat_load_dwordx2 v[120:121], v[120:121]
	s_waitcnt vmcnt(0) lgkmcnt(0)
	v_mul_f64 v[120:121], s[2:3], v[120:121]
	v_cvt_f32_f64_e32 v118, v[120:121]
	v_add_co_u32 v120, vcc_lo, v114, v142
	v_add_co_ci_u32_e64 v121, null, v115, v143, vcc_lo
	v_add_co_u32 v116, vcc_lo, v116, v138
	v_add_co_ci_u32_e64 v117, null, v117, v139, vcc_lo
	v_min_f32_e32 v118, v118, v119
	v_cvt_f64_f32_e32 v[118:119], v118
	flat_store_dwordx2 v[120:121], v[118:119]
	flat_load_dwordx2 v[116:117], v[116:117]
	s_waitcnt vmcnt(0) lgkmcnt(0)
	v_mul_f64 v[116:117], s[2:3], v[116:117]
	v_cvt_f32_f64_e32 v118, v[116:117]
.LBB106_59:
	v_add_f64 v[110:111], v[2:3], v[110:111]
	v_add_f64 v[112:113], v[4:5], v[112:113]
	;; [unrolled: 1-line block ×6, first 2 shown]
	v_add_co_u32 v114, vcc_lo, v114, v138
	v_add_co_ci_u32_e64 v115, null, v115, v139, vcc_lo
	s_mov_b32 s5, -1
	v_cvt_f32_f64_e32 v110, v[110:111]
	v_cvt_f32_f64_e32 v111, v[112:113]
	v_cvt_f32_f64_e32 v112, v[106:107]
	v_cvt_f32_f64_e32 v113, v[108:109]
	v_add_f64 v[106:107], v[66:67], v[98:99]
	v_add_f64 v[108:109], v[68:69], v[100:101]
	v_cvt_f32_f64_e32 v119, v[119:120]
	v_cvt_f32_f64_e32 v116, v[116:117]
	v_add_nc_u32_e32 v117, 24, v201
	v_min3_f32 v110, v110, v111, v183
	v_min_f32_e32 v111, v112, v113
	v_cvt_f32_f64_e32 v120, v[106:107]
	v_cvt_f32_f64_e32 v121, v[108:109]
	v_mad_i64_i32 v[106:107], null, v117, s7, 0
	v_min3_f32 v108, v118, v111, v110
	v_min3_f32 v110, v119, v116, v184
	v_cvt_f64_f32_e32 v[112:113], v108
	v_mad_i64_i32 v[108:109], null, v117, s6, 0
	v_lshlrev_b64 v[106:107], 3, v[106:107]
	v_add_co_u32 v106, vcc_lo, s1, v106
	v_lshlrev_b64 v[108:109], 3, v[108:109]
	v_add_co_ci_u32_e64 v107, null, s4, v107, vcc_lo
	v_min3_f32 v110, v120, v121, v110
	v_add_co_u32 v108, vcc_lo, s12, v108
	v_add_co_ci_u32_e64 v109, null, s13, v109, vcc_lo
	v_max_f32_e32 v111, v110, v110
	s_mov_b32 vcc_lo, s0
	flat_store_dwordx2 v[114:115], v[112:113]
	s_cbranch_vccz .LBB106_61
; %bb.60:
	v_min_f32_e32 v110, 0, v111
	v_add_co_u32 v114, vcc_lo, v106, v134
	v_add_co_ci_u32_e64 v115, null, v107, v135, vcc_lo
	v_cvt_f64_f32_e32 v[112:113], v110
	s_mov_b32 s5, 0
	flat_store_dwordx2 v[114:115], v[112:113]
.LBB106_61:
	v_mov_b32_e32 v110, 0
	s_andn2_b32 vcc_lo, exec_lo, s5
	s_cbranch_vccnz .LBB106_63
; %bb.62:
	v_add_co_u32 v112, vcc_lo, v108, v134
	v_add_co_ci_u32_e64 v113, null, v109, v135, vcc_lo
	flat_load_dwordx2 v[112:113], v[112:113]
	s_waitcnt vmcnt(0) lgkmcnt(0)
	v_mul_f64 v[112:113], s[2:3], v[112:113]
	v_cvt_f32_f64_e32 v110, v[112:113]
	v_add_co_u32 v112, vcc_lo, v106, v134
	v_add_co_ci_u32_e64 v113, null, v107, v135, vcc_lo
	v_add_co_u32 v114, vcc_lo, v108, v0
	v_add_co_ci_u32_e64 v115, null, v109, v1, vcc_lo
	v_min_f32_e32 v110, v110, v111
	v_cvt_f64_f32_e32 v[110:111], v110
	flat_store_dwordx2 v[112:113], v[110:111]
	flat_load_dwordx2 v[110:111], v[114:115]
	s_waitcnt vmcnt(0) lgkmcnt(0)
	v_mul_f64 v[110:111], s[2:3], v[110:111]
	v_cvt_f32_f64_e32 v110, v[110:111]
.LBB106_63:
	v_add_f64 v[111:112], v[62:63], v[102:103]
	v_add_f64 v[113:114], v[64:65], v[104:105]
	v_add_f64 v[115:116], v[58:59], v[98:99]
	v_add_f64 v[117:118], v[60:61], v[100:101]
	v_add_f64 v[119:120], v[56:57], v[104:105]
	v_add_f64 v[121:122], v[54:55], v[102:103]
	v_add_f64 v[123:124], v[50:51], v[98:99]
	s_mov_b32 s5, -1
	v_cvt_f32_f64_e32 v125, v[111:112]
	v_cvt_f32_f64_e32 v113, v[113:114]
	v_cvt_f32_f64_e32 v114, v[115:116]
	v_cvt_f32_f64_e32 v115, v[117:118]
	v_add_f64 v[111:112], v[52:53], v[100:101]
	v_cvt_f32_f64_e32 v116, v[121:122]
	v_cvt_f32_f64_e32 v117, v[119:120]
	v_cvt_f32_f64_e32 v118, v[123:124]
	v_min3_f32 v113, v125, v113, v181
	v_min_f32_e32 v114, v114, v115
	v_cvt_f32_f64_e32 v111, v[111:112]
	v_min3_f32 v110, v110, v114, v113
	v_add_co_u32 v114, vcc_lo, v106, v0
	v_add_co_ci_u32_e64 v115, null, v107, v1, vcc_lo
	v_cvt_f64_f32_e32 v[112:113], v110
	v_min3_f32 v110, v116, v117, v182
	s_mov_b32 vcc_lo, s0
	v_min3_f32 v110, v118, v111, v110
	v_max_f32_e32 v111, v110, v110
	flat_store_dwordx2 v[114:115], v[112:113]
	s_cbranch_vccz .LBB106_65
; %bb.64:
	v_min_f32_e32 v110, 0, v111
	v_add_co_u32 v114, vcc_lo, v106, v136
	v_add_co_ci_u32_e64 v115, null, v107, v137, vcc_lo
	v_cvt_f64_f32_e32 v[112:113], v110
	s_mov_b32 s5, 0
	flat_store_dwordx2 v[114:115], v[112:113]
.LBB106_65:
	v_mov_b32_e32 v110, 0
	s_andn2_b32 vcc_lo, exec_lo, s5
	s_cbranch_vccnz .LBB106_67
; %bb.66:
	v_add_co_u32 v112, vcc_lo, v108, v136
	v_add_co_ci_u32_e64 v113, null, v109, v137, vcc_lo
	flat_load_dwordx2 v[112:113], v[112:113]
	s_waitcnt vmcnt(0) lgkmcnt(0)
	v_mul_f64 v[112:113], s[2:3], v[112:113]
	v_cvt_f32_f64_e32 v110, v[112:113]
	v_add_co_u32 v112, vcc_lo, v106, v136
	v_add_co_ci_u32_e64 v113, null, v107, v137, vcc_lo
	v_add_co_u32 v114, vcc_lo, v108, v130
	v_add_co_ci_u32_e64 v115, null, v109, v131, vcc_lo
	v_min_f32_e32 v110, v110, v111
	v_cvt_f64_f32_e32 v[110:111], v110
	flat_store_dwordx2 v[112:113], v[110:111]
	flat_load_dwordx2 v[110:111], v[114:115]
	s_waitcnt vmcnt(0) lgkmcnt(0)
	v_mul_f64 v[110:111], s[2:3], v[110:111]
	v_cvt_f32_f64_e32 v110, v[110:111]
.LBB106_67:
	v_add_f64 v[111:112], v[46:47], v[102:103]
	v_add_f64 v[113:114], v[48:49], v[104:105]
	v_add_f64 v[115:116], v[42:43], v[98:99]
	v_add_f64 v[117:118], v[44:45], v[100:101]
	v_add_f64 v[119:120], v[40:41], v[104:105]
	v_add_f64 v[121:122], v[38:39], v[102:103]
	v_add_f64 v[123:124], v[34:35], v[98:99]
	s_mov_b32 s5, -1
	v_cvt_f32_f64_e32 v125, v[111:112]
	v_cvt_f32_f64_e32 v113, v[113:114]
	v_cvt_f32_f64_e32 v114, v[115:116]
	v_cvt_f32_f64_e32 v115, v[117:118]
	v_add_f64 v[111:112], v[36:37], v[100:101]
	v_cvt_f32_f64_e32 v116, v[121:122]
	v_cvt_f32_f64_e32 v117, v[119:120]
	v_cvt_f32_f64_e32 v118, v[123:124]
	v_min3_f32 v113, v125, v113, v179
	v_min_f32_e32 v114, v114, v115
	v_cvt_f32_f64_e32 v111, v[111:112]
	v_min3_f32 v110, v110, v114, v113
	v_add_co_u32 v114, vcc_lo, v106, v130
	v_add_co_ci_u32_e64 v115, null, v107, v131, vcc_lo
	v_cvt_f64_f32_e32 v[112:113], v110
	v_min3_f32 v110, v116, v117, v180
	s_mov_b32 vcc_lo, s0
	v_min3_f32 v110, v118, v111, v110
	v_max_f32_e32 v111, v110, v110
	;; [unrolled: 59-line block ×3, first 2 shown]
	flat_store_dwordx2 v[114:115], v[112:113]
	s_cbranch_vccz .LBB106_73
; %bb.72:
	v_min_f32_e32 v110, 0, v111
	v_add_co_u32 v114, vcc_lo, v106, v142
	v_add_co_ci_u32_e64 v115, null, v107, v143, vcc_lo
	v_cvt_f64_f32_e32 v[112:113], v110
	s_mov_b32 s5, 0
	flat_store_dwordx2 v[114:115], v[112:113]
.LBB106_73:
	v_mov_b32_e32 v110, 0
	s_andn2_b32 vcc_lo, exec_lo, s5
	s_cbranch_vccnz .LBB106_75
; %bb.74:
	v_add_co_u32 v112, vcc_lo, v108, v142
	v_add_co_ci_u32_e64 v113, null, v109, v143, vcc_lo
	flat_load_dwordx2 v[112:113], v[112:113]
	s_waitcnt vmcnt(0) lgkmcnt(0)
	v_mul_f64 v[112:113], s[2:3], v[112:113]
	v_cvt_f32_f64_e32 v110, v[112:113]
	v_add_co_u32 v112, vcc_lo, v106, v142
	v_add_co_ci_u32_e64 v113, null, v107, v143, vcc_lo
	v_add_co_u32 v108, vcc_lo, v108, v138
	v_add_co_ci_u32_e64 v109, null, v109, v139, vcc_lo
	v_min_f32_e32 v110, v110, v111
	v_cvt_f64_f32_e32 v[110:111], v110
	flat_store_dwordx2 v[112:113], v[110:111]
	flat_load_dwordx2 v[108:109], v[108:109]
	s_waitcnt vmcnt(0) lgkmcnt(0)
	v_mul_f64 v[108:109], s[2:3], v[108:109]
	v_cvt_f32_f64_e32 v110, v[108:109]
.LBB106_75:
	v_add_f64 v[102:103], v[2:3], v[102:103]
	v_add_f64 v[104:105], v[4:5], v[104:105]
	;; [unrolled: 1-line block ×6, first 2 shown]
	v_add_co_u32 v106, vcc_lo, v106, v138
	v_add_co_ci_u32_e64 v107, null, v107, v139, vcc_lo
	s_mov_b32 s5, -1
	v_cvt_f32_f64_e32 v102, v[102:103]
	v_cvt_f32_f64_e32 v103, v[104:105]
	v_cvt_f32_f64_e32 v104, v[98:99]
	v_cvt_f32_f64_e32 v105, v[100:101]
	v_add_f64 v[98:99], v[66:67], v[90:91]
	v_add_f64 v[100:101], v[68:69], v[92:93]
	v_cvt_f32_f64_e32 v111, v[111:112]
	v_cvt_f32_f64_e32 v108, v[108:109]
	v_add_nc_u32_e32 v109, 32, v201
	v_min3_f32 v102, v102, v103, v175
	v_min_f32_e32 v103, v104, v105
	v_cvt_f32_f64_e32 v112, v[98:99]
	v_cvt_f32_f64_e32 v113, v[100:101]
	v_mad_i64_i32 v[98:99], null, v109, s7, 0
	v_min3_f32 v100, v110, v103, v102
	v_min3_f32 v102, v111, v108, v176
	v_cvt_f64_f32_e32 v[104:105], v100
	v_mad_i64_i32 v[100:101], null, v109, s6, 0
	v_lshlrev_b64 v[98:99], 3, v[98:99]
	v_add_co_u32 v98, vcc_lo, s1, v98
	v_lshlrev_b64 v[100:101], 3, v[100:101]
	v_add_co_ci_u32_e64 v99, null, s4, v99, vcc_lo
	v_min3_f32 v102, v112, v113, v102
	v_add_co_u32 v100, vcc_lo, s12, v100
	v_add_co_ci_u32_e64 v101, null, s13, v101, vcc_lo
	v_max_f32_e32 v103, v102, v102
	s_mov_b32 vcc_lo, s0
	flat_store_dwordx2 v[106:107], v[104:105]
	s_cbranch_vccz .LBB106_77
; %bb.76:
	v_min_f32_e32 v102, 0, v103
	v_add_co_u32 v106, vcc_lo, v98, v134
	v_add_co_ci_u32_e64 v107, null, v99, v135, vcc_lo
	v_cvt_f64_f32_e32 v[104:105], v102
	s_mov_b32 s5, 0
	flat_store_dwordx2 v[106:107], v[104:105]
.LBB106_77:
	v_mov_b32_e32 v102, 0
	s_andn2_b32 vcc_lo, exec_lo, s5
	s_cbranch_vccnz .LBB106_79
; %bb.78:
	v_add_co_u32 v104, vcc_lo, v100, v134
	v_add_co_ci_u32_e64 v105, null, v101, v135, vcc_lo
	flat_load_dwordx2 v[104:105], v[104:105]
	s_waitcnt vmcnt(0) lgkmcnt(0)
	v_mul_f64 v[104:105], s[2:3], v[104:105]
	v_cvt_f32_f64_e32 v102, v[104:105]
	v_add_co_u32 v104, vcc_lo, v98, v134
	v_add_co_ci_u32_e64 v105, null, v99, v135, vcc_lo
	v_add_co_u32 v106, vcc_lo, v100, v0
	v_add_co_ci_u32_e64 v107, null, v101, v1, vcc_lo
	v_min_f32_e32 v102, v102, v103
	v_cvt_f64_f32_e32 v[102:103], v102
	flat_store_dwordx2 v[104:105], v[102:103]
	flat_load_dwordx2 v[102:103], v[106:107]
	s_waitcnt vmcnt(0) lgkmcnt(0)
	v_mul_f64 v[102:103], s[2:3], v[102:103]
	v_cvt_f32_f64_e32 v102, v[102:103]
.LBB106_79:
	v_add_f64 v[103:104], v[62:63], v[94:95]
	v_add_f64 v[105:106], v[64:65], v[96:97]
	v_add_f64 v[107:108], v[58:59], v[90:91]
	v_add_f64 v[109:110], v[60:61], v[92:93]
	v_add_f64 v[111:112], v[56:57], v[96:97]
	v_add_f64 v[113:114], v[54:55], v[94:95]
	v_add_f64 v[115:116], v[50:51], v[90:91]
	s_mov_b32 s5, -1
	v_cvt_f32_f64_e32 v117, v[103:104]
	v_cvt_f32_f64_e32 v105, v[105:106]
	v_cvt_f32_f64_e32 v106, v[107:108]
	v_cvt_f32_f64_e32 v107, v[109:110]
	v_add_f64 v[103:104], v[52:53], v[92:93]
	v_cvt_f32_f64_e32 v108, v[113:114]
	v_cvt_f32_f64_e32 v109, v[111:112]
	v_cvt_f32_f64_e32 v110, v[115:116]
	v_min3_f32 v105, v117, v105, v173
	v_min_f32_e32 v106, v106, v107
	v_cvt_f32_f64_e32 v103, v[103:104]
	v_min3_f32 v102, v102, v106, v105
	v_add_co_u32 v106, vcc_lo, v98, v0
	v_add_co_ci_u32_e64 v107, null, v99, v1, vcc_lo
	v_cvt_f64_f32_e32 v[104:105], v102
	v_min3_f32 v102, v108, v109, v174
	s_mov_b32 vcc_lo, s0
	v_min3_f32 v102, v110, v103, v102
	v_max_f32_e32 v103, v102, v102
	flat_store_dwordx2 v[106:107], v[104:105]
	s_cbranch_vccz .LBB106_81
; %bb.80:
	v_min_f32_e32 v102, 0, v103
	v_add_co_u32 v106, vcc_lo, v98, v136
	v_add_co_ci_u32_e64 v107, null, v99, v137, vcc_lo
	v_cvt_f64_f32_e32 v[104:105], v102
	s_mov_b32 s5, 0
	flat_store_dwordx2 v[106:107], v[104:105]
.LBB106_81:
	v_mov_b32_e32 v102, 0
	s_andn2_b32 vcc_lo, exec_lo, s5
	s_cbranch_vccnz .LBB106_83
; %bb.82:
	v_add_co_u32 v104, vcc_lo, v100, v136
	v_add_co_ci_u32_e64 v105, null, v101, v137, vcc_lo
	flat_load_dwordx2 v[104:105], v[104:105]
	s_waitcnt vmcnt(0) lgkmcnt(0)
	v_mul_f64 v[104:105], s[2:3], v[104:105]
	v_cvt_f32_f64_e32 v102, v[104:105]
	v_add_co_u32 v104, vcc_lo, v98, v136
	v_add_co_ci_u32_e64 v105, null, v99, v137, vcc_lo
	v_add_co_u32 v106, vcc_lo, v100, v130
	v_add_co_ci_u32_e64 v107, null, v101, v131, vcc_lo
	v_min_f32_e32 v102, v102, v103
	v_cvt_f64_f32_e32 v[102:103], v102
	flat_store_dwordx2 v[104:105], v[102:103]
	flat_load_dwordx2 v[102:103], v[106:107]
	s_waitcnt vmcnt(0) lgkmcnt(0)
	v_mul_f64 v[102:103], s[2:3], v[102:103]
	v_cvt_f32_f64_e32 v102, v[102:103]
.LBB106_83:
	v_add_f64 v[103:104], v[46:47], v[94:95]
	v_add_f64 v[105:106], v[48:49], v[96:97]
	v_add_f64 v[107:108], v[42:43], v[90:91]
	v_add_f64 v[109:110], v[44:45], v[92:93]
	v_add_f64 v[111:112], v[40:41], v[96:97]
	v_add_f64 v[113:114], v[38:39], v[94:95]
	v_add_f64 v[115:116], v[34:35], v[90:91]
	s_mov_b32 s5, -1
	v_cvt_f32_f64_e32 v117, v[103:104]
	v_cvt_f32_f64_e32 v105, v[105:106]
	v_cvt_f32_f64_e32 v106, v[107:108]
	v_cvt_f32_f64_e32 v107, v[109:110]
	v_add_f64 v[103:104], v[36:37], v[92:93]
	v_cvt_f32_f64_e32 v108, v[113:114]
	v_cvt_f32_f64_e32 v109, v[111:112]
	v_cvt_f32_f64_e32 v110, v[115:116]
	v_min3_f32 v105, v117, v105, v171
	v_min_f32_e32 v106, v106, v107
	v_cvt_f32_f64_e32 v103, v[103:104]
	v_min3_f32 v102, v102, v106, v105
	v_add_co_u32 v106, vcc_lo, v98, v130
	v_add_co_ci_u32_e64 v107, null, v99, v131, vcc_lo
	v_cvt_f64_f32_e32 v[104:105], v102
	v_min3_f32 v102, v108, v109, v172
	s_mov_b32 vcc_lo, s0
	v_min3_f32 v102, v110, v103, v102
	v_max_f32_e32 v103, v102, v102
	flat_store_dwordx2 v[106:107], v[104:105]
	s_cbranch_vccz .LBB106_85
; %bb.84:
	v_min_f32_e32 v102, 0, v103
	v_add_co_u32 v106, vcc_lo, v98, v140
	v_add_co_ci_u32_e64 v107, null, v99, v141, vcc_lo
	v_cvt_f64_f32_e32 v[104:105], v102
	s_mov_b32 s5, 0
	flat_store_dwordx2 v[106:107], v[104:105]
.LBB106_85:
	v_mov_b32_e32 v102, 0
	s_andn2_b32 vcc_lo, exec_lo, s5
	s_cbranch_vccnz .LBB106_87
; %bb.86:
	v_add_co_u32 v104, vcc_lo, v100, v140
	v_add_co_ci_u32_e64 v105, null, v101, v141, vcc_lo
	flat_load_dwordx2 v[104:105], v[104:105]
	s_waitcnt vmcnt(0) lgkmcnt(0)
	v_mul_f64 v[104:105], s[2:3], v[104:105]
	v_cvt_f32_f64_e32 v102, v[104:105]
	v_add_co_u32 v104, vcc_lo, v98, v140
	v_add_co_ci_u32_e64 v105, null, v99, v141, vcc_lo
	v_add_co_u32 v106, vcc_lo, v100, v132
	v_add_co_ci_u32_e64 v107, null, v101, v133, vcc_lo
	v_min_f32_e32 v102, v102, v103
	v_cvt_f64_f32_e32 v[102:103], v102
	flat_store_dwordx2 v[104:105], v[102:103]
	flat_load_dwordx2 v[102:103], v[106:107]
	s_waitcnt vmcnt(0) lgkmcnt(0)
	v_mul_f64 v[102:103], s[2:3], v[102:103]
	v_cvt_f32_f64_e32 v102, v[102:103]
.LBB106_87:
	v_add_f64 v[103:104], v[30:31], v[94:95]
	v_add_f64 v[105:106], v[32:33], v[96:97]
	v_add_f64 v[107:108], v[26:27], v[90:91]
	v_add_f64 v[109:110], v[28:29], v[92:93]
	v_add_f64 v[111:112], v[24:25], v[96:97]
	v_add_f64 v[113:114], v[22:23], v[94:95]
	v_add_f64 v[115:116], v[18:19], v[90:91]
	s_mov_b32 s5, -1
	v_cvt_f32_f64_e32 v117, v[103:104]
	v_cvt_f32_f64_e32 v105, v[105:106]
	v_cvt_f32_f64_e32 v106, v[107:108]
	v_cvt_f32_f64_e32 v107, v[109:110]
	v_add_f64 v[103:104], v[20:21], v[92:93]
	v_cvt_f32_f64_e32 v108, v[113:114]
	v_cvt_f32_f64_e32 v109, v[111:112]
	v_cvt_f32_f64_e32 v110, v[115:116]
	v_min3_f32 v105, v117, v105, v169
	v_min_f32_e32 v106, v106, v107
	v_cvt_f32_f64_e32 v103, v[103:104]
	v_min3_f32 v102, v102, v106, v105
	v_add_co_u32 v106, vcc_lo, v98, v132
	v_add_co_ci_u32_e64 v107, null, v99, v133, vcc_lo
	v_cvt_f64_f32_e32 v[104:105], v102
	v_min3_f32 v102, v108, v109, v170
	s_mov_b32 vcc_lo, s0
	v_min3_f32 v102, v110, v103, v102
	v_max_f32_e32 v103, v102, v102
	flat_store_dwordx2 v[106:107], v[104:105]
	s_cbranch_vccz .LBB106_89
; %bb.88:
	v_min_f32_e32 v102, 0, v103
	v_add_co_u32 v106, vcc_lo, v98, v142
	v_add_co_ci_u32_e64 v107, null, v99, v143, vcc_lo
	v_cvt_f64_f32_e32 v[104:105], v102
	s_mov_b32 s5, 0
	flat_store_dwordx2 v[106:107], v[104:105]
.LBB106_89:
	v_mov_b32_e32 v102, 0
	s_andn2_b32 vcc_lo, exec_lo, s5
	s_cbranch_vccnz .LBB106_91
; %bb.90:
	v_add_co_u32 v104, vcc_lo, v100, v142
	v_add_co_ci_u32_e64 v105, null, v101, v143, vcc_lo
	flat_load_dwordx2 v[104:105], v[104:105]
	s_waitcnt vmcnt(0) lgkmcnt(0)
	v_mul_f64 v[104:105], s[2:3], v[104:105]
	v_cvt_f32_f64_e32 v102, v[104:105]
	v_add_co_u32 v104, vcc_lo, v98, v142
	v_add_co_ci_u32_e64 v105, null, v99, v143, vcc_lo
	v_add_co_u32 v100, vcc_lo, v100, v138
	v_add_co_ci_u32_e64 v101, null, v101, v139, vcc_lo
	v_min_f32_e32 v102, v102, v103
	v_cvt_f64_f32_e32 v[102:103], v102
	flat_store_dwordx2 v[104:105], v[102:103]
	flat_load_dwordx2 v[100:101], v[100:101]
	s_waitcnt vmcnt(0) lgkmcnt(0)
	v_mul_f64 v[100:101], s[2:3], v[100:101]
	v_cvt_f32_f64_e32 v102, v[100:101]
.LBB106_91:
	v_add_f64 v[94:95], v[2:3], v[94:95]
	v_add_f64 v[96:97], v[4:5], v[96:97]
	;; [unrolled: 1-line block ×6, first 2 shown]
	v_add_co_u32 v98, vcc_lo, v98, v138
	v_add_co_ci_u32_e64 v99, null, v99, v139, vcc_lo
	s_mov_b32 s5, -1
	v_cvt_f32_f64_e32 v94, v[94:95]
	v_cvt_f32_f64_e32 v95, v[96:97]
	;; [unrolled: 1-line block ×4, first 2 shown]
	v_add_f64 v[90:91], v[66:67], v[82:83]
	v_add_f64 v[92:93], v[68:69], v[84:85]
	v_cvt_f32_f64_e32 v103, v[103:104]
	v_cvt_f32_f64_e32 v100, v[100:101]
	v_add_nc_u32_e32 v101, 40, v201
	v_min3_f32 v94, v94, v95, v167
	v_min_f32_e32 v95, v96, v97
	v_cvt_f32_f64_e32 v104, v[90:91]
	v_cvt_f32_f64_e32 v105, v[92:93]
	v_mad_i64_i32 v[90:91], null, v101, s7, 0
	v_min3_f32 v92, v102, v95, v94
	v_min3_f32 v94, v103, v100, v168
	v_cvt_f64_f32_e32 v[96:97], v92
	v_mad_i64_i32 v[92:93], null, v101, s6, 0
	v_lshlrev_b64 v[90:91], 3, v[90:91]
	v_add_co_u32 v90, vcc_lo, s1, v90
	v_lshlrev_b64 v[92:93], 3, v[92:93]
	v_add_co_ci_u32_e64 v91, null, s4, v91, vcc_lo
	v_min3_f32 v94, v104, v105, v94
	v_add_co_u32 v92, vcc_lo, s12, v92
	v_add_co_ci_u32_e64 v93, null, s13, v93, vcc_lo
	v_max_f32_e32 v95, v94, v94
	s_mov_b32 vcc_lo, s0
	flat_store_dwordx2 v[98:99], v[96:97]
	s_cbranch_vccz .LBB106_93
; %bb.92:
	v_min_f32_e32 v94, 0, v95
	v_add_co_u32 v98, vcc_lo, v90, v134
	v_add_co_ci_u32_e64 v99, null, v91, v135, vcc_lo
	v_cvt_f64_f32_e32 v[96:97], v94
	s_mov_b32 s5, 0
	flat_store_dwordx2 v[98:99], v[96:97]
.LBB106_93:
	v_mov_b32_e32 v94, 0
	s_andn2_b32 vcc_lo, exec_lo, s5
	s_cbranch_vccnz .LBB106_95
; %bb.94:
	v_add_co_u32 v96, vcc_lo, v92, v134
	v_add_co_ci_u32_e64 v97, null, v93, v135, vcc_lo
	flat_load_dwordx2 v[96:97], v[96:97]
	s_waitcnt vmcnt(0) lgkmcnt(0)
	v_mul_f64 v[96:97], s[2:3], v[96:97]
	v_cvt_f32_f64_e32 v94, v[96:97]
	v_add_co_u32 v96, vcc_lo, v90, v134
	v_add_co_ci_u32_e64 v97, null, v91, v135, vcc_lo
	v_add_co_u32 v98, vcc_lo, v92, v0
	v_add_co_ci_u32_e64 v99, null, v93, v1, vcc_lo
	v_min_f32_e32 v94, v94, v95
	v_cvt_f64_f32_e32 v[94:95], v94
	flat_store_dwordx2 v[96:97], v[94:95]
	flat_load_dwordx2 v[94:95], v[98:99]
	s_waitcnt vmcnt(0) lgkmcnt(0)
	v_mul_f64 v[94:95], s[2:3], v[94:95]
	v_cvt_f32_f64_e32 v94, v[94:95]
.LBB106_95:
	v_add_f64 v[95:96], v[62:63], v[86:87]
	v_add_f64 v[97:98], v[64:65], v[88:89]
	v_add_f64 v[99:100], v[58:59], v[82:83]
	v_add_f64 v[101:102], v[60:61], v[84:85]
	v_add_f64 v[103:104], v[56:57], v[88:89]
	v_add_f64 v[105:106], v[54:55], v[86:87]
	v_add_f64 v[107:108], v[50:51], v[82:83]
	s_mov_b32 s5, -1
	v_cvt_f32_f64_e32 v109, v[95:96]
	v_cvt_f32_f64_e32 v97, v[97:98]
	v_cvt_f32_f64_e32 v98, v[99:100]
	v_cvt_f32_f64_e32 v99, v[101:102]
	v_add_f64 v[95:96], v[52:53], v[84:85]
	v_cvt_f32_f64_e32 v100, v[105:106]
	v_cvt_f32_f64_e32 v101, v[103:104]
	v_cvt_f32_f64_e32 v102, v[107:108]
	v_min3_f32 v97, v109, v97, v165
	v_min_f32_e32 v98, v98, v99
	v_cvt_f32_f64_e32 v95, v[95:96]
	v_min3_f32 v94, v94, v98, v97
	v_add_co_u32 v98, vcc_lo, v90, v0
	v_add_co_ci_u32_e64 v99, null, v91, v1, vcc_lo
	v_cvt_f64_f32_e32 v[96:97], v94
	v_min3_f32 v94, v100, v101, v166
	s_mov_b32 vcc_lo, s0
	v_min3_f32 v94, v102, v95, v94
	v_max_f32_e32 v95, v94, v94
	flat_store_dwordx2 v[98:99], v[96:97]
	s_cbranch_vccz .LBB106_97
; %bb.96:
	v_min_f32_e32 v94, 0, v95
	v_add_co_u32 v98, vcc_lo, v90, v136
	v_add_co_ci_u32_e64 v99, null, v91, v137, vcc_lo
	v_cvt_f64_f32_e32 v[96:97], v94
	s_mov_b32 s5, 0
	flat_store_dwordx2 v[98:99], v[96:97]
.LBB106_97:
	v_mov_b32_e32 v94, 0
	s_andn2_b32 vcc_lo, exec_lo, s5
	s_cbranch_vccnz .LBB106_99
; %bb.98:
	v_add_co_u32 v96, vcc_lo, v92, v136
	v_add_co_ci_u32_e64 v97, null, v93, v137, vcc_lo
	flat_load_dwordx2 v[96:97], v[96:97]
	s_waitcnt vmcnt(0) lgkmcnt(0)
	v_mul_f64 v[96:97], s[2:3], v[96:97]
	v_cvt_f32_f64_e32 v94, v[96:97]
	v_add_co_u32 v96, vcc_lo, v90, v136
	v_add_co_ci_u32_e64 v97, null, v91, v137, vcc_lo
	v_add_co_u32 v98, vcc_lo, v92, v130
	v_add_co_ci_u32_e64 v99, null, v93, v131, vcc_lo
	v_min_f32_e32 v94, v94, v95
	v_cvt_f64_f32_e32 v[94:95], v94
	flat_store_dwordx2 v[96:97], v[94:95]
	flat_load_dwordx2 v[94:95], v[98:99]
	s_waitcnt vmcnt(0) lgkmcnt(0)
	v_mul_f64 v[94:95], s[2:3], v[94:95]
	v_cvt_f32_f64_e32 v94, v[94:95]
.LBB106_99:
	v_add_f64 v[95:96], v[46:47], v[86:87]
	v_add_f64 v[97:98], v[48:49], v[88:89]
	v_add_f64 v[99:100], v[42:43], v[82:83]
	v_add_f64 v[101:102], v[44:45], v[84:85]
	v_add_f64 v[103:104], v[40:41], v[88:89]
	v_add_f64 v[105:106], v[38:39], v[86:87]
	v_add_f64 v[107:108], v[34:35], v[82:83]
	s_mov_b32 s5, -1
	v_cvt_f32_f64_e32 v109, v[95:96]
	v_cvt_f32_f64_e32 v97, v[97:98]
	v_cvt_f32_f64_e32 v98, v[99:100]
	v_cvt_f32_f64_e32 v99, v[101:102]
	v_add_f64 v[95:96], v[36:37], v[84:85]
	v_cvt_f32_f64_e32 v100, v[105:106]
	v_cvt_f32_f64_e32 v101, v[103:104]
	v_cvt_f32_f64_e32 v102, v[107:108]
	v_min3_f32 v97, v109, v97, v163
	v_min_f32_e32 v98, v98, v99
	v_cvt_f32_f64_e32 v95, v[95:96]
	v_min3_f32 v94, v94, v98, v97
	v_add_co_u32 v98, vcc_lo, v90, v130
	v_add_co_ci_u32_e64 v99, null, v91, v131, vcc_lo
	v_cvt_f64_f32_e32 v[96:97], v94
	v_min3_f32 v94, v100, v101, v164
	s_mov_b32 vcc_lo, s0
	v_min3_f32 v94, v102, v95, v94
	v_max_f32_e32 v95, v94, v94
	;; [unrolled: 59-line block ×3, first 2 shown]
	flat_store_dwordx2 v[98:99], v[96:97]
	s_cbranch_vccz .LBB106_105
; %bb.104:
	v_min_f32_e32 v94, 0, v95
	v_add_co_u32 v98, vcc_lo, v90, v142
	v_add_co_ci_u32_e64 v99, null, v91, v143, vcc_lo
	v_cvt_f64_f32_e32 v[96:97], v94
	s_mov_b32 s5, 0
	flat_store_dwordx2 v[98:99], v[96:97]
.LBB106_105:
	v_mov_b32_e32 v94, 0
	s_andn2_b32 vcc_lo, exec_lo, s5
	s_cbranch_vccnz .LBB106_107
; %bb.106:
	v_add_co_u32 v96, vcc_lo, v92, v142
	v_add_co_ci_u32_e64 v97, null, v93, v143, vcc_lo
	flat_load_dwordx2 v[96:97], v[96:97]
	s_waitcnt vmcnt(0) lgkmcnt(0)
	v_mul_f64 v[96:97], s[2:3], v[96:97]
	v_cvt_f32_f64_e32 v94, v[96:97]
	v_add_co_u32 v96, vcc_lo, v90, v142
	v_add_co_ci_u32_e64 v97, null, v91, v143, vcc_lo
	v_add_co_u32 v92, vcc_lo, v92, v138
	v_add_co_ci_u32_e64 v93, null, v93, v139, vcc_lo
	v_min_f32_e32 v94, v94, v95
	v_cvt_f64_f32_e32 v[94:95], v94
	flat_store_dwordx2 v[96:97], v[94:95]
	flat_load_dwordx2 v[92:93], v[92:93]
	s_waitcnt vmcnt(0) lgkmcnt(0)
	v_mul_f64 v[92:93], s[2:3], v[92:93]
	v_cvt_f32_f64_e32 v94, v[92:93]
.LBB106_107:
	v_add_f64 v[86:87], v[2:3], v[86:87]
	v_add_f64 v[88:89], v[4:5], v[88:89]
	;; [unrolled: 1-line block ×4, first 2 shown]
	s_waitcnt lgkmcnt(26)
	v_add_f64 v[92:93], v[72:73], v[80:81]
	v_add_f64 v[95:96], v[70:71], v[78:79]
	v_add_co_u32 v90, vcc_lo, v90, v138
	v_add_co_ci_u32_e64 v91, null, v91, v139, vcc_lo
	s_mov_b32 s5, -1
	v_cvt_f32_f64_e32 v86, v[86:87]
	v_cvt_f32_f64_e32 v87, v[88:89]
	;; [unrolled: 1-line block ×4, first 2 shown]
	s_waitcnt lgkmcnt(25)
	v_add_f64 v[82:83], v[66:67], v[74:75]
	v_add_f64 v[84:85], v[68:69], v[76:77]
	v_cvt_f32_f64_e32 v95, v[95:96]
	v_cvt_f32_f64_e32 v92, v[92:93]
	v_add_nc_u32_e32 v93, 48, v201
	v_min3_f32 v86, v86, v87, v159
	v_min_f32_e32 v87, v88, v89
	v_cvt_f32_f64_e32 v96, v[82:83]
	v_cvt_f32_f64_e32 v97, v[84:85]
	v_mad_i64_i32 v[82:83], null, v93, s7, 0
	v_min3_f32 v84, v94, v87, v86
	v_min3_f32 v86, v95, v92, v160
	v_cvt_f64_f32_e32 v[88:89], v84
	v_mad_i64_i32 v[84:85], null, v93, s6, 0
	v_lshlrev_b64 v[82:83], 3, v[82:83]
	v_add_co_u32 v82, vcc_lo, s1, v82
	v_lshlrev_b64 v[84:85], 3, v[84:85]
	v_add_co_ci_u32_e64 v83, null, s4, v83, vcc_lo
	v_min3_f32 v86, v96, v97, v86
	v_add_co_u32 v84, vcc_lo, s12, v84
	v_add_co_ci_u32_e64 v85, null, s13, v85, vcc_lo
	v_max_f32_e32 v87, v86, v86
	s_mov_b32 vcc_lo, s0
	flat_store_dwordx2 v[90:91], v[88:89]
	s_cbranch_vccz .LBB106_109
; %bb.108:
	v_min_f32_e32 v86, 0, v87
	v_add_co_u32 v90, vcc_lo, v82, v134
	v_add_co_ci_u32_e64 v91, null, v83, v135, vcc_lo
	v_cvt_f64_f32_e32 v[88:89], v86
	s_mov_b32 s5, 0
	flat_store_dwordx2 v[90:91], v[88:89]
.LBB106_109:
	v_mov_b32_e32 v86, 0
	s_andn2_b32 vcc_lo, exec_lo, s5
	s_cbranch_vccnz .LBB106_111
; %bb.110:
	v_add_co_u32 v88, vcc_lo, v84, v134
	v_add_co_ci_u32_e64 v89, null, v85, v135, vcc_lo
	flat_load_dwordx2 v[88:89], v[88:89]
	s_waitcnt vmcnt(0) lgkmcnt(0)
	v_mul_f64 v[88:89], s[2:3], v[88:89]
	v_cvt_f32_f64_e32 v86, v[88:89]
	v_add_co_u32 v88, vcc_lo, v82, v134
	v_add_co_ci_u32_e64 v89, null, v83, v135, vcc_lo
	v_add_co_u32 v90, vcc_lo, v84, v0
	v_add_co_ci_u32_e64 v91, null, v85, v1, vcc_lo
	v_min_f32_e32 v86, v86, v87
	v_cvt_f64_f32_e32 v[86:87], v86
	flat_store_dwordx2 v[88:89], v[86:87]
	flat_load_dwordx2 v[86:87], v[90:91]
	s_waitcnt vmcnt(0) lgkmcnt(0)
	v_mul_f64 v[86:87], s[2:3], v[86:87]
	v_cvt_f32_f64_e32 v86, v[86:87]
.LBB106_111:
	v_add_f64 v[87:88], v[62:63], v[78:79]
	v_add_f64 v[89:90], v[64:65], v[80:81]
	v_add_f64 v[91:92], v[58:59], v[74:75]
	v_add_f64 v[93:94], v[60:61], v[76:77]
	v_add_f64 v[95:96], v[56:57], v[80:81]
	v_add_f64 v[97:98], v[54:55], v[78:79]
	v_add_f64 v[99:100], v[50:51], v[74:75]
	s_mov_b32 s5, -1
	v_cvt_f32_f64_e32 v101, v[87:88]
	v_cvt_f32_f64_e32 v89, v[89:90]
	v_cvt_f32_f64_e32 v90, v[91:92]
	v_cvt_f32_f64_e32 v91, v[93:94]
	v_add_f64 v[87:88], v[52:53], v[76:77]
	v_cvt_f32_f64_e32 v92, v[97:98]
	v_cvt_f32_f64_e32 v93, v[95:96]
	v_cvt_f32_f64_e32 v94, v[99:100]
	v_min3_f32 v89, v101, v89, v157
	v_min_f32_e32 v90, v90, v91
	v_cvt_f32_f64_e32 v87, v[87:88]
	v_min3_f32 v86, v86, v90, v89
	v_add_co_u32 v90, vcc_lo, v82, v0
	v_add_co_ci_u32_e64 v91, null, v83, v1, vcc_lo
	v_cvt_f64_f32_e32 v[88:89], v86
	v_min3_f32 v86, v92, v93, v158
	s_mov_b32 vcc_lo, s0
	v_min3_f32 v86, v94, v87, v86
	v_max_f32_e32 v87, v86, v86
	flat_store_dwordx2 v[90:91], v[88:89]
	s_cbranch_vccz .LBB106_113
; %bb.112:
	v_min_f32_e32 v86, 0, v87
	v_add_co_u32 v90, vcc_lo, v82, v136
	v_add_co_ci_u32_e64 v91, null, v83, v137, vcc_lo
	v_cvt_f64_f32_e32 v[88:89], v86
	s_mov_b32 s5, 0
	flat_store_dwordx2 v[90:91], v[88:89]
.LBB106_113:
	v_mov_b32_e32 v86, 0
	s_andn2_b32 vcc_lo, exec_lo, s5
	s_cbranch_vccnz .LBB106_115
; %bb.114:
	v_add_co_u32 v88, vcc_lo, v84, v136
	v_add_co_ci_u32_e64 v89, null, v85, v137, vcc_lo
	flat_load_dwordx2 v[88:89], v[88:89]
	s_waitcnt vmcnt(0) lgkmcnt(0)
	v_mul_f64 v[88:89], s[2:3], v[88:89]
	v_cvt_f32_f64_e32 v86, v[88:89]
	v_add_co_u32 v88, vcc_lo, v82, v136
	v_add_co_ci_u32_e64 v89, null, v83, v137, vcc_lo
	v_add_co_u32 v90, vcc_lo, v84, v130
	v_add_co_ci_u32_e64 v91, null, v85, v131, vcc_lo
	v_min_f32_e32 v86, v86, v87
	v_cvt_f64_f32_e32 v[86:87], v86
	flat_store_dwordx2 v[88:89], v[86:87]
	flat_load_dwordx2 v[86:87], v[90:91]
	s_waitcnt vmcnt(0) lgkmcnt(0)
	v_mul_f64 v[86:87], s[2:3], v[86:87]
	v_cvt_f32_f64_e32 v86, v[86:87]
.LBB106_115:
	v_add_f64 v[87:88], v[46:47], v[78:79]
	v_add_f64 v[89:90], v[48:49], v[80:81]
	v_add_f64 v[91:92], v[42:43], v[74:75]
	v_add_f64 v[93:94], v[44:45], v[76:77]
	v_add_f64 v[95:96], v[40:41], v[80:81]
	v_add_f64 v[97:98], v[38:39], v[78:79]
	v_add_f64 v[99:100], v[34:35], v[74:75]
	s_mov_b32 s5, -1
	v_cvt_f32_f64_e32 v101, v[87:88]
	v_cvt_f32_f64_e32 v89, v[89:90]
	v_cvt_f32_f64_e32 v90, v[91:92]
	v_cvt_f32_f64_e32 v91, v[93:94]
	v_add_f64 v[87:88], v[36:37], v[76:77]
	v_cvt_f32_f64_e32 v92, v[97:98]
	v_cvt_f32_f64_e32 v93, v[95:96]
	v_cvt_f32_f64_e32 v94, v[99:100]
	v_min3_f32 v89, v101, v89, v155
	v_min_f32_e32 v90, v90, v91
	v_cvt_f32_f64_e32 v87, v[87:88]
	v_min3_f32 v86, v86, v90, v89
	v_add_co_u32 v90, vcc_lo, v82, v130
	v_add_co_ci_u32_e64 v91, null, v83, v131, vcc_lo
	v_cvt_f64_f32_e32 v[88:89], v86
	v_min3_f32 v86, v92, v93, v156
	s_mov_b32 vcc_lo, s0
	v_min3_f32 v86, v94, v87, v86
	v_max_f32_e32 v87, v86, v86
	;; [unrolled: 59-line block ×3, first 2 shown]
	flat_store_dwordx2 v[90:91], v[88:89]
	s_cbranch_vccz .LBB106_121
; %bb.120:
	v_min_f32_e32 v86, 0, v87
	v_add_co_u32 v90, vcc_lo, v82, v142
	v_add_co_ci_u32_e64 v91, null, v83, v143, vcc_lo
	v_cvt_f64_f32_e32 v[88:89], v86
	s_mov_b32 s5, 0
	flat_store_dwordx2 v[90:91], v[88:89]
.LBB106_121:
	v_mov_b32_e32 v86, 0
	s_andn2_b32 vcc_lo, exec_lo, s5
	s_cbranch_vccnz .LBB106_123
; %bb.122:
	v_add_co_u32 v88, vcc_lo, v84, v142
	v_add_co_ci_u32_e64 v89, null, v85, v143, vcc_lo
	flat_load_dwordx2 v[88:89], v[88:89]
	s_waitcnt vmcnt(0) lgkmcnt(0)
	v_mul_f64 v[88:89], s[2:3], v[88:89]
	v_cvt_f32_f64_e32 v86, v[88:89]
	v_add_co_u32 v88, vcc_lo, v82, v142
	v_add_co_ci_u32_e64 v89, null, v83, v143, vcc_lo
	v_add_co_u32 v84, vcc_lo, v84, v138
	v_add_co_ci_u32_e64 v85, null, v85, v139, vcc_lo
	v_min_f32_e32 v86, v86, v87
	v_cvt_f64_f32_e32 v[86:87], v86
	flat_store_dwordx2 v[88:89], v[86:87]
	flat_load_dwordx2 v[84:85], v[84:85]
	s_waitcnt vmcnt(0) lgkmcnt(0)
	v_mul_f64 v[84:85], s[2:3], v[84:85]
	v_cvt_f32_f64_e32 v86, v[84:85]
.LBB106_123:
	v_add_f64 v[78:79], v[2:3], v[78:79]
	v_add_f64 v[80:81], v[4:5], v[80:81]
	;; [unrolled: 1-line block ×4, first 2 shown]
	s_waitcnt lgkmcnt(28)
	v_add_f64 v[72:73], v[72:73], v[12:13]
	v_add_f64 v[70:71], v[70:71], v[10:11]
	s_waitcnt lgkmcnt(27)
	v_add_f64 v[66:67], v[66:67], v[14:15]
	v_add_f64 v[68:69], v[68:69], v[16:17]
	s_mov_b32 s5, -1
	v_cvt_f32_f64_e32 v78, v[78:79]
	v_cvt_f32_f64_e32 v79, v[80:81]
	;; [unrolled: 1-line block ×8, first 2 shown]
	v_min3_f32 v72, v78, v79, v151
	v_min_f32_e32 v73, v74, v75
	v_add_nc_u32_e32 v74, 56, v201
	v_min3_f32 v70, v70, v71, v152
	v_min3_f32 v68, v86, v73, v72
	v_mad_i64_i32 v[66:67], null, v74, s7, 0
	v_min3_f32 v70, v76, v77, v70
	v_cvt_f64_f32_e32 v[72:73], v68
	v_mad_i64_i32 v[68:69], null, v74, s6, 0
	v_add_co_u32 v74, vcc_lo, v82, v138
	v_lshlrev_b64 v[66:67], 3, v[66:67]
	v_add_co_ci_u32_e64 v75, null, v83, v139, vcc_lo
	v_max_f32_e32 v71, v70, v70
	v_lshlrev_b64 v[68:69], 3, v[68:69]
	v_add_co_u32 v66, vcc_lo, s1, v66
	v_add_co_ci_u32_e64 v67, null, s4, v67, vcc_lo
	v_add_co_u32 v68, vcc_lo, s12, v68
	v_add_co_ci_u32_e64 v69, null, s13, v69, vcc_lo
	s_mov_b32 vcc_lo, s0
	flat_store_dwordx2 v[74:75], v[72:73]
	s_cbranch_vccz .LBB106_125
; %bb.124:
	v_min_f32_e32 v70, 0, v71
	v_add_co_u32 v74, vcc_lo, v66, v134
	v_add_co_ci_u32_e64 v75, null, v67, v135, vcc_lo
	v_cvt_f64_f32_e32 v[72:73], v70
	s_mov_b32 s5, 0
	flat_store_dwordx2 v[74:75], v[72:73]
.LBB106_125:
	v_mov_b32_e32 v70, 0
	s_andn2_b32 vcc_lo, exec_lo, s5
	s_cbranch_vccnz .LBB106_127
; %bb.126:
	v_add_co_u32 v72, vcc_lo, v68, v134
	v_add_co_ci_u32_e64 v73, null, v69, v135, vcc_lo
	flat_load_dwordx2 v[72:73], v[72:73]
	s_waitcnt vmcnt(0) lgkmcnt(0)
	v_mul_f64 v[72:73], s[2:3], v[72:73]
	v_cvt_f32_f64_e32 v70, v[72:73]
	v_add_co_u32 v72, vcc_lo, v66, v134
	v_add_co_ci_u32_e64 v73, null, v67, v135, vcc_lo
	v_add_co_u32 v74, vcc_lo, v68, v0
	v_add_co_ci_u32_e64 v75, null, v69, v1, vcc_lo
	v_min_f32_e32 v70, v70, v71
	v_cvt_f64_f32_e32 v[70:71], v70
	flat_store_dwordx2 v[72:73], v[70:71]
	flat_load_dwordx2 v[70:71], v[74:75]
	s_waitcnt vmcnt(0) lgkmcnt(0)
	v_mul_f64 v[70:71], s[2:3], v[70:71]
	v_cvt_f32_f64_e32 v70, v[70:71]
.LBB106_127:
	v_add_f64 v[62:63], v[62:63], v[10:11]
	v_add_f64 v[64:65], v[64:65], v[12:13]
	;; [unrolled: 1-line block ×8, first 2 shown]
	s_mov_b32 s1, -1
	v_cvt_f32_f64_e32 v62, v[62:63]
	v_cvt_f32_f64_e32 v63, v[64:65]
	;; [unrolled: 1-line block ×8, first 2 shown]
	v_min3_f32 v50, v62, v63, v149
	v_min_f32_e32 v51, v58, v59
	v_min3_f32 v53, v54, v55, v150
	v_min3_f32 v50, v70, v51, v50
	;; [unrolled: 1-line block ×3, first 2 shown]
	v_add_co_u32 v52, vcc_lo, v66, v0
	v_cvt_f64_f32_e32 v[50:51], v50
	v_add_co_ci_u32_e64 v53, null, v67, v1, vcc_lo
	v_max_f32_e32 v1, v54, v54
	s_mov_b32 vcc_lo, s0
	flat_store_dwordx2 v[52:53], v[50:51]
	s_cbranch_vccz .LBB106_129
; %bb.128:
	v_min_f32_e32 v0, 0, v1
	v_add_co_u32 v52, vcc_lo, v66, v136
	v_add_co_ci_u32_e64 v53, null, v67, v137, vcc_lo
	v_cvt_f64_f32_e32 v[50:51], v0
	s_mov_b32 s1, 0
	flat_store_dwordx2 v[52:53], v[50:51]
.LBB106_129:
	v_mov_b32_e32 v0, 0
	s_andn2_b32 vcc_lo, exec_lo, s1
	s_cbranch_vccnz .LBB106_131
; %bb.130:
	v_add_co_u32 v50, vcc_lo, v68, v136
	v_add_co_ci_u32_e64 v51, null, v69, v137, vcc_lo
	flat_load_dwordx2 v[50:51], v[50:51]
	s_waitcnt vmcnt(0) lgkmcnt(0)
	v_mul_f64 v[50:51], s[2:3], v[50:51]
	v_cvt_f32_f64_e32 v0, v[50:51]
	v_add_co_u32 v50, vcc_lo, v66, v136
	v_add_co_ci_u32_e64 v51, null, v67, v137, vcc_lo
	v_add_co_u32 v52, vcc_lo, v68, v130
	v_add_co_ci_u32_e64 v53, null, v69, v131, vcc_lo
	v_min_f32_e32 v0, v0, v1
	v_cvt_f64_f32_e32 v[0:1], v0
	flat_store_dwordx2 v[50:51], v[0:1]
	flat_load_dwordx2 v[0:1], v[52:53]
	s_waitcnt vmcnt(0) lgkmcnt(0)
	v_mul_f64 v[0:1], s[2:3], v[0:1]
	v_cvt_f32_f64_e32 v0, v[0:1]
.LBB106_131:
	v_add_f64 v[46:47], v[46:47], v[10:11]
	v_add_f64 v[48:49], v[48:49], v[12:13]
	v_add_f64 v[42:43], v[42:43], v[14:15]
	v_add_f64 v[44:45], v[44:45], v[16:17]
	v_add_f64 v[40:41], v[40:41], v[12:13]
	v_add_f64 v[38:39], v[38:39], v[10:11]
	v_add_f64 v[34:35], v[34:35], v[14:15]
	v_add_f64 v[36:37], v[36:37], v[16:17]
	s_mov_b32 s1, -1
	v_cvt_f32_f64_e32 v1, v[46:47]
	v_cvt_f32_f64_e32 v46, v[48:49]
	;; [unrolled: 1-line block ×8, first 2 shown]
	v_min3_f32 v1, v1, v46, v147
	v_min_f32_e32 v34, v42, v43
	v_min3_f32 v0, v0, v34, v1
	v_cvt_f64_f32_e32 v[34:35], v0
	v_min3_f32 v0, v38, v39, v148
	v_min3_f32 v0, v40, v36, v0
	v_add_co_u32 v36, vcc_lo, v66, v130
	v_add_co_ci_u32_e64 v37, null, v67, v131, vcc_lo
	v_max_f32_e32 v1, v0, v0
	s_mov_b32 vcc_lo, s0
	flat_store_dwordx2 v[36:37], v[34:35]
	s_cbranch_vccz .LBB106_133
; %bb.132:
	v_min_f32_e32 v0, 0, v1
	v_add_co_u32 v36, vcc_lo, v66, v140
	v_add_co_ci_u32_e64 v37, null, v67, v141, vcc_lo
	v_cvt_f64_f32_e32 v[34:35], v0
	s_mov_b32 s1, 0
	flat_store_dwordx2 v[36:37], v[34:35]
.LBB106_133:
	v_mov_b32_e32 v0, 0
	s_andn2_b32 vcc_lo, exec_lo, s1
	s_cbranch_vccnz .LBB106_135
; %bb.134:
	v_add_co_u32 v34, vcc_lo, v68, v140
	v_add_co_ci_u32_e64 v35, null, v69, v141, vcc_lo
	flat_load_dwordx2 v[34:35], v[34:35]
	s_waitcnt vmcnt(0) lgkmcnt(0)
	v_mul_f64 v[34:35], s[2:3], v[34:35]
	v_cvt_f32_f64_e32 v0, v[34:35]
	v_add_co_u32 v34, vcc_lo, v66, v140
	v_add_co_ci_u32_e64 v35, null, v67, v141, vcc_lo
	v_add_co_u32 v36, vcc_lo, v68, v132
	v_add_co_ci_u32_e64 v37, null, v69, v133, vcc_lo
	v_min_f32_e32 v0, v0, v1
	v_cvt_f64_f32_e32 v[0:1], v0
	flat_store_dwordx2 v[34:35], v[0:1]
	flat_load_dwordx2 v[0:1], v[36:37]
	s_waitcnt vmcnt(0) lgkmcnt(0)
	v_mul_f64 v[0:1], s[2:3], v[0:1]
	v_cvt_f32_f64_e32 v0, v[0:1]
.LBB106_135:
	v_add_f64 v[30:31], v[30:31], v[10:11]
	v_add_f64 v[32:33], v[32:33], v[12:13]
	;; [unrolled: 1-line block ×8, first 2 shown]
	s_mov_b32 s1, -1
	v_cvt_f32_f64_e32 v1, v[30:31]
	v_cvt_f32_f64_e32 v30, v[32:33]
	;; [unrolled: 1-line block ×8, first 2 shown]
	v_min3_f32 v1, v1, v30, v145
	v_min_f32_e32 v18, v26, v27
	v_min3_f32 v0, v0, v18, v1
	v_cvt_f64_f32_e32 v[18:19], v0
	v_min3_f32 v0, v22, v23, v146
	v_min3_f32 v0, v24, v20, v0
	v_add_co_u32 v20, vcc_lo, v66, v132
	v_add_co_ci_u32_e64 v21, null, v67, v133, vcc_lo
	v_max_f32_e32 v1, v0, v0
	s_mov_b32 vcc_lo, s0
	flat_store_dwordx2 v[20:21], v[18:19]
	s_cbranch_vccz .LBB106_137
; %bb.136:
	v_min_f32_e32 v0, 0, v1
	v_add_co_u32 v20, vcc_lo, v66, v142
	v_add_co_ci_u32_e64 v21, null, v67, v143, vcc_lo
	v_cvt_f64_f32_e32 v[18:19], v0
	s_mov_b32 s1, 0
	flat_store_dwordx2 v[20:21], v[18:19]
.LBB106_137:
	v_mov_b32_e32 v0, 0
	s_andn2_b32 vcc_lo, exec_lo, s1
	s_cbranch_vccnz .LBB106_139
; %bb.138:
	v_add_co_u32 v18, vcc_lo, v68, v142
	v_add_co_ci_u32_e64 v19, null, v69, v143, vcc_lo
	flat_load_dwordx2 v[18:19], v[18:19]
	s_waitcnt vmcnt(0) lgkmcnt(0)
	v_mul_f64 v[18:19], s[2:3], v[18:19]
	v_cvt_f32_f64_e32 v0, v[18:19]
	v_add_co_u32 v18, vcc_lo, v66, v142
	v_add_co_ci_u32_e64 v19, null, v67, v143, vcc_lo
	v_add_co_u32 v20, vcc_lo, v68, v138
	v_add_co_ci_u32_e64 v21, null, v69, v139, vcc_lo
	v_min_f32_e32 v0, v0, v1
	v_cvt_f64_f32_e32 v[0:1], v0
	flat_store_dwordx2 v[18:19], v[0:1]
	flat_load_dwordx2 v[0:1], v[20:21]
	s_waitcnt vmcnt(0) lgkmcnt(0)
	v_mul_f64 v[0:1], s[2:3], v[0:1]
	v_cvt_f32_f64_e32 v0, v[0:1]
.LBB106_139:
	v_add_f64 v[6:7], v[6:7], v[14:15]
	v_add_f64 v[8:9], v[8:9], v[16:17]
	v_add_f64 v[1:2], v[2:3], v[10:11]
	v_add_f64 v[3:4], v[4:5], v[12:13]
	v_cvt_f32_f64_e32 v5, v[6:7]
	v_cvt_f32_f64_e32 v6, v[8:9]
	;; [unrolled: 1-line block ×4, first 2 shown]
	v_min_f32_e32 v3, v5, v6
	v_min3_f32 v1, v1, v2, v144
	v_add_co_u32 v2, vcc_lo, v66, v138
	v_min3_f32 v0, v0, v3, v1
	v_add_co_ci_u32_e64 v3, null, v67, v139, vcc_lo
	v_cvt_f64_f32_e32 v[0:1], v0
	flat_store_dwordx2 v[2:3], v[0:1]
	s_endpgm
	.section	.rodata,"a",@progbits
	.p2align	6, 0x0
	.amdhsa_kernel _ZN12_GLOBAL__N_120geam_min_plus_kernelId15HIP_vector_typeIdLj2EEdLi32ELi8ELi256ELi64ELi4ELi64ELi4ELi4ELi64ELc78ELc78ELb1ELb0ELb1EdKPKdKPdEEviiiT16_PT17_ilSA_ilS8_SA_ilPT18_ili26rocblas_geam_ex_operation_
		.amdhsa_group_segment_fixed_size 20480
		.amdhsa_private_segment_fixed_size 0
		.amdhsa_kernarg_size 136
		.amdhsa_user_sgpr_count 6
		.amdhsa_user_sgpr_private_segment_buffer 1
		.amdhsa_user_sgpr_dispatch_ptr 0
		.amdhsa_user_sgpr_queue_ptr 0
		.amdhsa_user_sgpr_kernarg_segment_ptr 1
		.amdhsa_user_sgpr_dispatch_id 0
		.amdhsa_user_sgpr_flat_scratch_init 0
		.amdhsa_user_sgpr_private_segment_size 0
		.amdhsa_wavefront_size32 1
		.amdhsa_uses_dynamic_stack 0
		.amdhsa_system_sgpr_private_segment_wavefront_offset 0
		.amdhsa_system_sgpr_workgroup_id_x 1
		.amdhsa_system_sgpr_workgroup_id_y 0
		.amdhsa_system_sgpr_workgroup_id_z 1
		.amdhsa_system_sgpr_workgroup_info 0
		.amdhsa_system_vgpr_workitem_id 1
		.amdhsa_next_free_vgpr 221
		.amdhsa_next_free_sgpr 22
		.amdhsa_reserve_vcc 1
		.amdhsa_reserve_flat_scratch 1
		.amdhsa_float_round_mode_32 0
		.amdhsa_float_round_mode_16_64 0
		.amdhsa_float_denorm_mode_32 3
		.amdhsa_float_denorm_mode_16_64 3
		.amdhsa_dx10_clamp 1
		.amdhsa_ieee_mode 1
		.amdhsa_fp16_overflow 0
		.amdhsa_workgroup_processor_mode 1
		.amdhsa_memory_ordered 1
		.amdhsa_forward_progress 1
		.amdhsa_shared_vgpr_count 0
		.amdhsa_exception_fp_ieee_invalid_op 0
		.amdhsa_exception_fp_denorm_src 0
		.amdhsa_exception_fp_ieee_div_zero 0
		.amdhsa_exception_fp_ieee_overflow 0
		.amdhsa_exception_fp_ieee_underflow 0
		.amdhsa_exception_fp_ieee_inexact 0
		.amdhsa_exception_int_div_zero 0
	.end_amdhsa_kernel
	.section	.text._ZN12_GLOBAL__N_120geam_min_plus_kernelId15HIP_vector_typeIdLj2EEdLi32ELi8ELi256ELi64ELi4ELi64ELi4ELi4ELi64ELc78ELc78ELb1ELb0ELb1EdKPKdKPdEEviiiT16_PT17_ilSA_ilS8_SA_ilPT18_ili26rocblas_geam_ex_operation_,"axG",@progbits,_ZN12_GLOBAL__N_120geam_min_plus_kernelId15HIP_vector_typeIdLj2EEdLi32ELi8ELi256ELi64ELi4ELi64ELi4ELi4ELi64ELc78ELc78ELb1ELb0ELb1EdKPKdKPdEEviiiT16_PT17_ilSA_ilS8_SA_ilPT18_ili26rocblas_geam_ex_operation_,comdat
.Lfunc_end106:
	.size	_ZN12_GLOBAL__N_120geam_min_plus_kernelId15HIP_vector_typeIdLj2EEdLi32ELi8ELi256ELi64ELi4ELi64ELi4ELi4ELi64ELc78ELc78ELb1ELb0ELb1EdKPKdKPdEEviiiT16_PT17_ilSA_ilS8_SA_ilPT18_ili26rocblas_geam_ex_operation_, .Lfunc_end106-_ZN12_GLOBAL__N_120geam_min_plus_kernelId15HIP_vector_typeIdLj2EEdLi32ELi8ELi256ELi64ELi4ELi64ELi4ELi4ELi64ELc78ELc78ELb1ELb0ELb1EdKPKdKPdEEviiiT16_PT17_ilSA_ilS8_SA_ilPT18_ili26rocblas_geam_ex_operation_
                                        ; -- End function
	.set _ZN12_GLOBAL__N_120geam_min_plus_kernelId15HIP_vector_typeIdLj2EEdLi32ELi8ELi256ELi64ELi4ELi64ELi4ELi4ELi64ELc78ELc78ELb1ELb0ELb1EdKPKdKPdEEviiiT16_PT17_ilSA_ilS8_SA_ilPT18_ili26rocblas_geam_ex_operation_.num_vgpr, 221
	.set _ZN12_GLOBAL__N_120geam_min_plus_kernelId15HIP_vector_typeIdLj2EEdLi32ELi8ELi256ELi64ELi4ELi64ELi4ELi4ELi64ELc78ELc78ELb1ELb0ELb1EdKPKdKPdEEviiiT16_PT17_ilSA_ilS8_SA_ilPT18_ili26rocblas_geam_ex_operation_.num_agpr, 0
	.set _ZN12_GLOBAL__N_120geam_min_plus_kernelId15HIP_vector_typeIdLj2EEdLi32ELi8ELi256ELi64ELi4ELi64ELi4ELi4ELi64ELc78ELc78ELb1ELb0ELb1EdKPKdKPdEEviiiT16_PT17_ilSA_ilS8_SA_ilPT18_ili26rocblas_geam_ex_operation_.numbered_sgpr, 22
	.set _ZN12_GLOBAL__N_120geam_min_plus_kernelId15HIP_vector_typeIdLj2EEdLi32ELi8ELi256ELi64ELi4ELi64ELi4ELi4ELi64ELc78ELc78ELb1ELb0ELb1EdKPKdKPdEEviiiT16_PT17_ilSA_ilS8_SA_ilPT18_ili26rocblas_geam_ex_operation_.num_named_barrier, 0
	.set _ZN12_GLOBAL__N_120geam_min_plus_kernelId15HIP_vector_typeIdLj2EEdLi32ELi8ELi256ELi64ELi4ELi64ELi4ELi4ELi64ELc78ELc78ELb1ELb0ELb1EdKPKdKPdEEviiiT16_PT17_ilSA_ilS8_SA_ilPT18_ili26rocblas_geam_ex_operation_.private_seg_size, 0
	.set _ZN12_GLOBAL__N_120geam_min_plus_kernelId15HIP_vector_typeIdLj2EEdLi32ELi8ELi256ELi64ELi4ELi64ELi4ELi4ELi64ELc78ELc78ELb1ELb0ELb1EdKPKdKPdEEviiiT16_PT17_ilSA_ilS8_SA_ilPT18_ili26rocblas_geam_ex_operation_.uses_vcc, 1
	.set _ZN12_GLOBAL__N_120geam_min_plus_kernelId15HIP_vector_typeIdLj2EEdLi32ELi8ELi256ELi64ELi4ELi64ELi4ELi4ELi64ELc78ELc78ELb1ELb0ELb1EdKPKdKPdEEviiiT16_PT17_ilSA_ilS8_SA_ilPT18_ili26rocblas_geam_ex_operation_.uses_flat_scratch, 1
	.set _ZN12_GLOBAL__N_120geam_min_plus_kernelId15HIP_vector_typeIdLj2EEdLi32ELi8ELi256ELi64ELi4ELi64ELi4ELi4ELi64ELc78ELc78ELb1ELb0ELb1EdKPKdKPdEEviiiT16_PT17_ilSA_ilS8_SA_ilPT18_ili26rocblas_geam_ex_operation_.has_dyn_sized_stack, 0
	.set _ZN12_GLOBAL__N_120geam_min_plus_kernelId15HIP_vector_typeIdLj2EEdLi32ELi8ELi256ELi64ELi4ELi64ELi4ELi4ELi64ELc78ELc78ELb1ELb0ELb1EdKPKdKPdEEviiiT16_PT17_ilSA_ilS8_SA_ilPT18_ili26rocblas_geam_ex_operation_.has_recursion, 0
	.set _ZN12_GLOBAL__N_120geam_min_plus_kernelId15HIP_vector_typeIdLj2EEdLi32ELi8ELi256ELi64ELi4ELi64ELi4ELi4ELi64ELc78ELc78ELb1ELb0ELb1EdKPKdKPdEEviiiT16_PT17_ilSA_ilS8_SA_ilPT18_ili26rocblas_geam_ex_operation_.has_indirect_call, 0
	.section	.AMDGPU.csdata,"",@progbits
; Kernel info:
; codeLenInByte = 26420
; TotalNumSgprs: 24
; NumVgprs: 221
; ScratchSize: 0
; MemoryBound: 0
; FloatMode: 240
; IeeeMode: 1
; LDSByteSize: 20480 bytes/workgroup (compile time only)
; SGPRBlocks: 0
; VGPRBlocks: 27
; NumSGPRsForWavesPerEU: 24
; NumVGPRsForWavesPerEU: 221
; Occupancy: 4
; WaveLimiterHint : 1
; COMPUTE_PGM_RSRC2:SCRATCH_EN: 0
; COMPUTE_PGM_RSRC2:USER_SGPR: 6
; COMPUTE_PGM_RSRC2:TRAP_HANDLER: 0
; COMPUTE_PGM_RSRC2:TGID_X_EN: 1
; COMPUTE_PGM_RSRC2:TGID_Y_EN: 0
; COMPUTE_PGM_RSRC2:TGID_Z_EN: 1
; COMPUTE_PGM_RSRC2:TIDIG_COMP_CNT: 1
	.section	.text._ZN12_GLOBAL__N_120geam_min_plus_kernelId15HIP_vector_typeIdLj2EEdLi32ELi8ELi256ELi64ELi4ELi64ELi4ELi4ELi64ELc78ELc78ELb0ELb0ELb1EdKPKdKPdEEviiiT16_PT17_ilSA_ilS8_SA_ilPT18_ili26rocblas_geam_ex_operation_,"axG",@progbits,_ZN12_GLOBAL__N_120geam_min_plus_kernelId15HIP_vector_typeIdLj2EEdLi32ELi8ELi256ELi64ELi4ELi64ELi4ELi4ELi64ELc78ELc78ELb0ELb0ELb1EdKPKdKPdEEviiiT16_PT17_ilSA_ilS8_SA_ilPT18_ili26rocblas_geam_ex_operation_,comdat
	.globl	_ZN12_GLOBAL__N_120geam_min_plus_kernelId15HIP_vector_typeIdLj2EEdLi32ELi8ELi256ELi64ELi4ELi64ELi4ELi4ELi64ELc78ELc78ELb0ELb0ELb1EdKPKdKPdEEviiiT16_PT17_ilSA_ilS8_SA_ilPT18_ili26rocblas_geam_ex_operation_ ; -- Begin function _ZN12_GLOBAL__N_120geam_min_plus_kernelId15HIP_vector_typeIdLj2EEdLi32ELi8ELi256ELi64ELi4ELi64ELi4ELi4ELi64ELc78ELc78ELb0ELb0ELb1EdKPKdKPdEEviiiT16_PT17_ilSA_ilS8_SA_ilPT18_ili26rocblas_geam_ex_operation_
	.p2align	8
	.type	_ZN12_GLOBAL__N_120geam_min_plus_kernelId15HIP_vector_typeIdLj2EEdLi32ELi8ELi256ELi64ELi4ELi64ELi4ELi4ELi64ELc78ELc78ELb0ELb0ELb1EdKPKdKPdEEviiiT16_PT17_ilSA_ilS8_SA_ilPT18_ili26rocblas_geam_ex_operation_,@function
_ZN12_GLOBAL__N_120geam_min_plus_kernelId15HIP_vector_typeIdLj2EEdLi32ELi8ELi256ELi64ELi4ELi64ELi4ELi4ELi64ELc78ELc78ELb0ELb0ELb1EdKPKdKPdEEviiiT16_PT17_ilSA_ilS8_SA_ilPT18_ili26rocblas_geam_ex_operation_: ; @_ZN12_GLOBAL__N_120geam_min_plus_kernelId15HIP_vector_typeIdLj2EEdLi32ELi8ELi256ELi64ELi4ELi64ELi4ELi4ELi64ELc78ELc78ELb0ELb0ELb1EdKPKdKPdEEviiiT16_PT17_ilSA_ilS8_SA_ilPT18_ili26rocblas_geam_ex_operation_
; %bb.0:
	s_clause 0x1
	s_load_dwordx4 s[8:11], s[4:5], 0x10
	s_load_dwordx4 s[12:15], s[4:5], 0x28
	s_mov_b32 s22, s7
	s_mov_b64 s[16:17], 0
	s_waitcnt lgkmcnt(0)
	v_cmp_eq_f64_e64 s7, s[8:9], 0
	s_and_b32 vcc_lo, exec_lo, s7
	s_cbranch_vccnz .LBB107_2
; %bb.1:
	s_mov_b32 s23, 0
	s_lshl_b64 s[0:1], s[22:23], 3
	s_add_u32 s0, s10, s0
	s_addc_u32 s1, s11, s1
	s_lshl_b64 s[2:3], s[12:13], 3
	s_load_dwordx2 s[0:1], s[0:1], 0x0
	s_waitcnt lgkmcnt(0)
	s_add_u32 s16, s0, s2
	s_addc_u32 s17, s1, s3
.LBB107_2:
	s_clause 0x1
	s_load_dwordx4 s[0:3], s[4:5], 0x40
	s_load_dwordx2 s[20:21], s[4:5], 0x50
	s_andn2_b32 vcc_lo, exec_lo, s7
	s_mov_b32 s23, 0
	s_cbranch_vccnz .LBB107_4
; %bb.3:
	s_mov_b32 s7, s23
	s_mov_b64 s[10:11], 0
	s_andn2_b32 vcc_lo, exec_lo, s7
	s_mov_b64 s[18:19], 0
	s_cbranch_vccz .LBB107_5
	s_branch .LBB107_6
.LBB107_4:
	s_mov_b64 s[10:11], 0
	s_mov_b64 s[18:19], 0
.LBB107_5:
	s_lshl_b64 s[12:13], s[22:23], 3
	s_add_u32 s12, s14, s12
	s_addc_u32 s13, s15, s13
	s_waitcnt lgkmcnt(0)
	s_lshl_b64 s[0:1], s[0:1], 3
	s_load_dwordx2 s[12:13], s[12:13], 0x0
	s_waitcnt lgkmcnt(0)
	s_add_u32 s18, s12, s0
	s_addc_u32 s19, s13, s1
.LBB107_6:
	s_waitcnt lgkmcnt(0)
	v_cmp_eq_f64_e64 s0, s[2:3], 0
	v_cmp_neq_f64_e64 s24, s[8:9], 0
	s_load_dwordx4 s[12:15], s[4:5], 0x60
	s_and_b32 s0, exec_lo, s0
	s_mov_b32 vcc_lo, s0
	s_cbranch_vccnz .LBB107_8
; %bb.7:
	s_lshl_b64 s[10:11], s[22:23], 3
	s_add_u32 s10, s20, s10
	s_addc_u32 s11, s21, s11
	s_waitcnt lgkmcnt(0)
	s_lshl_b64 s[12:13], s[12:13], 3
	s_load_dwordx2 s[10:11], s[10:11], 0x0
	s_waitcnt lgkmcnt(0)
	s_add_u32 s10, s10, s12
	s_addc_u32 s11, s11, s13
.LBB107_8:
	s_clause 0x1
	s_load_dword s20, s[4:5], 0x20
	s_load_dword s1, s[4:5], 0x0
	s_waitcnt lgkmcnt(0)
	s_lshl_b64 s[12:13], s[22:23], 3
	v_lshl_add_u32 v12, v1, 5, v0
	v_cndmask_b32_e64 v4, 0, 1, s24
	v_mov_b32_e32 v6, 0
	v_mov_b32_e32 v7, 0
	v_lshrrev_b32_e32 v76, 6, v12
	v_and_b32_e32 v77, 63, v12
	s_ashr_i32 s21, s20, 31
	s_add_u32 s12, s14, s12
	s_addc_u32 s13, s15, s13
	s_add_i32 s1, s1, -1
	s_ashr_i32 s7, s1, 31
	s_lshr_b32 s7, s7, 24
	s_add_i32 s1, s1, s7
	s_ashr_i32 s1, s1, 8
	s_add_i32 s7, s1, 1
	s_not_b32 s1, s1
	v_cvt_f32_u32_e32 v2, s7
	v_rcp_iflag_f32_e32 v2, v2
	v_mul_f32_e32 v2, 0x4f7ffffe, v2
	v_cvt_u32_f32_e32 v2, v2
	v_readfirstlane_b32 s14, v2
	v_mad_i64_i32 v[2:3], null, s20, v76, 0
	s_mul_i32 s1, s1, s14
	s_mul_hi_u32 s1, s14, s1
	s_add_i32 s14, s14, s1
	v_lshlrev_b64 v[2:3], 3, v[2:3]
	s_mul_hi_u32 s1, s6, s14
	s_mul_i32 s14, s1, s7
	s_add_i32 s15, s1, 1
	s_sub_i32 s14, s6, s14
	v_add_co_u32 v13, vcc_lo, s16, v2
	s_sub_i32 s22, s14, s7
	s_cmp_ge_u32 s14, s7
	v_add_co_ci_u32_e64 v14, null, s17, v3, vcc_lo
	s_cselect_b32 s1, s15, s1
	s_cselect_b32 s14, s22, s14
	s_add_i32 s15, s1, 1
	s_cmp_ge_u32 s14, s7
	v_mov_b32_e32 v2, 0
	s_cselect_b32 s15, s15, s1
	v_mov_b32_e32 v3, 0
	s_mul_i32 s7, s15, s7
	s_andn2_b32 vcc_lo, exec_lo, s24
	s_sub_i32 s1, s6, s7
	s_lshl_b32 s14, s1, 8
	v_cmp_ne_u32_e64 s1, 1, v4
	v_or_b32_e32 v8, s14, v77
	v_mov_b32_e32 v4, 0
	v_mov_b32_e32 v5, 0
	v_ashrrev_i32_e32 v9, 31, v8
	s_cbranch_vccnz .LBB107_10
; %bb.9:
	v_lshlrev_b64 v[4:5], 3, v[8:9]
	v_add_co_u32 v4, vcc_lo, v13, v4
	v_add_co_ci_u32_e64 v5, null, v14, v5, vcc_lo
	s_clause 0x1
	flat_load_dwordx2 v[6:7], v[4:5]
	flat_load_dwordx2 v[10:11], v[4:5] offset:512
	s_waitcnt vmcnt(1) lgkmcnt(1)
	v_mul_f64 v[4:5], s[8:9], v[6:7]
	s_waitcnt vmcnt(0) lgkmcnt(0)
	v_mul_f64 v[6:7], s[8:9], v[10:11]
.LBB107_10:
	v_mov_b32_e32 v10, 0
	v_mov_b32_e32 v11, 0
	s_and_b32 vcc_lo, exec_lo, s1
	s_cbranch_vccnz .LBB107_12
; %bb.11:
	v_lshlrev_b64 v[2:3], 3, v[8:9]
	v_add_co_u32 v2, vcc_lo, v13, v2
	v_add_co_ci_u32_e64 v3, null, v14, v3, vcc_lo
	s_clause 0x1
	flat_load_dwordx2 v[10:11], v[2:3] offset:1024
	flat_load_dwordx2 v[13:14], v[2:3] offset:1536
	s_waitcnt vmcnt(1) lgkmcnt(1)
	v_mul_f64 v[2:3], s[8:9], v[10:11]
	s_waitcnt vmcnt(0) lgkmcnt(0)
	v_mul_f64 v[10:11], s[8:9], v[13:14]
.LBB107_12:
	s_load_dword s22, s[4:5], 0x38
	v_lshrrev_b32_e32 v14, 2, v12
	v_and_b32_e32 v15, 3, v0
	s_lshl_b32 s15, s15, 6
	v_mov_b32_e32 v68, 0
	v_mov_b32_e32 v12, 0
	;; [unrolled: 1-line block ×3, first 2 shown]
	v_add_nc_u32_e32 v79, s15, v14
	v_mov_b32_e32 v13, 0
	v_lshlrev_b32_e32 v78, 3, v15
	s_and_b32 vcc_lo, exec_lo, s1
	s_cbranch_vccnz .LBB107_14
; %bb.13:
	s_waitcnt lgkmcnt(0)
	v_mad_i64_i32 v[12:13], null, v79, s22, 0
	v_lshlrev_b64 v[12:13], 3, v[12:13]
	v_add_co_u32 v12, vcc_lo, s18, v12
	v_add_co_ci_u32_e64 v13, null, s19, v13, vcc_lo
	v_add_co_u32 v12, vcc_lo, v12, v78
	v_add_co_ci_u32_e64 v13, null, 0, v13, vcc_lo
	flat_load_dwordx2 v[12:13], v[12:13]
	s_waitcnt vmcnt(0) lgkmcnt(0)
	v_mul_f64 v[12:13], s[8:9], v[12:13]
.LBB107_14:
	v_add_nc_u32_e32 v15, 4, v76
	v_mov_b32_e32 v70, 0
	v_mov_b32_e32 v71, 0
	v_mad_i64_i32 v[15:16], null, s20, v15, 0
	v_lshlrev_b64 v[15:16], 3, v[15:16]
	v_add_co_u32 v15, vcc_lo, s16, v15
	v_add_co_ci_u32_e64 v16, null, s17, v16, vcc_lo
	s_and_b32 vcc_lo, exec_lo, s1
	s_cbranch_vccnz .LBB107_16
; %bb.15:
	v_lshlrev_b64 v[17:18], 3, v[8:9]
	v_add_co_u32 v17, vcc_lo, v15, v17
	v_add_co_ci_u32_e64 v18, null, v16, v18, vcc_lo
	s_clause 0x1
	flat_load_dwordx2 v[19:20], v[17:18]
	flat_load_dwordx2 v[17:18], v[17:18] offset:512
	s_waitcnt vmcnt(1) lgkmcnt(0)
	v_mul_f64 v[68:69], s[8:9], v[19:20]
	s_waitcnt vmcnt(0)
	v_mul_f64 v[70:71], s[8:9], v[17:18]
.LBB107_16:
	v_mov_b32_e32 v66, 0
	v_mov_b32_e32 v72, 0
	;; [unrolled: 1-line block ×6, first 2 shown]
	s_and_b32 vcc_lo, exec_lo, s1
	s_cbranch_vccnz .LBB107_18
; %bb.17:
	v_lshlrev_b64 v[8:9], 3, v[8:9]
	v_add_co_u32 v8, vcc_lo, v15, v8
	v_add_co_ci_u32_e64 v9, null, v16, v9, vcc_lo
	s_clause 0x1
	flat_load_dwordx2 v[15:16], v[8:9] offset:1024
	flat_load_dwordx2 v[8:9], v[8:9] offset:1536
	s_waitcnt vmcnt(1) lgkmcnt(0)
	v_mul_f64 v[72:73], s[8:9], v[15:16]
	s_waitcnt vmcnt(0)
	v_mul_f64 v[74:75], s[8:9], v[8:9]
.LBB107_18:
	s_and_b32 vcc_lo, exec_lo, s1
	s_cbranch_vccnz .LBB107_20
; %bb.19:
	s_waitcnt lgkmcnt(0)
	v_mad_i64_i32 v[8:9], null, v79, s22, 0
	v_lshlrev_b64 v[8:9], 3, v[8:9]
	v_add_co_u32 v8, vcc_lo, s18, v8
	v_add_co_ci_u32_e64 v9, null, s19, v9, vcc_lo
	v_add_co_u32 v8, vcc_lo, v8, v78
	v_add_co_ci_u32_e64 v9, null, 0, v9, vcc_lo
	flat_load_dwordx2 v[8:9], v[8:9] offset:32
	s_waitcnt vmcnt(0) lgkmcnt(0)
	v_mul_f64 v[66:67], s[8:9], v[8:9]
.LBB107_20:
	v_lshlrev_b32_e32 v8, 5, v77
	v_lshl_or_b32 v80, v14, 5, v78
	v_lshlrev_b32_e32 v149, 5, v0
	s_load_dwordx2 s[12:13], s[12:13], 0x0
	s_load_dword s23, s[4:5], 0x8
	v_lshlrev_b32_e32 v148, 5, v1
	v_lshl_add_u32 v150, v76, 3, v8
	ds_write2st64_b64 v150, v[4:5], v[6:7] offset1:4
	ds_write2st64_b64 v150, v[2:3], v[10:11] offset0:8 offset1:12
	ds_write_b64 v80, v[12:13] offset:16384
	s_waitcnt lgkmcnt(0)
	s_barrier
	buffer_gl0_inv
	ds_read_b128 v[10:13], v149 offset:1024
	ds_read_b128 v[14:17], v149 offset:2048
	;; [unrolled: 1-line block ×14, first 2 shown]
	ds_read_b128 v[81:84], v149
	ds_read_b128 v[2:5], v149 offset:16
	ds_read_b128 v[85:88], v148 offset:16384
	;; [unrolled: 1-line block ×3, first 2 shown]
	s_cmp_lt_i32 s23, 9
	s_waitcnt lgkmcnt(1)
	v_add_f64 v[89:90], v[83:84], v[87:88]
	v_add_f64 v[91:92], v[81:82], v[85:86]
	s_waitcnt lgkmcnt(0)
	v_add_f64 v[145:146], v[4:5], v[8:9]
	v_add_f64 v[151:152], v[2:3], v[6:7]
	v_cvt_f32_f64_e32 v89, v[89:90]
	v_cvt_f32_f64_e32 v91, v[91:92]
	;; [unrolled: 1-line block ×4, first 2 shown]
	v_min3_f32 v144, v91, v89, 0x7f800000
	v_add_f64 v[89:90], v[12:13], v[87:88]
	v_add_f64 v[91:92], v[10:11], v[85:86]
	v_min3_f32 v222, v147, v145, v144
	v_cvt_f32_f64_e32 v89, v[89:90]
	v_cvt_f32_f64_e32 v91, v[91:92]
	v_min3_f32 v143, v91, v89, 0x7f800000
	v_add_f64 v[89:90], v[16:17], v[87:88]
	v_add_f64 v[91:92], v[14:15], v[85:86]
	v_cvt_f32_f64_e32 v89, v[89:90]
	v_cvt_f32_f64_e32 v91, v[91:92]
	v_min3_f32 v142, v91, v89, 0x7f800000
	v_add_f64 v[89:90], v[20:21], v[87:88]
	v_add_f64 v[91:92], v[18:19], v[85:86]
	;; [unrolled: 5-line block ×5, first 2 shown]
	v_add_f64 v[87:88], v[36:37], v[87:88]
	v_add_f64 v[85:86], v[34:35], v[85:86]
	v_cvt_f32_f64_e32 v89, v[89:90]
	v_cvt_f32_f64_e32 v91, v[91:92]
	v_cvt_f32_f64_e32 v85, v[85:86]
	v_cvt_f32_f64_e32 v86, v[87:88]
	v_add_f64 v[87:88], v[81:82], v[38:39]
	v_min3_f32 v138, v91, v89, 0x7f800000
	v_min3_f32 v137, v85, v86, 0x7f800000
	v_add_f64 v[85:86], v[83:84], v[40:41]
	v_cvt_f32_f64_e32 v87, v[87:88]
	v_cvt_f32_f64_e32 v85, v[85:86]
	v_min3_f32 v136, v87, v85, 0x7f800000
	v_add_f64 v[85:86], v[12:13], v[40:41]
	v_add_f64 v[87:88], v[10:11], v[38:39]
	v_cvt_f32_f64_e32 v85, v[85:86]
	v_cvt_f32_f64_e32 v87, v[87:88]
	v_min3_f32 v135, v87, v85, 0x7f800000
	v_add_f64 v[85:86], v[16:17], v[40:41]
	;; [unrolled: 5-line block ×6, first 2 shown]
	v_add_f64 v[87:88], v[30:31], v[38:39]
	v_add_f64 v[40:41], v[36:37], v[40:41]
	;; [unrolled: 1-line block ×3, first 2 shown]
	v_cvt_f32_f64_e32 v85, v[85:86]
	v_cvt_f32_f64_e32 v87, v[87:88]
	;; [unrolled: 1-line block ×4, first 2 shown]
	v_add_f64 v[40:41], v[81:82], v[42:43]
	v_min3_f32 v130, v87, v85, 0x7f800000
	v_min3_f32 v129, v38, v39, 0x7f800000
	v_add_f64 v[38:39], v[83:84], v[44:45]
	v_cvt_f32_f64_e32 v40, v[40:41]
	v_cvt_f32_f64_e32 v38, v[38:39]
	v_min3_f32 v128, v40, v38, 0x7f800000
	v_add_f64 v[38:39], v[12:13], v[44:45]
	v_add_f64 v[40:41], v[10:11], v[42:43]
	v_cvt_f32_f64_e32 v38, v[38:39]
	v_cvt_f32_f64_e32 v40, v[40:41]
	v_min3_f32 v127, v40, v38, 0x7f800000
	v_add_f64 v[38:39], v[16:17], v[44:45]
	v_add_f64 v[40:41], v[14:15], v[42:43]
	v_cvt_f32_f64_e32 v38, v[38:39]
	v_cvt_f32_f64_e32 v40, v[40:41]
	v_min3_f32 v126, v40, v38, 0x7f800000
	v_add_f64 v[38:39], v[20:21], v[44:45]
	v_add_f64 v[40:41], v[18:19], v[42:43]
	v_cvt_f32_f64_e32 v38, v[38:39]
	v_cvt_f32_f64_e32 v40, v[40:41]
	v_min3_f32 v125, v40, v38, 0x7f800000
	v_add_f64 v[38:39], v[24:25], v[44:45]
	v_add_f64 v[40:41], v[22:23], v[42:43]
	v_cvt_f32_f64_e32 v38, v[38:39]
	v_cvt_f32_f64_e32 v40, v[40:41]
	v_min3_f32 v124, v40, v38, 0x7f800000
	v_add_f64 v[38:39], v[28:29], v[44:45]
	v_add_f64 v[40:41], v[26:27], v[42:43]
	v_cvt_f32_f64_e32 v38, v[38:39]
	v_cvt_f32_f64_e32 v40, v[40:41]
	v_min3_f32 v123, v40, v38, 0x7f800000
	v_add_f64 v[38:39], v[32:33], v[44:45]
	v_add_f64 v[40:41], v[30:31], v[42:43]
	v_cvt_f32_f64_e32 v38, v[38:39]
	v_cvt_f32_f64_e32 v40, v[40:41]
	v_min3_f32 v122, v40, v38, 0x7f800000
	v_add_f64 v[38:39], v[36:37], v[44:45]
	v_add_f64 v[40:41], v[34:35], v[42:43]
	v_cvt_f32_f64_e32 v38, v[38:39]
	v_cvt_f32_f64_e32 v40, v[40:41]
	v_min3_f32 v121, v40, v38, 0x7f800000
	v_add_f64 v[38:39], v[83:84], v[48:49]
	v_add_f64 v[40:41], v[81:82], v[46:47]
	v_cvt_f32_f64_e32 v38, v[38:39]
	v_cvt_f32_f64_e32 v40, v[40:41]
	v_min3_f32 v120, v40, v38, 0x7f800000
	v_add_f64 v[38:39], v[12:13], v[48:49]
	v_add_f64 v[40:41], v[10:11], v[46:47]
	v_cvt_f32_f64_e32 v38, v[38:39]
	v_cvt_f32_f64_e32 v40, v[40:41]
	v_min3_f32 v119, v40, v38, 0x7f800000
	v_add_f64 v[38:39], v[16:17], v[48:49]
	v_add_f64 v[40:41], v[14:15], v[46:47]
	v_cvt_f32_f64_e32 v38, v[38:39]
	v_cvt_f32_f64_e32 v40, v[40:41]
	v_min3_f32 v118, v40, v38, 0x7f800000
	v_add_f64 v[38:39], v[20:21], v[48:49]
	v_add_f64 v[40:41], v[18:19], v[46:47]
	v_cvt_f32_f64_e32 v38, v[38:39]
	v_cvt_f32_f64_e32 v40, v[40:41]
	v_min3_f32 v117, v40, v38, 0x7f800000
	v_add_f64 v[38:39], v[24:25], v[48:49]
	v_add_f64 v[40:41], v[22:23], v[46:47]
	v_cvt_f32_f64_e32 v38, v[38:39]
	v_cvt_f32_f64_e32 v40, v[40:41]
	v_min3_f32 v116, v40, v38, 0x7f800000
	v_add_f64 v[38:39], v[28:29], v[48:49]
	v_add_f64 v[40:41], v[26:27], v[46:47]
	v_cvt_f32_f64_e32 v38, v[38:39]
	v_cvt_f32_f64_e32 v40, v[40:41]
	v_min3_f32 v115, v40, v38, 0x7f800000
	v_add_f64 v[38:39], v[32:33], v[48:49]
	v_add_f64 v[40:41], v[30:31], v[46:47]
	v_cvt_f32_f64_e32 v38, v[38:39]
	v_cvt_f32_f64_e32 v40, v[40:41]
	v_min3_f32 v114, v40, v38, 0x7f800000
	v_add_f64 v[38:39], v[36:37], v[48:49]
	v_add_f64 v[40:41], v[34:35], v[46:47]
	v_cvt_f32_f64_e32 v38, v[38:39]
	v_cvt_f32_f64_e32 v40, v[40:41]
	v_min3_f32 v113, v40, v38, 0x7f800000
	v_add_f64 v[38:39], v[83:84], v[52:53]
	v_add_f64 v[40:41], v[81:82], v[50:51]
	v_cvt_f32_f64_e32 v38, v[38:39]
	v_cvt_f32_f64_e32 v40, v[40:41]
	v_min3_f32 v112, v40, v38, 0x7f800000
	v_add_f64 v[38:39], v[12:13], v[52:53]
	v_add_f64 v[40:41], v[10:11], v[50:51]
	v_cvt_f32_f64_e32 v38, v[38:39]
	v_cvt_f32_f64_e32 v40, v[40:41]
	v_min3_f32 v111, v40, v38, 0x7f800000
	v_add_f64 v[38:39], v[16:17], v[52:53]
	v_add_f64 v[40:41], v[14:15], v[50:51]
	v_cvt_f32_f64_e32 v38, v[38:39]
	v_cvt_f32_f64_e32 v40, v[40:41]
	v_min3_f32 v110, v40, v38, 0x7f800000
	v_add_f64 v[38:39], v[20:21], v[52:53]
	v_add_f64 v[40:41], v[18:19], v[50:51]
	v_cvt_f32_f64_e32 v38, v[38:39]
	v_cvt_f32_f64_e32 v40, v[40:41]
	v_min3_f32 v109, v40, v38, 0x7f800000
	v_add_f64 v[38:39], v[24:25], v[52:53]
	v_add_f64 v[40:41], v[22:23], v[50:51]
	v_cvt_f32_f64_e32 v38, v[38:39]
	v_cvt_f32_f64_e32 v40, v[40:41]
	v_min3_f32 v108, v40, v38, 0x7f800000
	v_add_f64 v[38:39], v[28:29], v[52:53]
	v_add_f64 v[40:41], v[26:27], v[50:51]
	v_cvt_f32_f64_e32 v38, v[38:39]
	v_cvt_f32_f64_e32 v40, v[40:41]
	v_min3_f32 v107, v40, v38, 0x7f800000
	v_add_f64 v[38:39], v[32:33], v[52:53]
	v_add_f64 v[40:41], v[30:31], v[50:51]
	v_cvt_f32_f64_e32 v38, v[38:39]
	v_cvt_f32_f64_e32 v40, v[40:41]
	v_min3_f32 v106, v40, v38, 0x7f800000
	v_add_f64 v[38:39], v[36:37], v[52:53]
	v_add_f64 v[40:41], v[34:35], v[50:51]
	v_cvt_f32_f64_e32 v38, v[38:39]
	v_cvt_f32_f64_e32 v40, v[40:41]
	v_min3_f32 v105, v40, v38, 0x7f800000
	v_add_f64 v[38:39], v[83:84], v[56:57]
	v_add_f64 v[40:41], v[81:82], v[54:55]
	v_cvt_f32_f64_e32 v38, v[38:39]
	v_cvt_f32_f64_e32 v40, v[40:41]
	v_min3_f32 v104, v40, v38, 0x7f800000
	v_add_f64 v[38:39], v[12:13], v[56:57]
	v_add_f64 v[40:41], v[10:11], v[54:55]
	v_cvt_f32_f64_e32 v38, v[38:39]
	v_cvt_f32_f64_e32 v40, v[40:41]
	v_min3_f32 v103, v40, v38, 0x7f800000
	v_add_f64 v[38:39], v[16:17], v[56:57]
	v_add_f64 v[40:41], v[14:15], v[54:55]
	v_cvt_f32_f64_e32 v38, v[38:39]
	v_cvt_f32_f64_e32 v40, v[40:41]
	v_min3_f32 v102, v40, v38, 0x7f800000
	v_add_f64 v[38:39], v[20:21], v[56:57]
	v_add_f64 v[40:41], v[18:19], v[54:55]
	v_cvt_f32_f64_e32 v38, v[38:39]
	v_cvt_f32_f64_e32 v40, v[40:41]
	v_min3_f32 v101, v40, v38, 0x7f800000
	v_add_f64 v[38:39], v[24:25], v[56:57]
	v_add_f64 v[40:41], v[22:23], v[54:55]
	v_cvt_f32_f64_e32 v38, v[38:39]
	v_cvt_f32_f64_e32 v40, v[40:41]
	v_min3_f32 v100, v40, v38, 0x7f800000
	v_add_f64 v[38:39], v[28:29], v[56:57]
	v_add_f64 v[40:41], v[26:27], v[54:55]
	v_cvt_f32_f64_e32 v38, v[38:39]
	v_cvt_f32_f64_e32 v40, v[40:41]
	v_min3_f32 v99, v40, v38, 0x7f800000
	v_add_f64 v[38:39], v[32:33], v[56:57]
	v_add_f64 v[40:41], v[30:31], v[54:55]
	v_cvt_f32_f64_e32 v38, v[38:39]
	v_cvt_f32_f64_e32 v40, v[40:41]
	v_min3_f32 v98, v40, v38, 0x7f800000
	v_add_f64 v[38:39], v[36:37], v[56:57]
	v_add_f64 v[40:41], v[34:35], v[54:55]
	v_cvt_f32_f64_e32 v38, v[38:39]
	v_cvt_f32_f64_e32 v40, v[40:41]
	v_min3_f32 v97, v40, v38, 0x7f800000
	v_add_f64 v[38:39], v[83:84], v[60:61]
	v_add_f64 v[40:41], v[81:82], v[58:59]
	v_cvt_f32_f64_e32 v38, v[38:39]
	v_cvt_f32_f64_e32 v40, v[40:41]
	v_min3_f32 v96, v40, v38, 0x7f800000
	v_add_f64 v[38:39], v[12:13], v[60:61]
	v_add_f64 v[40:41], v[10:11], v[58:59]
	v_add_f64 v[12:13], v[12:13], v[64:65]
	;; [unrolled: 1-line block ×3, first 2 shown]
	v_cvt_f32_f64_e32 v38, v[38:39]
	v_cvt_f32_f64_e32 v40, v[40:41]
	;; [unrolled: 1-line block ×4, first 2 shown]
	v_add_f64 v[12:13], v[14:15], v[62:63]
	v_min3_f32 v95, v40, v38, 0x7f800000
	v_add_f64 v[38:39], v[16:17], v[60:61]
	v_add_f64 v[40:41], v[14:15], v[58:59]
	v_min3_f32 v87, v10, v11, 0x7f800000
	v_add_f64 v[10:11], v[16:17], v[64:65]
	v_cvt_f32_f64_e32 v12, v[12:13]
	v_cvt_f32_f64_e32 v38, v[38:39]
	v_cvt_f32_f64_e32 v40, v[40:41]
	v_cvt_f32_f64_e32 v10, v[10:11]
	v_min3_f32 v94, v40, v38, 0x7f800000
	v_add_f64 v[38:39], v[20:21], v[60:61]
	v_add_f64 v[40:41], v[18:19], v[58:59]
	v_min3_f32 v86, v12, v10, 0x7f800000
	v_add_f64 v[10:11], v[20:21], v[64:65]
	v_add_f64 v[12:13], v[18:19], v[62:63]
	v_cvt_f32_f64_e32 v38, v[38:39]
	v_cvt_f32_f64_e32 v40, v[40:41]
	;; [unrolled: 1-line block ×4, first 2 shown]
	v_min3_f32 v93, v40, v38, 0x7f800000
	v_add_f64 v[38:39], v[24:25], v[60:61]
	v_add_f64 v[40:41], v[22:23], v[58:59]
	v_min3_f32 v85, v12, v10, 0x7f800000
	v_add_f64 v[10:11], v[24:25], v[64:65]
	v_add_f64 v[12:13], v[22:23], v[62:63]
	v_cvt_f32_f64_e32 v38, v[38:39]
	v_cvt_f32_f64_e32 v40, v[40:41]
	;; [unrolled: 1-line block ×4, first 2 shown]
	v_min3_f32 v92, v40, v38, 0x7f800000
	v_add_f64 v[38:39], v[28:29], v[60:61]
	v_add_f64 v[40:41], v[26:27], v[58:59]
	v_cvt_f32_f64_e32 v38, v[38:39]
	v_cvt_f32_f64_e32 v40, v[40:41]
	v_min3_f32 v91, v40, v38, 0x7f800000
	v_add_f64 v[38:39], v[32:33], v[60:61]
	v_add_f64 v[40:41], v[30:31], v[58:59]
	v_cvt_f32_f64_e32 v38, v[38:39]
	v_cvt_f32_f64_e32 v40, v[40:41]
	;; [unrolled: 5-line block ×3, first 2 shown]
	v_min3_f32 v89, v40, v38, 0x7f800000
	v_add_f64 v[38:39], v[83:84], v[64:65]
	v_min3_f32 v84, v12, v10, 0x7f800000
	v_add_f64 v[10:11], v[28:29], v[64:65]
	v_add_f64 v[12:13], v[26:27], v[62:63]
	v_add_f64 v[40:41], v[81:82], v[62:63]
	v_cvt_f32_f64_e32 v38, v[38:39]
	v_cvt_f32_f64_e32 v10, v[10:11]
	;; [unrolled: 1-line block ×4, first 2 shown]
	v_min3_f32 v83, v12, v10, 0x7f800000
	v_add_f64 v[10:11], v[32:33], v[64:65]
	v_add_f64 v[12:13], v[30:31], v[62:63]
	v_min3_f32 v88, v40, v38, 0x7f800000
	v_cvt_f32_f64_e32 v10, v[10:11]
	v_cvt_f32_f64_e32 v12, v[12:13]
	v_min3_f32 v82, v12, v10, 0x7f800000
	v_add_f64 v[10:11], v[36:37], v[64:65]
	v_add_f64 v[12:13], v[34:35], v[62:63]
	v_cvt_f32_f64_e32 v10, v[10:11]
	v_cvt_f32_f64_e32 v12, v[12:13]
	v_min3_f32 v81, v12, v10, 0x7f800000
	ds_read_b128 v[34:37], v149 offset:1040
	ds_read_b128 v[30:33], v149 offset:2064
	;; [unrolled: 1-line block ×14, first 2 shown]
	ds_write2st64_b64 v150, v[68:69], v[70:71] offset0:16 offset1:20
	ds_write2st64_b64 v150, v[72:73], v[74:75] offset0:24 offset1:28
	ds_write_b64 v80, v[66:67] offset:18432
	s_waitcnt lgkmcnt(0)
	s_barrier
	buffer_gl0_inv
	v_add_f64 v[144:145], v[36:37], v[8:9]
	v_add_f64 v[146:147], v[34:35], v[6:7]
	v_cvt_f32_f64_e32 v144, v[144:145]
	v_cvt_f32_f64_e32 v146, v[146:147]
	v_min3_f32 v220, v146, v144, v143
	v_add_f64 v[143:144], v[32:33], v[8:9]
	v_add_f64 v[145:146], v[30:31], v[6:7]
	v_cvt_f32_f64_e32 v143, v[143:144]
	v_cvt_f32_f64_e32 v145, v[145:146]
	v_min3_f32 v221, v145, v143, v142
	;; [unrolled: 5-line block ×5, first 2 shown]
	v_add_f64 v[139:140], v[16:17], v[8:9]
	v_add_f64 v[141:142], v[14:15], v[6:7]
	;; [unrolled: 1-line block ×4, first 2 shown]
	v_cvt_f32_f64_e32 v139, v[139:140]
	v_cvt_f32_f64_e32 v141, v[141:142]
	;; [unrolled: 1-line block ×4, first 2 shown]
	v_add_f64 v[8:9], v[2:3], v[62:63]
	v_min3_f32 v217, v141, v139, v138
	v_min3_f32 v214, v6, v7, v137
	v_add_f64 v[6:7], v[4:5], v[64:65]
	v_cvt_f32_f64_e32 v8, v[8:9]
	v_cvt_f32_f64_e32 v6, v[6:7]
	v_min3_f32 v215, v8, v6, v136
	v_add_f64 v[6:7], v[36:37], v[64:65]
	v_add_f64 v[8:9], v[34:35], v[62:63]
	v_cvt_f32_f64_e32 v6, v[6:7]
	v_cvt_f32_f64_e32 v8, v[8:9]
	v_min3_f32 v212, v8, v6, v135
	v_add_f64 v[6:7], v[32:33], v[64:65]
	;; [unrolled: 5-line block ×40, first 2 shown]
	v_add_f64 v[8:9], v[2:3], v[42:43]
	v_add_f64 v[4:5], v[4:5], v[40:41]
	v_add_f64 v[2:3], v[2:3], v[38:39]
	v_cvt_f32_f64_e32 v6, v[6:7]
	v_cvt_f32_f64_e32 v8, v[8:9]
	;; [unrolled: 1-line block ×4, first 2 shown]
	v_add_f64 v[4:5], v[34:35], v[38:39]
	v_min3_f32 v173, v8, v6, v96
	v_add_f64 v[6:7], v[36:37], v[44:45]
	v_add_f64 v[8:9], v[34:35], v[42:43]
	v_min3_f32 v158, v2, v3, v88
	v_add_f64 v[2:3], v[36:37], v[40:41]
	v_cvt_f32_f64_e32 v4, v[4:5]
	v_cvt_f32_f64_e32 v6, v[6:7]
	v_cvt_f32_f64_e32 v8, v[8:9]
	v_cvt_f32_f64_e32 v2, v[2:3]
	v_min3_f32 v164, v8, v6, v95
	v_add_f64 v[6:7], v[32:33], v[44:45]
	v_add_f64 v[8:9], v[30:31], v[42:43]
	v_min3_f32 v157, v4, v2, v87
	v_add_f64 v[2:3], v[32:33], v[40:41]
	v_add_f64 v[4:5], v[30:31], v[38:39]
	v_cvt_f32_f64_e32 v6, v[6:7]
	v_cvt_f32_f64_e32 v8, v[8:9]
	v_cvt_f32_f64_e32 v2, v[2:3]
	v_cvt_f32_f64_e32 v4, v[4:5]
	v_min3_f32 v165, v8, v6, v94
	v_add_f64 v[6:7], v[28:29], v[44:45]
	v_add_f64 v[8:9], v[26:27], v[42:43]
	v_min3_f32 v156, v4, v2, v86
	v_add_f64 v[2:3], v[28:29], v[40:41]
	;; [unrolled: 10-line block ×6, first 2 shown]
	v_add_f64 v[4:5], v[10:11], v[38:39]
	v_cvt_f32_f64_e32 v6, v[6:7]
	v_cvt_f32_f64_e32 v8, v[8:9]
	v_cvt_f32_f64_e32 v2, v[2:3]
	v_cvt_f32_f64_e32 v4, v[4:5]
	v_min3_f32 v159, v8, v6, v89
	v_min3_f32 v151, v4, v2, v81
	s_cbranch_scc1 .LBB107_35
; %bb.21:
	v_mad_i64_i32 v[2:3], null, s22, v79, 0
	v_lshl_or_b32 v4, s6, 8, v77
	s_lshl_b32 s6, s7, 8
	v_add_nc_u32_e32 v5, 12, v76
	v_add_nc_u32_e32 v6, 8, v76
	;; [unrolled: 1-line block ×3, first 2 shown]
	v_subrev_nc_u32_e32 v4, s6, v4
	v_lshlrev_b64 v[2:3], 3, v[2:3]
	v_or_b32_e32 v167, 0x4000, v148
	v_mad_i64_i32 v[6:7], null, v6, s20, 0
	v_or_b32_e32 v168, 0x2000, v150
	v_add_nc_u32_e32 v169, 0x4800, v80
	v_add_co_u32 v8, vcc_lo, v2, v78
	v_add_co_ci_u32_e64 v9, null, 0, v3, vcc_lo
	v_mad_i64_i32 v[2:3], null, v5, s20, 0
	v_ashrrev_i32_e32 v5, 31, v4
	v_add_co_u32 v8, vcc_lo, s18, v8
	v_add_co_ci_u32_e64 v9, null, s19, v9, vcc_lo
	v_lshlrev_b64 v[4:5], 3, v[4:5]
	v_add_co_u32 v130, vcc_lo, v8, 64
	v_add_co_ci_u32_e64 v131, null, 0, v9, vcc_lo
	v_lshlrev_b64 v[132:133], 3, v[2:3]
	v_add_co_u32 v174, vcc_lo, s16, v4
	v_lshlrev_b64 v[134:135], 3, v[6:7]
	v_lshl_or_b32 v170, v0, 5, 0x2000
	v_lshl_add_u32 v172, v1, 5, 0x4800
	v_add_co_ci_u32_e64 v175, null, s17, v5, vcc_lo
	s_add_i32 s16, s23, -8
	s_lshl_b64 s[6:7], s[20:21], 6
	s_mov_b32 s17, 0
	s_branch .LBB107_23
.LBB107_22:                             ;   in Loop: Header=BB107_23 Depth=1
	v_add_f64 v[146:147], v[100:101], v[128:129]
	v_add_f64 v[223:224], v[98:99], v[126:127]
	v_add_co_u32 v130, vcc_lo, v130, 64
	v_add_co_ci_u32_e64 v131, null, 0, v131, vcc_lo
	v_add_co_u32 v174, vcc_lo, v174, s6
	v_add_co_ci_u32_e64 v175, null, s7, v175, vcc_lo
	s_add_i32 s17, s17, 8
	s_cmp_ge_i32 s17, s16
	v_cvt_f32_f64_e32 v146, v[146:147]
	v_cvt_f32_f64_e32 v223, v[223:224]
	v_min3_f32 v222, v223, v146, v222
	v_add_f64 v[146:147], v[96:97], v[128:129]
	v_add_f64 v[223:224], v[94:95], v[126:127]
	v_cvt_f32_f64_e32 v146, v[146:147]
	v_cvt_f32_f64_e32 v223, v[223:224]
	v_min3_f32 v220, v223, v146, v220
	v_add_f64 v[146:147], v[92:93], v[128:129]
	v_add_f64 v[223:224], v[90:91], v[126:127]
	;; [unrolled: 5-line block ×3, first 2 shown]
	v_cvt_f32_f64_e32 v146, v[146:147]
	v_cvt_f32_f64_e32 v223, v[223:224]
	v_add_f64 v[224:225], v[82:83], v[126:127]
	v_min3_f32 v223, v223, v146, v218
	v_add_f64 v[146:147], v[84:85], v[128:129]
	v_cvt_f32_f64_e32 v218, v[224:225]
	v_add_f64 v[224:225], v[78:79], v[126:127]
	v_cvt_f32_f64_e32 v146, v[146:147]
	v_min3_f32 v219, v218, v146, v219
	v_add_f64 v[146:147], v[80:81], v[128:129]
	v_cvt_f32_f64_e32 v218, v[224:225]
	v_add_f64 v[224:225], v[70:71], v[126:127]
	v_add_f64 v[126:127], v[66:67], v[126:127]
	v_cvt_f32_f64_e32 v146, v[146:147]
	v_cvt_f32_f64_e32 v126, v[126:127]
	v_min3_f32 v216, v218, v146, v216
	v_add_f64 v[146:147], v[72:73], v[128:129]
	v_add_f64 v[128:129], v[68:69], v[128:129]
	v_cvt_f32_f64_e32 v218, v[224:225]
	v_cvt_f32_f64_e32 v146, v[146:147]
	;; [unrolled: 1-line block ×3, first 2 shown]
	v_add_f64 v[128:129], v[98:99], v[122:123]
	v_min3_f32 v217, v218, v146, v217
	v_min3_f32 v214, v126, v127, v214
	v_add_f64 v[126:127], v[100:101], v[124:125]
	v_cvt_f32_f64_e32 v128, v[128:129]
	v_add_f64 v[146:147], v[82:83], v[106:107]
	v_cvt_f32_f64_e32 v126, v[126:127]
	v_min3_f32 v218, v128, v126, v215
	v_add_f64 v[126:127], v[96:97], v[124:125]
	v_add_f64 v[128:129], v[94:95], v[122:123]
	v_cvt_f32_f64_e32 v126, v[126:127]
	v_cvt_f32_f64_e32 v128, v[128:129]
	v_min3_f32 v215, v128, v126, v212
	v_add_f64 v[126:127], v[92:93], v[124:125]
	v_add_f64 v[128:129], v[90:91], v[122:123]
	v_cvt_f32_f64_e32 v126, v[126:127]
	;; [unrolled: 5-line block ×5, first 2 shown]
	v_cvt_f32_f64_e32 v128, v[128:129]
	v_min3_f32 v208, v128, v126, v208
	v_add_f64 v[126:127], v[72:73], v[124:125]
	v_add_f64 v[128:129], v[70:71], v[122:123]
	;; [unrolled: 1-line block ×4, first 2 shown]
	v_cvt_f32_f64_e32 v126, v[126:127]
	v_cvt_f32_f64_e32 v128, v[128:129]
	;; [unrolled: 1-line block ×4, first 2 shown]
	v_add_f64 v[124:125], v[98:99], v[118:119]
	v_min3_f32 v209, v128, v126, v209
	v_min3_f32 v207, v122, v123, v207
	v_add_f64 v[122:123], v[100:101], v[120:121]
	v_cvt_f32_f64_e32 v124, v[124:125]
	v_cvt_f32_f64_e32 v122, v[122:123]
	v_min3_f32 v206, v124, v122, v206
	v_add_f64 v[122:123], v[96:97], v[120:121]
	v_add_f64 v[124:125], v[94:95], v[118:119]
	v_cvt_f32_f64_e32 v122, v[122:123]
	v_cvt_f32_f64_e32 v124, v[124:125]
	v_min3_f32 v204, v124, v122, v204
	v_add_f64 v[122:123], v[92:93], v[120:121]
	;; [unrolled: 5-line block ×6, first 2 shown]
	v_add_f64 v[124:125], v[70:71], v[118:119]
	v_add_f64 v[120:121], v[68:69], v[120:121]
	;; [unrolled: 1-line block ×3, first 2 shown]
	v_cvt_f32_f64_e32 v122, v[122:123]
	v_cvt_f32_f64_e32 v124, v[124:125]
	;; [unrolled: 1-line block ×4, first 2 shown]
	v_add_f64 v[120:121], v[98:99], v[114:115]
	v_min3_f32 v201, v124, v122, v201
	v_min3_f32 v198, v118, v119, v198
	v_add_f64 v[118:119], v[100:101], v[116:117]
	v_cvt_f32_f64_e32 v120, v[120:121]
	v_cvt_f32_f64_e32 v118, v[118:119]
	v_min3_f32 v199, v120, v118, v199
	v_add_f64 v[118:119], v[96:97], v[116:117]
	v_add_f64 v[120:121], v[94:95], v[114:115]
	v_cvt_f32_f64_e32 v118, v[118:119]
	v_cvt_f32_f64_e32 v120, v[120:121]
	v_min3_f32 v196, v120, v118, v196
	v_add_f64 v[118:119], v[92:93], v[116:117]
	;; [unrolled: 5-line block ×3, first 2 shown]
	v_add_f64 v[120:121], v[86:87], v[114:115]
	v_cvt_f32_f64_e32 v118, v[118:119]
	v_cvt_f32_f64_e32 v120, v[120:121]
	v_add_f64 v[121:122], v[82:83], v[114:115]
	v_min3_f32 v118, v120, v118, v194
	v_add_f64 v[119:120], v[84:85], v[116:117]
	v_cvt_f32_f64_e32 v121, v[121:122]
	v_add_f64 v[122:123], v[78:79], v[114:115]
	v_cvt_f32_f64_e32 v119, v[119:120]
	v_cvt_f32_f64_e32 v122, v[122:123]
	v_add_f64 v[123:124], v[70:71], v[114:115]
	v_add_f64 v[114:115], v[66:67], v[114:115]
	v_min3_f32 v119, v121, v119, v195
	v_add_f64 v[120:121], v[80:81], v[116:117]
	v_cvt_f32_f64_e32 v123, v[123:124]
	v_cvt_f32_f64_e32 v114, v[114:115]
	v_add_f64 v[124:125], v[90:91], v[110:111]
	v_cvt_f32_f64_e32 v120, v[120:121]
	v_min3_f32 v120, v122, v120, v192
	v_add_f64 v[121:122], v[72:73], v[116:117]
	v_add_f64 v[116:117], v[68:69], v[116:117]
	v_cvt_f32_f64_e32 v121, v[121:122]
	v_cvt_f32_f64_e32 v115, v[116:117]
	v_min3_f32 v121, v123, v121, v193
	v_min3_f32 v114, v114, v115, v190
	v_add_f64 v[115:116], v[100:101], v[112:113]
	v_add_f64 v[122:123], v[98:99], v[110:111]
	v_cvt_f32_f64_e32 v115, v[115:116]
	v_cvt_f32_f64_e32 v117, v[122:123]
	v_add_f64 v[122:123], v[94:95], v[110:111]
	v_min3_f32 v115, v117, v115, v191
	v_add_f64 v[116:117], v[96:97], v[112:113]
	v_cvt_f32_f64_e32 v122, v[122:123]
	v_cvt_f32_f64_e32 v116, v[116:117]
	;; [unrolled: 1-line block ×3, first 2 shown]
	v_add_f64 v[124:125], v[86:87], v[110:111]
	v_min3_f32 v116, v122, v116, v188
	v_add_f64 v[122:123], v[92:93], v[112:113]
	v_cvt_f32_f64_e32 v124, v[124:125]
	v_add_f64 v[125:126], v[82:83], v[110:111]
	v_cvt_f32_f64_e32 v122, v[122:123]
	v_cvt_f32_f64_e32 v125, v[125:126]
	v_add_f64 v[126:127], v[78:79], v[110:111]
	v_min3_f32 v117, v117, v122, v189
	v_add_f64 v[122:123], v[88:89], v[112:113]
	v_cvt_f32_f64_e32 v126, v[126:127]
	v_add_f64 v[127:128], v[70:71], v[110:111]
	v_add_f64 v[110:111], v[66:67], v[110:111]
	v_cvt_f32_f64_e32 v122, v[122:123]
	v_cvt_f32_f64_e32 v127, v[127:128]
	;; [unrolled: 1-line block ×3, first 2 shown]
	v_min3_f32 v122, v124, v122, v186
	v_add_f64 v[123:124], v[84:85], v[112:113]
	v_cvt_f32_f64_e32 v123, v[123:124]
	v_min3_f32 v123, v125, v123, v187
	v_add_f64 v[124:125], v[80:81], v[112:113]
	v_cvt_f32_f64_e32 v124, v[124:125]
	v_min3_f32 v124, v126, v124, v185
	v_add_f64 v[125:126], v[72:73], v[112:113]
	v_add_f64 v[112:113], v[68:69], v[112:113]
	v_cvt_f32_f64_e32 v125, v[125:126]
	v_cvt_f32_f64_e32 v111, v[112:113]
	v_min3_f32 v125, v127, v125, v184
	v_min3_f32 v112, v110, v111, v182
	v_add_f64 v[110:111], v[100:101], v[108:109]
	v_add_f64 v[126:127], v[98:99], v[106:107]
	v_cvt_f32_f64_e32 v110, v[110:111]
	v_cvt_f32_f64_e32 v113, v[126:127]
	v_add_f64 v[126:127], v[94:95], v[106:107]
	v_min3_f32 v113, v113, v110, v183
	v_add_f64 v[110:111], v[96:97], v[108:109]
	v_cvt_f32_f64_e32 v126, v[126:127]
	v_add_f64 v[127:128], v[90:91], v[106:107]
	v_cvt_f32_f64_e32 v110, v[110:111]
	v_cvt_f32_f64_e32 v127, v[127:128]
	v_add_f64 v[128:129], v[86:87], v[106:107]
	v_min3_f32 v126, v126, v110, v180
	v_add_f64 v[110:111], v[92:93], v[108:109]
	v_cvt_f32_f64_e32 v128, v[128:129]
	v_cvt_f32_f64_e32 v129, v[146:147]
	v_add_f64 v[146:147], v[78:79], v[106:107]
	v_cvt_f32_f64_e32 v110, v[110:111]
	v_cvt_f32_f64_e32 v146, v[146:147]
	v_min3_f32 v127, v127, v110, v181
	v_add_f64 v[110:111], v[88:89], v[108:109]
	v_cvt_f32_f64_e32 v110, v[110:111]
	v_min3_f32 v128, v128, v110, v178
	v_add_f64 v[110:111], v[84:85], v[108:109]
	;; [unrolled: 3-line block ×3, first 2 shown]
	v_add_f64 v[178:179], v[70:71], v[106:107]
	v_add_f64 v[106:107], v[66:67], v[106:107]
	v_cvt_f32_f64_e32 v110, v[110:111]
	v_cvt_f32_f64_e32 v147, v[178:179]
	;; [unrolled: 1-line block ×3, first 2 shown]
	v_min3_f32 v146, v146, v110, v176
	v_add_f64 v[110:111], v[72:73], v[108:109]
	v_add_f64 v[108:109], v[68:69], v[108:109]
	v_cvt_f32_f64_e32 v110, v[110:111]
	v_cvt_f32_f64_e32 v107, v[108:109]
	v_add_f64 v[108:109], v[98:99], v[102:103]
	v_add_f64 v[98:99], v[98:99], v[74:75]
	v_min3_f32 v147, v147, v110, v177
	v_min3_f32 v171, v106, v107, v171
	v_add_f64 v[106:107], v[100:101], v[104:105]
	v_cvt_f32_f64_e32 v108, v[108:109]
	v_add_f64 v[100:101], v[100:101], v[76:77]
	v_cvt_f32_f64_e32 v98, v[98:99]
	v_cvt_f32_f64_e32 v106, v[106:107]
	;; [unrolled: 1-line block ×3, first 2 shown]
	v_min3_f32 v173, v108, v106, v173
	v_add_f64 v[106:107], v[96:97], v[104:105]
	v_add_f64 v[108:109], v[94:95], v[102:103]
	v_add_f64 v[94:95], v[94:95], v[74:75]
	v_add_f64 v[96:97], v[96:97], v[76:77]
	v_min3_f32 v98, v98, v99, v158
	v_add_f64 v[99:100], v[10:11], v[46:47]
	v_cvt_f32_f64_e32 v106, v[106:107]
	v_cvt_f32_f64_e32 v108, v[108:109]
	v_add_f64 v[109:110], v[90:91], v[102:103]
	v_add_f64 v[90:91], v[90:91], v[74:75]
	v_cvt_f32_f64_e32 v94, v[94:95]
	v_cvt_f32_f64_e32 v95, v[96:97]
	v_min3_f32 v106, v108, v106, v164
	v_add_f64 v[107:108], v[92:93], v[104:105]
	v_cvt_f32_f64_e32 v109, v[109:110]
	v_add_f64 v[110:111], v[86:87], v[102:103]
	v_add_f64 v[86:87], v[86:87], v[74:75]
	;; [unrolled: 1-line block ×3, first 2 shown]
	v_cvt_f32_f64_e32 v90, v[90:91]
	v_min3_f32 v94, v94, v95, v157
	v_add_f64 v[95:96], v[6:7], v[50:51]
	v_cvt_f32_f64_e32 v107, v[107:108]
	v_cvt_f32_f64_e32 v110, v[110:111]
	;; [unrolled: 1-line block ×4, first 2 shown]
	v_min3_f32 v107, v109, v107, v165
	v_add_f64 v[108:109], v[88:89], v[104:105]
	v_add_f64 v[164:165], v[82:83], v[102:103]
	;; [unrolled: 1-line block ×4, first 2 shown]
	v_min3_f32 v90, v90, v91, v156
	v_add_f64 v[91:92], v[26:27], v[50:51]
	v_cvt_f32_f64_e32 v108, v[108:109]
	v_cvt_f32_f64_e32 v111, v[164:165]
	v_add_f64 v[164:165], v[70:71], v[102:103]
	v_add_f64 v[70:71], v[70:71], v[74:75]
	v_cvt_f32_f64_e32 v82, v[82:83]
	v_cvt_f32_f64_e32 v87, v[88:89]
	v_min3_f32 v108, v110, v108, v162
	v_add_f64 v[109:110], v[84:85], v[104:105]
	v_add_f64 v[84:85], v[84:85], v[76:77]
	v_cvt_f32_f64_e32 v70, v[70:71]
	v_min3_f32 v86, v86, v87, v154
	v_add_f64 v[87:88], v[14:15], v[54:55]
	v_cvt_f32_f64_e32 v109, v[109:110]
	v_cvt_f32_f64_e32 v83, v[84:85]
	v_min3_f32 v109, v111, v109, v163
	v_add_f64 v[110:111], v[80:81], v[104:105]
	v_add_f64 v[162:163], v[78:79], v[102:103]
	v_add_f64 v[102:103], v[66:67], v[102:103]
	v_add_f64 v[66:67], v[66:67], v[74:75]
	v_add_f64 v[78:79], v[78:79], v[74:75]
	v_add_f64 v[74:75], v[26:27], v[62:63]
	v_add_f64 v[80:81], v[80:81], v[76:77]
	v_min3_f32 v82, v82, v83, v155
	v_add_f64 v[83:84], v[10:11], v[58:59]
	v_cvt_f32_f64_e32 v110, v[110:111]
	v_cvt_f32_f64_e32 v162, v[162:163]
	;; [unrolled: 1-line block ×7, first 2 shown]
	v_min3_f32 v110, v162, v110, v160
	v_add_f64 v[162:163], v[72:73], v[104:105]
	v_add_f64 v[104:105], v[68:69], v[104:105]
	v_add_f64 v[68:69], v[68:69], v[76:77]
	v_add_f64 v[72:73], v[72:73], v[76:77]
	v_add_f64 v[76:77], v[14:15], v[62:63]
	v_min3_f32 v78, v78, v79, v152
	v_add_f64 v[79:80], v[26:27], v[58:59]
	v_cvt_f32_f64_e32 v160, v[162:163]
	v_cvt_f32_f64_e32 v103, v[104:105]
	v_cvt_f32_f64_e32 v67, v[68:69]
	v_cvt_f32_f64_e32 v71, v[72:73]
	v_add_f64 v[68:69], v[34:35], v[62:63]
	v_min3_f32 v111, v111, v160, v161
	v_min3_f32 v102, v102, v103, v159
	;; [unrolled: 1-line block ×3, first 2 shown]
	v_add_f64 v[66:67], v[36:37], v[64:65]
	v_cvt_f32_f64_e32 v68, v[68:69]
	v_min3_f32 v71, v70, v71, v153
	v_add_f64 v[69:70], v[30:31], v[62:63]
	v_cvt_f32_f64_e32 v66, v[66:67]
	v_cvt_f32_f64_e32 v69, v[69:70]
	;; [unrolled: 1-line block ×3, first 2 shown]
	v_add_f64 v[74:75], v[18:19], v[62:63]
	v_min3_f32 v66, v68, v66, v222
	v_add_f64 v[67:68], v[32:33], v[64:65]
	v_cvt_f32_f64_e32 v72, v[74:75]
	v_add_f64 v[74:75], v[16:17], v[64:65]
	v_cvt_f32_f64_e32 v67, v[67:68]
	v_min3_f32 v67, v69, v67, v220
	v_add_f64 v[68:69], v[28:29], v[64:65]
	v_cvt_f32_f64_e32 v68, v[68:69]
	v_min3_f32 v68, v70, v68, v221
	v_add_f64 v[69:70], v[20:21], v[64:65]
	v_cvt_f32_f64_e32 v69, v[69:70]
	v_cvt_f32_f64_e32 v70, v[76:77]
	v_add_f64 v[76:77], v[10:11], v[62:63]
	v_min3_f32 v69, v72, v69, v223
	v_cvt_f32_f64_e32 v72, v[74:75]
	v_add_f64 v[74:75], v[12:13], v[64:65]
	v_min3_f32 v70, v70, v72, v219
	v_cvt_f32_f64_e32 v72, v[76:77]
	v_cvt_f32_f64_e32 v74, v[74:75]
	v_add_f64 v[76:77], v[6:7], v[62:63]
	v_add_f64 v[62:63], v[2:3], v[62:63]
	v_min3_f32 v72, v72, v74, v216
	v_add_f64 v[74:75], v[8:9], v[64:65]
	v_add_f64 v[64:65], v[4:5], v[64:65]
	v_cvt_f32_f64_e32 v76, v[76:77]
	v_cvt_f32_f64_e32 v62, v[62:63]
	;; [unrolled: 1-line block ×4, first 2 shown]
	v_min3_f32 v74, v76, v74, v217
	v_min3_f32 v62, v62, v63, v214
	v_add_f64 v[63:64], v[36:37], v[60:61]
	v_add_f64 v[75:76], v[34:35], v[58:59]
	v_cvt_f32_f64_e32 v63, v[63:64]
	v_cvt_f32_f64_e32 v65, v[75:76]
	v_add_f64 v[75:76], v[30:31], v[58:59]
	v_min3_f32 v63, v65, v63, v218
	v_add_f64 v[64:65], v[32:33], v[60:61]
	v_cvt_f32_f64_e32 v75, v[75:76]
	v_cvt_f32_f64_e32 v64, v[64:65]
	;; [unrolled: 1-line block ×3, first 2 shown]
	v_add_f64 v[79:80], v[18:19], v[58:59]
	v_min3_f32 v64, v75, v64, v215
	v_add_f64 v[75:76], v[28:29], v[60:61]
	v_cvt_f32_f64_e32 v77, v[79:80]
	v_add_f64 v[79:80], v[14:15], v[58:59]
	v_cvt_f32_f64_e32 v75, v[75:76]
	v_cvt_f32_f64_e32 v79, v[79:80]
	v_min3_f32 v65, v65, v75, v213
	v_add_f64 v[75:76], v[20:21], v[60:61]
	v_cvt_f32_f64_e32 v75, v[75:76]
	v_min3_f32 v75, v77, v75, v212
	v_add_f64 v[76:77], v[16:17], v[60:61]
	v_cvt_f32_f64_e32 v76, v[76:77]
	v_cvt_f32_f64_e32 v77, v[83:84]
	v_add_f64 v[83:84], v[6:7], v[58:59]
	v_add_f64 v[58:59], v[2:3], v[58:59]
	v_min3_f32 v76, v79, v76, v210
	v_add_f64 v[79:80], v[12:13], v[60:61]
	v_cvt_f32_f64_e32 v81, v[83:84]
	v_cvt_f32_f64_e32 v58, v[58:59]
	v_add_f64 v[83:84], v[26:27], v[54:55]
	v_cvt_f32_f64_e32 v79, v[79:80]
	v_min3_f32 v77, v77, v79, v208
	v_add_f64 v[79:80], v[8:9], v[60:61]
	v_add_f64 v[60:61], v[4:5], v[60:61]
	v_cvt_f32_f64_e32 v79, v[79:80]
	v_cvt_f32_f64_e32 v59, v[60:61]
	v_min3_f32 v79, v81, v79, v209
	v_min3_f32 v58, v58, v59, v207
	v_add_f64 v[59:60], v[36:37], v[56:57]
	v_add_f64 v[80:81], v[34:35], v[54:55]
	v_cvt_f32_f64_e32 v59, v[59:60]
	v_cvt_f32_f64_e32 v61, v[80:81]
	v_add_f64 v[80:81], v[30:31], v[54:55]
	v_min3_f32 v59, v61, v59, v206
	v_add_f64 v[60:61], v[32:33], v[56:57]
	v_cvt_f32_f64_e32 v80, v[80:81]
	v_cvt_f32_f64_e32 v60, v[60:61]
	;; [unrolled: 1-line block ×3, first 2 shown]
	v_add_f64 v[83:84], v[18:19], v[54:55]
	v_min3_f32 v60, v80, v60, v204
	v_add_f64 v[80:81], v[28:29], v[56:57]
	v_cvt_f32_f64_e32 v83, v[83:84]
	v_cvt_f32_f64_e32 v80, v[80:81]
	v_min3_f32 v61, v61, v80, v205
	v_add_f64 v[80:81], v[20:21], v[56:57]
	v_cvt_f32_f64_e32 v80, v[80:81]
	v_cvt_f32_f64_e32 v81, v[87:88]
	v_add_f64 v[87:88], v[10:11], v[54:55]
	v_min3_f32 v80, v83, v80, v202
	v_add_f64 v[83:84], v[16:17], v[56:57]
	v_cvt_f32_f64_e32 v85, v[87:88]
	v_add_f64 v[87:88], v[6:7], v[54:55]
	v_add_f64 v[54:55], v[2:3], v[54:55]
	v_cvt_f32_f64_e32 v83, v[83:84]
	v_cvt_f32_f64_e32 v87, v[87:88]
	v_cvt_f32_f64_e32 v54, v[54:55]
	v_min3_f32 v81, v81, v83, v203
	v_add_f64 v[83:84], v[12:13], v[56:57]
	v_cvt_f32_f64_e32 v83, v[83:84]
	v_min3_f32 v83, v85, v83, v200
	v_add_f64 v[84:85], v[8:9], v[56:57]
	v_add_f64 v[56:57], v[4:5], v[56:57]
	v_cvt_f32_f64_e32 v84, v[84:85]
	v_cvt_f32_f64_e32 v55, v[56:57]
	v_min3_f32 v84, v87, v84, v201
	v_min3_f32 v54, v54, v55, v198
	v_add_f64 v[55:56], v[36:37], v[52:53]
	v_add_f64 v[87:88], v[34:35], v[50:51]
	v_cvt_f32_f64_e32 v55, v[55:56]
	v_cvt_f32_f64_e32 v57, v[87:88]
	v_add_f64 v[87:88], v[30:31], v[50:51]
	v_min3_f32 v55, v57, v55, v199
	v_add_f64 v[56:57], v[32:33], v[52:53]
	v_cvt_f32_f64_e32 v85, v[87:88]
	v_add_f64 v[87:88], v[28:29], v[52:53]
	v_cvt_f32_f64_e32 v56, v[56:57]
	v_cvt_f32_f64_e32 v57, v[91:92]
	v_add_f64 v[91:92], v[18:19], v[50:51]
	v_min3_f32 v56, v85, v56, v196
	v_cvt_f32_f64_e32 v85, v[87:88]
	v_add_f64 v[87:88], v[20:21], v[52:53]
	v_min3_f32 v57, v57, v85, v197
	v_cvt_f32_f64_e32 v85, v[91:92]
	v_cvt_f32_f64_e32 v87, v[87:88]
	v_add_f64 v[91:92], v[14:15], v[50:51]
	v_min3_f32 v85, v85, v87, v118
	v_add_f64 v[87:88], v[16:17], v[52:53]
	v_cvt_f32_f64_e32 v89, v[91:92]
	v_add_f64 v[91:92], v[10:11], v[50:51]
	v_add_f64 v[50:51], v[2:3], v[50:51]
	v_cvt_f32_f64_e32 v87, v[87:88]
	v_cvt_f32_f64_e32 v91, v[91:92]
	;; [unrolled: 1-line block ×3, first 2 shown]
	v_min3_f32 v87, v89, v87, v119
	v_add_f64 v[88:89], v[12:13], v[52:53]
	v_cvt_f32_f64_e32 v88, v[88:89]
	v_cvt_f32_f64_e32 v89, v[95:96]
	v_add_f64 v[95:96], v[26:27], v[46:47]
	v_min3_f32 v88, v91, v88, v120
	v_add_f64 v[91:92], v[8:9], v[52:53]
	v_add_f64 v[52:53], v[4:5], v[52:53]
	v_cvt_f32_f64_e32 v91, v[91:92]
	v_cvt_f32_f64_e32 v51, v[52:53]
	v_min3_f32 v89, v89, v91, v121
	v_min3_f32 v50, v50, v51, v114
	v_add_f64 v[51:52], v[36:37], v[48:49]
	v_add_f64 v[91:92], v[34:35], v[46:47]
	v_cvt_f32_f64_e32 v51, v[51:52]
	v_cvt_f32_f64_e32 v53, v[91:92]
	v_add_f64 v[91:92], v[30:31], v[46:47]
	v_min3_f32 v51, v53, v51, v115
	v_add_f64 v[52:53], v[32:33], v[48:49]
	v_cvt_f32_f64_e32 v91, v[91:92]
	v_cvt_f32_f64_e32 v52, v[52:53]
	;; [unrolled: 1-line block ×3, first 2 shown]
	v_add_f64 v[95:96], v[18:19], v[46:47]
	v_min3_f32 v52, v91, v52, v116
	v_add_f64 v[91:92], v[28:29], v[48:49]
	v_cvt_f32_f64_e32 v93, v[95:96]
	v_add_f64 v[95:96], v[14:15], v[46:47]
	v_cvt_f32_f64_e32 v91, v[91:92]
	v_cvt_f32_f64_e32 v95, v[95:96]
	v_min3_f32 v53, v53, v91, v117
	v_add_f64 v[91:92], v[20:21], v[48:49]
	v_cvt_f32_f64_e32 v91, v[91:92]
	v_min3_f32 v91, v93, v91, v122
	v_add_f64 v[92:93], v[16:17], v[48:49]
	v_cvt_f32_f64_e32 v92, v[92:93]
	v_cvt_f32_f64_e32 v93, v[99:100]
	v_add_f64 v[99:100], v[6:7], v[46:47]
	v_add_f64 v[46:47], v[2:3], v[46:47]
	v_min3_f32 v92, v95, v92, v123
	v_add_f64 v[95:96], v[12:13], v[48:49]
	v_cvt_f32_f64_e32 v46, v[46:47]
	v_cvt_f32_f64_e32 v95, v[95:96]
	v_min3_f32 v151, v93, v95, v124
	v_add_f64 v[95:96], v[8:9], v[48:49]
	v_add_f64 v[48:49], v[4:5], v[48:49]
	v_cvt_f32_f64_e32 v93, v[99:100]
	v_add_f64 v[99:100], v[26:27], v[42:43]
	v_cvt_f32_f64_e32 v95, v[95:96]
	v_cvt_f32_f64_e32 v47, v[48:49]
	v_min3_f32 v152, v93, v95, v125
	v_min3_f32 v46, v46, v47, v112
	v_add_f64 v[47:48], v[36:37], v[44:45]
	v_add_f64 v[95:96], v[34:35], v[42:43]
	v_cvt_f32_f64_e32 v47, v[47:48]
	v_cvt_f32_f64_e32 v49, v[95:96]
	v_add_f64 v[95:96], v[30:31], v[42:43]
	v_min3_f32 v47, v49, v47, v113
	v_add_f64 v[48:49], v[32:33], v[44:45]
	v_cvt_f32_f64_e32 v93, v[95:96]
	v_add_f64 v[95:96], v[28:29], v[44:45]
	v_cvt_f32_f64_e32 v48, v[48:49]
	v_cvt_f32_f64_e32 v49, v[99:100]
	v_add_f64 v[99:100], v[18:19], v[42:43]
	v_min3_f32 v48, v93, v48, v126
	v_cvt_f32_f64_e32 v93, v[95:96]
	v_add_f64 v[95:96], v[20:21], v[44:45]
	v_min3_f32 v49, v49, v93, v127
	v_cvt_f32_f64_e32 v93, v[99:100]
	v_cvt_f32_f64_e32 v95, v[95:96]
	v_add_f64 v[99:100], v[14:15], v[42:43]
	v_min3_f32 v153, v93, v95, v128
	v_add_f64 v[95:96], v[16:17], v[44:45]
	v_cvt_f32_f64_e32 v93, v[99:100]
	v_add_f64 v[99:100], v[10:11], v[42:43]
	v_cvt_f32_f64_e32 v95, v[95:96]
	v_min3_f32 v154, v93, v95, v129
	v_add_f64 v[95:96], v[12:13], v[44:45]
	v_cvt_f32_f64_e32 v93, v[99:100]
	v_add_f64 v[99:100], v[6:7], v[42:43]
	v_add_f64 v[42:43], v[2:3], v[42:43]
	v_cvt_f32_f64_e32 v95, v[95:96]
	v_cvt_f32_f64_e32 v42, v[42:43]
	v_min3_f32 v146, v93, v95, v146
	v_add_f64 v[95:96], v[8:9], v[44:45]
	v_add_f64 v[44:45], v[4:5], v[44:45]
	v_cvt_f32_f64_e32 v93, v[99:100]
	v_add_f64 v[99:100], v[26:27], v[38:39]
	v_add_f64 v[26:27], v[26:27], v[22:23]
	v_cvt_f32_f64_e32 v95, v[95:96]
	v_cvt_f32_f64_e32 v43, v[44:45]
	;; [unrolled: 1-line block ×3, first 2 shown]
	v_min3_f32 v147, v93, v95, v147
	v_min3_f32 v42, v42, v43, v171
	v_add_f64 v[43:44], v[36:37], v[40:41]
	v_add_f64 v[95:96], v[34:35], v[38:39]
	;; [unrolled: 1-line block ×4, first 2 shown]
	v_cvt_f32_f64_e32 v43, v[43:44]
	v_cvt_f32_f64_e32 v45, v[95:96]
	v_add_f64 v[95:96], v[30:31], v[38:39]
	v_add_f64 v[30:31], v[30:31], v[22:23]
	v_cvt_f32_f64_e32 v34, v[34:35]
	v_cvt_f32_f64_e32 v35, v[36:37]
	v_min3_f32 v43, v45, v43, v173
	v_add_f64 v[44:45], v[32:33], v[40:41]
	v_cvt_f32_f64_e32 v93, v[95:96]
	v_add_f64 v[95:96], v[28:29], v[40:41]
	v_add_f64 v[32:33], v[32:33], v[24:25]
	;; [unrolled: 1-line block ×3, first 2 shown]
	v_cvt_f32_f64_e32 v30, v[30:31]
	v_min3_f32 v192, v34, v35, v98
	v_cvt_f32_f64_e32 v44, v[44:45]
	v_cvt_f32_f64_e32 v45, v[99:100]
	v_add_f64 v[99:100], v[18:19], v[38:39]
	v_add_f64 v[18:19], v[18:19], v[22:23]
	v_cvt_f32_f64_e32 v31, v[32:33]
	v_cvt_f32_f64_e32 v27, v[28:29]
	v_min3_f32 v44, v93, v44, v106
	v_cvt_f32_f64_e32 v93, v[95:96]
	v_add_f64 v[95:96], v[20:21], v[40:41]
	v_add_f64 v[20:21], v[20:21], v[24:25]
	v_cvt_f32_f64_e32 v18, v[18:19]
	v_min3_f32 v193, v30, v31, v94
	v_min3_f32 v194, v26, v27, v90
	;; [unrolled: 1-line block ×3, first 2 shown]
	v_cvt_f32_f64_e32 v93, v[99:100]
	v_cvt_f32_f64_e32 v95, v[95:96]
	v_add_f64 v[99:100], v[14:15], v[38:39]
	v_add_f64 v[14:15], v[14:15], v[22:23]
	v_cvt_f32_f64_e32 v19, v[20:21]
	v_min3_f32 v155, v93, v95, v108
	v_add_f64 v[95:96], v[16:17], v[40:41]
	v_cvt_f32_f64_e32 v93, v[99:100]
	v_add_f64 v[99:100], v[10:11], v[38:39]
	v_add_f64 v[16:17], v[16:17], v[24:25]
	;; [unrolled: 1-line block ×3, first 2 shown]
	v_cvt_f32_f64_e32 v14, v[14:15]
	v_min3_f32 v195, v18, v19, v86
	v_cvt_f32_f64_e32 v95, v[95:96]
	v_cvt_f32_f64_e32 v15, v[16:17]
	;; [unrolled: 1-line block ×3, first 2 shown]
	v_min3_f32 v156, v93, v95, v109
	v_add_f64 v[95:96], v[12:13], v[40:41]
	v_cvt_f32_f64_e32 v93, v[99:100]
	v_add_f64 v[99:100], v[6:7], v[38:39]
	v_add_f64 v[38:39], v[2:3], v[38:39]
	;; [unrolled: 1-line block ×5, first 2 shown]
	v_min3_f32 v196, v14, v15, v82
	v_cvt_f32_f64_e32 v95, v[95:96]
	v_cvt_f32_f64_e32 v38, v[38:39]
	;; [unrolled: 1-line block ×5, first 2 shown]
	v_min3_f32 v157, v93, v95, v110
	v_add_f64 v[95:96], v[8:9], v[40:41]
	v_add_f64 v[40:41], v[4:5], v[40:41]
	;; [unrolled: 1-line block ×4, first 2 shown]
	v_cvt_f32_f64_e32 v93, v[99:100]
	v_min3_f32 v197, v10, v11, v78
	v_cvt_f32_f64_e32 v95, v[95:96]
	v_cvt_f32_f64_e32 v39, v[40:41]
	v_cvt_f32_f64_e32 v7, v[8:9]
	v_cvt_f32_f64_e32 v3, v[4:5]
	v_min3_f32 v171, v93, v95, v111
	v_min3_f32 v173, v38, v39, v102
	;; [unrolled: 1-line block ×4, first 2 shown]
	ds_read_b128 v[6:9], v149 offset:1024
	ds_read_b128 v[10:13], v149 offset:2048
	;; [unrolled: 1-line block ×14, first 2 shown]
	ds_read_b128 v[97:100], v167
	ds_read_b128 v[34:37], v167 offset:16
	ds_read_b128 v[188:191], v149
	ds_read_b128 v[2:5], v149 offset:16
	s_waitcnt lgkmcnt(1)
	v_add_f64 v[101:102], v[190:191], v[99:100]
	v_add_f64 v[103:104], v[188:189], v[97:98]
	v_cvt_f32_f64_e32 v73, v[101:102]
	v_cvt_f32_f64_e32 v71, v[103:104]
	v_add_f64 v[101:102], v[8:9], v[99:100]
	v_add_f64 v[103:104], v[6:7], v[97:98]
	v_min3_f32 v129, v71, v73, v66
	v_cvt_f32_f64_e32 v71, v[101:102]
	v_cvt_f32_f64_e32 v66, v[103:104]
	v_add_f64 v[101:102], v[10:11], v[97:98]
	v_min3_f32 v128, v66, v71, v67
	v_add_f64 v[66:67], v[12:13], v[99:100]
	v_cvt_f32_f64_e32 v71, v[101:102]
	v_add_f64 v[101:102], v[14:15], v[97:98]
	v_cvt_f32_f64_e32 v66, v[66:67]
	v_min3_f32 v127, v71, v66, v68
	v_add_f64 v[66:67], v[16:17], v[99:100]
	v_cvt_f32_f64_e32 v68, v[101:102]
	v_cvt_f32_f64_e32 v66, v[66:67]
	v_min3_f32 v126, v68, v66, v69
	v_add_f64 v[66:67], v[20:21], v[99:100]
	v_add_f64 v[68:69], v[18:19], v[97:98]
	v_cvt_f32_f64_e32 v66, v[66:67]
	v_cvt_f32_f64_e32 v68, v[68:69]
	v_min3_f32 v125, v68, v66, v70
	v_add_f64 v[66:67], v[24:25], v[99:100]
	;; [unrolled: 5-line block ×11, first 2 shown]
	v_add_f64 v[64:65], v[26:27], v[38:39]
	v_add_f64 v[40:41], v[32:33], v[40:41]
	v_add_f64 v[38:39], v[30:31], v[38:39]
	v_cvt_f32_f64_e32 v62, v[62:63]
	v_cvt_f32_f64_e32 v64, v[64:65]
	;; [unrolled: 1-line block ×4, first 2 shown]
	v_add_f64 v[40:41], v[188:189], v[93:94]
	v_min3_f32 v115, v64, v62, v79
	v_min3_f32 v114, v38, v39, v58
	v_add_f64 v[38:39], v[190:191], v[95:96]
	v_cvt_f32_f64_e32 v40, v[40:41]
	v_cvt_f32_f64_e32 v38, v[38:39]
	v_min3_f32 v113, v40, v38, v59
	v_add_f64 v[38:39], v[8:9], v[95:96]
	v_add_f64 v[40:41], v[6:7], v[93:94]
	v_cvt_f32_f64_e32 v38, v[38:39]
	v_cvt_f32_f64_e32 v40, v[40:41]
	v_min3_f32 v112, v40, v38, v60
	v_add_f64 v[38:39], v[12:13], v[95:96]
	;; [unrolled: 5-line block ×23, first 2 shown]
	v_add_f64 v[40:41], v[30:31], v[162:163]
	s_waitcnt lgkmcnt(0)
	v_add_f64 v[151:152], v[2:3], v[34:35]
	v_cvt_f32_f64_e32 v38, v[38:39]
	v_cvt_f32_f64_e32 v40, v[40:41]
	;; [unrolled: 1-line block ×3, first 2 shown]
	v_min3_f32 v90, v40, v38, v46
	v_add_f64 v[38:39], v[190:191], v[178:179]
	v_add_f64 v[40:41], v[188:189], v[176:177]
	v_cvt_f32_f64_e32 v38, v[38:39]
	v_cvt_f32_f64_e32 v40, v[40:41]
	v_min3_f32 v89, v40, v38, v47
	v_add_f64 v[38:39], v[8:9], v[178:179]
	v_add_f64 v[40:41], v[6:7], v[176:177]
	v_cvt_f32_f64_e32 v38, v[38:39]
	v_cvt_f32_f64_e32 v40, v[40:41]
	;; [unrolled: 5-line block ×7, first 2 shown]
	v_min3_f32 v83, v40, v38, v147
	v_add_f64 v[38:39], v[32:33], v[178:179]
	v_add_f64 v[40:41], v[30:31], v[176:177]
	;; [unrolled: 1-line block ×3, first 2 shown]
	v_cvt_f32_f64_e32 v38, v[38:39]
	v_cvt_f32_f64_e32 v40, v[40:41]
	;; [unrolled: 1-line block ×3, first 2 shown]
	v_min3_f32 v82, v40, v38, v42
	v_add_f64 v[38:39], v[190:191], v[182:183]
	v_add_f64 v[40:41], v[188:189], v[180:181]
	v_min3_f32 v222, v151, v146, v129
	v_cvt_f32_f64_e32 v38, v[38:39]
	v_cvt_f32_f64_e32 v40, v[40:41]
	v_min3_f32 v81, v40, v38, v43
	v_add_f64 v[38:39], v[8:9], v[182:183]
	v_add_f64 v[40:41], v[6:7], v[180:181]
	;; [unrolled: 1-line block ×4, first 2 shown]
	v_cvt_f32_f64_e32 v38, v[38:39]
	v_cvt_f32_f64_e32 v40, v[40:41]
	;; [unrolled: 1-line block ×4, first 2 shown]
	v_add_f64 v[8:9], v[10:11], v[184:185]
	v_min3_f32 v80, v40, v38, v44
	v_add_f64 v[38:39], v[12:13], v[182:183]
	v_add_f64 v[40:41], v[10:11], v[180:181]
	v_min3_f32 v72, v6, v7, v193
	v_add_f64 v[6:7], v[12:13], v[186:187]
	v_cvt_f32_f64_e32 v8, v[8:9]
	v_cvt_f32_f64_e32 v38, v[38:39]
	v_cvt_f32_f64_e32 v40, v[40:41]
	v_cvt_f32_f64_e32 v6, v[6:7]
	v_min3_f32 v79, v40, v38, v45
	v_add_f64 v[38:39], v[16:17], v[182:183]
	v_add_f64 v[40:41], v[14:15], v[180:181]
	v_min3_f32 v71, v8, v6, v194
	v_add_f64 v[6:7], v[16:17], v[186:187]
	v_add_f64 v[8:9], v[14:15], v[184:185]
	v_cvt_f32_f64_e32 v38, v[38:39]
	v_cvt_f32_f64_e32 v40, v[40:41]
	v_cvt_f32_f64_e32 v6, v[6:7]
	v_cvt_f32_f64_e32 v8, v[8:9]
	v_min3_f32 v78, v40, v38, v155
	v_add_f64 v[38:39], v[20:21], v[182:183]
	v_add_f64 v[40:41], v[18:19], v[180:181]
	v_min3_f32 v70, v8, v6, v195
	v_add_f64 v[6:7], v[20:21], v[186:187]
	;; [unrolled: 10-line block ×5, first 2 shown]
	v_add_f64 v[8:9], v[30:31], v[184:185]
	v_cvt_f32_f64_e32 v38, v[38:39]
	v_cvt_f32_f64_e32 v40, v[40:41]
	;; [unrolled: 1-line block ×4, first 2 shown]
	v_min3_f32 v74, v40, v38, v173
	v_add_f64 v[38:39], v[190:191], v[186:187]
	v_add_f64 v[40:41], v[188:189], v[184:185]
	v_min3_f32 v66, v8, v6, v199
	v_cvt_f32_f64_e32 v38, v[38:39]
	v_cvt_f32_f64_e32 v40, v[40:41]
	v_min3_f32 v73, v40, v38, v192
	ds_read_b128 v[22:25], v149 offset:1040
	ds_read_b128 v[18:21], v149 offset:2064
	;; [unrolled: 1-line block ×14, first 2 shown]
	ds_write2st64_b64 v168, v[138:139], v[140:141] offset1:4
	ds_write2st64_b64 v168, v[142:143], v[144:145] offset0:8 offset1:12
	ds_write_b64 v169, v[136:137]
	s_waitcnt lgkmcnt(0)
	s_barrier
	buffer_gl0_inv
	v_add_f64 v[146:147], v[24:25], v[36:37]
	v_add_f64 v[151:152], v[22:23], v[34:35]
	v_cvt_f32_f64_e32 v146, v[146:147]
	v_cvt_f32_f64_e32 v129, v[151:152]
	v_min3_f32 v220, v129, v146, v128
	v_add_f64 v[128:129], v[20:21], v[36:37]
	v_add_f64 v[146:147], v[18:19], v[34:35]
	v_cvt_f32_f64_e32 v128, v[128:129]
	v_cvt_f32_f64_e32 v146, v[146:147]
	v_min3_f32 v221, v146, v128, v127
	;; [unrolled: 5-line block ×5, first 2 shown]
	v_add_f64 v[124:125], v[32:33], v[36:37]
	v_add_f64 v[126:127], v[30:31], v[34:35]
	;; [unrolled: 1-line block ×4, first 2 shown]
	v_cvt_f32_f64_e32 v124, v[124:125]
	v_cvt_f32_f64_e32 v126, v[126:127]
	;; [unrolled: 1-line block ×4, first 2 shown]
	v_add_f64 v[36:37], v[2:3], v[62:63]
	v_min3_f32 v217, v126, v124, v123
	v_min3_f32 v214, v34, v35, v122
	v_add_f64 v[34:35], v[4:5], v[64:65]
	v_cvt_f32_f64_e32 v36, v[36:37]
	v_cvt_f32_f64_e32 v34, v[34:35]
	v_min3_f32 v215, v36, v34, v121
	v_add_f64 v[34:35], v[24:25], v[64:65]
	v_add_f64 v[36:37], v[22:23], v[62:63]
	v_cvt_f32_f64_e32 v34, v[34:35]
	v_cvt_f32_f64_e32 v36, v[36:37]
	v_min3_f32 v212, v36, v34, v120
	v_add_f64 v[34:35], v[20:21], v[64:65]
	;; [unrolled: 5-line block ×40, first 2 shown]
	v_add_f64 v[36:37], v[2:3], v[42:43]
	v_add_f64 v[4:5], v[4:5], v[40:41]
	v_add_f64 v[2:3], v[2:3], v[38:39]
	v_cvt_f32_f64_e32 v34, v[34:35]
	v_cvt_f32_f64_e32 v36, v[36:37]
	v_cvt_f32_f64_e32 v2, v[2:3]
	v_cvt_f32_f64_e32 v3, v[4:5]
	v_add_f64 v[4:5], v[22:23], v[38:39]
	v_min3_f32 v173, v36, v34, v81
	v_add_f64 v[34:35], v[24:25], v[44:45]
	v_add_f64 v[36:37], v[22:23], v[42:43]
	v_min3_f32 v158, v2, v3, v73
	v_add_f64 v[2:3], v[24:25], v[40:41]
	v_cvt_f32_f64_e32 v4, v[4:5]
	v_cvt_f32_f64_e32 v34, v[34:35]
	v_cvt_f32_f64_e32 v36, v[36:37]
	v_cvt_f32_f64_e32 v2, v[2:3]
	v_min3_f32 v164, v36, v34, v80
	v_add_f64 v[34:35], v[20:21], v[44:45]
	v_add_f64 v[36:37], v[18:19], v[42:43]
	v_min3_f32 v157, v4, v2, v72
	v_add_f64 v[2:3], v[20:21], v[40:41]
	v_add_f64 v[4:5], v[18:19], v[38:39]
	v_cvt_f32_f64_e32 v34, v[34:35]
	v_cvt_f32_f64_e32 v36, v[36:37]
	v_cvt_f32_f64_e32 v2, v[2:3]
	v_cvt_f32_f64_e32 v4, v[4:5]
	v_min3_f32 v165, v36, v34, v79
	v_add_f64 v[34:35], v[16:17], v[44:45]
	v_add_f64 v[36:37], v[14:15], v[42:43]
	v_min3_f32 v156, v4, v2, v71
	v_add_f64 v[2:3], v[16:17], v[40:41]
	;; [unrolled: 10-line block ×6, first 2 shown]
	v_add_f64 v[4:5], v[26:27], v[38:39]
	v_cvt_f32_f64_e32 v34, v[34:35]
	v_cvt_f32_f64_e32 v36, v[36:37]
	;; [unrolled: 1-line block ×4, first 2 shown]
	v_min3_f32 v159, v36, v34, v74
	v_min3_f32 v151, v4, v2, v66
	s_cbranch_scc1 .LBB107_35
.LBB107_23:                             ; =>This Inner Loop Header: Depth=1
	v_mov_b32_e32 v136, 0
	v_mov_b32_e32 v140, 0
	;; [unrolled: 1-line block ×6, first 2 shown]
	s_and_b32 vcc_lo, exec_lo, s1
	s_cbranch_vccnz .LBB107_25
; %bb.24:                               ;   in Loop: Header=BB107_23 Depth=1
	v_add_co_u32 v2, vcc_lo, v174, v134
	v_add_co_ci_u32_e64 v3, null, v175, v135, vcc_lo
	s_clause 0x1
	flat_load_dwordx2 v[4:5], v[2:3]
	flat_load_dwordx2 v[2:3], v[2:3] offset:512
	s_waitcnt vmcnt(1) lgkmcnt(1)
	v_mul_f64 v[140:141], s[8:9], v[4:5]
	s_waitcnt vmcnt(0) lgkmcnt(0)
	v_mul_f64 v[142:143], s[8:9], v[2:3]
.LBB107_25:                             ;   in Loop: Header=BB107_23 Depth=1
	v_mov_b32_e32 v144, 0
	v_mov_b32_e32 v145, 0
	s_and_b32 vcc_lo, exec_lo, s1
	s_cbranch_vccnz .LBB107_27
; %bb.26:                               ;   in Loop: Header=BB107_23 Depth=1
	v_add_co_u32 v2, vcc_lo, v174, v134
	v_add_co_ci_u32_e64 v3, null, v175, v135, vcc_lo
	s_clause 0x1
	flat_load_dwordx2 v[4:5], v[2:3] offset:1024
	flat_load_dwordx2 v[2:3], v[2:3] offset:1536
	s_waitcnt vmcnt(1) lgkmcnt(1)
	v_mul_f64 v[136:137], s[8:9], v[4:5]
	s_waitcnt vmcnt(0) lgkmcnt(0)
	v_mul_f64 v[144:145], s[8:9], v[2:3]
.LBB107_27:                             ;   in Loop: Header=BB107_23 Depth=1
	v_mov_b32_e32 v138, 0
	v_mov_b32_e32 v146, 0
	;; [unrolled: 1-line block ×4, first 2 shown]
	s_and_b32 vcc_lo, exec_lo, s1
	s_cbranch_vccnz .LBB107_29
; %bb.28:                               ;   in Loop: Header=BB107_23 Depth=1
	flat_load_dwordx2 v[2:3], v[130:131]
	s_waitcnt vmcnt(0) lgkmcnt(0)
	v_mul_f64 v[146:147], s[8:9], v[2:3]
.LBB107_29:                             ;   in Loop: Header=BB107_23 Depth=1
	ds_read_b128 v[126:129], v172
	ds_read_b128 v[62:65], v172 offset:16
	ds_read_b128 v[98:101], v170
	ds_read_b128 v[34:37], v170 offset:16
	ds_read_b128 v[94:97], v170 offset:1024
	;; [unrolled: 1-line block ×29, first 2 shown]
	ds_write2st64_b64 v150, v[140:141], v[142:143] offset1:4
	ds_write2st64_b64 v150, v[136:137], v[144:145] offset0:8 offset1:12
	v_mov_b32_e32 v140, 0
	v_mov_b32_e32 v141, 0
	s_and_b32 vcc_lo, exec_lo, s1
	ds_write_b64 v166, v[146:147]
	s_waitcnt lgkmcnt(0)
	s_barrier
	buffer_gl0_inv
	s_cbranch_vccnz .LBB107_31
; %bb.30:                               ;   in Loop: Header=BB107_23 Depth=1
	v_add_co_u32 v136, vcc_lo, v174, v132
	v_add_co_ci_u32_e64 v137, null, v175, v133, vcc_lo
	s_clause 0x1
	flat_load_dwordx2 v[138:139], v[136:137]
	flat_load_dwordx2 v[136:137], v[136:137] offset:512
	s_waitcnt vmcnt(1) lgkmcnt(1)
	v_mul_f64 v[138:139], s[8:9], v[138:139]
	s_waitcnt vmcnt(0) lgkmcnt(0)
	v_mul_f64 v[140:141], s[8:9], v[136:137]
.LBB107_31:                             ;   in Loop: Header=BB107_23 Depth=1
	v_mov_b32_e32 v136, 0
	v_mov_b32_e32 v142, 0
	v_mov_b32_e32 v144, 0
	v_mov_b32_e32 v137, 0
	v_mov_b32_e32 v143, 0
	v_mov_b32_e32 v145, 0
	s_and_b32 vcc_lo, exec_lo, s1
	s_cbranch_vccnz .LBB107_33
; %bb.32:                               ;   in Loop: Header=BB107_23 Depth=1
	v_add_co_u32 v142, vcc_lo, v174, v132
	v_add_co_ci_u32_e64 v143, null, v175, v133, vcc_lo
	s_clause 0x1
	flat_load_dwordx2 v[144:145], v[142:143] offset:1024
	flat_load_dwordx2 v[146:147], v[142:143] offset:1536
	s_waitcnt vmcnt(1) lgkmcnt(1)
	v_mul_f64 v[142:143], s[8:9], v[144:145]
	s_waitcnt vmcnt(0) lgkmcnt(0)
	v_mul_f64 v[144:145], s[8:9], v[146:147]
.LBB107_33:                             ;   in Loop: Header=BB107_23 Depth=1
	s_and_b32 vcc_lo, exec_lo, s1
	s_cbranch_vccnz .LBB107_22
; %bb.34:                               ;   in Loop: Header=BB107_23 Depth=1
	flat_load_dwordx2 v[136:137], v[130:131] offset:32
	s_waitcnt vmcnt(0) lgkmcnt(0)
	v_mul_f64 v[136:137], s[8:9], v[136:137]
	s_branch .LBB107_22
.LBB107_35:
	ds_read_b128 v[126:129], v148 offset:18432
	ds_read_b128 v[70:73], v149 offset:8192
	;; [unrolled: 1-line block ×4, first 2 shown]
	s_clause 0x2
	s_load_dword s1, s[4:5], 0x58
	s_load_dword s6, s[4:5], 0x70
	s_load_dwordx2 s[4:5], s[4:5], 0x78
	ds_read_b128 v[62:65], v149 offset:9216
	ds_read_b128 v[58:61], v149 offset:9232
	;; [unrolled: 1-line block ×23, first 2 shown]
	v_add_nc_u32_e32 v144, s15, v1
	ds_read_b128 v[82:85], v148 offset:19728
	v_add_nc_u32_e32 v138, s14, v0
	s_mov_b32 s7, -1
	v_ashrrev_i32_e32 v139, 31, v138
	v_add_nc_u32_e32 v0, 32, v138
	v_ashrrev_i32_e32 v1, 31, v0
	s_waitcnt lgkmcnt(0)
	v_add_f64 v[10:11], v[70:71], v[126:127]
	v_add_f64 v[12:13], v[72:73], v[128:129]
	;; [unrolled: 1-line block ×4, first 2 shown]
	v_mad_i64_i32 v[130:131], null, v144, s6, 0
	v_mad_i64_i32 v[132:133], null, v144, s1, 0
	s_lshl_b64 s[4:5], s[4:5], 3
	s_add_u32 s4, s12, s4
	s_addc_u32 s5, s13, s5
	v_lshlrev_b64 v[130:131], 3, v[130:131]
	v_lshlrev_b64 v[132:133], 3, v[132:133]
	v_add_co_u32 v145, vcc_lo, s4, v130
	v_add_co_ci_u32_e64 v146, null, s5, v131, vcc_lo
	v_cvt_f32_f64_e32 v134, v[10:11]
	v_cvt_f32_f64_e32 v135, v[12:13]
	;; [unrolled: 1-line block ×4, first 2 shown]
	ds_read_b128 v[78:81], v148 offset:19968
	ds_read_b128 v[74:77], v148 offset:19984
	;; [unrolled: 1-line block ×4, first 2 shown]
	v_add_co_u32 v147, vcc_lo, s10, v132
	v_add_co_ci_u32_e64 v148, null, s11, v133, vcc_lo
	s_mov_b32 vcc_lo, s0
	v_min3_f32 v134, v134, v135, v222
	v_min3_f32 v130, v136, v137, v134
	v_lshlrev_b64 v[134:135], 3, v[138:139]
	v_max_f32_e32 v131, v130, v130
	s_cbranch_vccz .LBB107_37
; %bb.36:
	v_min_f32_e32 v130, 0, v131
	v_add_co_u32 v136, vcc_lo, v145, v134
	v_add_co_ci_u32_e64 v137, null, v146, v135, vcc_lo
	v_cvt_f64_f32_e32 v[132:133], v130
	s_mov_b32 s7, 0
	flat_store_dwordx2 v[136:137], v[132:133]
.LBB107_37:
	v_lshlrev_b64 v[0:1], 3, v[0:1]
	v_mov_b32_e32 v130, 0
	s_andn2_b32 vcc_lo, exec_lo, s7
	s_cbranch_vccnz .LBB107_39
; %bb.38:
	v_add_co_u32 v132, vcc_lo, v147, v134
	v_add_co_ci_u32_e64 v133, null, v148, v135, vcc_lo
	flat_load_dwordx2 v[132:133], v[132:133]
	s_waitcnt vmcnt(0) lgkmcnt(0)
	v_mul_f64 v[132:133], s[2:3], v[132:133]
	v_cvt_f32_f64_e32 v130, v[132:133]
	v_add_co_u32 v132, vcc_lo, v145, v134
	v_add_co_ci_u32_e64 v133, null, v146, v135, vcc_lo
	v_add_co_u32 v136, vcc_lo, v147, v0
	v_add_co_ci_u32_e64 v137, null, v148, v1, vcc_lo
	v_min_f32_e32 v130, v130, v131
	v_cvt_f64_f32_e32 v[130:131], v130
	flat_store_dwordx2 v[132:133], v[130:131]
	flat_load_dwordx2 v[130:131], v[136:137]
	s_waitcnt vmcnt(0) lgkmcnt(0)
	v_mul_f64 v[130:131], s[2:3], v[130:131]
	v_cvt_f32_f64_e32 v130, v[130:131]
.LBB107_39:
	v_add_f64 v[131:132], v[62:63], v[126:127]
	v_add_f64 v[136:137], v[64:65], v[128:129]
	;; [unrolled: 1-line block ×7, first 2 shown]
	s_mov_b32 s7, -1
	v_cvt_f32_f64_e32 v133, v[131:132]
	v_cvt_f32_f64_e32 v136, v[136:137]
	;; [unrolled: 1-line block ×4, first 2 shown]
	v_add_f64 v[131:132], v[52:53], v[124:125]
	v_cvt_f32_f64_e32 v141, v[166:167]
	v_cvt_f32_f64_e32 v142, v[149:150]
	;; [unrolled: 1-line block ×3, first 2 shown]
	v_min3_f32 v133, v133, v136, v220
	v_min_f32_e32 v136, v137, v139
	v_cvt_f32_f64_e32 v131, v[131:132]
	v_add_nc_u32_e32 v132, 64, v138
	v_min3_f32 v130, v130, v136, v133
	v_min3_f32 v136, v141, v142, v221
	v_ashrrev_i32_e32 v133, 31, v132
	v_add_co_u32 v141, vcc_lo, v145, v0
	v_cvt_f64_f32_e32 v[139:140], v130
	v_add_nc_u32_e32 v130, 0x60, v138
	v_add_co_ci_u32_e64 v142, null, v146, v1, vcc_lo
	s_mov_b32 vcc_lo, s0
	v_min3_f32 v143, v143, v131, v136
	v_lshlrev_b64 v[136:137], 3, v[132:133]
	v_ashrrev_i32_e32 v131, 31, v130
	v_max_f32_e32 v133, v143, v143
	flat_store_dwordx2 v[141:142], v[139:140]
	s_cbranch_vccz .LBB107_41
; %bb.40:
	v_min_f32_e32 v132, 0, v133
	v_add_co_u32 v141, vcc_lo, v145, v136
	v_add_co_ci_u32_e64 v142, null, v146, v137, vcc_lo
	v_cvt_f64_f32_e32 v[139:140], v132
	s_mov_b32 s7, 0
	flat_store_dwordx2 v[141:142], v[139:140]
.LBB107_41:
	v_lshlrev_b64 v[130:131], 3, v[130:131]
	v_mov_b32_e32 v132, 0
	s_andn2_b32 vcc_lo, exec_lo, s7
	s_cbranch_vccnz .LBB107_43
; %bb.42:
	v_add_co_u32 v139, vcc_lo, v147, v136
	v_add_co_ci_u32_e64 v140, null, v148, v137, vcc_lo
	flat_load_dwordx2 v[139:140], v[139:140]
	s_waitcnt vmcnt(0) lgkmcnt(0)
	v_mul_f64 v[139:140], s[2:3], v[139:140]
	v_cvt_f32_f64_e32 v132, v[139:140]
	v_add_co_u32 v139, vcc_lo, v145, v136
	v_add_co_ci_u32_e64 v140, null, v146, v137, vcc_lo
	v_add_co_u32 v141, vcc_lo, v147, v130
	v_add_co_ci_u32_e64 v142, null, v148, v131, vcc_lo
	v_min_f32_e32 v132, v132, v133
	v_cvt_f64_f32_e32 v[132:133], v132
	flat_store_dwordx2 v[139:140], v[132:133]
	flat_load_dwordx2 v[132:133], v[141:142]
	s_waitcnt vmcnt(0) lgkmcnt(0)
	v_mul_f64 v[132:133], s[2:3], v[132:133]
	v_cvt_f32_f64_e32 v132, v[132:133]
.LBB107_43:
	v_add_f64 v[139:140], v[46:47], v[126:127]
	v_add_f64 v[141:142], v[48:49], v[128:129]
	;; [unrolled: 1-line block ×7, first 2 shown]
	s_mov_b32 s7, -1
	v_cvt_f32_f64_e32 v133, v[139:140]
	v_cvt_f32_f64_e32 v141, v[141:142]
	;; [unrolled: 1-line block ×4, first 2 shown]
	v_add_f64 v[139:140], v[36:37], v[124:125]
	v_cvt_f32_f64_e32 v166, v[174:175]
	v_cvt_f32_f64_e32 v167, v[168:169]
	;; [unrolled: 1-line block ×3, first 2 shown]
	v_min3_f32 v133, v133, v141, v218
	v_min_f32_e32 v141, v142, v143
	v_cvt_f32_f64_e32 v142, v[139:140]
	v_add_nc_u32_e32 v139, 0x80, v138
	v_min3_f32 v132, v132, v141, v133
	v_min3_f32 v133, v166, v167, v219
	v_ashrrev_i32_e32 v140, 31, v139
	v_add_co_u32 v166, vcc_lo, v145, v130
	v_cvt_f64_f32_e32 v[149:150], v132
	v_add_nc_u32_e32 v132, 0xa0, v138
	v_lshlrev_b64 v[140:141], 3, v[139:140]
	v_add_co_ci_u32_e64 v167, null, v146, v131, vcc_lo
	s_mov_b32 vcc_lo, s0
	v_min3_f32 v142, v168, v142, v133
	v_ashrrev_i32_e32 v133, 31, v132
	v_max_f32_e32 v142, v142, v142
	flat_store_dwordx2 v[166:167], v[149:150]
	s_cbranch_vccz .LBB107_45
; %bb.44:
	v_min_f32_e32 v139, 0, v142
	v_add_co_u32 v166, vcc_lo, v145, v140
	v_add_co_ci_u32_e64 v167, null, v146, v141, vcc_lo
	v_cvt_f64_f32_e32 v[149:150], v139
	s_mov_b32 s7, 0
	flat_store_dwordx2 v[166:167], v[149:150]
.LBB107_45:
	v_lshlrev_b64 v[132:133], 3, v[132:133]
	v_mov_b32_e32 v139, 0
	s_andn2_b32 vcc_lo, exec_lo, s7
	s_cbranch_vccnz .LBB107_47
; %bb.46:
	v_add_co_u32 v149, vcc_lo, v147, v140
	v_add_co_ci_u32_e64 v150, null, v148, v141, vcc_lo
	flat_load_dwordx2 v[149:150], v[149:150]
	s_waitcnt vmcnt(0) lgkmcnt(0)
	v_mul_f64 v[149:150], s[2:3], v[149:150]
	v_cvt_f32_f64_e32 v139, v[149:150]
	v_add_co_u32 v149, vcc_lo, v145, v140
	v_add_co_ci_u32_e64 v150, null, v146, v141, vcc_lo
	v_add_co_u32 v166, vcc_lo, v147, v132
	v_add_co_ci_u32_e64 v167, null, v148, v133, vcc_lo
	v_min_f32_e32 v139, v139, v142
	v_cvt_f64_f32_e32 v[142:143], v139
	flat_store_dwordx2 v[149:150], v[142:143]
	flat_load_dwordx2 v[142:143], v[166:167]
	s_waitcnt vmcnt(0) lgkmcnt(0)
	v_mul_f64 v[142:143], s[2:3], v[142:143]
	v_cvt_f32_f64_e32 v139, v[142:143]
.LBB107_47:
	v_add_f64 v[142:143], v[30:31], v[126:127]
	v_add_f64 v[149:150], v[32:33], v[128:129]
	;; [unrolled: 1-line block ×7, first 2 shown]
	s_mov_b32 s7, -1
	v_cvt_f32_f64_e32 v170, v[142:143]
	v_cvt_f32_f64_e32 v149, v[149:150]
	;; [unrolled: 1-line block ×4, first 2 shown]
	v_add_f64 v[142:143], v[20:21], v[124:125]
	v_cvt_f32_f64_e32 v168, v[218:219]
	v_cvt_f32_f64_e32 v169, v[174:175]
	;; [unrolled: 1-line block ×3, first 2 shown]
	v_min3_f32 v149, v170, v149, v216
	v_min_f32_e32 v150, v150, v166
	v_cvt_f32_f64_e32 v170, v[142:143]
	v_add_nc_u32_e32 v142, 0xc0, v138
	v_add_nc_u32_e32 v138, 0xe0, v138
	v_min3_f32 v139, v139, v150, v149
	v_ashrrev_i32_e32 v143, 31, v142
	v_cvt_f64_f32_e32 v[166:167], v139
	v_min3_f32 v139, v168, v169, v217
	v_add_co_u32 v168, vcc_lo, v145, v132
	v_lshlrev_b64 v[142:143], 3, v[142:143]
	v_add_co_ci_u32_e64 v169, null, v146, v133, vcc_lo
	s_mov_b32 vcc_lo, s0
	v_min3_f32 v149, v172, v170, v139
	v_ashrrev_i32_e32 v139, 31, v138
	v_max_f32_e32 v150, v149, v149
	flat_store_dwordx2 v[168:169], v[166:167]
	s_cbranch_vccz .LBB107_49
; %bb.48:
	v_min_f32_e32 v149, 0, v150
	v_add_co_u32 v168, vcc_lo, v145, v142
	v_add_co_ci_u32_e64 v169, null, v146, v143, vcc_lo
	v_cvt_f64_f32_e32 v[166:167], v149
	s_mov_b32 s7, 0
	flat_store_dwordx2 v[168:169], v[166:167]
.LBB107_49:
	v_lshlrev_b64 v[138:139], 3, v[138:139]
	v_mov_b32_e32 v149, 0
	s_andn2_b32 vcc_lo, exec_lo, s7
	s_cbranch_vccnz .LBB107_51
; %bb.50:
	v_add_co_u32 v166, vcc_lo, v147, v142
	v_add_co_ci_u32_e64 v167, null, v148, v143, vcc_lo
	flat_load_dwordx2 v[166:167], v[166:167]
	s_waitcnt vmcnt(0) lgkmcnt(0)
	v_mul_f64 v[166:167], s[2:3], v[166:167]
	v_cvt_f32_f64_e32 v149, v[166:167]
	v_add_co_u32 v166, vcc_lo, v145, v142
	v_add_co_ci_u32_e64 v167, null, v146, v143, vcc_lo
	v_add_co_u32 v147, vcc_lo, v147, v138
	v_add_co_ci_u32_e64 v148, null, v148, v139, vcc_lo
	v_min_f32_e32 v149, v149, v150
	v_cvt_f64_f32_e32 v[149:150], v149
	flat_store_dwordx2 v[166:167], v[149:150]
	flat_load_dwordx2 v[147:148], v[147:148]
	s_waitcnt vmcnt(0) lgkmcnt(0)
	v_mul_f64 v[147:148], s[2:3], v[147:148]
	v_cvt_f32_f64_e32 v149, v[147:148]
.LBB107_51:
	v_add_f64 v[126:127], v[2:3], v[126:127]
	v_add_f64 v[128:129], v[4:5], v[128:129]
	;; [unrolled: 1-line block ×6, first 2 shown]
	v_add_co_u32 v145, vcc_lo, v145, v138
	v_add_co_ci_u32_e64 v146, null, v146, v139, vcc_lo
	s_mov_b32 s7, -1
	v_cvt_f32_f64_e32 v126, v[126:127]
	v_cvt_f32_f64_e32 v127, v[128:129]
	;; [unrolled: 1-line block ×4, first 2 shown]
	v_add_f64 v[122:123], v[66:67], v[114:115]
	v_add_f64 v[124:125], v[68:69], v[116:117]
	v_cvt_f32_f64_e32 v150, v[166:167]
	v_cvt_f32_f64_e32 v147, v[147:148]
	v_add_nc_u32_e32 v148, 8, v144
	v_min3_f32 v126, v126, v127, v214
	v_min_f32_e32 v127, v128, v129
	v_cvt_f32_f64_e32 v166, v[122:123]
	v_cvt_f32_f64_e32 v167, v[124:125]
	v_mad_i64_i32 v[122:123], null, v148, s6, 0
	v_min3_f32 v124, v149, v127, v126
	v_min3_f32 v126, v150, v147, v215
	v_cvt_f64_f32_e32 v[128:129], v124
	v_mad_i64_i32 v[124:125], null, v148, s1, 0
	v_lshlrev_b64 v[122:123], 3, v[122:123]
	v_add_co_u32 v122, vcc_lo, s4, v122
	v_lshlrev_b64 v[124:125], 3, v[124:125]
	v_add_co_ci_u32_e64 v123, null, s5, v123, vcc_lo
	v_min3_f32 v126, v166, v167, v126
	v_add_co_u32 v124, vcc_lo, s10, v124
	v_add_co_ci_u32_e64 v125, null, s11, v125, vcc_lo
	v_max_f32_e32 v127, v126, v126
	s_mov_b32 vcc_lo, s0
	flat_store_dwordx2 v[145:146], v[128:129]
	s_cbranch_vccz .LBB107_53
; %bb.52:
	v_min_f32_e32 v126, 0, v127
	v_add_co_u32 v145, vcc_lo, v122, v134
	v_add_co_ci_u32_e64 v146, null, v123, v135, vcc_lo
	v_cvt_f64_f32_e32 v[128:129], v126
	s_mov_b32 s7, 0
	flat_store_dwordx2 v[145:146], v[128:129]
.LBB107_53:
	v_mov_b32_e32 v126, 0
	s_andn2_b32 vcc_lo, exec_lo, s7
	s_cbranch_vccnz .LBB107_55
; %bb.54:
	v_add_co_u32 v128, vcc_lo, v124, v134
	v_add_co_ci_u32_e64 v129, null, v125, v135, vcc_lo
	flat_load_dwordx2 v[128:129], v[128:129]
	s_waitcnt vmcnt(0) lgkmcnt(0)
	v_mul_f64 v[128:129], s[2:3], v[128:129]
	v_cvt_f32_f64_e32 v126, v[128:129]
	v_add_co_u32 v128, vcc_lo, v122, v134
	v_add_co_ci_u32_e64 v129, null, v123, v135, vcc_lo
	v_add_co_u32 v145, vcc_lo, v124, v0
	v_add_co_ci_u32_e64 v146, null, v125, v1, vcc_lo
	v_min_f32_e32 v126, v126, v127
	v_cvt_f64_f32_e32 v[126:127], v126
	flat_store_dwordx2 v[128:129], v[126:127]
	flat_load_dwordx2 v[126:127], v[145:146]
	s_waitcnt vmcnt(0) lgkmcnt(0)
	v_mul_f64 v[126:127], s[2:3], v[126:127]
	v_cvt_f32_f64_e32 v126, v[126:127]
.LBB107_55:
	v_add_f64 v[127:128], v[62:63], v[118:119]
	v_add_f64 v[145:146], v[64:65], v[120:121]
	v_add_f64 v[147:148], v[58:59], v[114:115]
	v_add_f64 v[149:150], v[60:61], v[116:117]
	v_add_f64 v[166:167], v[56:57], v[120:121]
	v_add_f64 v[168:169], v[54:55], v[118:119]
	v_add_f64 v[174:175], v[50:51], v[114:115]
	s_mov_b32 s7, -1
	v_cvt_f32_f64_e32 v129, v[127:128]
	v_cvt_f32_f64_e32 v145, v[145:146]
	v_cvt_f32_f64_e32 v146, v[147:148]
	v_cvt_f32_f64_e32 v147, v[149:150]
	v_add_f64 v[127:128], v[52:53], v[116:117]
	v_cvt_f32_f64_e32 v148, v[168:169]
	v_cvt_f32_f64_e32 v149, v[166:167]
	v_cvt_f32_f64_e32 v150, v[174:175]
	v_min3_f32 v129, v129, v145, v212
	v_min_f32_e32 v145, v146, v147
	v_cvt_f32_f64_e32 v127, v[127:128]
	v_min3_f32 v126, v126, v145, v129
	v_add_co_u32 v145, vcc_lo, v122, v0
	v_add_co_ci_u32_e64 v146, null, v123, v1, vcc_lo
	v_cvt_f64_f32_e32 v[128:129], v126
	v_min3_f32 v126, v148, v149, v213
	s_mov_b32 vcc_lo, s0
	v_min3_f32 v126, v150, v127, v126
	v_max_f32_e32 v127, v126, v126
	flat_store_dwordx2 v[145:146], v[128:129]
	s_cbranch_vccz .LBB107_57
; %bb.56:
	v_min_f32_e32 v126, 0, v127
	v_add_co_u32 v145, vcc_lo, v122, v136
	v_add_co_ci_u32_e64 v146, null, v123, v137, vcc_lo
	v_cvt_f64_f32_e32 v[128:129], v126
	s_mov_b32 s7, 0
	flat_store_dwordx2 v[145:146], v[128:129]
.LBB107_57:
	v_mov_b32_e32 v126, 0
	s_andn2_b32 vcc_lo, exec_lo, s7
	s_cbranch_vccnz .LBB107_59
; %bb.58:
	v_add_co_u32 v128, vcc_lo, v124, v136
	v_add_co_ci_u32_e64 v129, null, v125, v137, vcc_lo
	flat_load_dwordx2 v[128:129], v[128:129]
	s_waitcnt vmcnt(0) lgkmcnt(0)
	v_mul_f64 v[128:129], s[2:3], v[128:129]
	v_cvt_f32_f64_e32 v126, v[128:129]
	v_add_co_u32 v128, vcc_lo, v122, v136
	v_add_co_ci_u32_e64 v129, null, v123, v137, vcc_lo
	v_add_co_u32 v145, vcc_lo, v124, v130
	v_add_co_ci_u32_e64 v146, null, v125, v131, vcc_lo
	v_min_f32_e32 v126, v126, v127
	v_cvt_f64_f32_e32 v[126:127], v126
	flat_store_dwordx2 v[128:129], v[126:127]
	flat_load_dwordx2 v[126:127], v[145:146]
	s_waitcnt vmcnt(0) lgkmcnt(0)
	v_mul_f64 v[126:127], s[2:3], v[126:127]
	v_cvt_f32_f64_e32 v126, v[126:127]
.LBB107_59:
	v_add_f64 v[127:128], v[46:47], v[118:119]
	v_add_f64 v[145:146], v[48:49], v[120:121]
	v_add_f64 v[147:148], v[42:43], v[114:115]
	v_add_f64 v[149:150], v[44:45], v[116:117]
	v_add_f64 v[166:167], v[40:41], v[120:121]
	v_add_f64 v[168:169], v[38:39], v[118:119]
	v_add_f64 v[174:175], v[34:35], v[114:115]
	s_mov_b32 s7, -1
	v_cvt_f32_f64_e32 v129, v[127:128]
	v_cvt_f32_f64_e32 v145, v[145:146]
	v_cvt_f32_f64_e32 v146, v[147:148]
	v_cvt_f32_f64_e32 v147, v[149:150]
	v_add_f64 v[127:128], v[36:37], v[116:117]
	v_cvt_f32_f64_e32 v148, v[168:169]
	v_cvt_f32_f64_e32 v149, v[166:167]
	v_cvt_f32_f64_e32 v150, v[174:175]
	v_min3_f32 v129, v129, v145, v210
	v_min_f32_e32 v145, v146, v147
	v_cvt_f32_f64_e32 v127, v[127:128]
	v_min3_f32 v126, v126, v145, v129
	v_add_co_u32 v145, vcc_lo, v122, v130
	v_add_co_ci_u32_e64 v146, null, v123, v131, vcc_lo
	v_cvt_f64_f32_e32 v[128:129], v126
	v_min3_f32 v126, v148, v149, v211
	s_mov_b32 vcc_lo, s0
	v_min3_f32 v126, v150, v127, v126
	v_max_f32_e32 v127, v126, v126
	;; [unrolled: 59-line block ×3, first 2 shown]
	flat_store_dwordx2 v[145:146], v[128:129]
	s_cbranch_vccz .LBB107_65
; %bb.64:
	v_min_f32_e32 v126, 0, v127
	v_add_co_u32 v145, vcc_lo, v122, v142
	v_add_co_ci_u32_e64 v146, null, v123, v143, vcc_lo
	v_cvt_f64_f32_e32 v[128:129], v126
	s_mov_b32 s7, 0
	flat_store_dwordx2 v[145:146], v[128:129]
.LBB107_65:
	v_mov_b32_e32 v126, 0
	s_andn2_b32 vcc_lo, exec_lo, s7
	s_cbranch_vccnz .LBB107_67
; %bb.66:
	v_add_co_u32 v128, vcc_lo, v124, v142
	v_add_co_ci_u32_e64 v129, null, v125, v143, vcc_lo
	flat_load_dwordx2 v[128:129], v[128:129]
	s_waitcnt vmcnt(0) lgkmcnt(0)
	v_mul_f64 v[128:129], s[2:3], v[128:129]
	v_cvt_f32_f64_e32 v126, v[128:129]
	v_add_co_u32 v128, vcc_lo, v122, v142
	v_add_co_ci_u32_e64 v129, null, v123, v143, vcc_lo
	v_add_co_u32 v124, vcc_lo, v124, v138
	v_add_co_ci_u32_e64 v125, null, v125, v139, vcc_lo
	v_min_f32_e32 v126, v126, v127
	v_cvt_f64_f32_e32 v[126:127], v126
	flat_store_dwordx2 v[128:129], v[126:127]
	flat_load_dwordx2 v[124:125], v[124:125]
	s_waitcnt vmcnt(0) lgkmcnt(0)
	v_mul_f64 v[124:125], s[2:3], v[124:125]
	v_cvt_f32_f64_e32 v126, v[124:125]
.LBB107_67:
	v_add_f64 v[118:119], v[2:3], v[118:119]
	v_add_f64 v[120:121], v[4:5], v[120:121]
	;; [unrolled: 1-line block ×6, first 2 shown]
	v_add_co_u32 v122, vcc_lo, v122, v138
	v_add_co_ci_u32_e64 v123, null, v123, v139, vcc_lo
	s_mov_b32 s7, -1
	v_cvt_f32_f64_e32 v118, v[118:119]
	v_cvt_f32_f64_e32 v119, v[120:121]
	;; [unrolled: 1-line block ×4, first 2 shown]
	v_add_f64 v[114:115], v[66:67], v[106:107]
	v_add_f64 v[116:117], v[68:69], v[108:109]
	v_cvt_f32_f64_e32 v127, v[127:128]
	v_cvt_f32_f64_e32 v124, v[124:125]
	v_add_nc_u32_e32 v125, 16, v144
	v_min3_f32 v118, v118, v119, v207
	v_min_f32_e32 v119, v120, v121
	v_cvt_f32_f64_e32 v128, v[114:115]
	v_cvt_f32_f64_e32 v129, v[116:117]
	v_mad_i64_i32 v[114:115], null, v125, s6, 0
	v_min3_f32 v116, v126, v119, v118
	v_min3_f32 v118, v127, v124, v206
	v_cvt_f64_f32_e32 v[120:121], v116
	v_mad_i64_i32 v[116:117], null, v125, s1, 0
	v_lshlrev_b64 v[114:115], 3, v[114:115]
	v_add_co_u32 v114, vcc_lo, s4, v114
	v_lshlrev_b64 v[116:117], 3, v[116:117]
	v_add_co_ci_u32_e64 v115, null, s5, v115, vcc_lo
	v_min3_f32 v118, v128, v129, v118
	v_add_co_u32 v116, vcc_lo, s10, v116
	v_add_co_ci_u32_e64 v117, null, s11, v117, vcc_lo
	v_max_f32_e32 v119, v118, v118
	s_mov_b32 vcc_lo, s0
	flat_store_dwordx2 v[122:123], v[120:121]
	s_cbranch_vccz .LBB107_69
; %bb.68:
	v_min_f32_e32 v118, 0, v119
	v_add_co_u32 v122, vcc_lo, v114, v134
	v_add_co_ci_u32_e64 v123, null, v115, v135, vcc_lo
	v_cvt_f64_f32_e32 v[120:121], v118
	s_mov_b32 s7, 0
	flat_store_dwordx2 v[122:123], v[120:121]
.LBB107_69:
	v_mov_b32_e32 v118, 0
	s_andn2_b32 vcc_lo, exec_lo, s7
	s_cbranch_vccnz .LBB107_71
; %bb.70:
	v_add_co_u32 v120, vcc_lo, v116, v134
	v_add_co_ci_u32_e64 v121, null, v117, v135, vcc_lo
	flat_load_dwordx2 v[120:121], v[120:121]
	s_waitcnt vmcnt(0) lgkmcnt(0)
	v_mul_f64 v[120:121], s[2:3], v[120:121]
	v_cvt_f32_f64_e32 v118, v[120:121]
	v_add_co_u32 v120, vcc_lo, v114, v134
	v_add_co_ci_u32_e64 v121, null, v115, v135, vcc_lo
	v_add_co_u32 v122, vcc_lo, v116, v0
	v_add_co_ci_u32_e64 v123, null, v117, v1, vcc_lo
	v_min_f32_e32 v118, v118, v119
	v_cvt_f64_f32_e32 v[118:119], v118
	flat_store_dwordx2 v[120:121], v[118:119]
	flat_load_dwordx2 v[118:119], v[122:123]
	s_waitcnt vmcnt(0) lgkmcnt(0)
	v_mul_f64 v[118:119], s[2:3], v[118:119]
	v_cvt_f32_f64_e32 v118, v[118:119]
.LBB107_71:
	v_add_f64 v[119:120], v[62:63], v[110:111]
	v_add_f64 v[121:122], v[64:65], v[112:113]
	v_add_f64 v[123:124], v[58:59], v[106:107]
	v_add_f64 v[125:126], v[60:61], v[108:109]
	v_add_f64 v[127:128], v[56:57], v[112:113]
	v_add_f64 v[145:146], v[54:55], v[110:111]
	v_add_f64 v[147:148], v[50:51], v[106:107]
	s_mov_b32 s7, -1
	v_cvt_f32_f64_e32 v129, v[119:120]
	v_cvt_f32_f64_e32 v121, v[121:122]
	v_cvt_f32_f64_e32 v122, v[123:124]
	v_cvt_f32_f64_e32 v123, v[125:126]
	v_add_f64 v[119:120], v[52:53], v[108:109]
	v_cvt_f32_f64_e32 v124, v[145:146]
	v_cvt_f32_f64_e32 v125, v[127:128]
	v_cvt_f32_f64_e32 v126, v[147:148]
	v_min3_f32 v121, v129, v121, v204
	v_min_f32_e32 v122, v122, v123
	v_cvt_f32_f64_e32 v119, v[119:120]
	v_min3_f32 v118, v118, v122, v121
	v_add_co_u32 v122, vcc_lo, v114, v0
	v_add_co_ci_u32_e64 v123, null, v115, v1, vcc_lo
	v_cvt_f64_f32_e32 v[120:121], v118
	v_min3_f32 v118, v124, v125, v205
	s_mov_b32 vcc_lo, s0
	v_min3_f32 v118, v126, v119, v118
	v_max_f32_e32 v119, v118, v118
	flat_store_dwordx2 v[122:123], v[120:121]
	s_cbranch_vccz .LBB107_73
; %bb.72:
	v_min_f32_e32 v118, 0, v119
	v_add_co_u32 v122, vcc_lo, v114, v136
	v_add_co_ci_u32_e64 v123, null, v115, v137, vcc_lo
	v_cvt_f64_f32_e32 v[120:121], v118
	s_mov_b32 s7, 0
	flat_store_dwordx2 v[122:123], v[120:121]
.LBB107_73:
	v_mov_b32_e32 v118, 0
	s_andn2_b32 vcc_lo, exec_lo, s7
	s_cbranch_vccnz .LBB107_75
; %bb.74:
	v_add_co_u32 v120, vcc_lo, v116, v136
	v_add_co_ci_u32_e64 v121, null, v117, v137, vcc_lo
	flat_load_dwordx2 v[120:121], v[120:121]
	s_waitcnt vmcnt(0) lgkmcnt(0)
	v_mul_f64 v[120:121], s[2:3], v[120:121]
	v_cvt_f32_f64_e32 v118, v[120:121]
	v_add_co_u32 v120, vcc_lo, v114, v136
	v_add_co_ci_u32_e64 v121, null, v115, v137, vcc_lo
	v_add_co_u32 v122, vcc_lo, v116, v130
	v_add_co_ci_u32_e64 v123, null, v117, v131, vcc_lo
	v_min_f32_e32 v118, v118, v119
	v_cvt_f64_f32_e32 v[118:119], v118
	flat_store_dwordx2 v[120:121], v[118:119]
	flat_load_dwordx2 v[118:119], v[122:123]
	s_waitcnt vmcnt(0) lgkmcnt(0)
	v_mul_f64 v[118:119], s[2:3], v[118:119]
	v_cvt_f32_f64_e32 v118, v[118:119]
.LBB107_75:
	v_add_f64 v[119:120], v[46:47], v[110:111]
	v_add_f64 v[121:122], v[48:49], v[112:113]
	v_add_f64 v[123:124], v[42:43], v[106:107]
	v_add_f64 v[125:126], v[44:45], v[108:109]
	v_add_f64 v[127:128], v[40:41], v[112:113]
	v_add_f64 v[145:146], v[38:39], v[110:111]
	v_add_f64 v[147:148], v[34:35], v[106:107]
	s_mov_b32 s7, -1
	v_cvt_f32_f64_e32 v129, v[119:120]
	v_cvt_f32_f64_e32 v121, v[121:122]
	v_cvt_f32_f64_e32 v122, v[123:124]
	v_cvt_f32_f64_e32 v123, v[125:126]
	v_add_f64 v[119:120], v[36:37], v[108:109]
	v_cvt_f32_f64_e32 v124, v[145:146]
	v_cvt_f32_f64_e32 v125, v[127:128]
	v_cvt_f32_f64_e32 v126, v[147:148]
	v_min3_f32 v121, v129, v121, v202
	v_min_f32_e32 v122, v122, v123
	v_cvt_f32_f64_e32 v119, v[119:120]
	v_min3_f32 v118, v118, v122, v121
	v_add_co_u32 v122, vcc_lo, v114, v130
	v_add_co_ci_u32_e64 v123, null, v115, v131, vcc_lo
	v_cvt_f64_f32_e32 v[120:121], v118
	v_min3_f32 v118, v124, v125, v203
	s_mov_b32 vcc_lo, s0
	v_min3_f32 v118, v126, v119, v118
	v_max_f32_e32 v119, v118, v118
	;; [unrolled: 59-line block ×3, first 2 shown]
	flat_store_dwordx2 v[122:123], v[120:121]
	s_cbranch_vccz .LBB107_81
; %bb.80:
	v_min_f32_e32 v118, 0, v119
	v_add_co_u32 v122, vcc_lo, v114, v142
	v_add_co_ci_u32_e64 v123, null, v115, v143, vcc_lo
	v_cvt_f64_f32_e32 v[120:121], v118
	s_mov_b32 s7, 0
	flat_store_dwordx2 v[122:123], v[120:121]
.LBB107_81:
	v_mov_b32_e32 v118, 0
	s_andn2_b32 vcc_lo, exec_lo, s7
	s_cbranch_vccnz .LBB107_83
; %bb.82:
	v_add_co_u32 v120, vcc_lo, v116, v142
	v_add_co_ci_u32_e64 v121, null, v117, v143, vcc_lo
	flat_load_dwordx2 v[120:121], v[120:121]
	s_waitcnt vmcnt(0) lgkmcnt(0)
	v_mul_f64 v[120:121], s[2:3], v[120:121]
	v_cvt_f32_f64_e32 v118, v[120:121]
	v_add_co_u32 v120, vcc_lo, v114, v142
	v_add_co_ci_u32_e64 v121, null, v115, v143, vcc_lo
	v_add_co_u32 v116, vcc_lo, v116, v138
	v_add_co_ci_u32_e64 v117, null, v117, v139, vcc_lo
	v_min_f32_e32 v118, v118, v119
	v_cvt_f64_f32_e32 v[118:119], v118
	flat_store_dwordx2 v[120:121], v[118:119]
	flat_load_dwordx2 v[116:117], v[116:117]
	s_waitcnt vmcnt(0) lgkmcnt(0)
	v_mul_f64 v[116:117], s[2:3], v[116:117]
	v_cvt_f32_f64_e32 v118, v[116:117]
.LBB107_83:
	v_add_f64 v[110:111], v[2:3], v[110:111]
	v_add_f64 v[112:113], v[4:5], v[112:113]
	;; [unrolled: 1-line block ×6, first 2 shown]
	v_add_co_u32 v114, vcc_lo, v114, v138
	v_add_co_ci_u32_e64 v115, null, v115, v139, vcc_lo
	s_mov_b32 s7, -1
	v_cvt_f32_f64_e32 v110, v[110:111]
	v_cvt_f32_f64_e32 v111, v[112:113]
	;; [unrolled: 1-line block ×4, first 2 shown]
	v_add_f64 v[106:107], v[66:67], v[98:99]
	v_add_f64 v[108:109], v[68:69], v[100:101]
	v_cvt_f32_f64_e32 v119, v[119:120]
	v_cvt_f32_f64_e32 v116, v[116:117]
	v_add_nc_u32_e32 v117, 24, v144
	v_min3_f32 v110, v110, v111, v198
	v_min_f32_e32 v111, v112, v113
	v_cvt_f32_f64_e32 v120, v[106:107]
	v_cvt_f32_f64_e32 v121, v[108:109]
	v_mad_i64_i32 v[106:107], null, v117, s6, 0
	v_min3_f32 v108, v118, v111, v110
	v_min3_f32 v110, v119, v116, v199
	v_cvt_f64_f32_e32 v[112:113], v108
	v_mad_i64_i32 v[108:109], null, v117, s1, 0
	v_lshlrev_b64 v[106:107], 3, v[106:107]
	v_add_co_u32 v106, vcc_lo, s4, v106
	v_lshlrev_b64 v[108:109], 3, v[108:109]
	v_add_co_ci_u32_e64 v107, null, s5, v107, vcc_lo
	v_min3_f32 v110, v120, v121, v110
	v_add_co_u32 v108, vcc_lo, s10, v108
	v_add_co_ci_u32_e64 v109, null, s11, v109, vcc_lo
	v_max_f32_e32 v111, v110, v110
	s_mov_b32 vcc_lo, s0
	flat_store_dwordx2 v[114:115], v[112:113]
	s_cbranch_vccz .LBB107_85
; %bb.84:
	v_min_f32_e32 v110, 0, v111
	v_add_co_u32 v114, vcc_lo, v106, v134
	v_add_co_ci_u32_e64 v115, null, v107, v135, vcc_lo
	v_cvt_f64_f32_e32 v[112:113], v110
	s_mov_b32 s7, 0
	flat_store_dwordx2 v[114:115], v[112:113]
.LBB107_85:
	v_mov_b32_e32 v110, 0
	s_andn2_b32 vcc_lo, exec_lo, s7
	s_cbranch_vccnz .LBB107_87
; %bb.86:
	v_add_co_u32 v112, vcc_lo, v108, v134
	v_add_co_ci_u32_e64 v113, null, v109, v135, vcc_lo
	flat_load_dwordx2 v[112:113], v[112:113]
	s_waitcnt vmcnt(0) lgkmcnt(0)
	v_mul_f64 v[112:113], s[2:3], v[112:113]
	v_cvt_f32_f64_e32 v110, v[112:113]
	v_add_co_u32 v112, vcc_lo, v106, v134
	v_add_co_ci_u32_e64 v113, null, v107, v135, vcc_lo
	v_add_co_u32 v114, vcc_lo, v108, v0
	v_add_co_ci_u32_e64 v115, null, v109, v1, vcc_lo
	v_min_f32_e32 v110, v110, v111
	v_cvt_f64_f32_e32 v[110:111], v110
	flat_store_dwordx2 v[112:113], v[110:111]
	flat_load_dwordx2 v[110:111], v[114:115]
	s_waitcnt vmcnt(0) lgkmcnt(0)
	v_mul_f64 v[110:111], s[2:3], v[110:111]
	v_cvt_f32_f64_e32 v110, v[110:111]
.LBB107_87:
	v_add_f64 v[111:112], v[62:63], v[102:103]
	v_add_f64 v[113:114], v[64:65], v[104:105]
	v_add_f64 v[115:116], v[58:59], v[98:99]
	v_add_f64 v[117:118], v[60:61], v[100:101]
	v_add_f64 v[119:120], v[56:57], v[104:105]
	v_add_f64 v[121:122], v[54:55], v[102:103]
	v_add_f64 v[123:124], v[50:51], v[98:99]
	s_mov_b32 s7, -1
	v_cvt_f32_f64_e32 v125, v[111:112]
	v_cvt_f32_f64_e32 v113, v[113:114]
	v_cvt_f32_f64_e32 v114, v[115:116]
	v_cvt_f32_f64_e32 v115, v[117:118]
	v_add_f64 v[111:112], v[52:53], v[100:101]
	v_cvt_f32_f64_e32 v116, v[121:122]
	v_cvt_f32_f64_e32 v117, v[119:120]
	v_cvt_f32_f64_e32 v118, v[123:124]
	v_min3_f32 v113, v125, v113, v196
	v_min_f32_e32 v114, v114, v115
	v_cvt_f32_f64_e32 v111, v[111:112]
	v_min3_f32 v110, v110, v114, v113
	v_add_co_u32 v114, vcc_lo, v106, v0
	v_add_co_ci_u32_e64 v115, null, v107, v1, vcc_lo
	v_cvt_f64_f32_e32 v[112:113], v110
	v_min3_f32 v110, v116, v117, v197
	s_mov_b32 vcc_lo, s0
	v_min3_f32 v110, v118, v111, v110
	v_max_f32_e32 v111, v110, v110
	flat_store_dwordx2 v[114:115], v[112:113]
	s_cbranch_vccz .LBB107_89
; %bb.88:
	v_min_f32_e32 v110, 0, v111
	v_add_co_u32 v114, vcc_lo, v106, v136
	v_add_co_ci_u32_e64 v115, null, v107, v137, vcc_lo
	v_cvt_f64_f32_e32 v[112:113], v110
	s_mov_b32 s7, 0
	flat_store_dwordx2 v[114:115], v[112:113]
.LBB107_89:
	v_mov_b32_e32 v110, 0
	s_andn2_b32 vcc_lo, exec_lo, s7
	s_cbranch_vccnz .LBB107_91
; %bb.90:
	v_add_co_u32 v112, vcc_lo, v108, v136
	v_add_co_ci_u32_e64 v113, null, v109, v137, vcc_lo
	flat_load_dwordx2 v[112:113], v[112:113]
	s_waitcnt vmcnt(0) lgkmcnt(0)
	v_mul_f64 v[112:113], s[2:3], v[112:113]
	v_cvt_f32_f64_e32 v110, v[112:113]
	v_add_co_u32 v112, vcc_lo, v106, v136
	v_add_co_ci_u32_e64 v113, null, v107, v137, vcc_lo
	v_add_co_u32 v114, vcc_lo, v108, v130
	v_add_co_ci_u32_e64 v115, null, v109, v131, vcc_lo
	v_min_f32_e32 v110, v110, v111
	v_cvt_f64_f32_e32 v[110:111], v110
	flat_store_dwordx2 v[112:113], v[110:111]
	flat_load_dwordx2 v[110:111], v[114:115]
	s_waitcnt vmcnt(0) lgkmcnt(0)
	v_mul_f64 v[110:111], s[2:3], v[110:111]
	v_cvt_f32_f64_e32 v110, v[110:111]
.LBB107_91:
	v_add_f64 v[111:112], v[46:47], v[102:103]
	v_add_f64 v[113:114], v[48:49], v[104:105]
	v_add_f64 v[115:116], v[42:43], v[98:99]
	v_add_f64 v[117:118], v[44:45], v[100:101]
	v_add_f64 v[119:120], v[40:41], v[104:105]
	v_add_f64 v[121:122], v[38:39], v[102:103]
	v_add_f64 v[123:124], v[34:35], v[98:99]
	s_mov_b32 s7, -1
	v_cvt_f32_f64_e32 v125, v[111:112]
	v_cvt_f32_f64_e32 v113, v[113:114]
	v_cvt_f32_f64_e32 v114, v[115:116]
	v_cvt_f32_f64_e32 v115, v[117:118]
	v_add_f64 v[111:112], v[36:37], v[100:101]
	v_cvt_f32_f64_e32 v116, v[121:122]
	v_cvt_f32_f64_e32 v117, v[119:120]
	v_cvt_f32_f64_e32 v118, v[123:124]
	v_min3_f32 v113, v125, v113, v194
	v_min_f32_e32 v114, v114, v115
	v_cvt_f32_f64_e32 v111, v[111:112]
	v_min3_f32 v110, v110, v114, v113
	v_add_co_u32 v114, vcc_lo, v106, v130
	v_add_co_ci_u32_e64 v115, null, v107, v131, vcc_lo
	v_cvt_f64_f32_e32 v[112:113], v110
	v_min3_f32 v110, v116, v117, v195
	s_mov_b32 vcc_lo, s0
	v_min3_f32 v110, v118, v111, v110
	v_max_f32_e32 v111, v110, v110
	;; [unrolled: 59-line block ×3, first 2 shown]
	flat_store_dwordx2 v[114:115], v[112:113]
	s_cbranch_vccz .LBB107_97
; %bb.96:
	v_min_f32_e32 v110, 0, v111
	v_add_co_u32 v114, vcc_lo, v106, v142
	v_add_co_ci_u32_e64 v115, null, v107, v143, vcc_lo
	v_cvt_f64_f32_e32 v[112:113], v110
	s_mov_b32 s7, 0
	flat_store_dwordx2 v[114:115], v[112:113]
.LBB107_97:
	v_mov_b32_e32 v110, 0
	s_andn2_b32 vcc_lo, exec_lo, s7
	s_cbranch_vccnz .LBB107_99
; %bb.98:
	v_add_co_u32 v112, vcc_lo, v108, v142
	v_add_co_ci_u32_e64 v113, null, v109, v143, vcc_lo
	flat_load_dwordx2 v[112:113], v[112:113]
	s_waitcnt vmcnt(0) lgkmcnt(0)
	v_mul_f64 v[112:113], s[2:3], v[112:113]
	v_cvt_f32_f64_e32 v110, v[112:113]
	v_add_co_u32 v112, vcc_lo, v106, v142
	v_add_co_ci_u32_e64 v113, null, v107, v143, vcc_lo
	v_add_co_u32 v108, vcc_lo, v108, v138
	v_add_co_ci_u32_e64 v109, null, v109, v139, vcc_lo
	v_min_f32_e32 v110, v110, v111
	v_cvt_f64_f32_e32 v[110:111], v110
	flat_store_dwordx2 v[112:113], v[110:111]
	flat_load_dwordx2 v[108:109], v[108:109]
	s_waitcnt vmcnt(0) lgkmcnt(0)
	v_mul_f64 v[108:109], s[2:3], v[108:109]
	v_cvt_f32_f64_e32 v110, v[108:109]
.LBB107_99:
	v_add_f64 v[102:103], v[2:3], v[102:103]
	v_add_f64 v[104:105], v[4:5], v[104:105]
	;; [unrolled: 1-line block ×6, first 2 shown]
	v_add_co_u32 v106, vcc_lo, v106, v138
	v_add_co_ci_u32_e64 v107, null, v107, v139, vcc_lo
	s_mov_b32 s7, -1
	v_cvt_f32_f64_e32 v102, v[102:103]
	v_cvt_f32_f64_e32 v103, v[104:105]
	;; [unrolled: 1-line block ×4, first 2 shown]
	v_add_f64 v[98:99], v[66:67], v[90:91]
	v_add_f64 v[100:101], v[68:69], v[92:93]
	v_cvt_f32_f64_e32 v111, v[111:112]
	v_cvt_f32_f64_e32 v108, v[108:109]
	v_add_nc_u32_e32 v109, 32, v144
	v_min3_f32 v102, v102, v103, v190
	v_min_f32_e32 v103, v104, v105
	v_cvt_f32_f64_e32 v112, v[98:99]
	v_cvt_f32_f64_e32 v113, v[100:101]
	v_mad_i64_i32 v[98:99], null, v109, s6, 0
	v_min3_f32 v100, v110, v103, v102
	v_min3_f32 v102, v111, v108, v191
	v_cvt_f64_f32_e32 v[104:105], v100
	v_mad_i64_i32 v[100:101], null, v109, s1, 0
	v_lshlrev_b64 v[98:99], 3, v[98:99]
	v_add_co_u32 v98, vcc_lo, s4, v98
	v_lshlrev_b64 v[100:101], 3, v[100:101]
	v_add_co_ci_u32_e64 v99, null, s5, v99, vcc_lo
	v_min3_f32 v102, v112, v113, v102
	v_add_co_u32 v100, vcc_lo, s10, v100
	v_add_co_ci_u32_e64 v101, null, s11, v101, vcc_lo
	v_max_f32_e32 v103, v102, v102
	s_mov_b32 vcc_lo, s0
	flat_store_dwordx2 v[106:107], v[104:105]
	s_cbranch_vccz .LBB107_101
; %bb.100:
	v_min_f32_e32 v102, 0, v103
	v_add_co_u32 v106, vcc_lo, v98, v134
	v_add_co_ci_u32_e64 v107, null, v99, v135, vcc_lo
	v_cvt_f64_f32_e32 v[104:105], v102
	s_mov_b32 s7, 0
	flat_store_dwordx2 v[106:107], v[104:105]
.LBB107_101:
	v_mov_b32_e32 v102, 0
	s_andn2_b32 vcc_lo, exec_lo, s7
	s_cbranch_vccnz .LBB107_103
; %bb.102:
	v_add_co_u32 v104, vcc_lo, v100, v134
	v_add_co_ci_u32_e64 v105, null, v101, v135, vcc_lo
	flat_load_dwordx2 v[104:105], v[104:105]
	s_waitcnt vmcnt(0) lgkmcnt(0)
	v_mul_f64 v[104:105], s[2:3], v[104:105]
	v_cvt_f32_f64_e32 v102, v[104:105]
	v_add_co_u32 v104, vcc_lo, v98, v134
	v_add_co_ci_u32_e64 v105, null, v99, v135, vcc_lo
	v_add_co_u32 v106, vcc_lo, v100, v0
	v_add_co_ci_u32_e64 v107, null, v101, v1, vcc_lo
	v_min_f32_e32 v102, v102, v103
	v_cvt_f64_f32_e32 v[102:103], v102
	flat_store_dwordx2 v[104:105], v[102:103]
	flat_load_dwordx2 v[102:103], v[106:107]
	s_waitcnt vmcnt(0) lgkmcnt(0)
	v_mul_f64 v[102:103], s[2:3], v[102:103]
	v_cvt_f32_f64_e32 v102, v[102:103]
.LBB107_103:
	v_add_f64 v[103:104], v[62:63], v[94:95]
	v_add_f64 v[105:106], v[64:65], v[96:97]
	v_add_f64 v[107:108], v[58:59], v[90:91]
	v_add_f64 v[109:110], v[60:61], v[92:93]
	v_add_f64 v[111:112], v[56:57], v[96:97]
	v_add_f64 v[113:114], v[54:55], v[94:95]
	v_add_f64 v[115:116], v[50:51], v[90:91]
	s_mov_b32 s7, -1
	v_cvt_f32_f64_e32 v117, v[103:104]
	v_cvt_f32_f64_e32 v105, v[105:106]
	v_cvt_f32_f64_e32 v106, v[107:108]
	v_cvt_f32_f64_e32 v107, v[109:110]
	v_add_f64 v[103:104], v[52:53], v[92:93]
	v_cvt_f32_f64_e32 v108, v[113:114]
	v_cvt_f32_f64_e32 v109, v[111:112]
	v_cvt_f32_f64_e32 v110, v[115:116]
	v_min3_f32 v105, v117, v105, v188
	v_min_f32_e32 v106, v106, v107
	v_cvt_f32_f64_e32 v103, v[103:104]
	v_min3_f32 v102, v102, v106, v105
	v_add_co_u32 v106, vcc_lo, v98, v0
	v_add_co_ci_u32_e64 v107, null, v99, v1, vcc_lo
	v_cvt_f64_f32_e32 v[104:105], v102
	v_min3_f32 v102, v108, v109, v189
	s_mov_b32 vcc_lo, s0
	v_min3_f32 v102, v110, v103, v102
	v_max_f32_e32 v103, v102, v102
	flat_store_dwordx2 v[106:107], v[104:105]
	s_cbranch_vccz .LBB107_105
; %bb.104:
	v_min_f32_e32 v102, 0, v103
	v_add_co_u32 v106, vcc_lo, v98, v136
	v_add_co_ci_u32_e64 v107, null, v99, v137, vcc_lo
	v_cvt_f64_f32_e32 v[104:105], v102
	s_mov_b32 s7, 0
	flat_store_dwordx2 v[106:107], v[104:105]
.LBB107_105:
	v_mov_b32_e32 v102, 0
	s_andn2_b32 vcc_lo, exec_lo, s7
	s_cbranch_vccnz .LBB107_107
; %bb.106:
	v_add_co_u32 v104, vcc_lo, v100, v136
	v_add_co_ci_u32_e64 v105, null, v101, v137, vcc_lo
	flat_load_dwordx2 v[104:105], v[104:105]
	s_waitcnt vmcnt(0) lgkmcnt(0)
	v_mul_f64 v[104:105], s[2:3], v[104:105]
	v_cvt_f32_f64_e32 v102, v[104:105]
	v_add_co_u32 v104, vcc_lo, v98, v136
	v_add_co_ci_u32_e64 v105, null, v99, v137, vcc_lo
	v_add_co_u32 v106, vcc_lo, v100, v130
	v_add_co_ci_u32_e64 v107, null, v101, v131, vcc_lo
	v_min_f32_e32 v102, v102, v103
	v_cvt_f64_f32_e32 v[102:103], v102
	flat_store_dwordx2 v[104:105], v[102:103]
	flat_load_dwordx2 v[102:103], v[106:107]
	s_waitcnt vmcnt(0) lgkmcnt(0)
	v_mul_f64 v[102:103], s[2:3], v[102:103]
	v_cvt_f32_f64_e32 v102, v[102:103]
.LBB107_107:
	v_add_f64 v[103:104], v[46:47], v[94:95]
	v_add_f64 v[105:106], v[48:49], v[96:97]
	v_add_f64 v[107:108], v[42:43], v[90:91]
	v_add_f64 v[109:110], v[44:45], v[92:93]
	v_add_f64 v[111:112], v[40:41], v[96:97]
	v_add_f64 v[113:114], v[38:39], v[94:95]
	v_add_f64 v[115:116], v[34:35], v[90:91]
	s_mov_b32 s7, -1
	v_cvt_f32_f64_e32 v117, v[103:104]
	v_cvt_f32_f64_e32 v105, v[105:106]
	v_cvt_f32_f64_e32 v106, v[107:108]
	v_cvt_f32_f64_e32 v107, v[109:110]
	v_add_f64 v[103:104], v[36:37], v[92:93]
	v_cvt_f32_f64_e32 v108, v[113:114]
	v_cvt_f32_f64_e32 v109, v[111:112]
	v_cvt_f32_f64_e32 v110, v[115:116]
	v_min3_f32 v105, v117, v105, v186
	v_min_f32_e32 v106, v106, v107
	v_cvt_f32_f64_e32 v103, v[103:104]
	v_min3_f32 v102, v102, v106, v105
	v_add_co_u32 v106, vcc_lo, v98, v130
	v_add_co_ci_u32_e64 v107, null, v99, v131, vcc_lo
	v_cvt_f64_f32_e32 v[104:105], v102
	v_min3_f32 v102, v108, v109, v187
	s_mov_b32 vcc_lo, s0
	v_min3_f32 v102, v110, v103, v102
	v_max_f32_e32 v103, v102, v102
	;; [unrolled: 59-line block ×3, first 2 shown]
	flat_store_dwordx2 v[106:107], v[104:105]
	s_cbranch_vccz .LBB107_113
; %bb.112:
	v_min_f32_e32 v102, 0, v103
	v_add_co_u32 v106, vcc_lo, v98, v142
	v_add_co_ci_u32_e64 v107, null, v99, v143, vcc_lo
	v_cvt_f64_f32_e32 v[104:105], v102
	s_mov_b32 s7, 0
	flat_store_dwordx2 v[106:107], v[104:105]
.LBB107_113:
	v_mov_b32_e32 v102, 0
	s_andn2_b32 vcc_lo, exec_lo, s7
	s_cbranch_vccnz .LBB107_115
; %bb.114:
	v_add_co_u32 v104, vcc_lo, v100, v142
	v_add_co_ci_u32_e64 v105, null, v101, v143, vcc_lo
	flat_load_dwordx2 v[104:105], v[104:105]
	s_waitcnt vmcnt(0) lgkmcnt(0)
	v_mul_f64 v[104:105], s[2:3], v[104:105]
	v_cvt_f32_f64_e32 v102, v[104:105]
	v_add_co_u32 v104, vcc_lo, v98, v142
	v_add_co_ci_u32_e64 v105, null, v99, v143, vcc_lo
	v_add_co_u32 v100, vcc_lo, v100, v138
	v_add_co_ci_u32_e64 v101, null, v101, v139, vcc_lo
	v_min_f32_e32 v102, v102, v103
	v_cvt_f64_f32_e32 v[102:103], v102
	flat_store_dwordx2 v[104:105], v[102:103]
	flat_load_dwordx2 v[100:101], v[100:101]
	s_waitcnt vmcnt(0) lgkmcnt(0)
	v_mul_f64 v[100:101], s[2:3], v[100:101]
	v_cvt_f32_f64_e32 v102, v[100:101]
.LBB107_115:
	v_add_f64 v[94:95], v[2:3], v[94:95]
	v_add_f64 v[96:97], v[4:5], v[96:97]
	;; [unrolled: 1-line block ×6, first 2 shown]
	v_add_co_u32 v98, vcc_lo, v98, v138
	v_add_co_ci_u32_e64 v99, null, v99, v139, vcc_lo
	s_mov_b32 s7, -1
	v_cvt_f32_f64_e32 v94, v[94:95]
	v_cvt_f32_f64_e32 v95, v[96:97]
	;; [unrolled: 1-line block ×4, first 2 shown]
	v_add_f64 v[90:91], v[66:67], v[82:83]
	v_add_f64 v[92:93], v[68:69], v[84:85]
	v_cvt_f32_f64_e32 v103, v[103:104]
	v_cvt_f32_f64_e32 v100, v[100:101]
	v_add_nc_u32_e32 v101, 40, v144
	v_min3_f32 v94, v94, v95, v182
	v_min_f32_e32 v95, v96, v97
	v_cvt_f32_f64_e32 v104, v[90:91]
	v_cvt_f32_f64_e32 v105, v[92:93]
	v_mad_i64_i32 v[90:91], null, v101, s6, 0
	v_min3_f32 v92, v102, v95, v94
	v_min3_f32 v94, v103, v100, v183
	v_cvt_f64_f32_e32 v[96:97], v92
	v_mad_i64_i32 v[92:93], null, v101, s1, 0
	v_lshlrev_b64 v[90:91], 3, v[90:91]
	v_add_co_u32 v90, vcc_lo, s4, v90
	v_lshlrev_b64 v[92:93], 3, v[92:93]
	v_add_co_ci_u32_e64 v91, null, s5, v91, vcc_lo
	v_min3_f32 v94, v104, v105, v94
	v_add_co_u32 v92, vcc_lo, s10, v92
	v_add_co_ci_u32_e64 v93, null, s11, v93, vcc_lo
	v_max_f32_e32 v95, v94, v94
	s_mov_b32 vcc_lo, s0
	flat_store_dwordx2 v[98:99], v[96:97]
	s_cbranch_vccz .LBB107_117
; %bb.116:
	v_min_f32_e32 v94, 0, v95
	v_add_co_u32 v98, vcc_lo, v90, v134
	v_add_co_ci_u32_e64 v99, null, v91, v135, vcc_lo
	v_cvt_f64_f32_e32 v[96:97], v94
	s_mov_b32 s7, 0
	flat_store_dwordx2 v[98:99], v[96:97]
.LBB107_117:
	v_mov_b32_e32 v94, 0
	s_andn2_b32 vcc_lo, exec_lo, s7
	s_cbranch_vccnz .LBB107_119
; %bb.118:
	v_add_co_u32 v96, vcc_lo, v92, v134
	v_add_co_ci_u32_e64 v97, null, v93, v135, vcc_lo
	flat_load_dwordx2 v[96:97], v[96:97]
	s_waitcnt vmcnt(0) lgkmcnt(0)
	v_mul_f64 v[96:97], s[2:3], v[96:97]
	v_cvt_f32_f64_e32 v94, v[96:97]
	v_add_co_u32 v96, vcc_lo, v90, v134
	v_add_co_ci_u32_e64 v97, null, v91, v135, vcc_lo
	v_add_co_u32 v98, vcc_lo, v92, v0
	v_add_co_ci_u32_e64 v99, null, v93, v1, vcc_lo
	v_min_f32_e32 v94, v94, v95
	v_cvt_f64_f32_e32 v[94:95], v94
	flat_store_dwordx2 v[96:97], v[94:95]
	flat_load_dwordx2 v[94:95], v[98:99]
	s_waitcnt vmcnt(0) lgkmcnt(0)
	v_mul_f64 v[94:95], s[2:3], v[94:95]
	v_cvt_f32_f64_e32 v94, v[94:95]
.LBB107_119:
	v_add_f64 v[95:96], v[62:63], v[86:87]
	v_add_f64 v[97:98], v[64:65], v[88:89]
	v_add_f64 v[99:100], v[58:59], v[82:83]
	v_add_f64 v[101:102], v[60:61], v[84:85]
	v_add_f64 v[103:104], v[56:57], v[88:89]
	v_add_f64 v[105:106], v[54:55], v[86:87]
	v_add_f64 v[107:108], v[50:51], v[82:83]
	s_mov_b32 s7, -1
	v_cvt_f32_f64_e32 v109, v[95:96]
	v_cvt_f32_f64_e32 v97, v[97:98]
	v_cvt_f32_f64_e32 v98, v[99:100]
	v_cvt_f32_f64_e32 v99, v[101:102]
	v_add_f64 v[95:96], v[52:53], v[84:85]
	v_cvt_f32_f64_e32 v100, v[105:106]
	v_cvt_f32_f64_e32 v101, v[103:104]
	v_cvt_f32_f64_e32 v102, v[107:108]
	v_min3_f32 v97, v109, v97, v180
	v_min_f32_e32 v98, v98, v99
	v_cvt_f32_f64_e32 v95, v[95:96]
	v_min3_f32 v94, v94, v98, v97
	v_add_co_u32 v98, vcc_lo, v90, v0
	v_add_co_ci_u32_e64 v99, null, v91, v1, vcc_lo
	v_cvt_f64_f32_e32 v[96:97], v94
	v_min3_f32 v94, v100, v101, v181
	s_mov_b32 vcc_lo, s0
	v_min3_f32 v94, v102, v95, v94
	v_max_f32_e32 v95, v94, v94
	flat_store_dwordx2 v[98:99], v[96:97]
	s_cbranch_vccz .LBB107_121
; %bb.120:
	v_min_f32_e32 v94, 0, v95
	v_add_co_u32 v98, vcc_lo, v90, v136
	v_add_co_ci_u32_e64 v99, null, v91, v137, vcc_lo
	v_cvt_f64_f32_e32 v[96:97], v94
	s_mov_b32 s7, 0
	flat_store_dwordx2 v[98:99], v[96:97]
.LBB107_121:
	v_mov_b32_e32 v94, 0
	s_andn2_b32 vcc_lo, exec_lo, s7
	s_cbranch_vccnz .LBB107_123
; %bb.122:
	v_add_co_u32 v96, vcc_lo, v92, v136
	v_add_co_ci_u32_e64 v97, null, v93, v137, vcc_lo
	flat_load_dwordx2 v[96:97], v[96:97]
	s_waitcnt vmcnt(0) lgkmcnt(0)
	v_mul_f64 v[96:97], s[2:3], v[96:97]
	v_cvt_f32_f64_e32 v94, v[96:97]
	v_add_co_u32 v96, vcc_lo, v90, v136
	v_add_co_ci_u32_e64 v97, null, v91, v137, vcc_lo
	v_add_co_u32 v98, vcc_lo, v92, v130
	v_add_co_ci_u32_e64 v99, null, v93, v131, vcc_lo
	v_min_f32_e32 v94, v94, v95
	v_cvt_f64_f32_e32 v[94:95], v94
	flat_store_dwordx2 v[96:97], v[94:95]
	flat_load_dwordx2 v[94:95], v[98:99]
	s_waitcnt vmcnt(0) lgkmcnt(0)
	v_mul_f64 v[94:95], s[2:3], v[94:95]
	v_cvt_f32_f64_e32 v94, v[94:95]
.LBB107_123:
	v_add_f64 v[95:96], v[46:47], v[86:87]
	v_add_f64 v[97:98], v[48:49], v[88:89]
	v_add_f64 v[99:100], v[42:43], v[82:83]
	v_add_f64 v[101:102], v[44:45], v[84:85]
	v_add_f64 v[103:104], v[40:41], v[88:89]
	v_add_f64 v[105:106], v[38:39], v[86:87]
	v_add_f64 v[107:108], v[34:35], v[82:83]
	s_mov_b32 s7, -1
	v_cvt_f32_f64_e32 v109, v[95:96]
	v_cvt_f32_f64_e32 v97, v[97:98]
	v_cvt_f32_f64_e32 v98, v[99:100]
	v_cvt_f32_f64_e32 v99, v[101:102]
	v_add_f64 v[95:96], v[36:37], v[84:85]
	v_cvt_f32_f64_e32 v100, v[105:106]
	v_cvt_f32_f64_e32 v101, v[103:104]
	v_cvt_f32_f64_e32 v102, v[107:108]
	v_min3_f32 v97, v109, v97, v178
	v_min_f32_e32 v98, v98, v99
	v_cvt_f32_f64_e32 v95, v[95:96]
	v_min3_f32 v94, v94, v98, v97
	v_add_co_u32 v98, vcc_lo, v90, v130
	v_add_co_ci_u32_e64 v99, null, v91, v131, vcc_lo
	v_cvt_f64_f32_e32 v[96:97], v94
	v_min3_f32 v94, v100, v101, v179
	s_mov_b32 vcc_lo, s0
	v_min3_f32 v94, v102, v95, v94
	v_max_f32_e32 v95, v94, v94
	;; [unrolled: 59-line block ×3, first 2 shown]
	flat_store_dwordx2 v[98:99], v[96:97]
	s_cbranch_vccz .LBB107_129
; %bb.128:
	v_min_f32_e32 v94, 0, v95
	v_add_co_u32 v98, vcc_lo, v90, v142
	v_add_co_ci_u32_e64 v99, null, v91, v143, vcc_lo
	v_cvt_f64_f32_e32 v[96:97], v94
	s_mov_b32 s7, 0
	flat_store_dwordx2 v[98:99], v[96:97]
.LBB107_129:
	v_mov_b32_e32 v94, 0
	s_andn2_b32 vcc_lo, exec_lo, s7
	s_cbranch_vccnz .LBB107_131
; %bb.130:
	v_add_co_u32 v96, vcc_lo, v92, v142
	v_add_co_ci_u32_e64 v97, null, v93, v143, vcc_lo
	flat_load_dwordx2 v[96:97], v[96:97]
	s_waitcnt vmcnt(0) lgkmcnt(0)
	v_mul_f64 v[96:97], s[2:3], v[96:97]
	v_cvt_f32_f64_e32 v94, v[96:97]
	v_add_co_u32 v96, vcc_lo, v90, v142
	v_add_co_ci_u32_e64 v97, null, v91, v143, vcc_lo
	v_add_co_u32 v92, vcc_lo, v92, v138
	v_add_co_ci_u32_e64 v93, null, v93, v139, vcc_lo
	v_min_f32_e32 v94, v94, v95
	v_cvt_f64_f32_e32 v[94:95], v94
	flat_store_dwordx2 v[96:97], v[94:95]
	flat_load_dwordx2 v[92:93], v[92:93]
	s_waitcnt vmcnt(0) lgkmcnt(0)
	v_mul_f64 v[92:93], s[2:3], v[92:93]
	v_cvt_f32_f64_e32 v94, v[92:93]
.LBB107_131:
	v_add_f64 v[86:87], v[2:3], v[86:87]
	v_add_f64 v[88:89], v[4:5], v[88:89]
	;; [unrolled: 1-line block ×4, first 2 shown]
	s_waitcnt lgkmcnt(26)
	v_add_f64 v[92:93], v[72:73], v[80:81]
	v_add_f64 v[95:96], v[70:71], v[78:79]
	v_add_co_u32 v90, vcc_lo, v90, v138
	v_add_co_ci_u32_e64 v91, null, v91, v139, vcc_lo
	s_mov_b32 s7, -1
	v_cvt_f32_f64_e32 v86, v[86:87]
	v_cvt_f32_f64_e32 v87, v[88:89]
	;; [unrolled: 1-line block ×4, first 2 shown]
	s_waitcnt lgkmcnt(25)
	v_add_f64 v[82:83], v[66:67], v[74:75]
	v_add_f64 v[84:85], v[68:69], v[76:77]
	v_cvt_f32_f64_e32 v95, v[95:96]
	v_cvt_f32_f64_e32 v92, v[92:93]
	v_add_nc_u32_e32 v93, 48, v144
	v_min3_f32 v86, v86, v87, v171
	v_min_f32_e32 v87, v88, v89
	v_cvt_f32_f64_e32 v96, v[82:83]
	v_cvt_f32_f64_e32 v97, v[84:85]
	v_mad_i64_i32 v[82:83], null, v93, s6, 0
	v_min3_f32 v84, v94, v87, v86
	v_min3_f32 v86, v95, v92, v173
	v_cvt_f64_f32_e32 v[88:89], v84
	v_mad_i64_i32 v[84:85], null, v93, s1, 0
	v_lshlrev_b64 v[82:83], 3, v[82:83]
	v_add_co_u32 v82, vcc_lo, s4, v82
	v_lshlrev_b64 v[84:85], 3, v[84:85]
	v_add_co_ci_u32_e64 v83, null, s5, v83, vcc_lo
	v_min3_f32 v86, v96, v97, v86
	v_add_co_u32 v84, vcc_lo, s10, v84
	v_add_co_ci_u32_e64 v85, null, s11, v85, vcc_lo
	v_max_f32_e32 v87, v86, v86
	s_mov_b32 vcc_lo, s0
	flat_store_dwordx2 v[90:91], v[88:89]
	s_cbranch_vccz .LBB107_133
; %bb.132:
	v_min_f32_e32 v86, 0, v87
	v_add_co_u32 v90, vcc_lo, v82, v134
	v_add_co_ci_u32_e64 v91, null, v83, v135, vcc_lo
	v_cvt_f64_f32_e32 v[88:89], v86
	s_mov_b32 s7, 0
	flat_store_dwordx2 v[90:91], v[88:89]
.LBB107_133:
	v_mov_b32_e32 v86, 0
	s_andn2_b32 vcc_lo, exec_lo, s7
	s_cbranch_vccnz .LBB107_135
; %bb.134:
	v_add_co_u32 v88, vcc_lo, v84, v134
	v_add_co_ci_u32_e64 v89, null, v85, v135, vcc_lo
	flat_load_dwordx2 v[88:89], v[88:89]
	s_waitcnt vmcnt(0) lgkmcnt(0)
	v_mul_f64 v[88:89], s[2:3], v[88:89]
	v_cvt_f32_f64_e32 v86, v[88:89]
	v_add_co_u32 v88, vcc_lo, v82, v134
	v_add_co_ci_u32_e64 v89, null, v83, v135, vcc_lo
	v_add_co_u32 v90, vcc_lo, v84, v0
	v_add_co_ci_u32_e64 v91, null, v85, v1, vcc_lo
	v_min_f32_e32 v86, v86, v87
	v_cvt_f64_f32_e32 v[86:87], v86
	flat_store_dwordx2 v[88:89], v[86:87]
	flat_load_dwordx2 v[86:87], v[90:91]
	s_waitcnt vmcnt(0) lgkmcnt(0)
	v_mul_f64 v[86:87], s[2:3], v[86:87]
	v_cvt_f32_f64_e32 v86, v[86:87]
.LBB107_135:
	v_add_f64 v[87:88], v[62:63], v[78:79]
	v_add_f64 v[89:90], v[64:65], v[80:81]
	v_add_f64 v[91:92], v[58:59], v[74:75]
	v_add_f64 v[93:94], v[60:61], v[76:77]
	v_add_f64 v[95:96], v[56:57], v[80:81]
	v_add_f64 v[97:98], v[54:55], v[78:79]
	v_add_f64 v[99:100], v[50:51], v[74:75]
	s_mov_b32 s7, -1
	v_cvt_f32_f64_e32 v101, v[87:88]
	v_cvt_f32_f64_e32 v89, v[89:90]
	v_cvt_f32_f64_e32 v90, v[91:92]
	v_cvt_f32_f64_e32 v91, v[93:94]
	v_add_f64 v[87:88], v[52:53], v[76:77]
	v_cvt_f32_f64_e32 v92, v[97:98]
	v_cvt_f32_f64_e32 v93, v[95:96]
	v_cvt_f32_f64_e32 v94, v[99:100]
	v_min3_f32 v89, v101, v89, v164
	v_min_f32_e32 v90, v90, v91
	v_cvt_f32_f64_e32 v87, v[87:88]
	v_min3_f32 v86, v86, v90, v89
	v_add_co_u32 v90, vcc_lo, v82, v0
	v_add_co_ci_u32_e64 v91, null, v83, v1, vcc_lo
	v_cvt_f64_f32_e32 v[88:89], v86
	v_min3_f32 v86, v92, v93, v165
	s_mov_b32 vcc_lo, s0
	v_min3_f32 v86, v94, v87, v86
	v_max_f32_e32 v87, v86, v86
	flat_store_dwordx2 v[90:91], v[88:89]
	s_cbranch_vccz .LBB107_137
; %bb.136:
	v_min_f32_e32 v86, 0, v87
	v_add_co_u32 v90, vcc_lo, v82, v136
	v_add_co_ci_u32_e64 v91, null, v83, v137, vcc_lo
	v_cvt_f64_f32_e32 v[88:89], v86
	s_mov_b32 s7, 0
	flat_store_dwordx2 v[90:91], v[88:89]
.LBB107_137:
	v_mov_b32_e32 v86, 0
	s_andn2_b32 vcc_lo, exec_lo, s7
	s_cbranch_vccnz .LBB107_139
; %bb.138:
	v_add_co_u32 v88, vcc_lo, v84, v136
	v_add_co_ci_u32_e64 v89, null, v85, v137, vcc_lo
	flat_load_dwordx2 v[88:89], v[88:89]
	s_waitcnt vmcnt(0) lgkmcnt(0)
	v_mul_f64 v[88:89], s[2:3], v[88:89]
	v_cvt_f32_f64_e32 v86, v[88:89]
	v_add_co_u32 v88, vcc_lo, v82, v136
	v_add_co_ci_u32_e64 v89, null, v83, v137, vcc_lo
	v_add_co_u32 v90, vcc_lo, v84, v130
	v_add_co_ci_u32_e64 v91, null, v85, v131, vcc_lo
	v_min_f32_e32 v86, v86, v87
	v_cvt_f64_f32_e32 v[86:87], v86
	flat_store_dwordx2 v[88:89], v[86:87]
	flat_load_dwordx2 v[86:87], v[90:91]
	s_waitcnt vmcnt(0) lgkmcnt(0)
	v_mul_f64 v[86:87], s[2:3], v[86:87]
	v_cvt_f32_f64_e32 v86, v[86:87]
.LBB107_139:
	v_add_f64 v[87:88], v[46:47], v[78:79]
	v_add_f64 v[89:90], v[48:49], v[80:81]
	v_add_f64 v[91:92], v[42:43], v[74:75]
	v_add_f64 v[93:94], v[44:45], v[76:77]
	v_add_f64 v[95:96], v[40:41], v[80:81]
	v_add_f64 v[97:98], v[38:39], v[78:79]
	v_add_f64 v[99:100], v[34:35], v[74:75]
	s_mov_b32 s7, -1
	v_cvt_f32_f64_e32 v101, v[87:88]
	v_cvt_f32_f64_e32 v89, v[89:90]
	v_cvt_f32_f64_e32 v90, v[91:92]
	v_cvt_f32_f64_e32 v91, v[93:94]
	v_add_f64 v[87:88], v[36:37], v[76:77]
	v_cvt_f32_f64_e32 v92, v[97:98]
	v_cvt_f32_f64_e32 v93, v[95:96]
	v_cvt_f32_f64_e32 v94, v[99:100]
	v_min3_f32 v89, v101, v89, v162
	v_min_f32_e32 v90, v90, v91
	v_cvt_f32_f64_e32 v87, v[87:88]
	v_min3_f32 v86, v86, v90, v89
	v_add_co_u32 v90, vcc_lo, v82, v130
	v_add_co_ci_u32_e64 v91, null, v83, v131, vcc_lo
	v_cvt_f64_f32_e32 v[88:89], v86
	v_min3_f32 v86, v92, v93, v163
	s_mov_b32 vcc_lo, s0
	v_min3_f32 v86, v94, v87, v86
	v_max_f32_e32 v87, v86, v86
	flat_store_dwordx2 v[90:91], v[88:89]
	s_cbranch_vccz .LBB107_141
; %bb.140:
	v_min_f32_e32 v86, 0, v87
	v_add_co_u32 v90, vcc_lo, v82, v140
	v_add_co_ci_u32_e64 v91, null, v83, v141, vcc_lo
	v_cvt_f64_f32_e32 v[88:89], v86
	s_mov_b32 s7, 0
	flat_store_dwordx2 v[90:91], v[88:89]
.LBB107_141:
	v_mov_b32_e32 v86, 0
	s_andn2_b32 vcc_lo, exec_lo, s7
	s_cbranch_vccnz .LBB107_143
; %bb.142:
	v_add_co_u32 v88, vcc_lo, v84, v140
	v_add_co_ci_u32_e64 v89, null, v85, v141, vcc_lo
	flat_load_dwordx2 v[88:89], v[88:89]
	s_waitcnt vmcnt(0) lgkmcnt(0)
	v_mul_f64 v[88:89], s[2:3], v[88:89]
	v_cvt_f32_f64_e32 v86, v[88:89]
	v_add_co_u32 v88, vcc_lo, v82, v140
	v_add_co_ci_u32_e64 v89, null, v83, v141, vcc_lo
	v_add_co_u32 v90, vcc_lo, v84, v132
	v_add_co_ci_u32_e64 v91, null, v85, v133, vcc_lo
	v_min_f32_e32 v86, v86, v87
	v_cvt_f64_f32_e32 v[86:87], v86
	flat_store_dwordx2 v[88:89], v[86:87]
	flat_load_dwordx2 v[86:87], v[90:91]
	s_waitcnt vmcnt(0) lgkmcnt(0)
	v_mul_f64 v[86:87], s[2:3], v[86:87]
	v_cvt_f32_f64_e32 v86, v[86:87]
.LBB107_143:
	v_add_f64 v[87:88], v[30:31], v[78:79]
	v_add_f64 v[89:90], v[32:33], v[80:81]
	v_add_f64 v[91:92], v[26:27], v[74:75]
	v_add_f64 v[93:94], v[28:29], v[76:77]
	v_add_f64 v[95:96], v[24:25], v[80:81]
	v_add_f64 v[97:98], v[22:23], v[78:79]
	v_add_f64 v[99:100], v[18:19], v[74:75]
	s_mov_b32 s7, -1
	v_cvt_f32_f64_e32 v101, v[87:88]
	v_cvt_f32_f64_e32 v89, v[89:90]
	v_cvt_f32_f64_e32 v90, v[91:92]
	v_cvt_f32_f64_e32 v91, v[93:94]
	v_add_f64 v[87:88], v[20:21], v[76:77]
	v_cvt_f32_f64_e32 v92, v[97:98]
	v_cvt_f32_f64_e32 v93, v[95:96]
	v_cvt_f32_f64_e32 v94, v[99:100]
	v_min3_f32 v89, v101, v89, v160
	v_min_f32_e32 v90, v90, v91
	v_cvt_f32_f64_e32 v87, v[87:88]
	v_min3_f32 v86, v86, v90, v89
	v_add_co_u32 v90, vcc_lo, v82, v132
	v_add_co_ci_u32_e64 v91, null, v83, v133, vcc_lo
	v_cvt_f64_f32_e32 v[88:89], v86
	v_min3_f32 v86, v92, v93, v161
	s_mov_b32 vcc_lo, s0
	v_min3_f32 v86, v94, v87, v86
	v_max_f32_e32 v87, v86, v86
	flat_store_dwordx2 v[90:91], v[88:89]
	s_cbranch_vccz .LBB107_145
; %bb.144:
	v_min_f32_e32 v86, 0, v87
	v_add_co_u32 v90, vcc_lo, v82, v142
	v_add_co_ci_u32_e64 v91, null, v83, v143, vcc_lo
	v_cvt_f64_f32_e32 v[88:89], v86
	s_mov_b32 s7, 0
	flat_store_dwordx2 v[90:91], v[88:89]
.LBB107_145:
	v_mov_b32_e32 v86, 0
	s_andn2_b32 vcc_lo, exec_lo, s7
	s_cbranch_vccnz .LBB107_147
; %bb.146:
	v_add_co_u32 v88, vcc_lo, v84, v142
	v_add_co_ci_u32_e64 v89, null, v85, v143, vcc_lo
	flat_load_dwordx2 v[88:89], v[88:89]
	s_waitcnt vmcnt(0) lgkmcnt(0)
	v_mul_f64 v[88:89], s[2:3], v[88:89]
	v_cvt_f32_f64_e32 v86, v[88:89]
	v_add_co_u32 v88, vcc_lo, v82, v142
	v_add_co_ci_u32_e64 v89, null, v83, v143, vcc_lo
	v_add_co_u32 v84, vcc_lo, v84, v138
	v_add_co_ci_u32_e64 v85, null, v85, v139, vcc_lo
	v_min_f32_e32 v86, v86, v87
	v_cvt_f64_f32_e32 v[86:87], v86
	flat_store_dwordx2 v[88:89], v[86:87]
	flat_load_dwordx2 v[84:85], v[84:85]
	s_waitcnt vmcnt(0) lgkmcnt(0)
	v_mul_f64 v[84:85], s[2:3], v[84:85]
	v_cvt_f32_f64_e32 v86, v[84:85]
.LBB107_147:
	v_add_f64 v[78:79], v[2:3], v[78:79]
	v_add_f64 v[80:81], v[4:5], v[80:81]
	;; [unrolled: 1-line block ×4, first 2 shown]
	s_waitcnt lgkmcnt(28)
	v_add_f64 v[72:73], v[72:73], v[12:13]
	v_add_f64 v[70:71], v[70:71], v[10:11]
	s_waitcnt lgkmcnt(27)
	v_add_f64 v[66:67], v[66:67], v[14:15]
	v_add_f64 v[68:69], v[68:69], v[16:17]
	v_cvt_f32_f64_e32 v78, v[78:79]
	v_cvt_f32_f64_e32 v79, v[80:81]
	;; [unrolled: 1-line block ×8, first 2 shown]
	v_min3_f32 v72, v78, v79, v159
	v_min_f32_e32 v73, v74, v75
	v_add_nc_u32_e32 v74, 56, v144
	v_min3_f32 v70, v70, v71, v158
	v_min3_f32 v68, v86, v73, v72
	v_mad_i64_i32 v[66:67], null, v74, s6, 0
	v_min3_f32 v70, v76, v77, v70
	v_cvt_f64_f32_e32 v[72:73], v68
	v_mad_i64_i32 v[68:69], null, v74, s1, 0
	v_add_co_u32 v74, vcc_lo, v82, v138
	v_lshlrev_b64 v[66:67], 3, v[66:67]
	v_add_co_ci_u32_e64 v75, null, v83, v139, vcc_lo
	v_max_f32_e32 v71, v70, v70
	v_lshlrev_b64 v[68:69], 3, v[68:69]
	s_mov_b32 s1, -1
	v_add_co_u32 v66, vcc_lo, s4, v66
	v_add_co_ci_u32_e64 v67, null, s5, v67, vcc_lo
	v_add_co_u32 v68, vcc_lo, s10, v68
	v_add_co_ci_u32_e64 v69, null, s11, v69, vcc_lo
	s_mov_b32 vcc_lo, s0
	flat_store_dwordx2 v[74:75], v[72:73]
	s_cbranch_vccz .LBB107_149
; %bb.148:
	v_min_f32_e32 v70, 0, v71
	v_add_co_u32 v74, vcc_lo, v66, v134
	v_add_co_ci_u32_e64 v75, null, v67, v135, vcc_lo
	v_cvt_f64_f32_e32 v[72:73], v70
	s_mov_b32 s1, 0
	flat_store_dwordx2 v[74:75], v[72:73]
.LBB107_149:
	v_mov_b32_e32 v70, 0
	s_andn2_b32 vcc_lo, exec_lo, s1
	s_cbranch_vccnz .LBB107_151
; %bb.150:
	v_add_co_u32 v72, vcc_lo, v68, v134
	v_add_co_ci_u32_e64 v73, null, v69, v135, vcc_lo
	flat_load_dwordx2 v[72:73], v[72:73]
	s_waitcnt vmcnt(0) lgkmcnt(0)
	v_mul_f64 v[72:73], s[2:3], v[72:73]
	v_cvt_f32_f64_e32 v70, v[72:73]
	v_add_co_u32 v72, vcc_lo, v66, v134
	v_add_co_ci_u32_e64 v73, null, v67, v135, vcc_lo
	v_add_co_u32 v74, vcc_lo, v68, v0
	v_add_co_ci_u32_e64 v75, null, v69, v1, vcc_lo
	v_min_f32_e32 v70, v70, v71
	v_cvt_f64_f32_e32 v[70:71], v70
	flat_store_dwordx2 v[72:73], v[70:71]
	flat_load_dwordx2 v[70:71], v[74:75]
	s_waitcnt vmcnt(0) lgkmcnt(0)
	v_mul_f64 v[70:71], s[2:3], v[70:71]
	v_cvt_f32_f64_e32 v70, v[70:71]
.LBB107_151:
	v_add_f64 v[62:63], v[62:63], v[10:11]
	v_add_f64 v[64:65], v[64:65], v[12:13]
	;; [unrolled: 1-line block ×8, first 2 shown]
	s_mov_b32 s1, -1
	v_cvt_f32_f64_e32 v62, v[62:63]
	v_cvt_f32_f64_e32 v63, v[64:65]
	;; [unrolled: 1-line block ×8, first 2 shown]
	v_min3_f32 v50, v62, v63, v157
	v_min_f32_e32 v51, v58, v59
	v_min3_f32 v53, v54, v55, v156
	v_min3_f32 v50, v70, v51, v50
	v_min3_f32 v54, v56, v52, v53
	v_add_co_u32 v52, vcc_lo, v66, v0
	v_cvt_f64_f32_e32 v[50:51], v50
	v_add_co_ci_u32_e64 v53, null, v67, v1, vcc_lo
	v_max_f32_e32 v1, v54, v54
	s_mov_b32 vcc_lo, s0
	flat_store_dwordx2 v[52:53], v[50:51]
	s_cbranch_vccz .LBB107_153
; %bb.152:
	v_min_f32_e32 v0, 0, v1
	v_add_co_u32 v52, vcc_lo, v66, v136
	v_add_co_ci_u32_e64 v53, null, v67, v137, vcc_lo
	v_cvt_f64_f32_e32 v[50:51], v0
	s_mov_b32 s1, 0
	flat_store_dwordx2 v[52:53], v[50:51]
.LBB107_153:
	v_mov_b32_e32 v0, 0
	s_andn2_b32 vcc_lo, exec_lo, s1
	s_cbranch_vccnz .LBB107_155
; %bb.154:
	v_add_co_u32 v50, vcc_lo, v68, v136
	v_add_co_ci_u32_e64 v51, null, v69, v137, vcc_lo
	flat_load_dwordx2 v[50:51], v[50:51]
	s_waitcnt vmcnt(0) lgkmcnt(0)
	v_mul_f64 v[50:51], s[2:3], v[50:51]
	v_cvt_f32_f64_e32 v0, v[50:51]
	v_add_co_u32 v50, vcc_lo, v66, v136
	v_add_co_ci_u32_e64 v51, null, v67, v137, vcc_lo
	v_add_co_u32 v52, vcc_lo, v68, v130
	v_add_co_ci_u32_e64 v53, null, v69, v131, vcc_lo
	v_min_f32_e32 v0, v0, v1
	v_cvt_f64_f32_e32 v[0:1], v0
	flat_store_dwordx2 v[50:51], v[0:1]
	flat_load_dwordx2 v[0:1], v[52:53]
	s_waitcnt vmcnt(0) lgkmcnt(0)
	v_mul_f64 v[0:1], s[2:3], v[0:1]
	v_cvt_f32_f64_e32 v0, v[0:1]
.LBB107_155:
	v_add_f64 v[46:47], v[46:47], v[10:11]
	v_add_f64 v[48:49], v[48:49], v[12:13]
	;; [unrolled: 1-line block ×8, first 2 shown]
	s_mov_b32 s1, -1
	v_cvt_f32_f64_e32 v1, v[46:47]
	v_cvt_f32_f64_e32 v46, v[48:49]
	;; [unrolled: 1-line block ×8, first 2 shown]
	v_min3_f32 v1, v1, v46, v154
	v_min_f32_e32 v34, v42, v43
	v_min3_f32 v0, v0, v34, v1
	v_cvt_f64_f32_e32 v[34:35], v0
	v_min3_f32 v0, v38, v39, v155
	v_min3_f32 v0, v40, v36, v0
	v_add_co_u32 v36, vcc_lo, v66, v130
	v_add_co_ci_u32_e64 v37, null, v67, v131, vcc_lo
	v_max_f32_e32 v1, v0, v0
	s_mov_b32 vcc_lo, s0
	flat_store_dwordx2 v[36:37], v[34:35]
	s_cbranch_vccz .LBB107_157
; %bb.156:
	v_min_f32_e32 v0, 0, v1
	v_add_co_u32 v36, vcc_lo, v66, v140
	v_add_co_ci_u32_e64 v37, null, v67, v141, vcc_lo
	v_cvt_f64_f32_e32 v[34:35], v0
	s_mov_b32 s1, 0
	flat_store_dwordx2 v[36:37], v[34:35]
.LBB107_157:
	v_mov_b32_e32 v0, 0
	s_andn2_b32 vcc_lo, exec_lo, s1
	s_cbranch_vccnz .LBB107_159
; %bb.158:
	v_add_co_u32 v34, vcc_lo, v68, v140
	v_add_co_ci_u32_e64 v35, null, v69, v141, vcc_lo
	flat_load_dwordx2 v[34:35], v[34:35]
	s_waitcnt vmcnt(0) lgkmcnt(0)
	v_mul_f64 v[34:35], s[2:3], v[34:35]
	v_cvt_f32_f64_e32 v0, v[34:35]
	v_add_co_u32 v34, vcc_lo, v66, v140
	v_add_co_ci_u32_e64 v35, null, v67, v141, vcc_lo
	v_add_co_u32 v36, vcc_lo, v68, v132
	v_add_co_ci_u32_e64 v37, null, v69, v133, vcc_lo
	v_min_f32_e32 v0, v0, v1
	v_cvt_f64_f32_e32 v[0:1], v0
	flat_store_dwordx2 v[34:35], v[0:1]
	flat_load_dwordx2 v[0:1], v[36:37]
	s_waitcnt vmcnt(0) lgkmcnt(0)
	v_mul_f64 v[0:1], s[2:3], v[0:1]
	v_cvt_f32_f64_e32 v0, v[0:1]
.LBB107_159:
	v_add_f64 v[30:31], v[30:31], v[10:11]
	v_add_f64 v[32:33], v[32:33], v[12:13]
	;; [unrolled: 1-line block ×8, first 2 shown]
	s_mov_b32 s1, -1
	v_cvt_f32_f64_e32 v1, v[30:31]
	v_cvt_f32_f64_e32 v30, v[32:33]
	;; [unrolled: 1-line block ×8, first 2 shown]
	v_min3_f32 v1, v1, v30, v152
	v_min_f32_e32 v18, v26, v27
	v_min3_f32 v0, v0, v18, v1
	v_cvt_f64_f32_e32 v[18:19], v0
	v_min3_f32 v0, v22, v23, v153
	v_min3_f32 v0, v24, v20, v0
	v_add_co_u32 v20, vcc_lo, v66, v132
	v_add_co_ci_u32_e64 v21, null, v67, v133, vcc_lo
	v_max_f32_e32 v1, v0, v0
	s_mov_b32 vcc_lo, s0
	flat_store_dwordx2 v[20:21], v[18:19]
	s_cbranch_vccz .LBB107_161
; %bb.160:
	v_min_f32_e32 v0, 0, v1
	v_add_co_u32 v20, vcc_lo, v66, v142
	v_add_co_ci_u32_e64 v21, null, v67, v143, vcc_lo
	v_cvt_f64_f32_e32 v[18:19], v0
	s_mov_b32 s1, 0
	flat_store_dwordx2 v[20:21], v[18:19]
.LBB107_161:
	v_mov_b32_e32 v0, 0
	s_andn2_b32 vcc_lo, exec_lo, s1
	s_cbranch_vccnz .LBB107_163
; %bb.162:
	v_add_co_u32 v18, vcc_lo, v68, v142
	v_add_co_ci_u32_e64 v19, null, v69, v143, vcc_lo
	flat_load_dwordx2 v[18:19], v[18:19]
	s_waitcnt vmcnt(0) lgkmcnt(0)
	v_mul_f64 v[18:19], s[2:3], v[18:19]
	v_cvt_f32_f64_e32 v0, v[18:19]
	v_add_co_u32 v18, vcc_lo, v66, v142
	v_add_co_ci_u32_e64 v19, null, v67, v143, vcc_lo
	v_add_co_u32 v20, vcc_lo, v68, v138
	v_add_co_ci_u32_e64 v21, null, v69, v139, vcc_lo
	v_min_f32_e32 v0, v0, v1
	v_cvt_f64_f32_e32 v[0:1], v0
	flat_store_dwordx2 v[18:19], v[0:1]
	flat_load_dwordx2 v[0:1], v[20:21]
	s_waitcnt vmcnt(0) lgkmcnt(0)
	v_mul_f64 v[0:1], s[2:3], v[0:1]
	v_cvt_f32_f64_e32 v0, v[0:1]
.LBB107_163:
	v_add_f64 v[6:7], v[6:7], v[14:15]
	v_add_f64 v[8:9], v[8:9], v[16:17]
	;; [unrolled: 1-line block ×4, first 2 shown]
	v_cvt_f32_f64_e32 v5, v[6:7]
	v_cvt_f32_f64_e32 v6, v[8:9]
	;; [unrolled: 1-line block ×4, first 2 shown]
	v_min_f32_e32 v3, v5, v6
	v_min3_f32 v1, v1, v2, v151
	v_add_co_u32 v2, vcc_lo, v66, v138
	v_min3_f32 v0, v0, v3, v1
	v_add_co_ci_u32_e64 v3, null, v67, v139, vcc_lo
	v_cvt_f64_f32_e32 v[0:1], v0
	flat_store_dwordx2 v[2:3], v[0:1]
	s_endpgm
	.section	.rodata,"a",@progbits
	.p2align	6, 0x0
	.amdhsa_kernel _ZN12_GLOBAL__N_120geam_min_plus_kernelId15HIP_vector_typeIdLj2EEdLi32ELi8ELi256ELi64ELi4ELi64ELi4ELi4ELi64ELc78ELc78ELb0ELb0ELb1EdKPKdKPdEEviiiT16_PT17_ilSA_ilS8_SA_ilPT18_ili26rocblas_geam_ex_operation_
		.amdhsa_group_segment_fixed_size 20480
		.amdhsa_private_segment_fixed_size 0
		.amdhsa_kernarg_size 136
		.amdhsa_user_sgpr_count 6
		.amdhsa_user_sgpr_private_segment_buffer 1
		.amdhsa_user_sgpr_dispatch_ptr 0
		.amdhsa_user_sgpr_queue_ptr 0
		.amdhsa_user_sgpr_kernarg_segment_ptr 1
		.amdhsa_user_sgpr_dispatch_id 0
		.amdhsa_user_sgpr_flat_scratch_init 0
		.amdhsa_user_sgpr_private_segment_size 0
		.amdhsa_wavefront_size32 1
		.amdhsa_uses_dynamic_stack 0
		.amdhsa_system_sgpr_private_segment_wavefront_offset 0
		.amdhsa_system_sgpr_workgroup_id_x 1
		.amdhsa_system_sgpr_workgroup_id_y 0
		.amdhsa_system_sgpr_workgroup_id_z 1
		.amdhsa_system_sgpr_workgroup_info 0
		.amdhsa_system_vgpr_workitem_id 1
		.amdhsa_next_free_vgpr 226
		.amdhsa_next_free_sgpr 25
		.amdhsa_reserve_vcc 1
		.amdhsa_reserve_flat_scratch 1
		.amdhsa_float_round_mode_32 0
		.amdhsa_float_round_mode_16_64 0
		.amdhsa_float_denorm_mode_32 3
		.amdhsa_float_denorm_mode_16_64 3
		.amdhsa_dx10_clamp 1
		.amdhsa_ieee_mode 1
		.amdhsa_fp16_overflow 0
		.amdhsa_workgroup_processor_mode 1
		.amdhsa_memory_ordered 1
		.amdhsa_forward_progress 1
		.amdhsa_shared_vgpr_count 0
		.amdhsa_exception_fp_ieee_invalid_op 0
		.amdhsa_exception_fp_denorm_src 0
		.amdhsa_exception_fp_ieee_div_zero 0
		.amdhsa_exception_fp_ieee_overflow 0
		.amdhsa_exception_fp_ieee_underflow 0
		.amdhsa_exception_fp_ieee_inexact 0
		.amdhsa_exception_int_div_zero 0
	.end_amdhsa_kernel
	.section	.text._ZN12_GLOBAL__N_120geam_min_plus_kernelId15HIP_vector_typeIdLj2EEdLi32ELi8ELi256ELi64ELi4ELi64ELi4ELi4ELi64ELc78ELc78ELb0ELb0ELb1EdKPKdKPdEEviiiT16_PT17_ilSA_ilS8_SA_ilPT18_ili26rocblas_geam_ex_operation_,"axG",@progbits,_ZN12_GLOBAL__N_120geam_min_plus_kernelId15HIP_vector_typeIdLj2EEdLi32ELi8ELi256ELi64ELi4ELi64ELi4ELi4ELi64ELc78ELc78ELb0ELb0ELb1EdKPKdKPdEEviiiT16_PT17_ilSA_ilS8_SA_ilPT18_ili26rocblas_geam_ex_operation_,comdat
.Lfunc_end107:
	.size	_ZN12_GLOBAL__N_120geam_min_plus_kernelId15HIP_vector_typeIdLj2EEdLi32ELi8ELi256ELi64ELi4ELi64ELi4ELi4ELi64ELc78ELc78ELb0ELb0ELb1EdKPKdKPdEEviiiT16_PT17_ilSA_ilS8_SA_ilPT18_ili26rocblas_geam_ex_operation_, .Lfunc_end107-_ZN12_GLOBAL__N_120geam_min_plus_kernelId15HIP_vector_typeIdLj2EEdLi32ELi8ELi256ELi64ELi4ELi64ELi4ELi4ELi64ELc78ELc78ELb0ELb0ELb1EdKPKdKPdEEviiiT16_PT17_ilSA_ilS8_SA_ilPT18_ili26rocblas_geam_ex_operation_
                                        ; -- End function
	.set _ZN12_GLOBAL__N_120geam_min_plus_kernelId15HIP_vector_typeIdLj2EEdLi32ELi8ELi256ELi64ELi4ELi64ELi4ELi4ELi64ELc78ELc78ELb0ELb0ELb1EdKPKdKPdEEviiiT16_PT17_ilSA_ilS8_SA_ilPT18_ili26rocblas_geam_ex_operation_.num_vgpr, 226
	.set _ZN12_GLOBAL__N_120geam_min_plus_kernelId15HIP_vector_typeIdLj2EEdLi32ELi8ELi256ELi64ELi4ELi64ELi4ELi4ELi64ELc78ELc78ELb0ELb0ELb1EdKPKdKPdEEviiiT16_PT17_ilSA_ilS8_SA_ilPT18_ili26rocblas_geam_ex_operation_.num_agpr, 0
	.set _ZN12_GLOBAL__N_120geam_min_plus_kernelId15HIP_vector_typeIdLj2EEdLi32ELi8ELi256ELi64ELi4ELi64ELi4ELi4ELi64ELc78ELc78ELb0ELb0ELb1EdKPKdKPdEEviiiT16_PT17_ilSA_ilS8_SA_ilPT18_ili26rocblas_geam_ex_operation_.numbered_sgpr, 25
	.set _ZN12_GLOBAL__N_120geam_min_plus_kernelId15HIP_vector_typeIdLj2EEdLi32ELi8ELi256ELi64ELi4ELi64ELi4ELi4ELi64ELc78ELc78ELb0ELb0ELb1EdKPKdKPdEEviiiT16_PT17_ilSA_ilS8_SA_ilPT18_ili26rocblas_geam_ex_operation_.num_named_barrier, 0
	.set _ZN12_GLOBAL__N_120geam_min_plus_kernelId15HIP_vector_typeIdLj2EEdLi32ELi8ELi256ELi64ELi4ELi64ELi4ELi4ELi64ELc78ELc78ELb0ELb0ELb1EdKPKdKPdEEviiiT16_PT17_ilSA_ilS8_SA_ilPT18_ili26rocblas_geam_ex_operation_.private_seg_size, 0
	.set _ZN12_GLOBAL__N_120geam_min_plus_kernelId15HIP_vector_typeIdLj2EEdLi32ELi8ELi256ELi64ELi4ELi64ELi4ELi4ELi64ELc78ELc78ELb0ELb0ELb1EdKPKdKPdEEviiiT16_PT17_ilSA_ilS8_SA_ilPT18_ili26rocblas_geam_ex_operation_.uses_vcc, 1
	.set _ZN12_GLOBAL__N_120geam_min_plus_kernelId15HIP_vector_typeIdLj2EEdLi32ELi8ELi256ELi64ELi4ELi64ELi4ELi4ELi64ELc78ELc78ELb0ELb0ELb1EdKPKdKPdEEviiiT16_PT17_ilSA_ilS8_SA_ilPT18_ili26rocblas_geam_ex_operation_.uses_flat_scratch, 1
	.set _ZN12_GLOBAL__N_120geam_min_plus_kernelId15HIP_vector_typeIdLj2EEdLi32ELi8ELi256ELi64ELi4ELi64ELi4ELi4ELi64ELc78ELc78ELb0ELb0ELb1EdKPKdKPdEEviiiT16_PT17_ilSA_ilS8_SA_ilPT18_ili26rocblas_geam_ex_operation_.has_dyn_sized_stack, 0
	.set _ZN12_GLOBAL__N_120geam_min_plus_kernelId15HIP_vector_typeIdLj2EEdLi32ELi8ELi256ELi64ELi4ELi64ELi4ELi4ELi64ELc78ELc78ELb0ELb0ELb1EdKPKdKPdEEviiiT16_PT17_ilSA_ilS8_SA_ilPT18_ili26rocblas_geam_ex_operation_.has_recursion, 0
	.set _ZN12_GLOBAL__N_120geam_min_plus_kernelId15HIP_vector_typeIdLj2EEdLi32ELi8ELi256ELi64ELi4ELi64ELi4ELi4ELi64ELc78ELc78ELb0ELb0ELb1EdKPKdKPdEEviiiT16_PT17_ilSA_ilS8_SA_ilPT18_ili26rocblas_geam_ex_operation_.has_indirect_call, 0
	.section	.AMDGPU.csdata,"",@progbits
; Kernel info:
; codeLenInByte = 27092
; TotalNumSgprs: 27
; NumVgprs: 226
; ScratchSize: 0
; MemoryBound: 1
; FloatMode: 240
; IeeeMode: 1
; LDSByteSize: 20480 bytes/workgroup (compile time only)
; SGPRBlocks: 0
; VGPRBlocks: 28
; NumSGPRsForWavesPerEU: 27
; NumVGPRsForWavesPerEU: 226
; Occupancy: 4
; WaveLimiterHint : 1
; COMPUTE_PGM_RSRC2:SCRATCH_EN: 0
; COMPUTE_PGM_RSRC2:USER_SGPR: 6
; COMPUTE_PGM_RSRC2:TRAP_HANDLER: 0
; COMPUTE_PGM_RSRC2:TGID_X_EN: 1
; COMPUTE_PGM_RSRC2:TGID_Y_EN: 0
; COMPUTE_PGM_RSRC2:TGID_Z_EN: 1
; COMPUTE_PGM_RSRC2:TIDIG_COMP_CNT: 1
	.section	.text._ZN12_GLOBAL__N_120geam_min_plus_kernelId15HIP_vector_typeIdLj2EEdLi32ELi8ELi256ELi64ELi4ELi64ELi4ELi4ELi64ELc78ELc78ELb0ELb1ELb1EPKdKS4_KPdEEviiiT16_PT17_ilSA_ilS8_SA_ilPT18_ili26rocblas_geam_ex_operation_,"axG",@progbits,_ZN12_GLOBAL__N_120geam_min_plus_kernelId15HIP_vector_typeIdLj2EEdLi32ELi8ELi256ELi64ELi4ELi64ELi4ELi4ELi64ELc78ELc78ELb0ELb1ELb1EPKdKS4_KPdEEviiiT16_PT17_ilSA_ilS8_SA_ilPT18_ili26rocblas_geam_ex_operation_,comdat
	.globl	_ZN12_GLOBAL__N_120geam_min_plus_kernelId15HIP_vector_typeIdLj2EEdLi32ELi8ELi256ELi64ELi4ELi64ELi4ELi4ELi64ELc78ELc78ELb0ELb1ELb1EPKdKS4_KPdEEviiiT16_PT17_ilSA_ilS8_SA_ilPT18_ili26rocblas_geam_ex_operation_ ; -- Begin function _ZN12_GLOBAL__N_120geam_min_plus_kernelId15HIP_vector_typeIdLj2EEdLi32ELi8ELi256ELi64ELi4ELi64ELi4ELi4ELi64ELc78ELc78ELb0ELb1ELb1EPKdKS4_KPdEEviiiT16_PT17_ilSA_ilS8_SA_ilPT18_ili26rocblas_geam_ex_operation_
	.p2align	8
	.type	_ZN12_GLOBAL__N_120geam_min_plus_kernelId15HIP_vector_typeIdLj2EEdLi32ELi8ELi256ELi64ELi4ELi64ELi4ELi4ELi64ELc78ELc78ELb0ELb1ELb1EPKdKS4_KPdEEviiiT16_PT17_ilSA_ilS8_SA_ilPT18_ili26rocblas_geam_ex_operation_,@function
_ZN12_GLOBAL__N_120geam_min_plus_kernelId15HIP_vector_typeIdLj2EEdLi32ELi8ELi256ELi64ELi4ELi64ELi4ELi4ELi64ELc78ELc78ELb0ELb1ELb1EPKdKS4_KPdEEviiiT16_PT17_ilSA_ilS8_SA_ilPT18_ili26rocblas_geam_ex_operation_: ; @_ZN12_GLOBAL__N_120geam_min_plus_kernelId15HIP_vector_typeIdLj2EEdLi32ELi8ELi256ELi64ELi4ELi64ELi4ELi4ELi64ELc78ELc78ELb0ELb1ELb1EPKdKS4_KPdEEviiiT16_PT17_ilSA_ilS8_SA_ilPT18_ili26rocblas_geam_ex_operation_
; %bb.0:
	s_load_dwordx4 s[12:15], s[4:5], 0x10
	s_mov_b32 s0, s7
	s_mov_b32 s1, 0
	s_mov_b64 s[22:23], 0
	s_lshl_b64 s[24:25], s[0:1], 3
	s_load_dwordx4 s[0:3], s[4:5], 0x28
	s_mov_b64 s[20:21], 0
	s_waitcnt lgkmcnt(0)
	s_add_u32 s8, s12, s24
	s_addc_u32 s9, s13, s25
	s_load_dwordx2 s[12:13], s[4:5], 0x50
	s_load_dwordx2 s[18:19], s[8:9], 0x0
	s_load_dwordx4 s[8:11], s[4:5], 0x40
	s_waitcnt lgkmcnt(0)
	v_cmp_eq_f64_e64 s16, s[18:19], 0
	v_cmp_neq_f64_e64 s7, s[18:19], 0
	s_add_u32 s10, s10, s24
	s_addc_u32 s11, s11, s25
	s_and_b32 vcc_lo, exec_lo, s16
	s_cbranch_vccnz .LBB108_2
; %bb.1:
	s_add_u32 s14, s14, s24
	s_addc_u32 s15, s15, s25
	s_lshl_b64 s[0:1], s[0:1], 3
	s_load_dwordx2 s[14:15], s[14:15], 0x0
	s_waitcnt lgkmcnt(0)
	s_add_u32 s20, s14, s0
	s_addc_u32 s21, s15, s1
.LBB108_2:
	s_load_dwordx2 s[10:11], s[10:11], 0x0
	s_andn2_b32 vcc_lo, exec_lo, s7
	s_cbranch_vccnz .LBB108_4
; %bb.3:
	s_add_u32 s0, s2, s24
	s_addc_u32 s1, s3, s25
	s_lshl_b64 s[2:3], s[8:9], 3
	s_load_dwordx2 s[0:1], s[0:1], 0x0
	s_waitcnt lgkmcnt(0)
	s_add_u32 s22, s0, s2
	s_addc_u32 s23, s1, s3
.LBB108_4:
	s_waitcnt lgkmcnt(0)
	v_cmp_eq_f64_e64 s7, s[10:11], 0
	v_cmp_neq_f64_e64 s26, s[10:11], 0
	s_load_dwordx4 s[0:3], s[4:5], 0x60
	s_mov_b64 s[16:17], 0
	s_and_b32 vcc_lo, exec_lo, s7
	s_cbranch_vccnz .LBB108_6
; %bb.5:
	s_add_u32 s8, s12, s24
	s_addc_u32 s9, s13, s25
	s_waitcnt lgkmcnt(0)
	s_lshl_b64 s[0:1], s[0:1], 3
	s_load_dwordx2 s[8:9], s[8:9], 0x0
	s_waitcnt lgkmcnt(0)
	s_add_u32 s16, s8, s0
	s_addc_u32 s17, s9, s1
.LBB108_6:
	s_clause 0x1
	s_load_dwordx4 s[12:15], s[4:5], 0x0
	s_load_dword s27, s[4:5], 0x20
	s_waitcnt lgkmcnt(0)
	s_add_u32 s8, s2, s24
	s_addc_u32 s9, s3, s25
	v_lshl_add_u32 v10, v1, 5, v0
	v_cmp_eq_f64_e64 s28, s[18:19], 0
	v_lshrrev_b32_e32 v144, 6, v10
	v_and_b32_e32 v12, 63, v10
	s_add_i32 s0, s12, -1
	s_ashr_i32 s1, s0, 31
	s_lshr_b32 s1, s1, 24
	s_add_i32 s0, s0, s1
	s_ashr_i32 s0, s0, 8
	s_add_i32 s1, s0, 1
	s_not_b32 s0, s0
	v_cvt_f32_u32_e32 v2, s1
	v_rcp_iflag_f32_e32 v2, v2
	v_mul_f32_e32 v2, 0x4f7ffffe, v2
	v_cvt_u32_f32_e32 v2, v2
	v_readfirstlane_b32 s2, v2
	s_mul_i32 s0, s0, s2
	s_mul_hi_u32 s0, s2, s0
	s_add_i32 s2, s2, s0
	s_mul_hi_u32 s0, s6, s2
	s_mul_i32 s2, s0, s1
	s_add_i32 s3, s0, 1
	s_sub_i32 s2, s6, s2
	s_sub_i32 s7, s2, s1
	s_cmp_ge_u32 s2, s1
	s_cselect_b32 s0, s3, s0
	s_cselect_b32 s2, s7, s2
	s_add_i32 s3, s0, 1
	s_cmp_ge_u32 s2, s1
	s_cselect_b32 s7, s3, s0
	s_add_i32 s25, s14, -1
	s_mul_i32 s0, s7, s1
	v_min_i32_e32 v2, s25, v144
	s_sub_i32 s0, s6, s0
	v_cmp_le_i32_e64 s3, s14, v144
	s_lshl_b32 s15, s0, 8
	v_mad_i64_i32 v[2:3], null, s27, v2, 0
	v_or_b32_e32 v66, s15, v12
	v_cmp_le_i32_e32 vcc_lo, s12, v66
	v_lshlrev_b64 v[4:5], 3, v[2:3]
	v_ashrrev_i32_e32 v67, 31, v66
	s_or_b32 s1, vcc_lo, s3
	v_add_co_u32 v11, s0, s20, v4
	v_cndmask_b32_e64 v3, 0, 0x7fefffff, s1
	v_cndmask_b32_e64 v2, 0, -1, s1
	v_add_co_ci_u32_e64 v13, null, s21, v5, s0
	s_nor_b32 s0, s28, s1
	s_and_saveexec_b32 s1, s0
	s_cbranch_execz .LBB108_8
; %bb.7:
	v_lshlrev_b64 v[2:3], 3, v[66:67]
	v_add_co_u32 v2, s0, v11, v2
	v_add_co_ci_u32_e64 v3, null, v13, v3, s0
	flat_load_dwordx2 v[2:3], v[2:3]
	s_waitcnt vmcnt(0) lgkmcnt(0)
	v_mul_f64 v[2:3], s[18:19], v[2:3]
.LBB108_8:
	s_or_b32 exec_lo, exec_lo, s1
	v_or_b32_e32 v4, 64, v66
	v_cmp_le_i32_e64 s0, s12, v4
	s_or_b32 s1, s0, s3
	v_cndmask_b32_e64 v5, 0, 0x7fefffff, s1
	v_cndmask_b32_e64 v4, 0, -1, s1
	s_nor_b32 s1, s28, s1
	s_and_saveexec_b32 s2, s1
	s_cbranch_execz .LBB108_10
; %bb.9:
	v_lshlrev_b64 v[4:5], 3, v[66:67]
	v_add_co_u32 v4, s1, v11, v4
	v_add_co_ci_u32_e64 v5, null, v13, v5, s1
	flat_load_dwordx2 v[4:5], v[4:5] offset:512
	s_waitcnt vmcnt(0) lgkmcnt(0)
	v_mul_f64 v[4:5], s[18:19], v[4:5]
.LBB108_10:
	s_or_b32 exec_lo, exec_lo, s2
	v_or_b32_e32 v6, 0x80, v66
	v_cmp_le_i32_e64 s1, s12, v6
	s_or_b32 s2, s1, s3
	v_cndmask_b32_e64 v7, 0, 0x7fefffff, s2
	v_cndmask_b32_e64 v6, 0, -1, s2
	s_nor_b32 s2, s28, s2
	s_and_saveexec_b32 s6, s2
	s_cbranch_execz .LBB108_12
; %bb.11:
	v_lshlrev_b64 v[6:7], 3, v[66:67]
	v_add_co_u32 v6, s2, v11, v6
	v_add_co_ci_u32_e64 v7, null, v13, v7, s2
	flat_load_dwordx2 v[6:7], v[6:7] offset:1024
	s_waitcnt vmcnt(0) lgkmcnt(0)
	v_mul_f64 v[6:7], s[18:19], v[6:7]
.LBB108_12:
	s_or_b32 exec_lo, exec_lo, s6
	v_or_b32_e32 v8, 0xc0, v66
	v_cmp_le_i32_e64 s2, s12, v8
	s_or_b32 s3, s2, s3
	v_cndmask_b32_e64 v9, 0, 0x7fefffff, s3
	v_cndmask_b32_e64 v8, 0, -1, s3
	s_nor_b32 s3, s28, s3
	s_and_saveexec_b32 s6, s3
	s_cbranch_execz .LBB108_14
; %bb.13:
	v_lshlrev_b64 v[8:9], 3, v[66:67]
	v_add_co_u32 v8, s3, v11, v8
	v_add_co_ci_u32_e64 v9, null, v13, v9, s3
	flat_load_dwordx2 v[8:9], v[8:9] offset:1536
	s_waitcnt vmcnt(0) lgkmcnt(0)
	v_mul_f64 v[8:9], s[18:19], v[8:9]
.LBB108_14:
	s_or_b32 exec_lo, exec_lo, s6
	v_lshrrev_b32_e32 v13, 2, v10
	s_load_dword s29, s[4:5], 0x38
	s_lshl_b32 s24, s7, 6
	v_and_b32_e32 v146, 3, v0
	v_add_nc_u32_e32 v78, s24, v13
	v_cmp_le_i32_e64 s6, s14, v146
	v_cmp_le_i32_e64 s3, s13, v78
	s_or_b32 s6, s6, s3
	v_cndmask_b32_e64 v11, 0, 0x7fefffff, s6
	v_cndmask_b32_e64 v10, 0, -1, s6
	s_nor_b32 s6, s28, s6
	s_and_saveexec_b32 s7, s6
	s_cbranch_execz .LBB108_16
; %bb.15:
	s_waitcnt lgkmcnt(0)
	v_mad_i64_i32 v[10:11], null, v78, s29, 0
	v_min_u32_e32 v14, s25, v146
	v_lshlrev_b32_e32 v14, 3, v14
	v_lshlrev_b64 v[10:11], 3, v[10:11]
	v_add_co_u32 v10, s6, s22, v10
	v_add_co_ci_u32_e64 v11, null, s23, v11, s6
	v_add_co_u32 v10, s6, v10, v14
	v_add_co_ci_u32_e64 v11, null, 0, v11, s6
	flat_load_dwordx2 v[10:11], v[10:11]
	s_waitcnt vmcnt(0) lgkmcnt(0)
	v_mul_f64 v[10:11], s[18:19], v[10:11]
.LBB108_16:
	s_or_b32 exec_lo, exec_lo, s7
	v_add_nc_u32_e32 v16, 4, v144
	v_min_i32_e32 v14, s25, v16
	v_cmp_le_i32_e64 s6, s14, v16
	v_mad_i64_i32 v[14:15], null, s27, v14, 0
	s_or_b32 s30, vcc_lo, s6
	v_cndmask_b32_e64 v71, 0, 0x7fefffff, s30
	v_cndmask_b32_e64 v70, 0, -1, s30
	v_lshlrev_b64 v[14:15], 3, v[14:15]
	v_add_co_u32 v14, s7, s20, v14
	v_add_co_ci_u32_e64 v15, null, s21, v15, s7
	s_nor_b32 s7, s28, s30
	s_and_saveexec_b32 s30, s7
	s_cbranch_execz .LBB108_18
; %bb.17:
	v_lshlrev_b64 v[16:17], 3, v[66:67]
	v_add_co_u32 v16, s7, v14, v16
	v_add_co_ci_u32_e64 v17, null, v15, v17, s7
	flat_load_dwordx2 v[16:17], v[16:17]
	s_waitcnt vmcnt(0) lgkmcnt(0)
	v_mul_f64 v[70:71], s[18:19], v[16:17]
.LBB108_18:
	s_or_b32 exec_lo, exec_lo, s30
	s_or_b32 s7, s0, s6
	v_cndmask_b32_e64 v73, 0, 0x7fefffff, s7
	v_cndmask_b32_e64 v72, 0, -1, s7
	s_nor_b32 s7, s28, s7
	s_and_saveexec_b32 s30, s7
	s_cbranch_execz .LBB108_20
; %bb.19:
	v_lshlrev_b64 v[16:17], 3, v[66:67]
	v_add_co_u32 v16, s7, v14, v16
	v_add_co_ci_u32_e64 v17, null, v15, v17, s7
	flat_load_dwordx2 v[16:17], v[16:17] offset:512
	s_waitcnt vmcnt(0) lgkmcnt(0)
	v_mul_f64 v[72:73], s[18:19], v[16:17]
.LBB108_20:
	s_or_b32 exec_lo, exec_lo, s30
	s_or_b32 s7, s1, s6
	v_cndmask_b32_e64 v75, 0, 0x7fefffff, s7
	v_cndmask_b32_e64 v74, 0, -1, s7
	s_nor_b32 s7, s28, s7
	s_and_saveexec_b32 s30, s7
	s_cbranch_execz .LBB108_22
; %bb.21:
	v_lshlrev_b64 v[16:17], 3, v[66:67]
	v_add_co_u32 v16, s7, v14, v16
	v_add_co_ci_u32_e64 v17, null, v15, v17, s7
	flat_load_dwordx2 v[16:17], v[16:17] offset:1024
	s_waitcnt vmcnt(0) lgkmcnt(0)
	v_mul_f64 v[74:75], s[18:19], v[16:17]
.LBB108_22:
	;; [unrolled: 15-line block ×3, first 2 shown]
	s_or_b32 exec_lo, exec_lo, s7
	v_or_b32_e32 v14, 4, v146
	v_cmp_le_i32_e64 s6, s14, v14
	s_or_b32 s6, s6, s3
	v_cndmask_b32_e64 v69, 0, 0x7fefffff, s6
	v_cndmask_b32_e64 v68, 0, -1, s6
	s_nor_b32 s6, s28, s6
	s_and_saveexec_b32 s7, s6
	s_cbranch_execz .LBB108_26
; %bb.25:
	s_waitcnt lgkmcnt(0)
	v_mad_i64_i32 v[15:16], null, v78, s29, 0
	v_min_u32_e32 v17, s25, v14
	v_lshlrev_b64 v[14:15], 3, v[15:16]
	v_lshlrev_b32_e32 v16, 3, v17
	v_add_co_u32 v14, s6, s22, v14
	v_add_co_ci_u32_e64 v15, null, s23, v15, s6
	v_add_co_u32 v14, s6, v14, v16
	v_add_co_ci_u32_e64 v15, null, 0, v15, s6
	flat_load_dwordx2 v[14:15], v[14:15]
	s_waitcnt vmcnt(0) lgkmcnt(0)
	v_mul_f64 v[68:69], s[18:19], v[14:15]
.LBB108_26:
	s_or_b32 exec_lo, exec_lo, s7
	v_lshlrev_b32_e32 v12, 5, v12
	v_lshlrev_b32_e32 v79, 3, v146
	;; [unrolled: 1-line block ×3, first 2 shown]
	s_load_dwordx2 s[8:9], s[8:9], 0x0
	v_lshlrev_b32_e32 v145, 5, v1
	v_lshl_add_u32 v148, v144, 3, v12
	v_lshl_or_b32 v80, v13, 5, v79
	s_cmp_lt_i32 s14, 9
	ds_write2st64_b64 v148, v[2:3], v[4:5] offset1:4
	ds_write2st64_b64 v148, v[6:7], v[8:9] offset0:8 offset1:12
	ds_write_b64 v80, v[10:11] offset:16384
	s_waitcnt lgkmcnt(0)
	s_barrier
	buffer_gl0_inv
	ds_read_b128 v[10:13], v147 offset:1024
	ds_read_b128 v[14:17], v147 offset:2048
	;; [unrolled: 1-line block ×14, first 2 shown]
	ds_read_b128 v[81:84], v147
	ds_read_b128 v[2:5], v147 offset:16
	ds_read_b128 v[85:88], v145 offset:16384
	;; [unrolled: 1-line block ×3, first 2 shown]
	s_waitcnt lgkmcnt(1)
	v_add_f64 v[89:90], v[83:84], v[87:88]
	v_add_f64 v[91:92], v[81:82], v[85:86]
	s_waitcnt lgkmcnt(0)
	v_add_f64 v[150:151], v[4:5], v[8:9]
	v_add_f64 v[152:153], v[2:3], v[6:7]
	v_cvt_f32_f64_e32 v89, v[89:90]
	v_cvt_f32_f64_e32 v91, v[91:92]
	;; [unrolled: 1-line block ×4, first 2 shown]
	v_min3_f32 v149, v91, v89, 0x7f800000
	v_add_f64 v[89:90], v[12:13], v[87:88]
	v_add_f64 v[91:92], v[10:11], v[85:86]
	v_min3_f32 v218, v152, v150, v149
	v_cvt_f32_f64_e32 v89, v[89:90]
	v_cvt_f32_f64_e32 v91, v[91:92]
	v_min3_f32 v143, v91, v89, 0x7f800000
	v_add_f64 v[89:90], v[16:17], v[87:88]
	v_add_f64 v[91:92], v[14:15], v[85:86]
	v_cvt_f32_f64_e32 v89, v[89:90]
	v_cvt_f32_f64_e32 v91, v[91:92]
	v_min3_f32 v142, v91, v89, 0x7f800000
	v_add_f64 v[89:90], v[20:21], v[87:88]
	v_add_f64 v[91:92], v[18:19], v[85:86]
	;; [unrolled: 5-line block ×5, first 2 shown]
	v_add_f64 v[87:88], v[36:37], v[87:88]
	v_add_f64 v[85:86], v[34:35], v[85:86]
	v_cvt_f32_f64_e32 v89, v[89:90]
	v_cvt_f32_f64_e32 v91, v[91:92]
	;; [unrolled: 1-line block ×4, first 2 shown]
	v_add_f64 v[87:88], v[81:82], v[38:39]
	v_min3_f32 v138, v91, v89, 0x7f800000
	v_min3_f32 v137, v85, v86, 0x7f800000
	v_add_f64 v[85:86], v[83:84], v[40:41]
	v_cvt_f32_f64_e32 v87, v[87:88]
	v_cvt_f32_f64_e32 v85, v[85:86]
	v_min3_f32 v136, v87, v85, 0x7f800000
	v_add_f64 v[85:86], v[12:13], v[40:41]
	v_add_f64 v[87:88], v[10:11], v[38:39]
	v_cvt_f32_f64_e32 v85, v[85:86]
	v_cvt_f32_f64_e32 v87, v[87:88]
	v_min3_f32 v135, v87, v85, 0x7f800000
	v_add_f64 v[85:86], v[16:17], v[40:41]
	;; [unrolled: 5-line block ×6, first 2 shown]
	v_add_f64 v[87:88], v[30:31], v[38:39]
	v_add_f64 v[40:41], v[36:37], v[40:41]
	;; [unrolled: 1-line block ×3, first 2 shown]
	v_cvt_f32_f64_e32 v85, v[85:86]
	v_cvt_f32_f64_e32 v87, v[87:88]
	;; [unrolled: 1-line block ×4, first 2 shown]
	v_add_f64 v[40:41], v[81:82], v[42:43]
	v_min3_f32 v130, v87, v85, 0x7f800000
	v_min3_f32 v129, v38, v39, 0x7f800000
	v_add_f64 v[38:39], v[83:84], v[44:45]
	v_cvt_f32_f64_e32 v40, v[40:41]
	v_cvt_f32_f64_e32 v38, v[38:39]
	v_min3_f32 v128, v40, v38, 0x7f800000
	v_add_f64 v[38:39], v[12:13], v[44:45]
	v_add_f64 v[40:41], v[10:11], v[42:43]
	v_cvt_f32_f64_e32 v38, v[38:39]
	v_cvt_f32_f64_e32 v40, v[40:41]
	v_min3_f32 v127, v40, v38, 0x7f800000
	v_add_f64 v[38:39], v[16:17], v[44:45]
	;; [unrolled: 5-line block ×33, first 2 shown]
	v_add_f64 v[40:41], v[10:11], v[58:59]
	v_add_f64 v[12:13], v[12:13], v[64:65]
	;; [unrolled: 1-line block ×3, first 2 shown]
	v_cvt_f32_f64_e32 v38, v[38:39]
	v_cvt_f32_f64_e32 v40, v[40:41]
	;; [unrolled: 1-line block ×4, first 2 shown]
	v_add_f64 v[12:13], v[14:15], v[62:63]
	v_min3_f32 v95, v40, v38, 0x7f800000
	v_add_f64 v[38:39], v[16:17], v[60:61]
	v_add_f64 v[40:41], v[14:15], v[58:59]
	v_min3_f32 v87, v10, v11, 0x7f800000
	v_add_f64 v[10:11], v[16:17], v[64:65]
	v_cvt_f32_f64_e32 v12, v[12:13]
	v_cvt_f32_f64_e32 v38, v[38:39]
	;; [unrolled: 1-line block ×4, first 2 shown]
	v_min3_f32 v94, v40, v38, 0x7f800000
	v_add_f64 v[38:39], v[20:21], v[60:61]
	v_add_f64 v[40:41], v[18:19], v[58:59]
	v_min3_f32 v86, v12, v10, 0x7f800000
	v_add_f64 v[10:11], v[20:21], v[64:65]
	v_add_f64 v[12:13], v[18:19], v[62:63]
	v_cvt_f32_f64_e32 v38, v[38:39]
	v_cvt_f32_f64_e32 v40, v[40:41]
	;; [unrolled: 1-line block ×4, first 2 shown]
	v_min3_f32 v93, v40, v38, 0x7f800000
	v_add_f64 v[38:39], v[24:25], v[60:61]
	v_add_f64 v[40:41], v[22:23], v[58:59]
	v_min3_f32 v85, v12, v10, 0x7f800000
	v_add_f64 v[10:11], v[24:25], v[64:65]
	v_add_f64 v[12:13], v[22:23], v[62:63]
	v_cvt_f32_f64_e32 v38, v[38:39]
	v_cvt_f32_f64_e32 v40, v[40:41]
	;; [unrolled: 1-line block ×4, first 2 shown]
	v_min3_f32 v92, v40, v38, 0x7f800000
	v_add_f64 v[38:39], v[28:29], v[60:61]
	v_add_f64 v[40:41], v[26:27], v[58:59]
	v_cvt_f32_f64_e32 v38, v[38:39]
	v_cvt_f32_f64_e32 v40, v[40:41]
	v_min3_f32 v91, v40, v38, 0x7f800000
	v_add_f64 v[38:39], v[32:33], v[60:61]
	v_add_f64 v[40:41], v[30:31], v[58:59]
	v_cvt_f32_f64_e32 v38, v[38:39]
	v_cvt_f32_f64_e32 v40, v[40:41]
	;; [unrolled: 5-line block ×3, first 2 shown]
	v_min3_f32 v89, v40, v38, 0x7f800000
	v_add_f64 v[38:39], v[83:84], v[64:65]
	v_min3_f32 v84, v12, v10, 0x7f800000
	v_add_f64 v[10:11], v[28:29], v[64:65]
	v_add_f64 v[12:13], v[26:27], v[62:63]
	;; [unrolled: 1-line block ×3, first 2 shown]
	v_cvt_f32_f64_e32 v38, v[38:39]
	v_cvt_f32_f64_e32 v10, v[10:11]
	;; [unrolled: 1-line block ×4, first 2 shown]
	v_min3_f32 v83, v12, v10, 0x7f800000
	v_add_f64 v[10:11], v[32:33], v[64:65]
	v_add_f64 v[12:13], v[30:31], v[62:63]
	v_min3_f32 v88, v40, v38, 0x7f800000
	v_cvt_f32_f64_e32 v10, v[10:11]
	v_cvt_f32_f64_e32 v12, v[12:13]
	v_min3_f32 v82, v12, v10, 0x7f800000
	v_add_f64 v[10:11], v[36:37], v[64:65]
	v_add_f64 v[12:13], v[34:35], v[62:63]
	v_cvt_f32_f64_e32 v10, v[10:11]
	v_cvt_f32_f64_e32 v12, v[12:13]
	v_min3_f32 v81, v12, v10, 0x7f800000
	ds_read_b128 v[34:37], v147 offset:1040
	ds_read_b128 v[30:33], v147 offset:2064
	;; [unrolled: 1-line block ×14, first 2 shown]
	ds_write2st64_b64 v148, v[70:71], v[72:73] offset0:16 offset1:20
	ds_write2st64_b64 v148, v[74:75], v[76:77] offset0:24 offset1:28
	ds_write_b64 v80, v[68:69] offset:18432
	s_waitcnt lgkmcnt(0)
	s_barrier
	buffer_gl0_inv
	v_add_f64 v[149:150], v[36:37], v[8:9]
	v_add_f64 v[151:152], v[34:35], v[6:7]
	v_cvt_f32_f64_e32 v149, v[149:150]
	v_cvt_f32_f64_e32 v151, v[151:152]
	v_min3_f32 v217, v151, v149, v143
	v_add_f64 v[149:150], v[32:33], v[8:9]
	v_add_f64 v[151:152], v[30:31], v[6:7]
	v_cvt_f32_f64_e32 v149, v[149:150]
	v_cvt_f32_f64_e32 v143, v[151:152]
	v_min3_f32 v216, v143, v149, v142
	;; [unrolled: 5-line block ×5, first 2 shown]
	v_add_f64 v[139:140], v[16:17], v[8:9]
	v_add_f64 v[141:142], v[14:15], v[6:7]
	;; [unrolled: 1-line block ×4, first 2 shown]
	v_cvt_f32_f64_e32 v139, v[139:140]
	v_cvt_f32_f64_e32 v141, v[141:142]
	;; [unrolled: 1-line block ×4, first 2 shown]
	v_add_f64 v[8:9], v[2:3], v[62:63]
	v_min3_f32 v212, v141, v139, v138
	v_min3_f32 v211, v6, v7, v137
	v_add_f64 v[6:7], v[4:5], v[64:65]
	v_cvt_f32_f64_e32 v8, v[8:9]
	v_cvt_f32_f64_e32 v6, v[6:7]
	v_min3_f32 v210, v8, v6, v136
	v_add_f64 v[6:7], v[36:37], v[64:65]
	v_add_f64 v[8:9], v[34:35], v[62:63]
	v_cvt_f32_f64_e32 v6, v[6:7]
	v_cvt_f32_f64_e32 v8, v[8:9]
	v_min3_f32 v209, v8, v6, v135
	v_add_f64 v[6:7], v[32:33], v[64:65]
	;; [unrolled: 5-line block ×40, first 2 shown]
	v_add_f64 v[8:9], v[2:3], v[42:43]
	v_add_f64 v[4:5], v[4:5], v[40:41]
	;; [unrolled: 1-line block ×3, first 2 shown]
	v_cvt_f32_f64_e32 v6, v[6:7]
	v_cvt_f32_f64_e32 v8, v[8:9]
	;; [unrolled: 1-line block ×4, first 2 shown]
	v_add_f64 v[4:5], v[34:35], v[38:39]
	v_min3_f32 v164, v8, v6, v96
	v_add_f64 v[6:7], v[36:37], v[44:45]
	v_add_f64 v[8:9], v[34:35], v[42:43]
	v_min3_f32 v156, v2, v3, v88
	v_add_f64 v[2:3], v[36:37], v[40:41]
	v_cvt_f32_f64_e32 v4, v[4:5]
	v_cvt_f32_f64_e32 v6, v[6:7]
	v_cvt_f32_f64_e32 v8, v[8:9]
	v_cvt_f32_f64_e32 v2, v[2:3]
	v_min3_f32 v163, v8, v6, v95
	v_add_f64 v[6:7], v[32:33], v[44:45]
	v_add_f64 v[8:9], v[30:31], v[42:43]
	v_min3_f32 v155, v4, v2, v87
	v_add_f64 v[2:3], v[32:33], v[40:41]
	v_add_f64 v[4:5], v[30:31], v[38:39]
	v_cvt_f32_f64_e32 v6, v[6:7]
	v_cvt_f32_f64_e32 v8, v[8:9]
	v_cvt_f32_f64_e32 v2, v[2:3]
	v_cvt_f32_f64_e32 v4, v[4:5]
	v_min3_f32 v162, v8, v6, v94
	v_add_f64 v[6:7], v[28:29], v[44:45]
	v_add_f64 v[8:9], v[26:27], v[42:43]
	v_min3_f32 v154, v4, v2, v86
	v_add_f64 v[2:3], v[28:29], v[40:41]
	;; [unrolled: 10-line block ×6, first 2 shown]
	v_add_f64 v[4:5], v[10:11], v[38:39]
	v_cvt_f32_f64_e32 v6, v[6:7]
	v_cvt_f32_f64_e32 v8, v[8:9]
	v_cvt_f32_f64_e32 v2, v[2:3]
	v_cvt_f32_f64_e32 v4, v[4:5]
	v_min3_f32 v157, v8, v6, v89
	v_min3_f32 v149, v4, v2, v81
	s_cbranch_scc1 .LBB108_49
; %bb.27:
	v_mad_i64_i32 v[2:3], null, s29, v78, 0
	v_lshlrev_b64 v[130:131], 3, v[66:67]
	v_add_nc_u32_e32 v170, 0x4000, v80
	v_or_b32_e32 v171, 0x4000, v145
	v_or_b32_e32 v172, 0x2000, v148
	v_add_nc_u32_e32 v173, 0x4800, v80
	v_lshl_or_b32 v174, v0, 5, 0x2000
	v_lshlrev_b64 v[2:3], 3, v[2:3]
	v_lshl_add_u32 v175, v1, 5, 0x4800
	v_add_co_u32 v2, s6, v2, v79
	v_add_co_ci_u32_e64 v3, null, 0, v3, s6
	v_add_co_u32 v2, s6, s22, v2
	v_add_co_ci_u32_e64 v3, null, s23, v3, s6
	s_add_i32 s22, s14, -8
	v_add_co_u32 v132, s6, 0x60, v2
	v_add_co_ci_u32_e64 v133, null, 0, v3, s6
	s_mov_b32 s23, 0
	s_branch .LBB108_29
.LBB108_28:                             ;   in Loop: Header=BB108_29 Depth=1
	s_or_b32 exec_lo, exec_lo, s6
	v_add_f64 v[219:220], v[100:101], v[128:129]
	v_add_f64 v[221:222], v[98:99], v[126:127]
	v_add_co_u32 v132, s6, v132, 64
	v_add_co_ci_u32_e64 v133, null, 0, v133, s6
	s_add_i32 s23, s23, 8
	s_cmp_ge_i32 s23, s22
	v_cvt_f32_f64_e32 v219, v[219:220]
	v_cvt_f32_f64_e32 v221, v[221:222]
	v_min3_f32 v218, v221, v219, v218
	v_add_f64 v[219:220], v[96:97], v[128:129]
	v_add_f64 v[221:222], v[94:95], v[126:127]
	v_cvt_f32_f64_e32 v219, v[219:220]
	v_cvt_f32_f64_e32 v221, v[221:222]
	v_min3_f32 v217, v221, v219, v217
	v_add_f64 v[219:220], v[92:93], v[128:129]
	v_add_f64 v[221:222], v[90:91], v[126:127]
	;; [unrolled: 5-line block ×6, first 2 shown]
	v_add_f64 v[128:129], v[68:69], v[128:129]
	v_add_f64 v[126:127], v[66:67], v[126:127]
	v_cvt_f32_f64_e32 v219, v[219:220]
	v_cvt_f32_f64_e32 v221, v[221:222]
	;; [unrolled: 1-line block ×4, first 2 shown]
	v_add_f64 v[128:129], v[98:99], v[122:123]
	v_min3_f32 v212, v221, v219, v212
	v_min3_f32 v211, v126, v127, v211
	v_add_f64 v[126:127], v[100:101], v[124:125]
	v_cvt_f32_f64_e32 v128, v[128:129]
	v_cvt_f32_f64_e32 v126, v[126:127]
	v_min3_f32 v210, v128, v126, v210
	v_add_f64 v[126:127], v[96:97], v[124:125]
	v_add_f64 v[128:129], v[94:95], v[122:123]
	v_cvt_f32_f64_e32 v126, v[126:127]
	v_cvt_f32_f64_e32 v128, v[128:129]
	v_min3_f32 v209, v128, v126, v209
	v_add_f64 v[126:127], v[92:93], v[124:125]
	;; [unrolled: 5-line block ×6, first 2 shown]
	v_add_f64 v[128:129], v[70:71], v[122:123]
	v_add_f64 v[124:125], v[68:69], v[124:125]
	;; [unrolled: 1-line block ×3, first 2 shown]
	v_cvt_f32_f64_e32 v126, v[126:127]
	v_cvt_f32_f64_e32 v128, v[128:129]
	;; [unrolled: 1-line block ×4, first 2 shown]
	v_add_f64 v[124:125], v[98:99], v[118:119]
	v_min3_f32 v204, v128, v126, v204
	v_min3_f32 v203, v122, v123, v203
	v_add_f64 v[122:123], v[100:101], v[120:121]
	v_cvt_f32_f64_e32 v124, v[124:125]
	v_add_f64 v[125:126], v[94:95], v[118:119]
	v_cvt_f32_f64_e32 v122, v[122:123]
	v_cvt_f32_f64_e32 v125, v[125:126]
	v_min3_f32 v122, v124, v122, v202
	v_add_f64 v[123:124], v[96:97], v[120:121]
	v_cvt_f32_f64_e32 v123, v[123:124]
	v_min3_f32 v201, v125, v123, v201
	v_add_f64 v[123:124], v[92:93], v[120:121]
	v_add_f64 v[125:126], v[90:91], v[118:119]
	v_cvt_f32_f64_e32 v123, v[123:124]
	v_cvt_f32_f64_e32 v125, v[125:126]
	v_min3_f32 v200, v125, v123, v200
	v_add_f64 v[123:124], v[88:89], v[120:121]
	v_add_f64 v[125:126], v[86:87], v[118:119]
	v_cvt_f32_f64_e32 v123, v[123:124]
	;; [unrolled: 5-line block ×4, first 2 shown]
	v_cvt_f32_f64_e32 v125, v[125:126]
	v_min3_f32 v197, v125, v123, v197
	v_add_f64 v[123:124], v[72:73], v[120:121]
	v_add_f64 v[125:126], v[70:71], v[118:119]
	;; [unrolled: 1-line block ×4, first 2 shown]
	v_cvt_f32_f64_e32 v123, v[123:124]
	v_cvt_f32_f64_e32 v125, v[125:126]
	;; [unrolled: 1-line block ×4, first 2 shown]
	v_add_f64 v[120:121], v[98:99], v[114:115]
	v_min3_f32 v196, v125, v123, v196
	v_add_f64 v[123:124], v[82:83], v[114:115]
	v_add_f64 v[125:126], v[70:71], v[114:115]
	v_min3_f32 v195, v118, v119, v195
	v_add_f64 v[118:119], v[100:101], v[116:117]
	v_cvt_f32_f64_e32 v120, v[120:121]
	v_cvt_f32_f64_e32 v118, v[118:119]
	v_min3_f32 v194, v120, v118, v194
	v_add_f64 v[118:119], v[96:97], v[116:117]
	v_add_f64 v[120:121], v[94:95], v[114:115]
	v_cvt_f32_f64_e32 v118, v[118:119]
	v_cvt_f32_f64_e32 v120, v[120:121]
	v_min3_f32 v193, v120, v118, v193
	v_add_f64 v[118:119], v[92:93], v[116:117]
	;; [unrolled: 5-line block ×3, first 2 shown]
	v_add_f64 v[120:121], v[86:87], v[114:115]
	v_cvt_f32_f64_e32 v118, v[118:119]
	v_cvt_f32_f64_e32 v120, v[120:121]
	;; [unrolled: 1-line block ×3, first 2 shown]
	v_add_f64 v[123:124], v[74:75], v[114:115]
	v_add_f64 v[114:115], v[66:67], v[114:115]
	v_min3_f32 v118, v120, v118, v191
	v_add_f64 v[119:120], v[84:85], v[116:117]
	v_cvt_f32_f64_e32 v123, v[123:124]
	v_cvt_f32_f64_e32 v114, v[114:115]
	;; [unrolled: 1-line block ×3, first 2 shown]
	v_min3_f32 v119, v121, v119, v190
	v_add_f64 v[120:121], v[76:77], v[116:117]
	v_cvt_f32_f64_e32 v120, v[120:121]
	v_cvt_f32_f64_e32 v121, v[125:126]
	v_add_f64 v[125:126], v[90:91], v[110:111]
	v_min3_f32 v120, v123, v120, v189
	v_add_f64 v[123:124], v[72:73], v[116:117]
	v_add_f64 v[116:117], v[68:69], v[116:117]
	v_cvt_f32_f64_e32 v123, v[123:124]
	v_cvt_f32_f64_e32 v115, v[116:117]
	v_min3_f32 v121, v121, v123, v188
	v_min3_f32 v114, v114, v115, v187
	v_add_f64 v[115:116], v[100:101], v[112:113]
	v_add_f64 v[123:124], v[98:99], v[110:111]
	v_cvt_f32_f64_e32 v115, v[115:116]
	v_cvt_f32_f64_e32 v117, v[123:124]
	v_add_f64 v[123:124], v[94:95], v[110:111]
	v_min3_f32 v115, v117, v115, v186
	v_add_f64 v[116:117], v[96:97], v[112:113]
	v_cvt_f32_f64_e32 v123, v[123:124]
	v_cvt_f32_f64_e32 v116, v[116:117]
	;; [unrolled: 1-line block ×3, first 2 shown]
	v_add_f64 v[125:126], v[86:87], v[110:111]
	v_min3_f32 v116, v123, v116, v185
	v_add_f64 v[123:124], v[92:93], v[112:113]
	v_cvt_f32_f64_e32 v125, v[125:126]
	v_add_f64 v[126:127], v[82:83], v[110:111]
	v_cvt_f32_f64_e32 v123, v[123:124]
	v_cvt_f32_f64_e32 v126, v[126:127]
	v_add_f64 v[127:128], v[74:75], v[110:111]
	v_min3_f32 v117, v117, v123, v184
	v_add_f64 v[123:124], v[88:89], v[112:113]
	v_cvt_f32_f64_e32 v127, v[127:128]
	v_cvt_f32_f64_e32 v123, v[123:124]
	v_min3_f32 v123, v125, v123, v183
	v_add_f64 v[124:125], v[84:85], v[112:113]
	v_cvt_f32_f64_e32 v124, v[124:125]
	v_min3_f32 v124, v126, v124, v182
	v_add_f64 v[125:126], v[76:77], v[112:113]
	;; [unrolled: 3-line block ×3, first 2 shown]
	v_add_f64 v[127:128], v[70:71], v[110:111]
	v_add_f64 v[112:113], v[68:69], v[112:113]
	;; [unrolled: 1-line block ×3, first 2 shown]
	v_cvt_f32_f64_e32 v125, v[125:126]
	v_cvt_f32_f64_e32 v127, v[127:128]
	;; [unrolled: 1-line block ×4, first 2 shown]
	v_min3_f32 v125, v127, v125, v180
	v_add_f64 v[126:127], v[98:99], v[106:107]
	v_min3_f32 v112, v110, v111, v179
	v_add_f64 v[110:111], v[100:101], v[108:109]
	v_cvt_f32_f64_e32 v113, v[126:127]
	v_add_f64 v[126:127], v[94:95], v[106:107]
	v_cvt_f32_f64_e32 v110, v[110:111]
	v_cvt_f32_f64_e32 v126, v[126:127]
	v_add_f64 v[127:128], v[90:91], v[106:107]
	v_min3_f32 v113, v113, v110, v178
	v_add_f64 v[110:111], v[96:97], v[108:109]
	v_cvt_f32_f64_e32 v127, v[127:128]
	v_add_f64 v[128:129], v[86:87], v[106:107]
	v_cvt_f32_f64_e32 v110, v[110:111]
	v_cvt_f32_f64_e32 v128, v[128:129]
	v_min3_f32 v126, v126, v110, v177
	v_add_f64 v[110:111], v[92:93], v[108:109]
	v_cvt_f32_f64_e32 v110, v[110:111]
	v_min3_f32 v127, v127, v110, v176
	v_add_f64 v[110:111], v[88:89], v[108:109]
	v_add_f64 v[176:177], v[82:83], v[106:107]
	v_cvt_f32_f64_e32 v110, v[110:111]
	v_cvt_f32_f64_e32 v129, v[176:177]
	v_min3_f32 v128, v128, v110, v169
	v_add_f64 v[110:111], v[84:85], v[108:109]
	v_cvt_f32_f64_e32 v110, v[110:111]
	v_min3_f32 v129, v129, v110, v168
	v_add_f64 v[110:111], v[76:77], v[108:109]
	v_add_f64 v[168:169], v[74:75], v[106:107]
	v_cvt_f32_f64_e32 v110, v[110:111]
	v_cvt_f32_f64_e32 v168, v[168:169]
	v_min3_f32 v167, v168, v110, v167
	v_add_f64 v[110:111], v[72:73], v[108:109]
	v_add_f64 v[168:169], v[70:71], v[106:107]
	v_add_f64 v[108:109], v[68:69], v[108:109]
	v_add_f64 v[106:107], v[66:67], v[106:107]
	v_cvt_f32_f64_e32 v110, v[110:111]
	v_cvt_f32_f64_e32 v168, v[168:169]
	;; [unrolled: 1-line block ×4, first 2 shown]
	v_add_f64 v[108:109], v[98:99], v[102:103]
	v_add_f64 v[98:99], v[98:99], v[78:79]
	v_min3_f32 v166, v168, v110, v166
	v_min3_f32 v165, v106, v107, v165
	v_add_f64 v[106:107], v[100:101], v[104:105]
	v_cvt_f32_f64_e32 v108, v[108:109]
	v_add_f64 v[100:101], v[100:101], v[80:81]
	v_cvt_f32_f64_e32 v98, v[98:99]
	v_cvt_f32_f64_e32 v106, v[106:107]
	;; [unrolled: 1-line block ×3, first 2 shown]
	v_min3_f32 v164, v108, v106, v164
	v_add_f64 v[106:107], v[96:97], v[104:105]
	v_add_f64 v[108:109], v[94:95], v[102:103]
	;; [unrolled: 1-line block ×4, first 2 shown]
	v_min3_f32 v98, v98, v99, v156
	v_add_f64 v[99:100], v[10:11], v[46:47]
	v_cvt_f32_f64_e32 v106, v[106:107]
	v_cvt_f32_f64_e32 v108, v[108:109]
	v_add_f64 v[109:110], v[90:91], v[102:103]
	v_add_f64 v[90:91], v[90:91], v[78:79]
	v_cvt_f32_f64_e32 v94, v[94:95]
	v_cvt_f32_f64_e32 v95, v[96:97]
	v_min3_f32 v106, v108, v106, v163
	v_add_f64 v[107:108], v[92:93], v[104:105]
	v_cvt_f32_f64_e32 v109, v[109:110]
	v_add_f64 v[110:111], v[86:87], v[102:103]
	v_add_f64 v[86:87], v[86:87], v[78:79]
	;; [unrolled: 1-line block ×3, first 2 shown]
	v_cvt_f32_f64_e32 v90, v[90:91]
	v_min3_f32 v94, v94, v95, v155
	v_add_f64 v[95:96], v[6:7], v[50:51]
	v_cvt_f32_f64_e32 v107, v[107:108]
	v_cvt_f32_f64_e32 v110, v[110:111]
	;; [unrolled: 1-line block ×4, first 2 shown]
	v_min3_f32 v107, v109, v107, v162
	v_add_f64 v[108:109], v[88:89], v[104:105]
	v_add_f64 v[88:89], v[88:89], v[80:81]
	v_min3_f32 v90, v90, v91, v154
	v_add_f64 v[91:92], v[22:23], v[50:51]
	v_cvt_f32_f64_e32 v108, v[108:109]
	v_cvt_f32_f64_e32 v87, v[88:89]
	v_min3_f32 v108, v110, v108, v161
	v_add_f64 v[109:110], v[84:85], v[104:105]
	v_add_f64 v[161:162], v[82:83], v[102:103]
	;; [unrolled: 1-line block ×4, first 2 shown]
	v_min3_f32 v86, v86, v87, v153
	v_add_f64 v[87:88], v[14:15], v[54:55]
	v_cvt_f32_f64_e32 v109, v[109:110]
	v_cvt_f32_f64_e32 v111, v[161:162]
	;; [unrolled: 1-line block ×4, first 2 shown]
	v_min3_f32 v109, v111, v109, v160
	v_add_f64 v[110:111], v[76:77], v[104:105]
	v_add_f64 v[160:161], v[74:75], v[102:103]
	;; [unrolled: 1-line block ×4, first 2 shown]
	v_min3_f32 v82, v82, v83, v152
	v_add_f64 v[83:84], v[6:7], v[58:59]
	v_cvt_f32_f64_e32 v110, v[110:111]
	v_cvt_f32_f64_e32 v160, v[160:161]
	v_add_f64 v[161:162], v[70:71], v[102:103]
	v_add_f64 v[102:103], v[66:67], v[102:103]
	;; [unrolled: 1-line block ×4, first 2 shown]
	v_cvt_f32_f64_e32 v74, v[74:75]
	v_cvt_f32_f64_e32 v75, v[76:77]
	v_add_f64 v[77:78], v[14:15], v[62:63]
	v_min3_f32 v110, v160, v110, v159
	v_add_f64 v[159:160], v[72:73], v[104:105]
	v_add_f64 v[104:105], v[68:69], v[104:105]
	;; [unrolled: 1-line block ×4, first 2 shown]
	v_cvt_f32_f64_e32 v66, v[66:67]
	v_cvt_f32_f64_e32 v70, v[70:71]
	v_min3_f32 v74, v74, v75, v151
	v_add_f64 v[75:76], v[22:23], v[62:63]
	v_cvt_f32_f64_e32 v102, v[102:103]
	v_cvt_f32_f64_e32 v111, v[161:162]
	;; [unrolled: 1-line block ×6, first 2 shown]
	v_add_f64 v[68:69], v[34:35], v[62:63]
	v_min3_f32 v111, v111, v159, v158
	v_min3_f32 v102, v102, v103, v157
	;; [unrolled: 1-line block ×3, first 2 shown]
	v_add_f64 v[66:67], v[36:37], v[64:65]
	v_cvt_f32_f64_e32 v68, v[68:69]
	v_min3_f32 v71, v70, v71, v150
	v_add_f64 v[69:70], v[26:27], v[62:63]
	v_cvt_f32_f64_e32 v66, v[66:67]
	v_cvt_f32_f64_e32 v69, v[69:70]
	;; [unrolled: 1-line block ×3, first 2 shown]
	v_add_f64 v[75:76], v[18:19], v[62:63]
	v_min3_f32 v66, v68, v66, v218
	v_add_f64 v[67:68], v[28:29], v[64:65]
	v_cvt_f32_f64_e32 v72, v[75:76]
	v_add_f64 v[75:76], v[16:17], v[64:65]
	v_cvt_f32_f64_e32 v67, v[67:68]
	v_min3_f32 v67, v69, v67, v217
	v_add_f64 v[68:69], v[24:25], v[64:65]
	v_cvt_f32_f64_e32 v68, v[68:69]
	v_min3_f32 v68, v70, v68, v216
	v_add_f64 v[69:70], v[20:21], v[64:65]
	v_cvt_f32_f64_e32 v69, v[69:70]
	v_cvt_f32_f64_e32 v70, v[77:78]
	v_add_f64 v[77:78], v[10:11], v[62:63]
	v_min3_f32 v69, v72, v69, v215
	v_cvt_f32_f64_e32 v72, v[75:76]
	v_add_f64 v[75:76], v[12:13], v[64:65]
	v_min3_f32 v70, v70, v72, v214
	v_cvt_f32_f64_e32 v72, v[77:78]
	v_cvt_f32_f64_e32 v75, v[75:76]
	v_add_f64 v[77:78], v[6:7], v[62:63]
	v_add_f64 v[62:63], v[2:3], v[62:63]
	v_min3_f32 v72, v72, v75, v213
	v_add_f64 v[75:76], v[8:9], v[64:65]
	v_add_f64 v[64:65], v[4:5], v[64:65]
	v_cvt_f32_f64_e32 v77, v[77:78]
	v_cvt_f32_f64_e32 v62, v[62:63]
	v_add_f64 v[78:79], v[22:23], v[58:59]
	v_cvt_f32_f64_e32 v75, v[75:76]
	v_cvt_f32_f64_e32 v63, v[64:65]
	v_min3_f32 v75, v77, v75, v212
	v_min3_f32 v62, v62, v63, v211
	v_add_f64 v[63:64], v[36:37], v[60:61]
	v_add_f64 v[76:77], v[34:35], v[58:59]
	v_cvt_f32_f64_e32 v63, v[63:64]
	v_cvt_f32_f64_e32 v65, v[76:77]
	v_add_f64 v[76:77], v[26:27], v[58:59]
	v_min3_f32 v63, v65, v63, v210
	v_add_f64 v[64:65], v[28:29], v[60:61]
	v_cvt_f32_f64_e32 v76, v[76:77]
	v_cvt_f32_f64_e32 v64, v[64:65]
	;; [unrolled: 1-line block ×3, first 2 shown]
	v_add_f64 v[78:79], v[18:19], v[58:59]
	v_min3_f32 v64, v76, v64, v209
	v_add_f64 v[76:77], v[24:25], v[60:61]
	v_cvt_f32_f64_e32 v78, v[78:79]
	v_add_f64 v[79:80], v[14:15], v[58:59]
	v_cvt_f32_f64_e32 v76, v[76:77]
	v_cvt_f32_f64_e32 v79, v[79:80]
	v_add_f64 v[80:81], v[10:11], v[58:59]
	v_add_f64 v[58:59], v[2:3], v[58:59]
	v_min3_f32 v65, v65, v76, v208
	v_add_f64 v[76:77], v[20:21], v[60:61]
	v_cvt_f32_f64_e32 v80, v[80:81]
	v_cvt_f32_f64_e32 v81, v[83:84]
	;; [unrolled: 1-line block ×3, first 2 shown]
	v_add_f64 v[83:84], v[22:23], v[54:55]
	v_cvt_f32_f64_e32 v76, v[76:77]
	v_min3_f32 v76, v78, v76, v207
	v_add_f64 v[77:78], v[16:17], v[60:61]
	v_cvt_f32_f64_e32 v77, v[77:78]
	v_min3_f32 v77, v79, v77, v206
	;; [unrolled: 3-line block ×3, first 2 shown]
	v_add_f64 v[79:80], v[8:9], v[60:61]
	v_add_f64 v[60:61], v[4:5], v[60:61]
	v_cvt_f32_f64_e32 v79, v[79:80]
	v_cvt_f32_f64_e32 v59, v[60:61]
	v_min3_f32 v79, v81, v79, v204
	v_min3_f32 v58, v58, v59, v203
	v_add_f64 v[59:60], v[36:37], v[56:57]
	v_add_f64 v[80:81], v[34:35], v[54:55]
	v_cvt_f32_f64_e32 v59, v[59:60]
	v_cvt_f32_f64_e32 v61, v[80:81]
	v_add_f64 v[80:81], v[26:27], v[54:55]
	v_min3_f32 v59, v61, v59, v122
	v_add_f64 v[60:61], v[28:29], v[56:57]
	v_cvt_f32_f64_e32 v80, v[80:81]
	v_cvt_f32_f64_e32 v60, v[60:61]
	;; [unrolled: 1-line block ×3, first 2 shown]
	v_add_f64 v[83:84], v[18:19], v[54:55]
	v_min3_f32 v60, v80, v60, v201
	v_add_f64 v[80:81], v[24:25], v[56:57]
	v_cvt_f32_f64_e32 v83, v[83:84]
	v_cvt_f32_f64_e32 v80, v[80:81]
	v_min3_f32 v61, v61, v80, v200
	v_add_f64 v[80:81], v[20:21], v[56:57]
	v_cvt_f32_f64_e32 v80, v[80:81]
	v_cvt_f32_f64_e32 v81, v[87:88]
	v_add_f64 v[87:88], v[10:11], v[54:55]
	v_min3_f32 v80, v83, v80, v199
	v_add_f64 v[83:84], v[16:17], v[56:57]
	v_cvt_f32_f64_e32 v85, v[87:88]
	v_add_f64 v[87:88], v[6:7], v[54:55]
	v_add_f64 v[54:55], v[2:3], v[54:55]
	v_cvt_f32_f64_e32 v83, v[83:84]
	v_cvt_f32_f64_e32 v87, v[87:88]
	;; [unrolled: 1-line block ×3, first 2 shown]
	v_min3_f32 v81, v81, v83, v198
	v_add_f64 v[83:84], v[12:13], v[56:57]
	v_cvt_f32_f64_e32 v83, v[83:84]
	v_min3_f32 v83, v85, v83, v197
	v_add_f64 v[84:85], v[8:9], v[56:57]
	v_add_f64 v[56:57], v[4:5], v[56:57]
	v_cvt_f32_f64_e32 v84, v[84:85]
	v_cvt_f32_f64_e32 v55, v[56:57]
	v_min3_f32 v84, v87, v84, v196
	v_min3_f32 v54, v54, v55, v195
	v_add_f64 v[55:56], v[36:37], v[52:53]
	v_add_f64 v[87:88], v[34:35], v[50:51]
	v_cvt_f32_f64_e32 v55, v[55:56]
	v_cvt_f32_f64_e32 v57, v[87:88]
	v_add_f64 v[87:88], v[26:27], v[50:51]
	v_min3_f32 v55, v57, v55, v194
	v_add_f64 v[56:57], v[28:29], v[52:53]
	v_cvt_f32_f64_e32 v85, v[87:88]
	v_add_f64 v[87:88], v[24:25], v[52:53]
	v_cvt_f32_f64_e32 v56, v[56:57]
	v_cvt_f32_f64_e32 v57, v[91:92]
	v_add_f64 v[91:92], v[18:19], v[50:51]
	v_min3_f32 v56, v85, v56, v193
	v_cvt_f32_f64_e32 v85, v[87:88]
	v_add_f64 v[87:88], v[20:21], v[52:53]
	v_min3_f32 v57, v57, v85, v192
	v_cvt_f32_f64_e32 v85, v[91:92]
	v_cvt_f32_f64_e32 v87, v[87:88]
	v_add_f64 v[91:92], v[14:15], v[50:51]
	v_min3_f32 v85, v85, v87, v118
	v_add_f64 v[87:88], v[16:17], v[52:53]
	v_cvt_f32_f64_e32 v89, v[91:92]
	v_add_f64 v[91:92], v[10:11], v[50:51]
	v_add_f64 v[50:51], v[2:3], v[50:51]
	v_cvt_f32_f64_e32 v87, v[87:88]
	v_cvt_f32_f64_e32 v91, v[91:92]
	;; [unrolled: 1-line block ×3, first 2 shown]
	v_min3_f32 v87, v89, v87, v119
	v_add_f64 v[88:89], v[12:13], v[52:53]
	v_cvt_f32_f64_e32 v88, v[88:89]
	v_cvt_f32_f64_e32 v89, v[95:96]
	v_add_f64 v[95:96], v[22:23], v[46:47]
	v_min3_f32 v88, v91, v88, v120
	v_add_f64 v[91:92], v[8:9], v[52:53]
	v_add_f64 v[52:53], v[4:5], v[52:53]
	v_cvt_f32_f64_e32 v91, v[91:92]
	v_cvt_f32_f64_e32 v51, v[52:53]
	v_min3_f32 v89, v89, v91, v121
	v_min3_f32 v50, v50, v51, v114
	v_add_f64 v[51:52], v[36:37], v[48:49]
	v_add_f64 v[91:92], v[34:35], v[46:47]
	v_cvt_f32_f64_e32 v51, v[51:52]
	v_cvt_f32_f64_e32 v53, v[91:92]
	v_add_f64 v[91:92], v[26:27], v[46:47]
	v_min3_f32 v51, v53, v51, v115
	v_add_f64 v[52:53], v[28:29], v[48:49]
	v_cvt_f32_f64_e32 v91, v[91:92]
	v_cvt_f32_f64_e32 v52, v[52:53]
	;; [unrolled: 1-line block ×3, first 2 shown]
	v_add_f64 v[95:96], v[18:19], v[46:47]
	v_min3_f32 v52, v91, v52, v116
	v_add_f64 v[91:92], v[24:25], v[48:49]
	v_cvt_f32_f64_e32 v93, v[95:96]
	v_add_f64 v[95:96], v[14:15], v[46:47]
	v_cvt_f32_f64_e32 v91, v[91:92]
	v_cvt_f32_f64_e32 v95, v[95:96]
	v_min3_f32 v53, v53, v91, v117
	v_add_f64 v[91:92], v[20:21], v[48:49]
	v_cvt_f32_f64_e32 v91, v[91:92]
	v_min3_f32 v91, v93, v91, v123
	v_add_f64 v[92:93], v[16:17], v[48:49]
	v_cvt_f32_f64_e32 v92, v[92:93]
	v_cvt_f32_f64_e32 v93, v[99:100]
	v_add_f64 v[99:100], v[6:7], v[46:47]
	v_add_f64 v[46:47], v[2:3], v[46:47]
	v_min3_f32 v92, v95, v92, v124
	v_add_f64 v[95:96], v[12:13], v[48:49]
	v_cvt_f32_f64_e32 v46, v[46:47]
	v_cvt_f32_f64_e32 v95, v[95:96]
	v_min3_f32 v149, v93, v95, v181
	v_add_f64 v[95:96], v[8:9], v[48:49]
	v_add_f64 v[48:49], v[4:5], v[48:49]
	v_cvt_f32_f64_e32 v93, v[99:100]
	v_add_f64 v[99:100], v[22:23], v[42:43]
	v_cvt_f32_f64_e32 v95, v[95:96]
	v_cvt_f32_f64_e32 v47, v[48:49]
	v_min3_f32 v150, v93, v95, v125
	v_min3_f32 v46, v46, v47, v112
	v_add_f64 v[47:48], v[36:37], v[44:45]
	v_add_f64 v[95:96], v[34:35], v[42:43]
	v_cvt_f32_f64_e32 v47, v[47:48]
	v_cvt_f32_f64_e32 v49, v[95:96]
	v_add_f64 v[95:96], v[26:27], v[42:43]
	v_min3_f32 v47, v49, v47, v113
	v_add_f64 v[48:49], v[28:29], v[44:45]
	v_cvt_f32_f64_e32 v93, v[95:96]
	v_add_f64 v[95:96], v[24:25], v[44:45]
	v_cvt_f32_f64_e32 v48, v[48:49]
	v_cvt_f32_f64_e32 v49, v[99:100]
	v_add_f64 v[99:100], v[18:19], v[42:43]
	v_min3_f32 v48, v93, v48, v126
	v_cvt_f32_f64_e32 v93, v[95:96]
	v_add_f64 v[95:96], v[20:21], v[44:45]
	v_min3_f32 v49, v49, v93, v127
	v_cvt_f32_f64_e32 v93, v[99:100]
	v_cvt_f32_f64_e32 v95, v[95:96]
	v_add_f64 v[99:100], v[14:15], v[42:43]
	v_min3_f32 v151, v93, v95, v128
	v_add_f64 v[95:96], v[16:17], v[44:45]
	v_cvt_f32_f64_e32 v93, v[99:100]
	v_add_f64 v[99:100], v[10:11], v[42:43]
	v_cvt_f32_f64_e32 v95, v[95:96]
	v_min3_f32 v152, v93, v95, v129
	v_add_f64 v[95:96], v[12:13], v[44:45]
	v_cvt_f32_f64_e32 v93, v[99:100]
	v_add_f64 v[99:100], v[6:7], v[42:43]
	v_add_f64 v[42:43], v[2:3], v[42:43]
	v_cvt_f32_f64_e32 v95, v[95:96]
	v_cvt_f32_f64_e32 v42, v[42:43]
	v_min3_f32 v153, v93, v95, v167
	v_add_f64 v[95:96], v[8:9], v[44:45]
	v_add_f64 v[44:45], v[4:5], v[44:45]
	v_cvt_f32_f64_e32 v93, v[99:100]
	v_add_f64 v[99:100], v[22:23], v[38:39]
	v_add_f64 v[22:23], v[22:23], v[30:31]
	v_cvt_f32_f64_e32 v95, v[95:96]
	v_cvt_f32_f64_e32 v43, v[44:45]
	;; [unrolled: 1-line block ×3, first 2 shown]
	v_min3_f32 v154, v93, v95, v166
	v_min3_f32 v42, v42, v43, v165
	v_add_f64 v[43:44], v[36:37], v[40:41]
	v_add_f64 v[95:96], v[34:35], v[38:39]
	;; [unrolled: 1-line block ×4, first 2 shown]
	v_cvt_f32_f64_e32 v43, v[43:44]
	v_cvt_f32_f64_e32 v45, v[95:96]
	v_add_f64 v[95:96], v[26:27], v[38:39]
	v_add_f64 v[26:27], v[26:27], v[30:31]
	v_cvt_f32_f64_e32 v34, v[34:35]
	v_cvt_f32_f64_e32 v35, v[36:37]
	v_min3_f32 v43, v45, v43, v164
	v_add_f64 v[44:45], v[28:29], v[40:41]
	v_cvt_f32_f64_e32 v93, v[95:96]
	v_add_f64 v[95:96], v[24:25], v[40:41]
	v_add_f64 v[28:29], v[28:29], v[32:33]
	;; [unrolled: 1-line block ×3, first 2 shown]
	v_cvt_f32_f64_e32 v26, v[26:27]
	v_min3_f32 v190, v34, v35, v98
	v_cvt_f32_f64_e32 v44, v[44:45]
	v_cvt_f32_f64_e32 v45, v[99:100]
	v_add_f64 v[99:100], v[18:19], v[38:39]
	v_add_f64 v[18:19], v[18:19], v[30:31]
	v_cvt_f32_f64_e32 v27, v[28:29]
	v_cvt_f32_f64_e32 v23, v[24:25]
	v_min3_f32 v44, v93, v44, v106
	v_cvt_f32_f64_e32 v93, v[95:96]
	v_add_f64 v[95:96], v[20:21], v[40:41]
	v_add_f64 v[20:21], v[20:21], v[32:33]
	v_cvt_f32_f64_e32 v18, v[18:19]
	v_min3_f32 v191, v26, v27, v94
	v_min3_f32 v192, v22, v23, v90
	;; [unrolled: 1-line block ×3, first 2 shown]
	v_cvt_f32_f64_e32 v93, v[99:100]
	v_cvt_f32_f64_e32 v95, v[95:96]
	v_add_f64 v[99:100], v[14:15], v[38:39]
	v_add_f64 v[14:15], v[14:15], v[30:31]
	v_cvt_f32_f64_e32 v19, v[20:21]
	v_min3_f32 v155, v93, v95, v108
	v_add_f64 v[95:96], v[16:17], v[40:41]
	v_cvt_f32_f64_e32 v93, v[99:100]
	v_add_f64 v[99:100], v[10:11], v[38:39]
	v_add_f64 v[16:17], v[16:17], v[32:33]
	;; [unrolled: 1-line block ×3, first 2 shown]
	v_cvt_f32_f64_e32 v14, v[14:15]
	v_min3_f32 v193, v18, v19, v86
	v_cvt_f32_f64_e32 v95, v[95:96]
	v_cvt_f32_f64_e32 v15, v[16:17]
	;; [unrolled: 1-line block ×3, first 2 shown]
	v_min3_f32 v156, v93, v95, v109
	v_add_f64 v[95:96], v[12:13], v[40:41]
	v_cvt_f32_f64_e32 v93, v[99:100]
	v_add_f64 v[99:100], v[6:7], v[38:39]
	v_add_f64 v[38:39], v[2:3], v[38:39]
	v_add_f64 v[12:13], v[12:13], v[32:33]
	v_add_f64 v[6:7], v[6:7], v[30:31]
	v_add_f64 v[2:3], v[2:3], v[30:31]
	v_min3_f32 v194, v14, v15, v82
	v_cvt_f32_f64_e32 v95, v[95:96]
	v_cvt_f32_f64_e32 v38, v[38:39]
	;; [unrolled: 1-line block ×5, first 2 shown]
	v_min3_f32 v157, v93, v95, v110
	v_add_f64 v[95:96], v[8:9], v[40:41]
	v_add_f64 v[40:41], v[4:5], v[40:41]
	v_add_f64 v[8:9], v[8:9], v[32:33]
	v_add_f64 v[4:5], v[4:5], v[32:33]
	v_cvt_f32_f64_e32 v93, v[99:100]
	v_min3_f32 v195, v10, v11, v74
	v_cvt_f32_f64_e32 v95, v[95:96]
	v_cvt_f32_f64_e32 v39, v[40:41]
	;; [unrolled: 1-line block ×4, first 2 shown]
	v_min3_f32 v188, v93, v95, v111
	v_min3_f32 v189, v38, v39, v102
	;; [unrolled: 1-line block ×4, first 2 shown]
	ds_read_b128 v[6:9], v147 offset:1024
	ds_read_b128 v[10:13], v147 offset:2048
	ds_read_b128 v[14:17], v147 offset:3072
	ds_read_b128 v[18:21], v147 offset:4096
	ds_read_b128 v[22:25], v147 offset:5120
	ds_read_b128 v[26:29], v147 offset:6144
	ds_read_b128 v[30:33], v147 offset:7168
	ds_read_b128 v[38:41], v171 offset:256
	ds_read_b128 v[93:96], v171 offset:512
	ds_read_b128 v[158:161], v171 offset:768
	ds_read_b128 v[162:165], v171 offset:1024
	ds_read_b128 v[166:169], v171 offset:1280
	ds_read_b128 v[176:179], v171 offset:1536
	ds_read_b128 v[180:183], v171 offset:1792
	ds_read_b128 v[97:100], v171
	ds_read_b128 v[34:37], v171 offset:16
	ds_read_b128 v[184:187], v147
	ds_read_b128 v[2:5], v147 offset:16
	s_waitcnt lgkmcnt(1)
	v_add_f64 v[73:74], v[186:187], v[99:100]
	v_add_f64 v[101:102], v[184:185], v[97:98]
	v_cvt_f32_f64_e32 v73, v[73:74]
	v_cvt_f32_f64_e32 v71, v[101:102]
	v_add_f64 v[101:102], v[6:7], v[97:98]
	v_min3_f32 v129, v71, v73, v66
	v_add_f64 v[73:74], v[8:9], v[99:100]
	v_cvt_f32_f64_e32 v66, v[101:102]
	v_cvt_f32_f64_e32 v71, v[73:74]
	v_add_f64 v[73:74], v[10:11], v[97:98]
	v_min3_f32 v128, v66, v71, v67
	v_add_f64 v[66:67], v[12:13], v[99:100]
	v_cvt_f32_f64_e32 v71, v[73:74]
	v_add_f64 v[73:74], v[14:15], v[97:98]
	v_cvt_f32_f64_e32 v66, v[66:67]
	v_min3_f32 v127, v71, v66, v68
	v_add_f64 v[66:67], v[16:17], v[99:100]
	v_cvt_f32_f64_e32 v68, v[73:74]
	v_cvt_f32_f64_e32 v66, v[66:67]
	v_min3_f32 v126, v68, v66, v69
	v_add_f64 v[66:67], v[20:21], v[99:100]
	v_add_f64 v[68:69], v[18:19], v[97:98]
	v_cvt_f32_f64_e32 v66, v[66:67]
	v_cvt_f32_f64_e32 v68, v[68:69]
	v_min3_f32 v125, v68, v66, v70
	v_add_f64 v[66:67], v[24:25], v[99:100]
	;; [unrolled: 5-line block ×11, first 2 shown]
	v_add_f64 v[64:65], v[26:27], v[38:39]
	v_add_f64 v[40:41], v[32:33], v[40:41]
	;; [unrolled: 1-line block ×3, first 2 shown]
	v_cvt_f32_f64_e32 v62, v[62:63]
	v_cvt_f32_f64_e32 v64, v[64:65]
	;; [unrolled: 1-line block ×4, first 2 shown]
	v_add_f64 v[40:41], v[184:185], v[93:94]
	v_min3_f32 v115, v64, v62, v79
	v_min3_f32 v114, v38, v39, v58
	v_add_f64 v[38:39], v[186:187], v[95:96]
	v_cvt_f32_f64_e32 v40, v[40:41]
	v_cvt_f32_f64_e32 v38, v[38:39]
	v_min3_f32 v113, v40, v38, v59
	v_add_f64 v[38:39], v[8:9], v[95:96]
	v_add_f64 v[40:41], v[6:7], v[93:94]
	v_cvt_f32_f64_e32 v38, v[38:39]
	v_cvt_f32_f64_e32 v40, v[40:41]
	v_min3_f32 v112, v40, v38, v60
	v_add_f64 v[38:39], v[12:13], v[95:96]
	;; [unrolled: 5-line block ×23, first 2 shown]
	v_add_f64 v[40:41], v[30:31], v[162:163]
	s_waitcnt lgkmcnt(0)
	v_add_f64 v[149:150], v[4:5], v[36:37]
	v_cvt_f32_f64_e32 v38, v[38:39]
	v_cvt_f32_f64_e32 v40, v[40:41]
	;; [unrolled: 1-line block ×3, first 2 shown]
	v_min3_f32 v90, v40, v38, v46
	v_add_f64 v[38:39], v[186:187], v[168:169]
	v_add_f64 v[40:41], v[184:185], v[166:167]
	v_cvt_f32_f64_e32 v38, v[38:39]
	v_cvt_f32_f64_e32 v40, v[40:41]
	v_min3_f32 v89, v40, v38, v47
	v_add_f64 v[38:39], v[8:9], v[168:169]
	v_add_f64 v[40:41], v[6:7], v[166:167]
	v_cvt_f32_f64_e32 v38, v[38:39]
	v_cvt_f32_f64_e32 v40, v[40:41]
	;; [unrolled: 5-line block ×5, first 2 shown]
	v_min3_f32 v85, v40, v38, v152
	v_add_f64 v[38:39], v[24:25], v[168:169]
	v_add_f64 v[40:41], v[22:23], v[166:167]
	;; [unrolled: 1-line block ×3, first 2 shown]
	v_cvt_f32_f64_e32 v38, v[38:39]
	v_cvt_f32_f64_e32 v40, v[40:41]
	;; [unrolled: 1-line block ×3, first 2 shown]
	v_min3_f32 v84, v40, v38, v153
	v_add_f64 v[38:39], v[28:29], v[168:169]
	v_add_f64 v[40:41], v[26:27], v[166:167]
	v_min3_f32 v218, v151, v149, v129
	v_cvt_f32_f64_e32 v38, v[38:39]
	v_cvt_f32_f64_e32 v40, v[40:41]
	v_min3_f32 v83, v40, v38, v154
	v_add_f64 v[38:39], v[32:33], v[168:169]
	v_add_f64 v[40:41], v[30:31], v[166:167]
	v_cvt_f32_f64_e32 v38, v[38:39]
	v_cvt_f32_f64_e32 v40, v[40:41]
	v_min3_f32 v82, v40, v38, v42
	v_add_f64 v[38:39], v[186:187], v[178:179]
	v_add_f64 v[40:41], v[184:185], v[176:177]
	;; [unrolled: 5-line block ×3, first 2 shown]
	v_add_f64 v[8:9], v[8:9], v[182:183]
	v_add_f64 v[6:7], v[6:7], v[180:181]
	v_cvt_f32_f64_e32 v38, v[38:39]
	v_cvt_f32_f64_e32 v40, v[40:41]
	;; [unrolled: 1-line block ×4, first 2 shown]
	v_add_f64 v[8:9], v[10:11], v[180:181]
	v_min3_f32 v80, v40, v38, v44
	v_add_f64 v[38:39], v[12:13], v[178:179]
	v_add_f64 v[40:41], v[10:11], v[176:177]
	v_min3_f32 v72, v6, v7, v191
	v_add_f64 v[6:7], v[12:13], v[182:183]
	v_cvt_f32_f64_e32 v8, v[8:9]
	v_cvt_f32_f64_e32 v38, v[38:39]
	v_cvt_f32_f64_e32 v40, v[40:41]
	v_cvt_f32_f64_e32 v6, v[6:7]
	v_min3_f32 v79, v40, v38, v45
	v_add_f64 v[38:39], v[16:17], v[178:179]
	v_add_f64 v[40:41], v[14:15], v[176:177]
	v_min3_f32 v71, v8, v6, v192
	v_add_f64 v[6:7], v[16:17], v[182:183]
	v_add_f64 v[8:9], v[14:15], v[180:181]
	v_cvt_f32_f64_e32 v38, v[38:39]
	v_cvt_f32_f64_e32 v40, v[40:41]
	v_cvt_f32_f64_e32 v6, v[6:7]
	v_cvt_f32_f64_e32 v8, v[8:9]
	v_min3_f32 v78, v40, v38, v155
	v_add_f64 v[38:39], v[20:21], v[178:179]
	v_add_f64 v[40:41], v[18:19], v[176:177]
	v_min3_f32 v70, v8, v6, v193
	v_add_f64 v[6:7], v[20:21], v[182:183]
	v_add_f64 v[8:9], v[18:19], v[180:181]
	v_cvt_f32_f64_e32 v38, v[38:39]
	v_cvt_f32_f64_e32 v40, v[40:41]
	v_cvt_f32_f64_e32 v6, v[6:7]
	v_cvt_f32_f64_e32 v8, v[8:9]
	v_min3_f32 v77, v40, v38, v156
	v_add_f64 v[38:39], v[24:25], v[178:179]
	v_add_f64 v[40:41], v[22:23], v[176:177]
	v_min3_f32 v69, v8, v6, v194
	v_add_f64 v[6:7], v[24:25], v[182:183]
	v_add_f64 v[8:9], v[22:23], v[180:181]
	v_cvt_f32_f64_e32 v38, v[38:39]
	v_cvt_f32_f64_e32 v40, v[40:41]
	v_cvt_f32_f64_e32 v6, v[6:7]
	v_cvt_f32_f64_e32 v8, v[8:9]
	v_min3_f32 v76, v40, v38, v157
	v_add_f64 v[38:39], v[28:29], v[178:179]
	v_add_f64 v[40:41], v[26:27], v[176:177]
	v_min3_f32 v68, v8, v6, v195
	v_add_f64 v[6:7], v[28:29], v[182:183]
	v_add_f64 v[8:9], v[26:27], v[180:181]
	v_cvt_f32_f64_e32 v38, v[38:39]
	v_cvt_f32_f64_e32 v40, v[40:41]
	v_cvt_f32_f64_e32 v6, v[6:7]
	v_cvt_f32_f64_e32 v8, v[8:9]
	v_min3_f32 v75, v40, v38, v188
	v_add_f64 v[38:39], v[32:33], v[178:179]
	v_add_f64 v[40:41], v[30:31], v[176:177]
	v_min3_f32 v67, v8, v6, v196
	v_add_f64 v[6:7], v[32:33], v[182:183]
	v_add_f64 v[8:9], v[30:31], v[180:181]
	v_cvt_f32_f64_e32 v38, v[38:39]
	v_cvt_f32_f64_e32 v40, v[40:41]
	;; [unrolled: 1-line block ×4, first 2 shown]
	v_min3_f32 v74, v40, v38, v189
	v_add_f64 v[38:39], v[186:187], v[182:183]
	v_add_f64 v[40:41], v[184:185], v[180:181]
	v_min3_f32 v66, v8, v6, v197
	v_cvt_f32_f64_e32 v38, v[38:39]
	v_cvt_f32_f64_e32 v40, v[40:41]
	v_min3_f32 v73, v40, v38, v190
	ds_read_b128 v[22:25], v147 offset:1040
	ds_read_b128 v[18:21], v147 offset:2064
	;; [unrolled: 1-line block ×14, first 2 shown]
	ds_write2st64_b64 v172, v[136:137], v[138:139] offset1:4
	ds_write2st64_b64 v172, v[140:141], v[142:143] offset0:8 offset1:12
	ds_write_b64 v173, v[134:135]
	s_waitcnt lgkmcnt(0)
	s_barrier
	buffer_gl0_inv
	v_add_f64 v[149:150], v[24:25], v[36:37]
	v_add_f64 v[151:152], v[22:23], v[34:35]
	v_cvt_f32_f64_e32 v149, v[149:150]
	v_cvt_f32_f64_e32 v129, v[151:152]
	v_min3_f32 v217, v129, v149, v128
	v_add_f64 v[128:129], v[20:21], v[36:37]
	v_add_f64 v[149:150], v[18:19], v[34:35]
	v_cvt_f32_f64_e32 v128, v[128:129]
	v_cvt_f32_f64_e32 v149, v[149:150]
	v_min3_f32 v216, v149, v128, v127
	;; [unrolled: 5-line block ×5, first 2 shown]
	v_add_f64 v[124:125], v[32:33], v[36:37]
	v_add_f64 v[126:127], v[30:31], v[34:35]
	;; [unrolled: 1-line block ×4, first 2 shown]
	v_cvt_f32_f64_e32 v124, v[124:125]
	v_cvt_f32_f64_e32 v126, v[126:127]
	;; [unrolled: 1-line block ×4, first 2 shown]
	v_add_f64 v[36:37], v[2:3], v[62:63]
	v_min3_f32 v212, v126, v124, v123
	v_min3_f32 v211, v34, v35, v122
	v_add_f64 v[34:35], v[4:5], v[64:65]
	v_cvt_f32_f64_e32 v36, v[36:37]
	v_cvt_f32_f64_e32 v34, v[34:35]
	v_min3_f32 v210, v36, v34, v121
	v_add_f64 v[34:35], v[24:25], v[64:65]
	v_add_f64 v[36:37], v[22:23], v[62:63]
	v_cvt_f32_f64_e32 v34, v[34:35]
	v_cvt_f32_f64_e32 v36, v[36:37]
	v_min3_f32 v209, v36, v34, v120
	v_add_f64 v[34:35], v[20:21], v[64:65]
	;; [unrolled: 5-line block ×40, first 2 shown]
	v_add_f64 v[36:37], v[2:3], v[42:43]
	v_add_f64 v[4:5], v[4:5], v[40:41]
	;; [unrolled: 1-line block ×3, first 2 shown]
	v_cvt_f32_f64_e32 v34, v[34:35]
	v_cvt_f32_f64_e32 v36, v[36:37]
	;; [unrolled: 1-line block ×4, first 2 shown]
	v_add_f64 v[4:5], v[22:23], v[38:39]
	v_min3_f32 v164, v36, v34, v81
	v_add_f64 v[34:35], v[24:25], v[44:45]
	v_add_f64 v[36:37], v[22:23], v[42:43]
	v_min3_f32 v156, v2, v3, v73
	v_add_f64 v[2:3], v[24:25], v[40:41]
	v_cvt_f32_f64_e32 v4, v[4:5]
	v_cvt_f32_f64_e32 v34, v[34:35]
	v_cvt_f32_f64_e32 v36, v[36:37]
	v_cvt_f32_f64_e32 v2, v[2:3]
	v_min3_f32 v163, v36, v34, v80
	v_add_f64 v[34:35], v[20:21], v[44:45]
	v_add_f64 v[36:37], v[18:19], v[42:43]
	v_min3_f32 v155, v4, v2, v72
	v_add_f64 v[2:3], v[20:21], v[40:41]
	v_add_f64 v[4:5], v[18:19], v[38:39]
	v_cvt_f32_f64_e32 v34, v[34:35]
	v_cvt_f32_f64_e32 v36, v[36:37]
	v_cvt_f32_f64_e32 v2, v[2:3]
	v_cvt_f32_f64_e32 v4, v[4:5]
	v_min3_f32 v162, v36, v34, v79
	v_add_f64 v[34:35], v[16:17], v[44:45]
	v_add_f64 v[36:37], v[14:15], v[42:43]
	v_min3_f32 v154, v4, v2, v71
	v_add_f64 v[2:3], v[16:17], v[40:41]
	;; [unrolled: 10-line block ×6, first 2 shown]
	v_add_f64 v[4:5], v[26:27], v[38:39]
	v_cvt_f32_f64_e32 v34, v[34:35]
	v_cvt_f32_f64_e32 v36, v[36:37]
	;; [unrolled: 1-line block ×4, first 2 shown]
	v_min3_f32 v157, v36, v34, v74
	v_min3_f32 v149, v4, v2, v66
	s_cbranch_scc1 .LBB108_49
.LBB108_29:                             ; =>This Inner Loop Header: Depth=1
	v_add_nc_u32_e32 v30, s23, v144
	v_add_nc_u32_e32 v4, 8, v30
	v_min_i32_e32 v2, s25, v4
	v_cmp_le_i32_e64 s6, s14, v4
	v_mad_i64_i32 v[2:3], null, v2, s27, 0
	s_or_b32 s29, vcc_lo, s6
	v_cndmask_b32_e64 v135, 0, 0x7fefffff, s29
	v_cndmask_b32_e64 v134, 0, -1, s29
	v_lshlrev_b64 v[2:3], 3, v[2:3]
	v_add_co_u32 v2, s7, s20, v2
	v_add_co_ci_u32_e64 v3, null, s21, v3, s7
	s_nor_b32 s7, s28, s29
	s_and_saveexec_b32 s29, s7
	s_cbranch_execz .LBB108_31
; %bb.30:                               ;   in Loop: Header=BB108_29 Depth=1
	v_add_co_u32 v4, s7, v2, v130
	v_add_co_ci_u32_e64 v5, null, v3, v131, s7
	flat_load_dwordx2 v[4:5], v[4:5]
	s_waitcnt vmcnt(0) lgkmcnt(0)
	v_mul_f64 v[134:135], s[18:19], v[4:5]
.LBB108_31:                             ;   in Loop: Header=BB108_29 Depth=1
	s_or_b32 exec_lo, exec_lo, s29
	s_or_b32 s7, s0, s6
	v_cndmask_b32_e64 v137, 0, 0x7fefffff, s7
	v_cndmask_b32_e64 v136, 0, -1, s7
	s_nor_b32 s7, s28, s7
	s_and_saveexec_b32 s29, s7
	s_cbranch_execz .LBB108_33
; %bb.32:                               ;   in Loop: Header=BB108_29 Depth=1
	v_add_co_u32 v4, s7, v2, v130
	v_add_co_ci_u32_e64 v5, null, v3, v131, s7
	flat_load_dwordx2 v[4:5], v[4:5] offset:512
	s_waitcnt vmcnt(0) lgkmcnt(0)
	v_mul_f64 v[136:137], s[18:19], v[4:5]
.LBB108_33:                             ;   in Loop: Header=BB108_29 Depth=1
	s_or_b32 exec_lo, exec_lo, s29
	s_or_b32 s7, s1, s6
	v_cndmask_b32_e64 v139, 0, 0x7fefffff, s7
	v_cndmask_b32_e64 v138, 0, -1, s7
	s_nor_b32 s7, s28, s7
	s_and_saveexec_b32 s29, s7
	s_cbranch_execz .LBB108_35
; %bb.34:                               ;   in Loop: Header=BB108_29 Depth=1
	v_add_co_u32 v4, s7, v2, v130
	v_add_co_ci_u32_e64 v5, null, v3, v131, s7
	flat_load_dwordx2 v[4:5], v[4:5] offset:1024
	s_waitcnt vmcnt(0) lgkmcnt(0)
	v_mul_f64 v[138:139], s[18:19], v[4:5]
.LBB108_35:                             ;   in Loop: Header=BB108_29 Depth=1
	s_or_b32 exec_lo, exec_lo, s29
	s_or_b32 s6, s2, s6
	v_cndmask_b32_e64 v141, 0, 0x7fefffff, s6
	v_cndmask_b32_e64 v140, 0, -1, s6
	s_nor_b32 s6, s28, s6
	s_and_saveexec_b32 s7, s6
	s_cbranch_execz .LBB108_37
; %bb.36:                               ;   in Loop: Header=BB108_29 Depth=1
	v_add_co_u32 v2, s6, v2, v130
	v_add_co_ci_u32_e64 v3, null, v3, v131, s6
	flat_load_dwordx2 v[2:3], v[2:3] offset:1536
	s_waitcnt vmcnt(0) lgkmcnt(0)
	v_mul_f64 v[140:141], s[18:19], v[2:3]
.LBB108_37:                             ;   in Loop: Header=BB108_29 Depth=1
	s_or_b32 exec_lo, exec_lo, s7
	v_add_nc_u32_e32 v219, s23, v146
	v_add_nc_u32_e32 v2, 8, v219
	v_cmp_le_i32_e64 s6, s14, v2
	s_or_b32 s6, s6, s3
	v_cndmask_b32_e64 v143, 0, 0x7fefffff, s6
	v_cndmask_b32_e64 v142, 0, -1, s6
	s_nor_b32 s6, s28, s6
	s_and_saveexec_b32 s7, s6
	s_cbranch_execz .LBB108_39
; %bb.38:                               ;   in Loop: Header=BB108_29 Depth=1
	v_add_co_u32 v2, s6, 0xffffffe0, v132
	v_add_co_ci_u32_e64 v3, null, -1, v133, s6
	flat_load_dwordx2 v[2:3], v[2:3]
	s_waitcnt vmcnt(0) lgkmcnt(0)
	v_mul_f64 v[142:143], s[18:19], v[2:3]
.LBB108_39:                             ;   in Loop: Header=BB108_29 Depth=1
	s_or_b32 exec_lo, exec_lo, s7
	ds_read_b128 v[126:129], v175
	ds_read_b128 v[62:65], v175 offset:16
	ds_read_b128 v[98:101], v174
	ds_read_b128 v[34:37], v174 offset:16
	ds_read_b128 v[94:97], v174 offset:1024
	;; [unrolled: 1-line block ×17, first 2 shown]
	v_add_nc_u32_e32 v222, 12, v30
	ds_read_b128 v[118:121], v175 offset:512
	ds_read_b128 v[54:57], v175 offset:528
	;; [unrolled: 1-line block ×8, first 2 shown]
	v_min_i32_e32 v30, s25, v222
	v_cmp_le_i32_e64 s6, s14, v222
	v_mad_i64_i32 v[220:221], null, v30, s27, 0
	ds_read_b128 v[102:105], v175 offset:1536
	ds_read_b128 v[38:41], v175 offset:1552
	;; [unrolled: 1-line block ×4, first 2 shown]
	ds_write2st64_b64 v148, v[134:135], v[136:137] offset1:4
	ds_write2st64_b64 v148, v[138:139], v[140:141] offset0:8 offset1:12
	ds_write_b64 v170, v[142:143]
	s_waitcnt lgkmcnt(0)
	s_barrier
	buffer_gl0_inv
	v_lshlrev_b64 v[220:221], 3, v[220:221]
	v_add_co_u32 v134, s7, s20, v220
	v_add_co_ci_u32_e64 v135, null, s21, v221, s7
	s_or_b32 s7, vcc_lo, s6
	v_cndmask_b32_e64 v137, 0, 0x7fefffff, s7
	v_cndmask_b32_e64 v136, 0, -1, s7
	s_nor_b32 s7, s28, s7
	s_and_saveexec_b32 s29, s7
	s_cbranch_execz .LBB108_41
; %bb.40:                               ;   in Loop: Header=BB108_29 Depth=1
	v_add_co_u32 v136, s7, v134, v130
	v_add_co_ci_u32_e64 v137, null, v135, v131, s7
	flat_load_dwordx2 v[136:137], v[136:137]
	s_waitcnt vmcnt(0) lgkmcnt(0)
	v_mul_f64 v[136:137], s[18:19], v[136:137]
.LBB108_41:                             ;   in Loop: Header=BB108_29 Depth=1
	s_or_b32 exec_lo, exec_lo, s29
	s_or_b32 s7, s0, s6
	v_cndmask_b32_e64 v139, 0, 0x7fefffff, s7
	v_cndmask_b32_e64 v138, 0, -1, s7
	s_nor_b32 s7, s28, s7
	s_and_saveexec_b32 s29, s7
	s_cbranch_execz .LBB108_43
; %bb.42:                               ;   in Loop: Header=BB108_29 Depth=1
	v_add_co_u32 v138, s7, v134, v130
	v_add_co_ci_u32_e64 v139, null, v135, v131, s7
	flat_load_dwordx2 v[138:139], v[138:139] offset:512
	s_waitcnt vmcnt(0) lgkmcnt(0)
	v_mul_f64 v[138:139], s[18:19], v[138:139]
.LBB108_43:                             ;   in Loop: Header=BB108_29 Depth=1
	s_or_b32 exec_lo, exec_lo, s29
	s_or_b32 s7, s1, s6
	v_cndmask_b32_e64 v141, 0, 0x7fefffff, s7
	v_cndmask_b32_e64 v140, 0, -1, s7
	s_nor_b32 s7, s28, s7
	s_and_saveexec_b32 s29, s7
	s_cbranch_execz .LBB108_45
; %bb.44:                               ;   in Loop: Header=BB108_29 Depth=1
	v_add_co_u32 v140, s7, v134, v130
	v_add_co_ci_u32_e64 v141, null, v135, v131, s7
	flat_load_dwordx2 v[140:141], v[140:141] offset:1024
	s_waitcnt vmcnt(0) lgkmcnt(0)
	v_mul_f64 v[140:141], s[18:19], v[140:141]
.LBB108_45:                             ;   in Loop: Header=BB108_29 Depth=1
	;; [unrolled: 14-line block ×3, first 2 shown]
	s_or_b32 exec_lo, exec_lo, s7
	v_add_nc_u32_e32 v134, 12, v219
	v_cmp_le_i32_e64 s6, s14, v134
	s_or_b32 s6, s6, s3
	v_cndmask_b32_e64 v135, 0, 0x7fefffff, s6
	v_cndmask_b32_e64 v134, 0, -1, s6
	s_nor_b32 s7, s28, s6
	s_and_saveexec_b32 s6, s7
	s_cbranch_execz .LBB108_28
; %bb.48:                               ;   in Loop: Header=BB108_29 Depth=1
	flat_load_dwordx2 v[134:135], v[132:133]
	s_waitcnt vmcnt(0) lgkmcnt(0)
	v_mul_f64 v[134:135], s[18:19], v[134:135]
	s_branch .LBB108_28
.LBB108_49:
	s_clause 0x2
	s_load_dwordx2 s[0:1], s[4:5], 0x78
	s_load_dword s18, s[4:5], 0x58
	s_load_dword s14, s[4:5], 0x70
	ds_read_b128 v[70:73], v147 offset:8192
	ds_read_b128 v[66:69], v147 offset:8208
	;; [unrolled: 1-line block ×17, first 2 shown]
	v_add_nc_u32_e32 v146, s24, v1
	ds_read_b128 v[2:5], v147 offset:15376
	ds_read_b128 v[118:121], v145 offset:18688
	;; [unrolled: 1-line block ×15, first 2 shown]
	v_add_nc_u32_e32 v0, s15, v0
	v_cndmask_b32_e64 v144, 0, 1, s26
	v_ashrrev_i32_e32 v1, 31, v0
	s_waitcnt lgkmcnt(0)
	s_lshl_b64 s[0:1], s[0:1], 3
	v_mad_i64_i32 v[130:131], null, v146, s18, 0
	v_mad_i64_i32 v[132:133], null, v146, s14, 0
	s_add_u32 s19, s8, s0
	s_addc_u32 s9, s9, s1
	v_cmp_gt_i32_e64 s0, s12, v0
	v_cmp_gt_i32_e64 s8, s13, v146
	v_lshlrev_b64 v[130:131], 3, v[130:131]
	v_lshlrev_b64 v[132:133], 3, v[132:133]
	s_and_b32 s2, s0, s8
	v_add_co_u32 v148, vcc_lo, s16, v130
	v_add_co_ci_u32_e64 v170, null, s17, v131, vcc_lo
	v_add_co_u32 v145, vcc_lo, s19, v132
	v_add_co_ci_u32_e64 v147, null, s9, v133, vcc_lo
	s_and_saveexec_b32 s1, s2
	s_cbranch_execz .LBB108_54
; %bb.50:
	s_andn2_b32 vcc_lo, exec_lo, s26
	s_cbranch_vccnz .LBB108_52
; %bb.51:
	v_lshlrev_b64 v[130:131], 3, v[0:1]
	v_add_co_u32 v130, vcc_lo, v148, v130
	v_add_co_ci_u32_e64 v131, null, v170, v131, vcc_lo
	flat_load_dwordx2 v[130:131], v[130:131]
	s_waitcnt vmcnt(0) lgkmcnt(0)
	v_mul_f64 v[130:131], s[10:11], v[130:131]
	v_cvt_f32_f64_e32 v130, v[130:131]
	s_branch .LBB108_53
.LBB108_52:
	v_mov_b32_e32 v130, 0
.LBB108_53:
	v_add_f64 v[131:132], v[70:71], v[126:127]
	v_add_f64 v[133:134], v[72:73], v[128:129]
	v_add_f64 v[135:136], v[66:67], v[122:123]
	v_add_f64 v[137:138], v[68:69], v[124:125]
	v_cvt_f32_f64_e32 v131, v[131:132]
	v_cvt_f32_f64_e32 v132, v[133:134]
	;; [unrolled: 1-line block ×4, first 2 shown]
	v_min3_f32 v131, v131, v132, v218
	v_min_f32_e32 v132, v133, v134
	v_min3_f32 v130, v130, v132, v131
	v_lshlrev_b64 v[132:133], 3, v[0:1]
	v_cvt_f64_f32_e32 v[130:131], v130
	v_add_co_u32 v132, vcc_lo, v145, v132
	v_add_co_ci_u32_e64 v133, null, v147, v133, vcc_lo
	flat_store_dwordx2 v[132:133], v[130:131]
.LBB108_54:
	s_or_b32 exec_lo, exec_lo, s1
	v_add_nc_u32_e32 v130, 32, v0
	v_cmp_gt_i32_e64 s1, s12, v130
	v_ashrrev_i32_e32 v131, 31, v130
	s_and_b32 s3, s1, s8
	s_and_saveexec_b32 s2, s3
	s_cbranch_execz .LBB108_59
; %bb.55:
	v_cmp_ne_u32_e32 vcc_lo, 1, v144
	s_cbranch_vccnz .LBB108_57
; %bb.56:
	v_lshlrev_b64 v[132:133], 3, v[130:131]
	v_add_co_u32 v132, vcc_lo, v148, v132
	v_add_co_ci_u32_e64 v133, null, v170, v133, vcc_lo
	flat_load_dwordx2 v[132:133], v[132:133]
	s_waitcnt vmcnt(0) lgkmcnt(0)
	v_mul_f64 v[132:133], s[10:11], v[132:133]
	v_cvt_f32_f64_e32 v132, v[132:133]
	s_branch .LBB108_58
.LBB108_57:
	v_mov_b32_e32 v132, 0
.LBB108_58:
	v_add_f64 v[133:134], v[62:63], v[126:127]
	v_add_f64 v[135:136], v[64:65], v[128:129]
	v_add_f64 v[137:138], v[58:59], v[122:123]
	v_add_f64 v[139:140], v[60:61], v[124:125]
	v_cvt_f32_f64_e32 v133, v[133:134]
	v_cvt_f32_f64_e32 v134, v[135:136]
	v_cvt_f32_f64_e32 v135, v[137:138]
	v_cvt_f32_f64_e32 v136, v[139:140]
	v_min3_f32 v133, v133, v134, v217
	v_min_f32_e32 v134, v135, v136
	v_min3_f32 v132, v132, v134, v133
	v_lshlrev_b64 v[134:135], 3, v[130:131]
	v_cvt_f64_f32_e32 v[132:133], v132
	v_add_co_u32 v134, vcc_lo, v145, v134
	v_add_co_ci_u32_e64 v135, null, v147, v135, vcc_lo
	flat_store_dwordx2 v[134:135], v[132:133]
.LBB108_59:
	s_or_b32 exec_lo, exec_lo, s2
	v_add_nc_u32_e32 v132, 64, v0
	v_cmp_gt_i32_e64 s2, s12, v132
	v_ashrrev_i32_e32 v133, 31, v132
	s_and_b32 s4, s2, s8
	s_and_saveexec_b32 s3, s4
	s_cbranch_execz .LBB108_64
; %bb.60:
	v_cmp_ne_u32_e32 vcc_lo, 1, v144
	s_cbranch_vccnz .LBB108_62
; %bb.61:
	v_lshlrev_b64 v[134:135], 3, v[132:133]
	v_add_co_u32 v134, vcc_lo, v148, v134
	v_add_co_ci_u32_e64 v135, null, v170, v135, vcc_lo
	flat_load_dwordx2 v[134:135], v[134:135]
	s_waitcnt vmcnt(0) lgkmcnt(0)
	v_mul_f64 v[134:135], s[10:11], v[134:135]
	v_cvt_f32_f64_e32 v134, v[134:135]
	s_branch .LBB108_63
.LBB108_62:
	v_mov_b32_e32 v134, 0
.LBB108_63:
	v_add_f64 v[135:136], v[54:55], v[126:127]
	v_add_f64 v[137:138], v[56:57], v[128:129]
	v_add_f64 v[139:140], v[50:51], v[122:123]
	v_add_f64 v[141:142], v[52:53], v[124:125]
	v_cvt_f32_f64_e32 v135, v[135:136]
	v_cvt_f32_f64_e32 v136, v[137:138]
	v_cvt_f32_f64_e32 v137, v[139:140]
	v_cvt_f32_f64_e32 v138, v[141:142]
	v_min3_f32 v135, v135, v136, v216
	v_min_f32_e32 v136, v137, v138
	v_min3_f32 v134, v134, v136, v135
	v_lshlrev_b64 v[136:137], 3, v[132:133]
	v_cvt_f64_f32_e32 v[134:135], v134
	v_add_co_u32 v136, vcc_lo, v145, v136
	v_add_co_ci_u32_e64 v137, null, v147, v137, vcc_lo
	flat_store_dwordx2 v[136:137], v[134:135]
.LBB108_64:
	;; [unrolled: 39-line block ×7, first 2 shown]
	s_or_b32 exec_lo, exec_lo, s8
	v_add_nc_u32_e32 v126, 8, v146
	v_mad_i64_i32 v[122:123], null, v126, s18, 0
	v_mad_i64_i32 v[124:125], null, v126, s14, 0
	v_cmp_gt_i32_e64 s8, s13, v126
	v_lshlrev_b64 v[122:123], 3, v[122:123]
	s_and_b32 s15, s0, s8
	v_lshlrev_b64 v[126:127], 3, v[124:125]
	v_add_co_u32 v124, vcc_lo, s16, v122
	v_add_co_ci_u32_e64 v125, null, s17, v123, vcc_lo
	v_add_co_u32 v122, vcc_lo, s19, v126
	v_add_co_ci_u32_e64 v123, null, s9, v127, vcc_lo
	s_and_saveexec_b32 s12, s15
	s_cbranch_execnz .LBB108_97
; %bb.90:
	s_or_b32 exec_lo, exec_lo, s12
	s_and_b32 s15, s1, s8
	s_and_saveexec_b32 s12, s15
	s_cbranch_execnz .LBB108_101
.LBB108_91:
	s_or_b32 exec_lo, exec_lo, s12
	s_and_b32 s15, s2, s8
	s_and_saveexec_b32 s12, s15
	s_cbranch_execnz .LBB108_105
.LBB108_92:
	s_or_b32 exec_lo, exec_lo, s12
	s_and_b32 s15, s3, s8
	s_and_saveexec_b32 s12, s15
	s_cbranch_execnz .LBB108_109
.LBB108_93:
	s_or_b32 exec_lo, exec_lo, s12
	s_and_b32 s15, s4, s8
	s_and_saveexec_b32 s12, s15
	s_cbranch_execnz .LBB108_113
.LBB108_94:
	s_or_b32 exec_lo, exec_lo, s12
	s_and_b32 s15, s5, s8
	s_and_saveexec_b32 s12, s15
	s_cbranch_execnz .LBB108_117
.LBB108_95:
	s_or_b32 exec_lo, exec_lo, s12
	s_and_b32 s15, s6, s8
	s_and_saveexec_b32 s12, s15
	s_cbranch_execnz .LBB108_121
.LBB108_96:
	s_or_b32 exec_lo, exec_lo, s12
	s_and_b32 s12, s7, s8
	s_and_saveexec_b32 s8, s12
	s_cbranch_execnz .LBB108_125
	s_branch .LBB108_129
.LBB108_97:
	v_cmp_ne_u32_e32 vcc_lo, 1, v144
	s_cbranch_vccnz .LBB108_99
; %bb.98:
	v_lshlrev_b64 v[126:127], 3, v[0:1]
	v_add_co_u32 v126, vcc_lo, v124, v126
	v_add_co_ci_u32_e64 v127, null, v125, v127, vcc_lo
	flat_load_dwordx2 v[126:127], v[126:127]
	s_waitcnt vmcnt(0) lgkmcnt(0)
	v_mul_f64 v[126:127], s[10:11], v[126:127]
	v_cvt_f32_f64_e32 v126, v[126:127]
	s_branch .LBB108_100
.LBB108_99:
	v_mov_b32_e32 v126, 0
.LBB108_100:
	v_add_f64 v[127:128], v[70:71], v[118:119]
	v_add_f64 v[147:148], v[72:73], v[120:121]
	;; [unrolled: 1-line block ×4, first 2 shown]
	v_cvt_f32_f64_e32 v127, v[127:128]
	v_cvt_f32_f64_e32 v128, v[147:148]
	;; [unrolled: 1-line block ×4, first 2 shown]
	v_min3_f32 v127, v127, v128, v210
	v_min_f32_e32 v128, v129, v145
	v_min3_f32 v126, v126, v128, v127
	v_lshlrev_b64 v[128:129], 3, v[0:1]
	v_cvt_f64_f32_e32 v[126:127], v126
	v_add_co_u32 v128, vcc_lo, v122, v128
	v_add_co_ci_u32_e64 v129, null, v123, v129, vcc_lo
	flat_store_dwordx2 v[128:129], v[126:127]
	s_or_b32 exec_lo, exec_lo, s12
	s_and_b32 s15, s1, s8
	s_and_saveexec_b32 s12, s15
	s_cbranch_execz .LBB108_91
.LBB108_101:
	v_cmp_ne_u32_e32 vcc_lo, 1, v144
	s_cbranch_vccnz .LBB108_103
; %bb.102:
	v_lshlrev_b64 v[126:127], 3, v[130:131]
	v_add_co_u32 v126, vcc_lo, v124, v126
	v_add_co_ci_u32_e64 v127, null, v125, v127, vcc_lo
	flat_load_dwordx2 v[126:127], v[126:127]
	s_waitcnt vmcnt(0) lgkmcnt(0)
	v_mul_f64 v[126:127], s[10:11], v[126:127]
	v_cvt_f32_f64_e32 v126, v[126:127]
	s_branch .LBB108_104
.LBB108_103:
	v_mov_b32_e32 v126, 0
.LBB108_104:
	v_add_f64 v[127:128], v[62:63], v[118:119]
	v_add_f64 v[147:148], v[64:65], v[120:121]
	;; [unrolled: 1-line block ×4, first 2 shown]
	v_cvt_f32_f64_e32 v127, v[127:128]
	v_cvt_f32_f64_e32 v128, v[147:148]
	;; [unrolled: 1-line block ×4, first 2 shown]
	v_min3_f32 v127, v127, v128, v209
	v_min_f32_e32 v128, v129, v145
	v_min3_f32 v126, v126, v128, v127
	v_lshlrev_b64 v[128:129], 3, v[130:131]
	v_cvt_f64_f32_e32 v[126:127], v126
	v_add_co_u32 v128, vcc_lo, v122, v128
	v_add_co_ci_u32_e64 v129, null, v123, v129, vcc_lo
	flat_store_dwordx2 v[128:129], v[126:127]
	s_or_b32 exec_lo, exec_lo, s12
	s_and_b32 s15, s2, s8
	s_and_saveexec_b32 s12, s15
	s_cbranch_execz .LBB108_92
.LBB108_105:
	v_cmp_ne_u32_e32 vcc_lo, 1, v144
	s_cbranch_vccnz .LBB108_107
; %bb.106:
	v_lshlrev_b64 v[126:127], 3, v[132:133]
	v_add_co_u32 v126, vcc_lo, v124, v126
	v_add_co_ci_u32_e64 v127, null, v125, v127, vcc_lo
	flat_load_dwordx2 v[126:127], v[126:127]
	s_waitcnt vmcnt(0) lgkmcnt(0)
	v_mul_f64 v[126:127], s[10:11], v[126:127]
	v_cvt_f32_f64_e32 v126, v[126:127]
	s_branch .LBB108_108
.LBB108_107:
	v_mov_b32_e32 v126, 0
.LBB108_108:
	v_add_f64 v[127:128], v[54:55], v[118:119]
	v_add_f64 v[147:148], v[56:57], v[120:121]
	;; [unrolled: 1-line block ×4, first 2 shown]
	v_cvt_f32_f64_e32 v127, v[127:128]
	v_cvt_f32_f64_e32 v128, v[147:148]
	;; [unrolled: 1-line block ×4, first 2 shown]
	v_min3_f32 v127, v127, v128, v208
	v_min_f32_e32 v128, v129, v145
	v_min3_f32 v126, v126, v128, v127
	v_lshlrev_b64 v[128:129], 3, v[132:133]
	v_cvt_f64_f32_e32 v[126:127], v126
	v_add_co_u32 v128, vcc_lo, v122, v128
	v_add_co_ci_u32_e64 v129, null, v123, v129, vcc_lo
	flat_store_dwordx2 v[128:129], v[126:127]
	s_or_b32 exec_lo, exec_lo, s12
	s_and_b32 s15, s3, s8
	s_and_saveexec_b32 s12, s15
	s_cbranch_execz .LBB108_93
.LBB108_109:
	v_cmp_ne_u32_e32 vcc_lo, 1, v144
	s_cbranch_vccnz .LBB108_111
; %bb.110:
	v_lshlrev_b64 v[126:127], 3, v[134:135]
	v_add_co_u32 v126, vcc_lo, v124, v126
	v_add_co_ci_u32_e64 v127, null, v125, v127, vcc_lo
	flat_load_dwordx2 v[126:127], v[126:127]
	s_waitcnt vmcnt(0) lgkmcnt(0)
	v_mul_f64 v[126:127], s[10:11], v[126:127]
	v_cvt_f32_f64_e32 v126, v[126:127]
	s_branch .LBB108_112
.LBB108_111:
	v_mov_b32_e32 v126, 0
.LBB108_112:
	v_add_f64 v[127:128], v[46:47], v[118:119]
	v_add_f64 v[147:148], v[48:49], v[120:121]
	;; [unrolled: 1-line block ×4, first 2 shown]
	v_cvt_f32_f64_e32 v127, v[127:128]
	v_cvt_f32_f64_e32 v128, v[147:148]
	;; [unrolled: 1-line block ×4, first 2 shown]
	v_min3_f32 v127, v127, v128, v207
	v_min_f32_e32 v128, v129, v145
	v_min3_f32 v126, v126, v128, v127
	v_lshlrev_b64 v[128:129], 3, v[134:135]
	v_cvt_f64_f32_e32 v[126:127], v126
	v_add_co_u32 v128, vcc_lo, v122, v128
	v_add_co_ci_u32_e64 v129, null, v123, v129, vcc_lo
	flat_store_dwordx2 v[128:129], v[126:127]
	s_or_b32 exec_lo, exec_lo, s12
	s_and_b32 s15, s4, s8
	s_and_saveexec_b32 s12, s15
	s_cbranch_execz .LBB108_94
.LBB108_113:
	v_cmp_ne_u32_e32 vcc_lo, 1, v144
	s_cbranch_vccnz .LBB108_115
; %bb.114:
	v_lshlrev_b64 v[126:127], 3, v[136:137]
	v_add_co_u32 v126, vcc_lo, v124, v126
	v_add_co_ci_u32_e64 v127, null, v125, v127, vcc_lo
	flat_load_dwordx2 v[126:127], v[126:127]
	s_waitcnt vmcnt(0) lgkmcnt(0)
	v_mul_f64 v[126:127], s[10:11], v[126:127]
	v_cvt_f32_f64_e32 v126, v[126:127]
	s_branch .LBB108_116
.LBB108_115:
	v_mov_b32_e32 v126, 0
.LBB108_116:
	v_add_f64 v[127:128], v[38:39], v[118:119]
	v_add_f64 v[147:148], v[40:41], v[120:121]
	;; [unrolled: 1-line block ×4, first 2 shown]
	v_cvt_f32_f64_e32 v127, v[127:128]
	v_cvt_f32_f64_e32 v128, v[147:148]
	v_cvt_f32_f64_e32 v129, v[170:171]
	v_cvt_f32_f64_e32 v145, v[172:173]
	v_min3_f32 v127, v127, v128, v206
	v_min_f32_e32 v128, v129, v145
	v_min3_f32 v126, v126, v128, v127
	v_lshlrev_b64 v[128:129], 3, v[136:137]
	v_cvt_f64_f32_e32 v[126:127], v126
	v_add_co_u32 v128, vcc_lo, v122, v128
	v_add_co_ci_u32_e64 v129, null, v123, v129, vcc_lo
	flat_store_dwordx2 v[128:129], v[126:127]
	s_or_b32 exec_lo, exec_lo, s12
	s_and_b32 s15, s5, s8
	s_and_saveexec_b32 s12, s15
	s_cbranch_execz .LBB108_95
.LBB108_117:
	v_cmp_ne_u32_e32 vcc_lo, 1, v144
	s_cbranch_vccnz .LBB108_119
; %bb.118:
	v_lshlrev_b64 v[126:127], 3, v[138:139]
	v_add_co_u32 v126, vcc_lo, v124, v126
	v_add_co_ci_u32_e64 v127, null, v125, v127, vcc_lo
	flat_load_dwordx2 v[126:127], v[126:127]
	s_waitcnt vmcnt(0) lgkmcnt(0)
	v_mul_f64 v[126:127], s[10:11], v[126:127]
	v_cvt_f32_f64_e32 v126, v[126:127]
	s_branch .LBB108_120
.LBB108_119:
	v_mov_b32_e32 v126, 0
.LBB108_120:
	v_add_f64 v[127:128], v[30:31], v[118:119]
	v_add_f64 v[147:148], v[32:33], v[120:121]
	;; [unrolled: 1-line block ×4, first 2 shown]
	v_cvt_f32_f64_e32 v127, v[127:128]
	v_cvt_f32_f64_e32 v128, v[147:148]
	;; [unrolled: 1-line block ×4, first 2 shown]
	v_min3_f32 v127, v127, v128, v205
	v_min_f32_e32 v128, v129, v145
	v_min3_f32 v126, v126, v128, v127
	v_lshlrev_b64 v[128:129], 3, v[138:139]
	v_cvt_f64_f32_e32 v[126:127], v126
	v_add_co_u32 v128, vcc_lo, v122, v128
	v_add_co_ci_u32_e64 v129, null, v123, v129, vcc_lo
	flat_store_dwordx2 v[128:129], v[126:127]
	s_or_b32 exec_lo, exec_lo, s12
	s_and_b32 s15, s6, s8
	s_and_saveexec_b32 s12, s15
	s_cbranch_execz .LBB108_96
.LBB108_121:
	v_cmp_ne_u32_e32 vcc_lo, 1, v144
	s_cbranch_vccnz .LBB108_123
; %bb.122:
	v_lshlrev_b64 v[126:127], 3, v[140:141]
	v_add_co_u32 v126, vcc_lo, v124, v126
	v_add_co_ci_u32_e64 v127, null, v125, v127, vcc_lo
	flat_load_dwordx2 v[126:127], v[126:127]
	s_waitcnt vmcnt(0) lgkmcnt(0)
	v_mul_f64 v[126:127], s[10:11], v[126:127]
	v_cvt_f32_f64_e32 v126, v[126:127]
	s_branch .LBB108_124
.LBB108_123:
	v_mov_b32_e32 v126, 0
.LBB108_124:
	v_add_f64 v[127:128], v[22:23], v[118:119]
	v_add_f64 v[147:148], v[24:25], v[120:121]
	;; [unrolled: 1-line block ×4, first 2 shown]
	v_cvt_f32_f64_e32 v127, v[127:128]
	v_cvt_f32_f64_e32 v128, v[147:148]
	;; [unrolled: 1-line block ×4, first 2 shown]
	v_min3_f32 v127, v127, v128, v204
	v_min_f32_e32 v128, v129, v145
	v_min3_f32 v126, v126, v128, v127
	v_lshlrev_b64 v[128:129], 3, v[140:141]
	v_cvt_f64_f32_e32 v[126:127], v126
	v_add_co_u32 v128, vcc_lo, v122, v128
	v_add_co_ci_u32_e64 v129, null, v123, v129, vcc_lo
	flat_store_dwordx2 v[128:129], v[126:127]
	s_or_b32 exec_lo, exec_lo, s12
	s_and_b32 s12, s7, s8
	s_and_saveexec_b32 s8, s12
	s_cbranch_execz .LBB108_129
.LBB108_125:
	v_cmp_ne_u32_e32 vcc_lo, 1, v144
	s_cbranch_vccnz .LBB108_127
; %bb.126:
	v_lshlrev_b64 v[126:127], 3, v[142:143]
	v_add_co_u32 v124, vcc_lo, v124, v126
	v_add_co_ci_u32_e64 v125, null, v125, v127, vcc_lo
	flat_load_dwordx2 v[124:125], v[124:125]
	s_waitcnt vmcnt(0) lgkmcnt(0)
	v_mul_f64 v[124:125], s[10:11], v[124:125]
	v_cvt_f32_f64_e32 v124, v[124:125]
	s_branch .LBB108_128
.LBB108_127:
	v_mov_b32_e32 v124, 0
.LBB108_128:
	v_add_f64 v[118:119], v[6:7], v[118:119]
	v_add_f64 v[120:121], v[8:9], v[120:121]
	;; [unrolled: 1-line block ×4, first 2 shown]
	v_cvt_f32_f64_e32 v118, v[118:119]
	v_cvt_f32_f64_e32 v119, v[120:121]
	;; [unrolled: 1-line block ×4, first 2 shown]
	v_min3_f32 v116, v118, v119, v203
	v_min_f32_e32 v114, v114, v115
	v_min3_f32 v114, v124, v114, v116
	v_lshlrev_b64 v[116:117], 3, v[142:143]
	v_cvt_f64_f32_e32 v[114:115], v114
	v_add_co_u32 v116, vcc_lo, v122, v116
	v_add_co_ci_u32_e64 v117, null, v123, v117, vcc_lo
	flat_store_dwordx2 v[116:117], v[114:115]
.LBB108_129:
	s_or_b32 exec_lo, exec_lo, s8
	v_add_nc_u32_e32 v118, 16, v146
	v_mad_i64_i32 v[114:115], null, v118, s18, 0
	v_mad_i64_i32 v[116:117], null, v118, s14, 0
	v_cmp_gt_i32_e64 s8, s13, v118
	v_lshlrev_b64 v[114:115], 3, v[114:115]
	s_and_b32 s15, s0, s8
	v_lshlrev_b64 v[118:119], 3, v[116:117]
	v_add_co_u32 v116, vcc_lo, s16, v114
	v_add_co_ci_u32_e64 v117, null, s17, v115, vcc_lo
	v_add_co_u32 v114, vcc_lo, s19, v118
	v_add_co_ci_u32_e64 v115, null, s9, v119, vcc_lo
	s_and_saveexec_b32 s12, s15
	s_cbranch_execnz .LBB108_137
; %bb.130:
	s_or_b32 exec_lo, exec_lo, s12
	s_and_b32 s15, s1, s8
	s_and_saveexec_b32 s12, s15
	s_cbranch_execnz .LBB108_141
.LBB108_131:
	s_or_b32 exec_lo, exec_lo, s12
	s_and_b32 s15, s2, s8
	s_and_saveexec_b32 s12, s15
	s_cbranch_execnz .LBB108_145
.LBB108_132:
	s_or_b32 exec_lo, exec_lo, s12
	s_and_b32 s15, s3, s8
	s_and_saveexec_b32 s12, s15
	s_cbranch_execnz .LBB108_149
.LBB108_133:
	s_or_b32 exec_lo, exec_lo, s12
	s_and_b32 s15, s4, s8
	s_and_saveexec_b32 s12, s15
	s_cbranch_execnz .LBB108_153
.LBB108_134:
	s_or_b32 exec_lo, exec_lo, s12
	s_and_b32 s15, s5, s8
	s_and_saveexec_b32 s12, s15
	s_cbranch_execnz .LBB108_157
.LBB108_135:
	s_or_b32 exec_lo, exec_lo, s12
	s_and_b32 s15, s6, s8
	s_and_saveexec_b32 s12, s15
	s_cbranch_execnz .LBB108_161
.LBB108_136:
	s_or_b32 exec_lo, exec_lo, s12
	s_and_b32 s12, s7, s8
	s_and_saveexec_b32 s8, s12
	s_cbranch_execnz .LBB108_165
	s_branch .LBB108_169
.LBB108_137:
	v_cmp_ne_u32_e32 vcc_lo, 1, v144
	s_cbranch_vccnz .LBB108_139
; %bb.138:
	v_lshlrev_b64 v[118:119], 3, v[0:1]
	v_add_co_u32 v118, vcc_lo, v116, v118
	v_add_co_ci_u32_e64 v119, null, v117, v119, vcc_lo
	flat_load_dwordx2 v[118:119], v[118:119]
	s_waitcnt vmcnt(0) lgkmcnt(0)
	v_mul_f64 v[118:119], s[10:11], v[118:119]
	v_cvt_f32_f64_e32 v118, v[118:119]
	s_branch .LBB108_140
.LBB108_139:
	v_mov_b32_e32 v118, 0
.LBB108_140:
	v_add_f64 v[119:120], v[70:71], v[110:111]
	v_add_f64 v[121:122], v[72:73], v[112:113]
	;; [unrolled: 1-line block ×4, first 2 shown]
	v_cvt_f32_f64_e32 v119, v[119:120]
	v_cvt_f32_f64_e32 v120, v[121:122]
	;; [unrolled: 1-line block ×4, first 2 shown]
	v_min3_f32 v119, v119, v120, v202
	v_min_f32_e32 v120, v121, v122
	v_min3_f32 v118, v118, v120, v119
	v_lshlrev_b64 v[120:121], 3, v[0:1]
	v_cvt_f64_f32_e32 v[118:119], v118
	v_add_co_u32 v120, vcc_lo, v114, v120
	v_add_co_ci_u32_e64 v121, null, v115, v121, vcc_lo
	flat_store_dwordx2 v[120:121], v[118:119]
	s_or_b32 exec_lo, exec_lo, s12
	s_and_b32 s15, s1, s8
	s_and_saveexec_b32 s12, s15
	s_cbranch_execz .LBB108_131
.LBB108_141:
	v_cmp_ne_u32_e32 vcc_lo, 1, v144
	s_cbranch_vccnz .LBB108_143
; %bb.142:
	v_lshlrev_b64 v[118:119], 3, v[130:131]
	v_add_co_u32 v118, vcc_lo, v116, v118
	v_add_co_ci_u32_e64 v119, null, v117, v119, vcc_lo
	flat_load_dwordx2 v[118:119], v[118:119]
	s_waitcnt vmcnt(0) lgkmcnt(0)
	v_mul_f64 v[118:119], s[10:11], v[118:119]
	v_cvt_f32_f64_e32 v118, v[118:119]
	s_branch .LBB108_144
.LBB108_143:
	v_mov_b32_e32 v118, 0
.LBB108_144:
	v_add_f64 v[119:120], v[62:63], v[110:111]
	v_add_f64 v[121:122], v[64:65], v[112:113]
	;; [unrolled: 1-line block ×4, first 2 shown]
	v_cvt_f32_f64_e32 v119, v[119:120]
	v_cvt_f32_f64_e32 v120, v[121:122]
	;; [unrolled: 1-line block ×4, first 2 shown]
	v_min3_f32 v119, v119, v120, v201
	v_min_f32_e32 v120, v121, v122
	v_min3_f32 v118, v118, v120, v119
	v_lshlrev_b64 v[120:121], 3, v[130:131]
	v_cvt_f64_f32_e32 v[118:119], v118
	v_add_co_u32 v120, vcc_lo, v114, v120
	v_add_co_ci_u32_e64 v121, null, v115, v121, vcc_lo
	flat_store_dwordx2 v[120:121], v[118:119]
	s_or_b32 exec_lo, exec_lo, s12
	s_and_b32 s15, s2, s8
	s_and_saveexec_b32 s12, s15
	s_cbranch_execz .LBB108_132
.LBB108_145:
	v_cmp_ne_u32_e32 vcc_lo, 1, v144
	s_cbranch_vccnz .LBB108_147
; %bb.146:
	v_lshlrev_b64 v[118:119], 3, v[132:133]
	v_add_co_u32 v118, vcc_lo, v116, v118
	v_add_co_ci_u32_e64 v119, null, v117, v119, vcc_lo
	flat_load_dwordx2 v[118:119], v[118:119]
	s_waitcnt vmcnt(0) lgkmcnt(0)
	v_mul_f64 v[118:119], s[10:11], v[118:119]
	v_cvt_f32_f64_e32 v118, v[118:119]
	s_branch .LBB108_148
.LBB108_147:
	v_mov_b32_e32 v118, 0
.LBB108_148:
	v_add_f64 v[119:120], v[54:55], v[110:111]
	v_add_f64 v[121:122], v[56:57], v[112:113]
	;; [unrolled: 1-line block ×4, first 2 shown]
	v_cvt_f32_f64_e32 v119, v[119:120]
	v_cvt_f32_f64_e32 v120, v[121:122]
	;; [unrolled: 1-line block ×4, first 2 shown]
	v_min3_f32 v119, v119, v120, v200
	v_min_f32_e32 v120, v121, v122
	v_min3_f32 v118, v118, v120, v119
	v_lshlrev_b64 v[120:121], 3, v[132:133]
	v_cvt_f64_f32_e32 v[118:119], v118
	v_add_co_u32 v120, vcc_lo, v114, v120
	v_add_co_ci_u32_e64 v121, null, v115, v121, vcc_lo
	flat_store_dwordx2 v[120:121], v[118:119]
	s_or_b32 exec_lo, exec_lo, s12
	s_and_b32 s15, s3, s8
	s_and_saveexec_b32 s12, s15
	s_cbranch_execz .LBB108_133
.LBB108_149:
	v_cmp_ne_u32_e32 vcc_lo, 1, v144
	s_cbranch_vccnz .LBB108_151
; %bb.150:
	v_lshlrev_b64 v[118:119], 3, v[134:135]
	v_add_co_u32 v118, vcc_lo, v116, v118
	v_add_co_ci_u32_e64 v119, null, v117, v119, vcc_lo
	flat_load_dwordx2 v[118:119], v[118:119]
	s_waitcnt vmcnt(0) lgkmcnt(0)
	v_mul_f64 v[118:119], s[10:11], v[118:119]
	v_cvt_f32_f64_e32 v118, v[118:119]
	s_branch .LBB108_152
.LBB108_151:
	v_mov_b32_e32 v118, 0
.LBB108_152:
	v_add_f64 v[119:120], v[46:47], v[110:111]
	v_add_f64 v[121:122], v[48:49], v[112:113]
	;; [unrolled: 1-line block ×4, first 2 shown]
	v_cvt_f32_f64_e32 v119, v[119:120]
	v_cvt_f32_f64_e32 v120, v[121:122]
	;; [unrolled: 1-line block ×4, first 2 shown]
	v_min3_f32 v119, v119, v120, v199
	v_min_f32_e32 v120, v121, v122
	v_min3_f32 v118, v118, v120, v119
	v_lshlrev_b64 v[120:121], 3, v[134:135]
	v_cvt_f64_f32_e32 v[118:119], v118
	v_add_co_u32 v120, vcc_lo, v114, v120
	v_add_co_ci_u32_e64 v121, null, v115, v121, vcc_lo
	flat_store_dwordx2 v[120:121], v[118:119]
	s_or_b32 exec_lo, exec_lo, s12
	s_and_b32 s15, s4, s8
	s_and_saveexec_b32 s12, s15
	s_cbranch_execz .LBB108_134
.LBB108_153:
	v_cmp_ne_u32_e32 vcc_lo, 1, v144
	s_cbranch_vccnz .LBB108_155
; %bb.154:
	v_lshlrev_b64 v[118:119], 3, v[136:137]
	v_add_co_u32 v118, vcc_lo, v116, v118
	v_add_co_ci_u32_e64 v119, null, v117, v119, vcc_lo
	flat_load_dwordx2 v[118:119], v[118:119]
	s_waitcnt vmcnt(0) lgkmcnt(0)
	v_mul_f64 v[118:119], s[10:11], v[118:119]
	v_cvt_f32_f64_e32 v118, v[118:119]
	s_branch .LBB108_156
.LBB108_155:
	v_mov_b32_e32 v118, 0
.LBB108_156:
	v_add_f64 v[119:120], v[38:39], v[110:111]
	v_add_f64 v[121:122], v[40:41], v[112:113]
	;; [unrolled: 1-line block ×4, first 2 shown]
	v_cvt_f32_f64_e32 v119, v[119:120]
	v_cvt_f32_f64_e32 v120, v[121:122]
	;; [unrolled: 1-line block ×4, first 2 shown]
	v_min3_f32 v119, v119, v120, v198
	v_min_f32_e32 v120, v121, v122
	v_min3_f32 v118, v118, v120, v119
	v_lshlrev_b64 v[120:121], 3, v[136:137]
	v_cvt_f64_f32_e32 v[118:119], v118
	v_add_co_u32 v120, vcc_lo, v114, v120
	v_add_co_ci_u32_e64 v121, null, v115, v121, vcc_lo
	flat_store_dwordx2 v[120:121], v[118:119]
	s_or_b32 exec_lo, exec_lo, s12
	s_and_b32 s15, s5, s8
	s_and_saveexec_b32 s12, s15
	s_cbranch_execz .LBB108_135
.LBB108_157:
	v_cmp_ne_u32_e32 vcc_lo, 1, v144
	s_cbranch_vccnz .LBB108_159
; %bb.158:
	v_lshlrev_b64 v[118:119], 3, v[138:139]
	v_add_co_u32 v118, vcc_lo, v116, v118
	v_add_co_ci_u32_e64 v119, null, v117, v119, vcc_lo
	flat_load_dwordx2 v[118:119], v[118:119]
	s_waitcnt vmcnt(0) lgkmcnt(0)
	v_mul_f64 v[118:119], s[10:11], v[118:119]
	v_cvt_f32_f64_e32 v118, v[118:119]
	s_branch .LBB108_160
.LBB108_159:
	v_mov_b32_e32 v118, 0
.LBB108_160:
	v_add_f64 v[119:120], v[30:31], v[110:111]
	v_add_f64 v[121:122], v[32:33], v[112:113]
	;; [unrolled: 1-line block ×4, first 2 shown]
	v_cvt_f32_f64_e32 v119, v[119:120]
	v_cvt_f32_f64_e32 v120, v[121:122]
	v_cvt_f32_f64_e32 v121, v[123:124]
	v_cvt_f32_f64_e32 v122, v[125:126]
	v_min3_f32 v119, v119, v120, v197
	v_min_f32_e32 v120, v121, v122
	v_min3_f32 v118, v118, v120, v119
	v_lshlrev_b64 v[120:121], 3, v[138:139]
	v_cvt_f64_f32_e32 v[118:119], v118
	v_add_co_u32 v120, vcc_lo, v114, v120
	v_add_co_ci_u32_e64 v121, null, v115, v121, vcc_lo
	flat_store_dwordx2 v[120:121], v[118:119]
	s_or_b32 exec_lo, exec_lo, s12
	s_and_b32 s15, s6, s8
	s_and_saveexec_b32 s12, s15
	s_cbranch_execz .LBB108_136
.LBB108_161:
	v_cmp_ne_u32_e32 vcc_lo, 1, v144
	s_cbranch_vccnz .LBB108_163
; %bb.162:
	v_lshlrev_b64 v[118:119], 3, v[140:141]
	v_add_co_u32 v118, vcc_lo, v116, v118
	v_add_co_ci_u32_e64 v119, null, v117, v119, vcc_lo
	flat_load_dwordx2 v[118:119], v[118:119]
	s_waitcnt vmcnt(0) lgkmcnt(0)
	v_mul_f64 v[118:119], s[10:11], v[118:119]
	v_cvt_f32_f64_e32 v118, v[118:119]
	s_branch .LBB108_164
.LBB108_163:
	v_mov_b32_e32 v118, 0
.LBB108_164:
	v_add_f64 v[119:120], v[22:23], v[110:111]
	v_add_f64 v[121:122], v[24:25], v[112:113]
	;; [unrolled: 1-line block ×4, first 2 shown]
	v_cvt_f32_f64_e32 v119, v[119:120]
	v_cvt_f32_f64_e32 v120, v[121:122]
	;; [unrolled: 1-line block ×4, first 2 shown]
	v_min3_f32 v119, v119, v120, v196
	v_min_f32_e32 v120, v121, v122
	v_min3_f32 v118, v118, v120, v119
	v_lshlrev_b64 v[120:121], 3, v[140:141]
	v_cvt_f64_f32_e32 v[118:119], v118
	v_add_co_u32 v120, vcc_lo, v114, v120
	v_add_co_ci_u32_e64 v121, null, v115, v121, vcc_lo
	flat_store_dwordx2 v[120:121], v[118:119]
	s_or_b32 exec_lo, exec_lo, s12
	s_and_b32 s12, s7, s8
	s_and_saveexec_b32 s8, s12
	s_cbranch_execz .LBB108_169
.LBB108_165:
	v_cmp_ne_u32_e32 vcc_lo, 1, v144
	s_cbranch_vccnz .LBB108_167
; %bb.166:
	v_lshlrev_b64 v[118:119], 3, v[142:143]
	v_add_co_u32 v116, vcc_lo, v116, v118
	v_add_co_ci_u32_e64 v117, null, v117, v119, vcc_lo
	flat_load_dwordx2 v[116:117], v[116:117]
	s_waitcnt vmcnt(0) lgkmcnt(0)
	v_mul_f64 v[116:117], s[10:11], v[116:117]
	v_cvt_f32_f64_e32 v116, v[116:117]
	s_branch .LBB108_168
.LBB108_167:
	v_mov_b32_e32 v116, 0
.LBB108_168:
	v_add_f64 v[110:111], v[6:7], v[110:111]
	v_add_f64 v[112:113], v[8:9], v[112:113]
	;; [unrolled: 1-line block ×4, first 2 shown]
	v_cvt_f32_f64_e32 v110, v[110:111]
	v_cvt_f32_f64_e32 v111, v[112:113]
	;; [unrolled: 1-line block ×4, first 2 shown]
	v_min3_f32 v108, v110, v111, v195
	v_min_f32_e32 v106, v106, v107
	v_min3_f32 v106, v116, v106, v108
	v_lshlrev_b64 v[108:109], 3, v[142:143]
	v_cvt_f64_f32_e32 v[106:107], v106
	v_add_co_u32 v108, vcc_lo, v114, v108
	v_add_co_ci_u32_e64 v109, null, v115, v109, vcc_lo
	flat_store_dwordx2 v[108:109], v[106:107]
.LBB108_169:
	s_or_b32 exec_lo, exec_lo, s8
	v_add_nc_u32_e32 v110, 24, v146
	v_mad_i64_i32 v[106:107], null, v110, s18, 0
	v_mad_i64_i32 v[108:109], null, v110, s14, 0
	v_cmp_gt_i32_e64 s8, s13, v110
	v_lshlrev_b64 v[106:107], 3, v[106:107]
	s_and_b32 s15, s0, s8
	v_lshlrev_b64 v[110:111], 3, v[108:109]
	v_add_co_u32 v108, vcc_lo, s16, v106
	v_add_co_ci_u32_e64 v109, null, s17, v107, vcc_lo
	v_add_co_u32 v106, vcc_lo, s19, v110
	v_add_co_ci_u32_e64 v107, null, s9, v111, vcc_lo
	s_and_saveexec_b32 s12, s15
	s_cbranch_execnz .LBB108_177
; %bb.170:
	s_or_b32 exec_lo, exec_lo, s12
	s_and_b32 s15, s1, s8
	s_and_saveexec_b32 s12, s15
	s_cbranch_execnz .LBB108_181
.LBB108_171:
	s_or_b32 exec_lo, exec_lo, s12
	s_and_b32 s15, s2, s8
	s_and_saveexec_b32 s12, s15
	s_cbranch_execnz .LBB108_185
.LBB108_172:
	s_or_b32 exec_lo, exec_lo, s12
	s_and_b32 s15, s3, s8
	s_and_saveexec_b32 s12, s15
	s_cbranch_execnz .LBB108_189
.LBB108_173:
	s_or_b32 exec_lo, exec_lo, s12
	s_and_b32 s15, s4, s8
	s_and_saveexec_b32 s12, s15
	s_cbranch_execnz .LBB108_193
.LBB108_174:
	s_or_b32 exec_lo, exec_lo, s12
	s_and_b32 s15, s5, s8
	s_and_saveexec_b32 s12, s15
	s_cbranch_execnz .LBB108_197
.LBB108_175:
	s_or_b32 exec_lo, exec_lo, s12
	s_and_b32 s15, s6, s8
	s_and_saveexec_b32 s12, s15
	s_cbranch_execnz .LBB108_201
.LBB108_176:
	s_or_b32 exec_lo, exec_lo, s12
	s_and_b32 s12, s7, s8
	s_and_saveexec_b32 s8, s12
	s_cbranch_execnz .LBB108_205
	s_branch .LBB108_209
.LBB108_177:
	v_cmp_ne_u32_e32 vcc_lo, 1, v144
	s_cbranch_vccnz .LBB108_179
; %bb.178:
	v_lshlrev_b64 v[110:111], 3, v[0:1]
	v_add_co_u32 v110, vcc_lo, v108, v110
	v_add_co_ci_u32_e64 v111, null, v109, v111, vcc_lo
	flat_load_dwordx2 v[110:111], v[110:111]
	s_waitcnt vmcnt(0) lgkmcnt(0)
	v_mul_f64 v[110:111], s[10:11], v[110:111]
	v_cvt_f32_f64_e32 v110, v[110:111]
	s_branch .LBB108_180
.LBB108_179:
	v_mov_b32_e32 v110, 0
.LBB108_180:
	v_add_f64 v[111:112], v[70:71], v[102:103]
	v_add_f64 v[113:114], v[72:73], v[104:105]
	;; [unrolled: 1-line block ×4, first 2 shown]
	v_cvt_f32_f64_e32 v111, v[111:112]
	v_cvt_f32_f64_e32 v112, v[113:114]
	;; [unrolled: 1-line block ×4, first 2 shown]
	v_min3_f32 v111, v111, v112, v194
	v_min_f32_e32 v112, v113, v114
	v_min3_f32 v110, v110, v112, v111
	v_lshlrev_b64 v[112:113], 3, v[0:1]
	v_cvt_f64_f32_e32 v[110:111], v110
	v_add_co_u32 v112, vcc_lo, v106, v112
	v_add_co_ci_u32_e64 v113, null, v107, v113, vcc_lo
	flat_store_dwordx2 v[112:113], v[110:111]
	s_or_b32 exec_lo, exec_lo, s12
	s_and_b32 s15, s1, s8
	s_and_saveexec_b32 s12, s15
	s_cbranch_execz .LBB108_171
.LBB108_181:
	v_cmp_ne_u32_e32 vcc_lo, 1, v144
	s_cbranch_vccnz .LBB108_183
; %bb.182:
	v_lshlrev_b64 v[110:111], 3, v[130:131]
	v_add_co_u32 v110, vcc_lo, v108, v110
	v_add_co_ci_u32_e64 v111, null, v109, v111, vcc_lo
	flat_load_dwordx2 v[110:111], v[110:111]
	s_waitcnt vmcnt(0) lgkmcnt(0)
	v_mul_f64 v[110:111], s[10:11], v[110:111]
	v_cvt_f32_f64_e32 v110, v[110:111]
	s_branch .LBB108_184
.LBB108_183:
	v_mov_b32_e32 v110, 0
.LBB108_184:
	v_add_f64 v[111:112], v[62:63], v[102:103]
	v_add_f64 v[113:114], v[64:65], v[104:105]
	;; [unrolled: 1-line block ×4, first 2 shown]
	v_cvt_f32_f64_e32 v111, v[111:112]
	v_cvt_f32_f64_e32 v112, v[113:114]
	;; [unrolled: 1-line block ×4, first 2 shown]
	v_min3_f32 v111, v111, v112, v193
	v_min_f32_e32 v112, v113, v114
	v_min3_f32 v110, v110, v112, v111
	v_lshlrev_b64 v[112:113], 3, v[130:131]
	v_cvt_f64_f32_e32 v[110:111], v110
	v_add_co_u32 v112, vcc_lo, v106, v112
	v_add_co_ci_u32_e64 v113, null, v107, v113, vcc_lo
	flat_store_dwordx2 v[112:113], v[110:111]
	s_or_b32 exec_lo, exec_lo, s12
	s_and_b32 s15, s2, s8
	s_and_saveexec_b32 s12, s15
	s_cbranch_execz .LBB108_172
.LBB108_185:
	v_cmp_ne_u32_e32 vcc_lo, 1, v144
	s_cbranch_vccnz .LBB108_187
; %bb.186:
	v_lshlrev_b64 v[110:111], 3, v[132:133]
	v_add_co_u32 v110, vcc_lo, v108, v110
	v_add_co_ci_u32_e64 v111, null, v109, v111, vcc_lo
	flat_load_dwordx2 v[110:111], v[110:111]
	s_waitcnt vmcnt(0) lgkmcnt(0)
	v_mul_f64 v[110:111], s[10:11], v[110:111]
	v_cvt_f32_f64_e32 v110, v[110:111]
	s_branch .LBB108_188
.LBB108_187:
	v_mov_b32_e32 v110, 0
.LBB108_188:
	v_add_f64 v[111:112], v[54:55], v[102:103]
	v_add_f64 v[113:114], v[56:57], v[104:105]
	;; [unrolled: 1-line block ×4, first 2 shown]
	v_cvt_f32_f64_e32 v111, v[111:112]
	v_cvt_f32_f64_e32 v112, v[113:114]
	;; [unrolled: 1-line block ×4, first 2 shown]
	v_min3_f32 v111, v111, v112, v192
	v_min_f32_e32 v112, v113, v114
	v_min3_f32 v110, v110, v112, v111
	v_lshlrev_b64 v[112:113], 3, v[132:133]
	v_cvt_f64_f32_e32 v[110:111], v110
	v_add_co_u32 v112, vcc_lo, v106, v112
	v_add_co_ci_u32_e64 v113, null, v107, v113, vcc_lo
	flat_store_dwordx2 v[112:113], v[110:111]
	s_or_b32 exec_lo, exec_lo, s12
	s_and_b32 s15, s3, s8
	s_and_saveexec_b32 s12, s15
	s_cbranch_execz .LBB108_173
.LBB108_189:
	v_cmp_ne_u32_e32 vcc_lo, 1, v144
	s_cbranch_vccnz .LBB108_191
; %bb.190:
	v_lshlrev_b64 v[110:111], 3, v[134:135]
	v_add_co_u32 v110, vcc_lo, v108, v110
	v_add_co_ci_u32_e64 v111, null, v109, v111, vcc_lo
	flat_load_dwordx2 v[110:111], v[110:111]
	s_waitcnt vmcnt(0) lgkmcnt(0)
	v_mul_f64 v[110:111], s[10:11], v[110:111]
	v_cvt_f32_f64_e32 v110, v[110:111]
	s_branch .LBB108_192
.LBB108_191:
	v_mov_b32_e32 v110, 0
.LBB108_192:
	v_add_f64 v[111:112], v[46:47], v[102:103]
	v_add_f64 v[113:114], v[48:49], v[104:105]
	;; [unrolled: 1-line block ×4, first 2 shown]
	v_cvt_f32_f64_e32 v111, v[111:112]
	v_cvt_f32_f64_e32 v112, v[113:114]
	v_cvt_f32_f64_e32 v113, v[115:116]
	v_cvt_f32_f64_e32 v114, v[117:118]
	v_min3_f32 v111, v111, v112, v191
	v_min_f32_e32 v112, v113, v114
	v_min3_f32 v110, v110, v112, v111
	v_lshlrev_b64 v[112:113], 3, v[134:135]
	v_cvt_f64_f32_e32 v[110:111], v110
	v_add_co_u32 v112, vcc_lo, v106, v112
	v_add_co_ci_u32_e64 v113, null, v107, v113, vcc_lo
	flat_store_dwordx2 v[112:113], v[110:111]
	s_or_b32 exec_lo, exec_lo, s12
	s_and_b32 s15, s4, s8
	s_and_saveexec_b32 s12, s15
	s_cbranch_execz .LBB108_174
.LBB108_193:
	v_cmp_ne_u32_e32 vcc_lo, 1, v144
	s_cbranch_vccnz .LBB108_195
; %bb.194:
	v_lshlrev_b64 v[110:111], 3, v[136:137]
	v_add_co_u32 v110, vcc_lo, v108, v110
	v_add_co_ci_u32_e64 v111, null, v109, v111, vcc_lo
	flat_load_dwordx2 v[110:111], v[110:111]
	s_waitcnt vmcnt(0) lgkmcnt(0)
	v_mul_f64 v[110:111], s[10:11], v[110:111]
	v_cvt_f32_f64_e32 v110, v[110:111]
	s_branch .LBB108_196
.LBB108_195:
	v_mov_b32_e32 v110, 0
.LBB108_196:
	v_add_f64 v[111:112], v[38:39], v[102:103]
	v_add_f64 v[113:114], v[40:41], v[104:105]
	;; [unrolled: 1-line block ×4, first 2 shown]
	v_cvt_f32_f64_e32 v111, v[111:112]
	v_cvt_f32_f64_e32 v112, v[113:114]
	;; [unrolled: 1-line block ×4, first 2 shown]
	v_min3_f32 v111, v111, v112, v190
	v_min_f32_e32 v112, v113, v114
	v_min3_f32 v110, v110, v112, v111
	v_lshlrev_b64 v[112:113], 3, v[136:137]
	v_cvt_f64_f32_e32 v[110:111], v110
	v_add_co_u32 v112, vcc_lo, v106, v112
	v_add_co_ci_u32_e64 v113, null, v107, v113, vcc_lo
	flat_store_dwordx2 v[112:113], v[110:111]
	s_or_b32 exec_lo, exec_lo, s12
	s_and_b32 s15, s5, s8
	s_and_saveexec_b32 s12, s15
	s_cbranch_execz .LBB108_175
.LBB108_197:
	v_cmp_ne_u32_e32 vcc_lo, 1, v144
	s_cbranch_vccnz .LBB108_199
; %bb.198:
	v_lshlrev_b64 v[110:111], 3, v[138:139]
	v_add_co_u32 v110, vcc_lo, v108, v110
	v_add_co_ci_u32_e64 v111, null, v109, v111, vcc_lo
	flat_load_dwordx2 v[110:111], v[110:111]
	s_waitcnt vmcnt(0) lgkmcnt(0)
	v_mul_f64 v[110:111], s[10:11], v[110:111]
	v_cvt_f32_f64_e32 v110, v[110:111]
	s_branch .LBB108_200
.LBB108_199:
	v_mov_b32_e32 v110, 0
.LBB108_200:
	v_add_f64 v[111:112], v[30:31], v[102:103]
	v_add_f64 v[113:114], v[32:33], v[104:105]
	;; [unrolled: 1-line block ×4, first 2 shown]
	v_cvt_f32_f64_e32 v111, v[111:112]
	v_cvt_f32_f64_e32 v112, v[113:114]
	;; [unrolled: 1-line block ×4, first 2 shown]
	v_min3_f32 v111, v111, v112, v189
	v_min_f32_e32 v112, v113, v114
	v_min3_f32 v110, v110, v112, v111
	v_lshlrev_b64 v[112:113], 3, v[138:139]
	v_cvt_f64_f32_e32 v[110:111], v110
	v_add_co_u32 v112, vcc_lo, v106, v112
	v_add_co_ci_u32_e64 v113, null, v107, v113, vcc_lo
	flat_store_dwordx2 v[112:113], v[110:111]
	s_or_b32 exec_lo, exec_lo, s12
	s_and_b32 s15, s6, s8
	s_and_saveexec_b32 s12, s15
	s_cbranch_execz .LBB108_176
.LBB108_201:
	v_cmp_ne_u32_e32 vcc_lo, 1, v144
	s_cbranch_vccnz .LBB108_203
; %bb.202:
	v_lshlrev_b64 v[110:111], 3, v[140:141]
	v_add_co_u32 v110, vcc_lo, v108, v110
	v_add_co_ci_u32_e64 v111, null, v109, v111, vcc_lo
	flat_load_dwordx2 v[110:111], v[110:111]
	s_waitcnt vmcnt(0) lgkmcnt(0)
	v_mul_f64 v[110:111], s[10:11], v[110:111]
	v_cvt_f32_f64_e32 v110, v[110:111]
	s_branch .LBB108_204
.LBB108_203:
	v_mov_b32_e32 v110, 0
.LBB108_204:
	v_add_f64 v[111:112], v[22:23], v[102:103]
	v_add_f64 v[113:114], v[24:25], v[104:105]
	;; [unrolled: 1-line block ×4, first 2 shown]
	v_cvt_f32_f64_e32 v111, v[111:112]
	v_cvt_f32_f64_e32 v112, v[113:114]
	;; [unrolled: 1-line block ×4, first 2 shown]
	v_min3_f32 v111, v111, v112, v188
	v_min_f32_e32 v112, v113, v114
	v_min3_f32 v110, v110, v112, v111
	v_lshlrev_b64 v[112:113], 3, v[140:141]
	v_cvt_f64_f32_e32 v[110:111], v110
	v_add_co_u32 v112, vcc_lo, v106, v112
	v_add_co_ci_u32_e64 v113, null, v107, v113, vcc_lo
	flat_store_dwordx2 v[112:113], v[110:111]
	s_or_b32 exec_lo, exec_lo, s12
	s_and_b32 s12, s7, s8
	s_and_saveexec_b32 s8, s12
	s_cbranch_execz .LBB108_209
.LBB108_205:
	v_cmp_ne_u32_e32 vcc_lo, 1, v144
	s_cbranch_vccnz .LBB108_207
; %bb.206:
	v_lshlrev_b64 v[110:111], 3, v[142:143]
	v_add_co_u32 v108, vcc_lo, v108, v110
	v_add_co_ci_u32_e64 v109, null, v109, v111, vcc_lo
	flat_load_dwordx2 v[108:109], v[108:109]
	s_waitcnt vmcnt(0) lgkmcnt(0)
	v_mul_f64 v[108:109], s[10:11], v[108:109]
	v_cvt_f32_f64_e32 v108, v[108:109]
	s_branch .LBB108_208
.LBB108_207:
	v_mov_b32_e32 v108, 0
.LBB108_208:
	v_add_f64 v[102:103], v[6:7], v[102:103]
	v_add_f64 v[104:105], v[8:9], v[104:105]
	;; [unrolled: 1-line block ×4, first 2 shown]
	v_cvt_f32_f64_e32 v102, v[102:103]
	v_cvt_f32_f64_e32 v103, v[104:105]
	;; [unrolled: 1-line block ×4, first 2 shown]
	v_min3_f32 v100, v102, v103, v187
	v_min_f32_e32 v98, v98, v99
	v_min3_f32 v98, v108, v98, v100
	v_lshlrev_b64 v[100:101], 3, v[142:143]
	v_cvt_f64_f32_e32 v[98:99], v98
	v_add_co_u32 v100, vcc_lo, v106, v100
	v_add_co_ci_u32_e64 v101, null, v107, v101, vcc_lo
	flat_store_dwordx2 v[100:101], v[98:99]
.LBB108_209:
	s_or_b32 exec_lo, exec_lo, s8
	v_add_nc_u32_e32 v102, 32, v146
	v_mad_i64_i32 v[98:99], null, v102, s18, 0
	v_mad_i64_i32 v[100:101], null, v102, s14, 0
	v_cmp_gt_i32_e64 s8, s13, v102
	v_lshlrev_b64 v[98:99], 3, v[98:99]
	s_and_b32 s15, s0, s8
	v_lshlrev_b64 v[102:103], 3, v[100:101]
	v_add_co_u32 v100, vcc_lo, s16, v98
	v_add_co_ci_u32_e64 v101, null, s17, v99, vcc_lo
	v_add_co_u32 v98, vcc_lo, s19, v102
	v_add_co_ci_u32_e64 v99, null, s9, v103, vcc_lo
	s_and_saveexec_b32 s12, s15
	s_cbranch_execnz .LBB108_217
; %bb.210:
	s_or_b32 exec_lo, exec_lo, s12
	s_and_b32 s15, s1, s8
	s_and_saveexec_b32 s12, s15
	s_cbranch_execnz .LBB108_221
.LBB108_211:
	s_or_b32 exec_lo, exec_lo, s12
	s_and_b32 s15, s2, s8
	s_and_saveexec_b32 s12, s15
	s_cbranch_execnz .LBB108_225
.LBB108_212:
	s_or_b32 exec_lo, exec_lo, s12
	s_and_b32 s15, s3, s8
	s_and_saveexec_b32 s12, s15
	s_cbranch_execnz .LBB108_229
.LBB108_213:
	s_or_b32 exec_lo, exec_lo, s12
	s_and_b32 s15, s4, s8
	s_and_saveexec_b32 s12, s15
	s_cbranch_execnz .LBB108_233
.LBB108_214:
	s_or_b32 exec_lo, exec_lo, s12
	s_and_b32 s15, s5, s8
	s_and_saveexec_b32 s12, s15
	s_cbranch_execnz .LBB108_237
.LBB108_215:
	s_or_b32 exec_lo, exec_lo, s12
	s_and_b32 s15, s6, s8
	s_and_saveexec_b32 s12, s15
	s_cbranch_execnz .LBB108_241
.LBB108_216:
	s_or_b32 exec_lo, exec_lo, s12
	s_and_b32 s12, s7, s8
	s_and_saveexec_b32 s8, s12
	s_cbranch_execnz .LBB108_245
	s_branch .LBB108_249
.LBB108_217:
	v_cmp_ne_u32_e32 vcc_lo, 1, v144
	s_cbranch_vccnz .LBB108_219
; %bb.218:
	v_lshlrev_b64 v[102:103], 3, v[0:1]
	v_add_co_u32 v102, vcc_lo, v100, v102
	v_add_co_ci_u32_e64 v103, null, v101, v103, vcc_lo
	flat_load_dwordx2 v[102:103], v[102:103]
	s_waitcnt vmcnt(0) lgkmcnt(0)
	v_mul_f64 v[102:103], s[10:11], v[102:103]
	v_cvt_f32_f64_e32 v102, v[102:103]
	s_branch .LBB108_220
.LBB108_219:
	v_mov_b32_e32 v102, 0
.LBB108_220:
	v_add_f64 v[103:104], v[70:71], v[94:95]
	v_add_f64 v[105:106], v[72:73], v[96:97]
	;; [unrolled: 1-line block ×4, first 2 shown]
	v_cvt_f32_f64_e32 v103, v[103:104]
	v_cvt_f32_f64_e32 v104, v[105:106]
	;; [unrolled: 1-line block ×4, first 2 shown]
	v_min3_f32 v103, v103, v104, v186
	v_min_f32_e32 v104, v105, v106
	v_min3_f32 v102, v102, v104, v103
	v_lshlrev_b64 v[104:105], 3, v[0:1]
	v_cvt_f64_f32_e32 v[102:103], v102
	v_add_co_u32 v104, vcc_lo, v98, v104
	v_add_co_ci_u32_e64 v105, null, v99, v105, vcc_lo
	flat_store_dwordx2 v[104:105], v[102:103]
	s_or_b32 exec_lo, exec_lo, s12
	s_and_b32 s15, s1, s8
	s_and_saveexec_b32 s12, s15
	s_cbranch_execz .LBB108_211
.LBB108_221:
	v_cmp_ne_u32_e32 vcc_lo, 1, v144
	s_cbranch_vccnz .LBB108_223
; %bb.222:
	v_lshlrev_b64 v[102:103], 3, v[130:131]
	v_add_co_u32 v102, vcc_lo, v100, v102
	v_add_co_ci_u32_e64 v103, null, v101, v103, vcc_lo
	flat_load_dwordx2 v[102:103], v[102:103]
	s_waitcnt vmcnt(0) lgkmcnt(0)
	v_mul_f64 v[102:103], s[10:11], v[102:103]
	v_cvt_f32_f64_e32 v102, v[102:103]
	s_branch .LBB108_224
.LBB108_223:
	v_mov_b32_e32 v102, 0
.LBB108_224:
	v_add_f64 v[103:104], v[62:63], v[94:95]
	v_add_f64 v[105:106], v[64:65], v[96:97]
	;; [unrolled: 1-line block ×4, first 2 shown]
	v_cvt_f32_f64_e32 v103, v[103:104]
	v_cvt_f32_f64_e32 v104, v[105:106]
	;; [unrolled: 1-line block ×4, first 2 shown]
	v_min3_f32 v103, v103, v104, v185
	v_min_f32_e32 v104, v105, v106
	v_min3_f32 v102, v102, v104, v103
	v_lshlrev_b64 v[104:105], 3, v[130:131]
	v_cvt_f64_f32_e32 v[102:103], v102
	v_add_co_u32 v104, vcc_lo, v98, v104
	v_add_co_ci_u32_e64 v105, null, v99, v105, vcc_lo
	flat_store_dwordx2 v[104:105], v[102:103]
	s_or_b32 exec_lo, exec_lo, s12
	s_and_b32 s15, s2, s8
	s_and_saveexec_b32 s12, s15
	s_cbranch_execz .LBB108_212
.LBB108_225:
	v_cmp_ne_u32_e32 vcc_lo, 1, v144
	s_cbranch_vccnz .LBB108_227
; %bb.226:
	v_lshlrev_b64 v[102:103], 3, v[132:133]
	v_add_co_u32 v102, vcc_lo, v100, v102
	v_add_co_ci_u32_e64 v103, null, v101, v103, vcc_lo
	flat_load_dwordx2 v[102:103], v[102:103]
	s_waitcnt vmcnt(0) lgkmcnt(0)
	v_mul_f64 v[102:103], s[10:11], v[102:103]
	v_cvt_f32_f64_e32 v102, v[102:103]
	s_branch .LBB108_228
.LBB108_227:
	v_mov_b32_e32 v102, 0
.LBB108_228:
	v_add_f64 v[103:104], v[54:55], v[94:95]
	v_add_f64 v[105:106], v[56:57], v[96:97]
	;; [unrolled: 1-line block ×4, first 2 shown]
	v_cvt_f32_f64_e32 v103, v[103:104]
	v_cvt_f32_f64_e32 v104, v[105:106]
	;; [unrolled: 1-line block ×4, first 2 shown]
	v_min3_f32 v103, v103, v104, v184
	v_min_f32_e32 v104, v105, v106
	v_min3_f32 v102, v102, v104, v103
	v_lshlrev_b64 v[104:105], 3, v[132:133]
	v_cvt_f64_f32_e32 v[102:103], v102
	v_add_co_u32 v104, vcc_lo, v98, v104
	v_add_co_ci_u32_e64 v105, null, v99, v105, vcc_lo
	flat_store_dwordx2 v[104:105], v[102:103]
	s_or_b32 exec_lo, exec_lo, s12
	s_and_b32 s15, s3, s8
	s_and_saveexec_b32 s12, s15
	s_cbranch_execz .LBB108_213
.LBB108_229:
	v_cmp_ne_u32_e32 vcc_lo, 1, v144
	s_cbranch_vccnz .LBB108_231
; %bb.230:
	v_lshlrev_b64 v[102:103], 3, v[134:135]
	v_add_co_u32 v102, vcc_lo, v100, v102
	v_add_co_ci_u32_e64 v103, null, v101, v103, vcc_lo
	flat_load_dwordx2 v[102:103], v[102:103]
	s_waitcnt vmcnt(0) lgkmcnt(0)
	v_mul_f64 v[102:103], s[10:11], v[102:103]
	v_cvt_f32_f64_e32 v102, v[102:103]
	s_branch .LBB108_232
.LBB108_231:
	v_mov_b32_e32 v102, 0
.LBB108_232:
	v_add_f64 v[103:104], v[46:47], v[94:95]
	v_add_f64 v[105:106], v[48:49], v[96:97]
	;; [unrolled: 1-line block ×4, first 2 shown]
	v_cvt_f32_f64_e32 v103, v[103:104]
	v_cvt_f32_f64_e32 v104, v[105:106]
	;; [unrolled: 1-line block ×4, first 2 shown]
	v_min3_f32 v103, v103, v104, v183
	v_min_f32_e32 v104, v105, v106
	v_min3_f32 v102, v102, v104, v103
	v_lshlrev_b64 v[104:105], 3, v[134:135]
	v_cvt_f64_f32_e32 v[102:103], v102
	v_add_co_u32 v104, vcc_lo, v98, v104
	v_add_co_ci_u32_e64 v105, null, v99, v105, vcc_lo
	flat_store_dwordx2 v[104:105], v[102:103]
	s_or_b32 exec_lo, exec_lo, s12
	s_and_b32 s15, s4, s8
	s_and_saveexec_b32 s12, s15
	s_cbranch_execz .LBB108_214
.LBB108_233:
	v_cmp_ne_u32_e32 vcc_lo, 1, v144
	s_cbranch_vccnz .LBB108_235
; %bb.234:
	v_lshlrev_b64 v[102:103], 3, v[136:137]
	v_add_co_u32 v102, vcc_lo, v100, v102
	v_add_co_ci_u32_e64 v103, null, v101, v103, vcc_lo
	flat_load_dwordx2 v[102:103], v[102:103]
	s_waitcnt vmcnt(0) lgkmcnt(0)
	v_mul_f64 v[102:103], s[10:11], v[102:103]
	v_cvt_f32_f64_e32 v102, v[102:103]
	s_branch .LBB108_236
.LBB108_235:
	v_mov_b32_e32 v102, 0
.LBB108_236:
	v_add_f64 v[103:104], v[38:39], v[94:95]
	v_add_f64 v[105:106], v[40:41], v[96:97]
	;; [unrolled: 1-line block ×4, first 2 shown]
	v_cvt_f32_f64_e32 v103, v[103:104]
	v_cvt_f32_f64_e32 v104, v[105:106]
	;; [unrolled: 1-line block ×4, first 2 shown]
	v_min3_f32 v103, v103, v104, v182
	v_min_f32_e32 v104, v105, v106
	v_min3_f32 v102, v102, v104, v103
	v_lshlrev_b64 v[104:105], 3, v[136:137]
	v_cvt_f64_f32_e32 v[102:103], v102
	v_add_co_u32 v104, vcc_lo, v98, v104
	v_add_co_ci_u32_e64 v105, null, v99, v105, vcc_lo
	flat_store_dwordx2 v[104:105], v[102:103]
	s_or_b32 exec_lo, exec_lo, s12
	s_and_b32 s15, s5, s8
	s_and_saveexec_b32 s12, s15
	s_cbranch_execz .LBB108_215
.LBB108_237:
	v_cmp_ne_u32_e32 vcc_lo, 1, v144
	s_cbranch_vccnz .LBB108_239
; %bb.238:
	v_lshlrev_b64 v[102:103], 3, v[138:139]
	v_add_co_u32 v102, vcc_lo, v100, v102
	v_add_co_ci_u32_e64 v103, null, v101, v103, vcc_lo
	flat_load_dwordx2 v[102:103], v[102:103]
	s_waitcnt vmcnt(0) lgkmcnt(0)
	v_mul_f64 v[102:103], s[10:11], v[102:103]
	v_cvt_f32_f64_e32 v102, v[102:103]
	s_branch .LBB108_240
.LBB108_239:
	v_mov_b32_e32 v102, 0
.LBB108_240:
	v_add_f64 v[103:104], v[30:31], v[94:95]
	v_add_f64 v[105:106], v[32:33], v[96:97]
	;; [unrolled: 1-line block ×4, first 2 shown]
	v_cvt_f32_f64_e32 v103, v[103:104]
	v_cvt_f32_f64_e32 v104, v[105:106]
	;; [unrolled: 1-line block ×4, first 2 shown]
	v_min3_f32 v103, v103, v104, v181
	v_min_f32_e32 v104, v105, v106
	v_min3_f32 v102, v102, v104, v103
	v_lshlrev_b64 v[104:105], 3, v[138:139]
	v_cvt_f64_f32_e32 v[102:103], v102
	v_add_co_u32 v104, vcc_lo, v98, v104
	v_add_co_ci_u32_e64 v105, null, v99, v105, vcc_lo
	flat_store_dwordx2 v[104:105], v[102:103]
	s_or_b32 exec_lo, exec_lo, s12
	s_and_b32 s15, s6, s8
	s_and_saveexec_b32 s12, s15
	s_cbranch_execz .LBB108_216
.LBB108_241:
	v_cmp_ne_u32_e32 vcc_lo, 1, v144
	s_cbranch_vccnz .LBB108_243
; %bb.242:
	v_lshlrev_b64 v[102:103], 3, v[140:141]
	v_add_co_u32 v102, vcc_lo, v100, v102
	v_add_co_ci_u32_e64 v103, null, v101, v103, vcc_lo
	flat_load_dwordx2 v[102:103], v[102:103]
	s_waitcnt vmcnt(0) lgkmcnt(0)
	v_mul_f64 v[102:103], s[10:11], v[102:103]
	v_cvt_f32_f64_e32 v102, v[102:103]
	s_branch .LBB108_244
.LBB108_243:
	v_mov_b32_e32 v102, 0
.LBB108_244:
	v_add_f64 v[103:104], v[22:23], v[94:95]
	v_add_f64 v[105:106], v[24:25], v[96:97]
	v_add_f64 v[107:108], v[18:19], v[90:91]
	v_add_f64 v[109:110], v[20:21], v[92:93]
	v_cvt_f32_f64_e32 v103, v[103:104]
	v_cvt_f32_f64_e32 v104, v[105:106]
	v_cvt_f32_f64_e32 v105, v[107:108]
	v_cvt_f32_f64_e32 v106, v[109:110]
	v_min3_f32 v103, v103, v104, v180
	v_min_f32_e32 v104, v105, v106
	v_min3_f32 v102, v102, v104, v103
	v_lshlrev_b64 v[104:105], 3, v[140:141]
	v_cvt_f64_f32_e32 v[102:103], v102
	v_add_co_u32 v104, vcc_lo, v98, v104
	v_add_co_ci_u32_e64 v105, null, v99, v105, vcc_lo
	flat_store_dwordx2 v[104:105], v[102:103]
	s_or_b32 exec_lo, exec_lo, s12
	s_and_b32 s12, s7, s8
	s_and_saveexec_b32 s8, s12
	s_cbranch_execz .LBB108_249
.LBB108_245:
	v_cmp_ne_u32_e32 vcc_lo, 1, v144
	s_cbranch_vccnz .LBB108_247
; %bb.246:
	v_lshlrev_b64 v[102:103], 3, v[142:143]
	v_add_co_u32 v100, vcc_lo, v100, v102
	v_add_co_ci_u32_e64 v101, null, v101, v103, vcc_lo
	flat_load_dwordx2 v[100:101], v[100:101]
	s_waitcnt vmcnt(0) lgkmcnt(0)
	v_mul_f64 v[100:101], s[10:11], v[100:101]
	v_cvt_f32_f64_e32 v100, v[100:101]
	s_branch .LBB108_248
.LBB108_247:
	v_mov_b32_e32 v100, 0
.LBB108_248:
	v_add_f64 v[94:95], v[6:7], v[94:95]
	v_add_f64 v[96:97], v[8:9], v[96:97]
	;; [unrolled: 1-line block ×4, first 2 shown]
	v_cvt_f32_f64_e32 v94, v[94:95]
	v_cvt_f32_f64_e32 v95, v[96:97]
	;; [unrolled: 1-line block ×4, first 2 shown]
	v_min3_f32 v92, v94, v95, v179
	v_min_f32_e32 v90, v90, v91
	v_min3_f32 v90, v100, v90, v92
	v_lshlrev_b64 v[92:93], 3, v[142:143]
	v_cvt_f64_f32_e32 v[90:91], v90
	v_add_co_u32 v92, vcc_lo, v98, v92
	v_add_co_ci_u32_e64 v93, null, v99, v93, vcc_lo
	flat_store_dwordx2 v[92:93], v[90:91]
.LBB108_249:
	s_or_b32 exec_lo, exec_lo, s8
	v_add_nc_u32_e32 v94, 40, v146
	v_mad_i64_i32 v[90:91], null, v94, s18, 0
	v_mad_i64_i32 v[92:93], null, v94, s14, 0
	v_cmp_gt_i32_e64 s8, s13, v94
	v_lshlrev_b64 v[90:91], 3, v[90:91]
	s_and_b32 s15, s0, s8
	v_lshlrev_b64 v[94:95], 3, v[92:93]
	v_add_co_u32 v92, vcc_lo, s16, v90
	v_add_co_ci_u32_e64 v93, null, s17, v91, vcc_lo
	v_add_co_u32 v90, vcc_lo, s19, v94
	v_add_co_ci_u32_e64 v91, null, s9, v95, vcc_lo
	s_and_saveexec_b32 s12, s15
	s_cbranch_execnz .LBB108_257
; %bb.250:
	s_or_b32 exec_lo, exec_lo, s12
	s_and_b32 s15, s1, s8
	s_and_saveexec_b32 s12, s15
	s_cbranch_execnz .LBB108_261
.LBB108_251:
	s_or_b32 exec_lo, exec_lo, s12
	s_and_b32 s15, s2, s8
	s_and_saveexec_b32 s12, s15
	s_cbranch_execnz .LBB108_265
.LBB108_252:
	s_or_b32 exec_lo, exec_lo, s12
	s_and_b32 s15, s3, s8
	s_and_saveexec_b32 s12, s15
	s_cbranch_execnz .LBB108_269
.LBB108_253:
	s_or_b32 exec_lo, exec_lo, s12
	s_and_b32 s15, s4, s8
	s_and_saveexec_b32 s12, s15
	s_cbranch_execnz .LBB108_273
.LBB108_254:
	s_or_b32 exec_lo, exec_lo, s12
	s_and_b32 s15, s5, s8
	s_and_saveexec_b32 s12, s15
	s_cbranch_execnz .LBB108_277
.LBB108_255:
	s_or_b32 exec_lo, exec_lo, s12
	s_and_b32 s15, s6, s8
	s_and_saveexec_b32 s12, s15
	s_cbranch_execnz .LBB108_281
.LBB108_256:
	s_or_b32 exec_lo, exec_lo, s12
	s_and_b32 s12, s7, s8
	s_and_saveexec_b32 s8, s12
	s_cbranch_execnz .LBB108_285
	s_branch .LBB108_289
.LBB108_257:
	v_cmp_ne_u32_e32 vcc_lo, 1, v144
	s_cbranch_vccnz .LBB108_259
; %bb.258:
	v_lshlrev_b64 v[94:95], 3, v[0:1]
	v_add_co_u32 v94, vcc_lo, v92, v94
	v_add_co_ci_u32_e64 v95, null, v93, v95, vcc_lo
	flat_load_dwordx2 v[94:95], v[94:95]
	s_waitcnt vmcnt(0) lgkmcnt(0)
	v_mul_f64 v[94:95], s[10:11], v[94:95]
	v_cvt_f32_f64_e32 v94, v[94:95]
	s_branch .LBB108_260
.LBB108_259:
	v_mov_b32_e32 v94, 0
.LBB108_260:
	v_add_f64 v[95:96], v[70:71], v[86:87]
	v_add_f64 v[97:98], v[72:73], v[88:89]
	;; [unrolled: 1-line block ×4, first 2 shown]
	v_cvt_f32_f64_e32 v95, v[95:96]
	v_cvt_f32_f64_e32 v96, v[97:98]
	;; [unrolled: 1-line block ×4, first 2 shown]
	v_min3_f32 v95, v95, v96, v178
	v_min_f32_e32 v96, v97, v98
	v_min3_f32 v94, v94, v96, v95
	v_lshlrev_b64 v[96:97], 3, v[0:1]
	v_cvt_f64_f32_e32 v[94:95], v94
	v_add_co_u32 v96, vcc_lo, v90, v96
	v_add_co_ci_u32_e64 v97, null, v91, v97, vcc_lo
	flat_store_dwordx2 v[96:97], v[94:95]
	s_or_b32 exec_lo, exec_lo, s12
	s_and_b32 s15, s1, s8
	s_and_saveexec_b32 s12, s15
	s_cbranch_execz .LBB108_251
.LBB108_261:
	v_cmp_ne_u32_e32 vcc_lo, 1, v144
	s_cbranch_vccnz .LBB108_263
; %bb.262:
	v_lshlrev_b64 v[94:95], 3, v[130:131]
	v_add_co_u32 v94, vcc_lo, v92, v94
	v_add_co_ci_u32_e64 v95, null, v93, v95, vcc_lo
	flat_load_dwordx2 v[94:95], v[94:95]
	s_waitcnt vmcnt(0) lgkmcnt(0)
	v_mul_f64 v[94:95], s[10:11], v[94:95]
	v_cvt_f32_f64_e32 v94, v[94:95]
	s_branch .LBB108_264
.LBB108_263:
	v_mov_b32_e32 v94, 0
.LBB108_264:
	v_add_f64 v[95:96], v[62:63], v[86:87]
	v_add_f64 v[97:98], v[64:65], v[88:89]
	;; [unrolled: 1-line block ×4, first 2 shown]
	v_cvt_f32_f64_e32 v95, v[95:96]
	v_cvt_f32_f64_e32 v96, v[97:98]
	;; [unrolled: 1-line block ×4, first 2 shown]
	v_min3_f32 v95, v95, v96, v177
	v_min_f32_e32 v96, v97, v98
	v_min3_f32 v94, v94, v96, v95
	v_lshlrev_b64 v[96:97], 3, v[130:131]
	v_cvt_f64_f32_e32 v[94:95], v94
	v_add_co_u32 v96, vcc_lo, v90, v96
	v_add_co_ci_u32_e64 v97, null, v91, v97, vcc_lo
	flat_store_dwordx2 v[96:97], v[94:95]
	s_or_b32 exec_lo, exec_lo, s12
	s_and_b32 s15, s2, s8
	s_and_saveexec_b32 s12, s15
	s_cbranch_execz .LBB108_252
.LBB108_265:
	v_cmp_ne_u32_e32 vcc_lo, 1, v144
	s_cbranch_vccnz .LBB108_267
; %bb.266:
	v_lshlrev_b64 v[94:95], 3, v[132:133]
	v_add_co_u32 v94, vcc_lo, v92, v94
	v_add_co_ci_u32_e64 v95, null, v93, v95, vcc_lo
	flat_load_dwordx2 v[94:95], v[94:95]
	s_waitcnt vmcnt(0) lgkmcnt(0)
	v_mul_f64 v[94:95], s[10:11], v[94:95]
	v_cvt_f32_f64_e32 v94, v[94:95]
	s_branch .LBB108_268
.LBB108_267:
	v_mov_b32_e32 v94, 0
.LBB108_268:
	v_add_f64 v[95:96], v[54:55], v[86:87]
	v_add_f64 v[97:98], v[56:57], v[88:89]
	;; [unrolled: 1-line block ×4, first 2 shown]
	v_cvt_f32_f64_e32 v95, v[95:96]
	v_cvt_f32_f64_e32 v96, v[97:98]
	;; [unrolled: 1-line block ×4, first 2 shown]
	v_min3_f32 v95, v95, v96, v176
	v_min_f32_e32 v96, v97, v98
	v_min3_f32 v94, v94, v96, v95
	v_lshlrev_b64 v[96:97], 3, v[132:133]
	v_cvt_f64_f32_e32 v[94:95], v94
	v_add_co_u32 v96, vcc_lo, v90, v96
	v_add_co_ci_u32_e64 v97, null, v91, v97, vcc_lo
	flat_store_dwordx2 v[96:97], v[94:95]
	s_or_b32 exec_lo, exec_lo, s12
	s_and_b32 s15, s3, s8
	s_and_saveexec_b32 s12, s15
	s_cbranch_execz .LBB108_253
.LBB108_269:
	v_cmp_ne_u32_e32 vcc_lo, 1, v144
	s_cbranch_vccnz .LBB108_271
; %bb.270:
	v_lshlrev_b64 v[94:95], 3, v[134:135]
	v_add_co_u32 v94, vcc_lo, v92, v94
	v_add_co_ci_u32_e64 v95, null, v93, v95, vcc_lo
	flat_load_dwordx2 v[94:95], v[94:95]
	s_waitcnt vmcnt(0) lgkmcnt(0)
	v_mul_f64 v[94:95], s[10:11], v[94:95]
	v_cvt_f32_f64_e32 v94, v[94:95]
	s_branch .LBB108_272
.LBB108_271:
	v_mov_b32_e32 v94, 0
.LBB108_272:
	v_add_f64 v[95:96], v[46:47], v[86:87]
	v_add_f64 v[97:98], v[48:49], v[88:89]
	;; [unrolled: 1-line block ×4, first 2 shown]
	v_cvt_f32_f64_e32 v95, v[95:96]
	v_cvt_f32_f64_e32 v96, v[97:98]
	;; [unrolled: 1-line block ×4, first 2 shown]
	v_min3_f32 v95, v95, v96, v169
	v_min_f32_e32 v96, v97, v98
	v_min3_f32 v94, v94, v96, v95
	v_lshlrev_b64 v[96:97], 3, v[134:135]
	v_cvt_f64_f32_e32 v[94:95], v94
	v_add_co_u32 v96, vcc_lo, v90, v96
	v_add_co_ci_u32_e64 v97, null, v91, v97, vcc_lo
	flat_store_dwordx2 v[96:97], v[94:95]
	s_or_b32 exec_lo, exec_lo, s12
	s_and_b32 s15, s4, s8
	s_and_saveexec_b32 s12, s15
	s_cbranch_execz .LBB108_254
.LBB108_273:
	v_cmp_ne_u32_e32 vcc_lo, 1, v144
	s_cbranch_vccnz .LBB108_275
; %bb.274:
	v_lshlrev_b64 v[94:95], 3, v[136:137]
	v_add_co_u32 v94, vcc_lo, v92, v94
	v_add_co_ci_u32_e64 v95, null, v93, v95, vcc_lo
	flat_load_dwordx2 v[94:95], v[94:95]
	s_waitcnt vmcnt(0) lgkmcnt(0)
	v_mul_f64 v[94:95], s[10:11], v[94:95]
	v_cvt_f32_f64_e32 v94, v[94:95]
	s_branch .LBB108_276
.LBB108_275:
	v_mov_b32_e32 v94, 0
.LBB108_276:
	v_add_f64 v[95:96], v[38:39], v[86:87]
	v_add_f64 v[97:98], v[40:41], v[88:89]
	v_add_f64 v[99:100], v[34:35], v[82:83]
	v_add_f64 v[101:102], v[36:37], v[84:85]
	v_cvt_f32_f64_e32 v95, v[95:96]
	v_cvt_f32_f64_e32 v96, v[97:98]
	;; [unrolled: 1-line block ×4, first 2 shown]
	v_min3_f32 v95, v95, v96, v168
	v_min_f32_e32 v96, v97, v98
	v_min3_f32 v94, v94, v96, v95
	v_lshlrev_b64 v[96:97], 3, v[136:137]
	v_cvt_f64_f32_e32 v[94:95], v94
	v_add_co_u32 v96, vcc_lo, v90, v96
	v_add_co_ci_u32_e64 v97, null, v91, v97, vcc_lo
	flat_store_dwordx2 v[96:97], v[94:95]
	s_or_b32 exec_lo, exec_lo, s12
	s_and_b32 s15, s5, s8
	s_and_saveexec_b32 s12, s15
	s_cbranch_execz .LBB108_255
.LBB108_277:
	v_cmp_ne_u32_e32 vcc_lo, 1, v144
	s_cbranch_vccnz .LBB108_279
; %bb.278:
	v_lshlrev_b64 v[94:95], 3, v[138:139]
	v_add_co_u32 v94, vcc_lo, v92, v94
	v_add_co_ci_u32_e64 v95, null, v93, v95, vcc_lo
	flat_load_dwordx2 v[94:95], v[94:95]
	s_waitcnt vmcnt(0) lgkmcnt(0)
	v_mul_f64 v[94:95], s[10:11], v[94:95]
	v_cvt_f32_f64_e32 v94, v[94:95]
	s_branch .LBB108_280
.LBB108_279:
	v_mov_b32_e32 v94, 0
.LBB108_280:
	v_add_f64 v[95:96], v[30:31], v[86:87]
	v_add_f64 v[97:98], v[32:33], v[88:89]
	;; [unrolled: 1-line block ×4, first 2 shown]
	v_cvt_f32_f64_e32 v95, v[95:96]
	v_cvt_f32_f64_e32 v96, v[97:98]
	;; [unrolled: 1-line block ×4, first 2 shown]
	v_min3_f32 v95, v95, v96, v167
	v_min_f32_e32 v96, v97, v98
	v_min3_f32 v94, v94, v96, v95
	v_lshlrev_b64 v[96:97], 3, v[138:139]
	v_cvt_f64_f32_e32 v[94:95], v94
	v_add_co_u32 v96, vcc_lo, v90, v96
	v_add_co_ci_u32_e64 v97, null, v91, v97, vcc_lo
	flat_store_dwordx2 v[96:97], v[94:95]
	s_or_b32 exec_lo, exec_lo, s12
	s_and_b32 s15, s6, s8
	s_and_saveexec_b32 s12, s15
	s_cbranch_execz .LBB108_256
.LBB108_281:
	v_cmp_ne_u32_e32 vcc_lo, 1, v144
	s_cbranch_vccnz .LBB108_283
; %bb.282:
	v_lshlrev_b64 v[94:95], 3, v[140:141]
	v_add_co_u32 v94, vcc_lo, v92, v94
	v_add_co_ci_u32_e64 v95, null, v93, v95, vcc_lo
	flat_load_dwordx2 v[94:95], v[94:95]
	s_waitcnt vmcnt(0) lgkmcnt(0)
	v_mul_f64 v[94:95], s[10:11], v[94:95]
	v_cvt_f32_f64_e32 v94, v[94:95]
	s_branch .LBB108_284
.LBB108_283:
	v_mov_b32_e32 v94, 0
.LBB108_284:
	v_add_f64 v[95:96], v[22:23], v[86:87]
	v_add_f64 v[97:98], v[24:25], v[88:89]
	;; [unrolled: 1-line block ×4, first 2 shown]
	v_cvt_f32_f64_e32 v95, v[95:96]
	v_cvt_f32_f64_e32 v96, v[97:98]
	;; [unrolled: 1-line block ×4, first 2 shown]
	v_min3_f32 v95, v95, v96, v166
	v_min_f32_e32 v96, v97, v98
	v_min3_f32 v94, v94, v96, v95
	v_lshlrev_b64 v[96:97], 3, v[140:141]
	v_cvt_f64_f32_e32 v[94:95], v94
	v_add_co_u32 v96, vcc_lo, v90, v96
	v_add_co_ci_u32_e64 v97, null, v91, v97, vcc_lo
	flat_store_dwordx2 v[96:97], v[94:95]
	s_or_b32 exec_lo, exec_lo, s12
	s_and_b32 s12, s7, s8
	s_and_saveexec_b32 s8, s12
	s_cbranch_execz .LBB108_289
.LBB108_285:
	v_cmp_ne_u32_e32 vcc_lo, 1, v144
	s_cbranch_vccnz .LBB108_287
; %bb.286:
	v_lshlrev_b64 v[94:95], 3, v[142:143]
	v_add_co_u32 v92, vcc_lo, v92, v94
	v_add_co_ci_u32_e64 v93, null, v93, v95, vcc_lo
	flat_load_dwordx2 v[92:93], v[92:93]
	s_waitcnt vmcnt(0) lgkmcnt(0)
	v_mul_f64 v[92:93], s[10:11], v[92:93]
	v_cvt_f32_f64_e32 v92, v[92:93]
	s_branch .LBB108_288
.LBB108_287:
	v_mov_b32_e32 v92, 0
.LBB108_288:
	v_add_f64 v[86:87], v[6:7], v[86:87]
	v_add_f64 v[88:89], v[8:9], v[88:89]
	;; [unrolled: 1-line block ×4, first 2 shown]
	v_cvt_f32_f64_e32 v86, v[86:87]
	v_cvt_f32_f64_e32 v87, v[88:89]
	;; [unrolled: 1-line block ×4, first 2 shown]
	v_min3_f32 v84, v86, v87, v165
	v_min_f32_e32 v82, v82, v83
	v_min3_f32 v82, v92, v82, v84
	v_lshlrev_b64 v[84:85], 3, v[142:143]
	v_cvt_f64_f32_e32 v[82:83], v82
	v_add_co_u32 v84, vcc_lo, v90, v84
	v_add_co_ci_u32_e64 v85, null, v91, v85, vcc_lo
	flat_store_dwordx2 v[84:85], v[82:83]
.LBB108_289:
	s_or_b32 exec_lo, exec_lo, s8
	v_add_nc_u32_e32 v86, 48, v146
	v_mad_i64_i32 v[82:83], null, v86, s18, 0
	v_mad_i64_i32 v[84:85], null, v86, s14, 0
	v_cmp_gt_i32_e64 s8, s13, v86
	v_lshlrev_b64 v[82:83], 3, v[82:83]
	s_and_b32 s15, s0, s8
	v_lshlrev_b64 v[86:87], 3, v[84:85]
	v_add_co_u32 v84, vcc_lo, s16, v82
	v_add_co_ci_u32_e64 v85, null, s17, v83, vcc_lo
	v_add_co_u32 v82, vcc_lo, s19, v86
	v_add_co_ci_u32_e64 v83, null, s9, v87, vcc_lo
	s_and_saveexec_b32 s12, s15
	s_cbranch_execnz .LBB108_297
; %bb.290:
	s_or_b32 exec_lo, exec_lo, s12
	s_and_b32 s15, s1, s8
	s_and_saveexec_b32 s12, s15
	s_cbranch_execnz .LBB108_301
.LBB108_291:
	s_or_b32 exec_lo, exec_lo, s12
	s_and_b32 s15, s2, s8
	s_and_saveexec_b32 s12, s15
	s_cbranch_execnz .LBB108_305
.LBB108_292:
	s_or_b32 exec_lo, exec_lo, s12
	s_and_b32 s15, s3, s8
	s_and_saveexec_b32 s12, s15
	s_cbranch_execnz .LBB108_309
.LBB108_293:
	s_or_b32 exec_lo, exec_lo, s12
	s_and_b32 s15, s4, s8
	s_and_saveexec_b32 s12, s15
	s_cbranch_execnz .LBB108_313
.LBB108_294:
	s_or_b32 exec_lo, exec_lo, s12
	s_and_b32 s15, s5, s8
	s_and_saveexec_b32 s12, s15
	s_cbranch_execnz .LBB108_317
.LBB108_295:
	s_or_b32 exec_lo, exec_lo, s12
	s_and_b32 s15, s6, s8
	s_and_saveexec_b32 s12, s15
	s_cbranch_execnz .LBB108_321
.LBB108_296:
	s_or_b32 exec_lo, exec_lo, s12
	s_and_b32 s12, s7, s8
	s_and_saveexec_b32 s8, s12
	s_cbranch_execnz .LBB108_325
	s_branch .LBB108_329
.LBB108_297:
	v_cmp_ne_u32_e32 vcc_lo, 1, v144
	s_cbranch_vccnz .LBB108_299
; %bb.298:
	v_lshlrev_b64 v[86:87], 3, v[0:1]
	v_add_co_u32 v86, vcc_lo, v84, v86
	v_add_co_ci_u32_e64 v87, null, v85, v87, vcc_lo
	flat_load_dwordx2 v[86:87], v[86:87]
	s_waitcnt vmcnt(0) lgkmcnt(0)
	v_mul_f64 v[86:87], s[10:11], v[86:87]
	v_cvt_f32_f64_e32 v86, v[86:87]
	s_branch .LBB108_300
.LBB108_299:
	v_mov_b32_e32 v86, 0
.LBB108_300:
	v_add_f64 v[87:88], v[70:71], v[78:79]
	v_add_f64 v[89:90], v[72:73], v[80:81]
	v_add_f64 v[91:92], v[66:67], v[74:75]
	v_add_f64 v[93:94], v[68:69], v[76:77]
	v_cvt_f32_f64_e32 v87, v[87:88]
	v_cvt_f32_f64_e32 v88, v[89:90]
	;; [unrolled: 1-line block ×4, first 2 shown]
	v_min3_f32 v87, v87, v88, v164
	v_min_f32_e32 v88, v89, v90
	v_min3_f32 v86, v86, v88, v87
	v_lshlrev_b64 v[88:89], 3, v[0:1]
	v_cvt_f64_f32_e32 v[86:87], v86
	v_add_co_u32 v88, vcc_lo, v82, v88
	v_add_co_ci_u32_e64 v89, null, v83, v89, vcc_lo
	flat_store_dwordx2 v[88:89], v[86:87]
	s_or_b32 exec_lo, exec_lo, s12
	s_and_b32 s15, s1, s8
	s_and_saveexec_b32 s12, s15
	s_cbranch_execz .LBB108_291
.LBB108_301:
	v_cmp_ne_u32_e32 vcc_lo, 1, v144
	s_cbranch_vccnz .LBB108_303
; %bb.302:
	v_lshlrev_b64 v[86:87], 3, v[130:131]
	v_add_co_u32 v86, vcc_lo, v84, v86
	v_add_co_ci_u32_e64 v87, null, v85, v87, vcc_lo
	flat_load_dwordx2 v[86:87], v[86:87]
	s_waitcnt vmcnt(0) lgkmcnt(0)
	v_mul_f64 v[86:87], s[10:11], v[86:87]
	v_cvt_f32_f64_e32 v86, v[86:87]
	s_branch .LBB108_304
.LBB108_303:
	v_mov_b32_e32 v86, 0
.LBB108_304:
	v_add_f64 v[87:88], v[62:63], v[78:79]
	v_add_f64 v[89:90], v[64:65], v[80:81]
	v_add_f64 v[91:92], v[58:59], v[74:75]
	v_add_f64 v[93:94], v[60:61], v[76:77]
	v_cvt_f32_f64_e32 v87, v[87:88]
	v_cvt_f32_f64_e32 v88, v[89:90]
	;; [unrolled: 1-line block ×4, first 2 shown]
	v_min3_f32 v87, v87, v88, v163
	v_min_f32_e32 v88, v89, v90
	v_min3_f32 v86, v86, v88, v87
	v_lshlrev_b64 v[88:89], 3, v[130:131]
	v_cvt_f64_f32_e32 v[86:87], v86
	v_add_co_u32 v88, vcc_lo, v82, v88
	v_add_co_ci_u32_e64 v89, null, v83, v89, vcc_lo
	flat_store_dwordx2 v[88:89], v[86:87]
	s_or_b32 exec_lo, exec_lo, s12
	s_and_b32 s15, s2, s8
	s_and_saveexec_b32 s12, s15
	s_cbranch_execz .LBB108_292
.LBB108_305:
	v_cmp_ne_u32_e32 vcc_lo, 1, v144
	s_cbranch_vccnz .LBB108_307
; %bb.306:
	v_lshlrev_b64 v[86:87], 3, v[132:133]
	v_add_co_u32 v86, vcc_lo, v84, v86
	v_add_co_ci_u32_e64 v87, null, v85, v87, vcc_lo
	flat_load_dwordx2 v[86:87], v[86:87]
	s_waitcnt vmcnt(0) lgkmcnt(0)
	v_mul_f64 v[86:87], s[10:11], v[86:87]
	v_cvt_f32_f64_e32 v86, v[86:87]
	s_branch .LBB108_308
.LBB108_307:
	v_mov_b32_e32 v86, 0
.LBB108_308:
	v_add_f64 v[87:88], v[54:55], v[78:79]
	v_add_f64 v[89:90], v[56:57], v[80:81]
	;; [unrolled: 1-line block ×4, first 2 shown]
	v_cvt_f32_f64_e32 v87, v[87:88]
	v_cvt_f32_f64_e32 v88, v[89:90]
	v_cvt_f32_f64_e32 v89, v[91:92]
	v_cvt_f32_f64_e32 v90, v[93:94]
	v_min3_f32 v87, v87, v88, v162
	v_min_f32_e32 v88, v89, v90
	v_min3_f32 v86, v86, v88, v87
	v_lshlrev_b64 v[88:89], 3, v[132:133]
	v_cvt_f64_f32_e32 v[86:87], v86
	v_add_co_u32 v88, vcc_lo, v82, v88
	v_add_co_ci_u32_e64 v89, null, v83, v89, vcc_lo
	flat_store_dwordx2 v[88:89], v[86:87]
	s_or_b32 exec_lo, exec_lo, s12
	s_and_b32 s15, s3, s8
	s_and_saveexec_b32 s12, s15
	s_cbranch_execz .LBB108_293
.LBB108_309:
	v_cmp_ne_u32_e32 vcc_lo, 1, v144
	s_cbranch_vccnz .LBB108_311
; %bb.310:
	v_lshlrev_b64 v[86:87], 3, v[134:135]
	v_add_co_u32 v86, vcc_lo, v84, v86
	v_add_co_ci_u32_e64 v87, null, v85, v87, vcc_lo
	flat_load_dwordx2 v[86:87], v[86:87]
	s_waitcnt vmcnt(0) lgkmcnt(0)
	v_mul_f64 v[86:87], s[10:11], v[86:87]
	v_cvt_f32_f64_e32 v86, v[86:87]
	s_branch .LBB108_312
.LBB108_311:
	v_mov_b32_e32 v86, 0
.LBB108_312:
	v_add_f64 v[87:88], v[46:47], v[78:79]
	v_add_f64 v[89:90], v[48:49], v[80:81]
	;; [unrolled: 1-line block ×4, first 2 shown]
	v_cvt_f32_f64_e32 v87, v[87:88]
	v_cvt_f32_f64_e32 v88, v[89:90]
	;; [unrolled: 1-line block ×4, first 2 shown]
	v_min3_f32 v87, v87, v88, v161
	v_min_f32_e32 v88, v89, v90
	v_min3_f32 v86, v86, v88, v87
	v_lshlrev_b64 v[88:89], 3, v[134:135]
	v_cvt_f64_f32_e32 v[86:87], v86
	v_add_co_u32 v88, vcc_lo, v82, v88
	v_add_co_ci_u32_e64 v89, null, v83, v89, vcc_lo
	flat_store_dwordx2 v[88:89], v[86:87]
	s_or_b32 exec_lo, exec_lo, s12
	s_and_b32 s15, s4, s8
	s_and_saveexec_b32 s12, s15
	s_cbranch_execz .LBB108_294
.LBB108_313:
	v_cmp_ne_u32_e32 vcc_lo, 1, v144
	s_cbranch_vccnz .LBB108_315
; %bb.314:
	v_lshlrev_b64 v[86:87], 3, v[136:137]
	v_add_co_u32 v86, vcc_lo, v84, v86
	v_add_co_ci_u32_e64 v87, null, v85, v87, vcc_lo
	flat_load_dwordx2 v[86:87], v[86:87]
	s_waitcnt vmcnt(0) lgkmcnt(0)
	v_mul_f64 v[86:87], s[10:11], v[86:87]
	v_cvt_f32_f64_e32 v86, v[86:87]
	s_branch .LBB108_316
.LBB108_315:
	v_mov_b32_e32 v86, 0
.LBB108_316:
	v_add_f64 v[87:88], v[38:39], v[78:79]
	v_add_f64 v[89:90], v[40:41], v[80:81]
	;; [unrolled: 1-line block ×4, first 2 shown]
	v_cvt_f32_f64_e32 v87, v[87:88]
	v_cvt_f32_f64_e32 v88, v[89:90]
	v_cvt_f32_f64_e32 v89, v[91:92]
	v_cvt_f32_f64_e32 v90, v[93:94]
	v_min3_f32 v87, v87, v88, v160
	v_min_f32_e32 v88, v89, v90
	v_min3_f32 v86, v86, v88, v87
	v_lshlrev_b64 v[88:89], 3, v[136:137]
	v_cvt_f64_f32_e32 v[86:87], v86
	v_add_co_u32 v88, vcc_lo, v82, v88
	v_add_co_ci_u32_e64 v89, null, v83, v89, vcc_lo
	flat_store_dwordx2 v[88:89], v[86:87]
	s_or_b32 exec_lo, exec_lo, s12
	s_and_b32 s15, s5, s8
	s_and_saveexec_b32 s12, s15
	s_cbranch_execz .LBB108_295
.LBB108_317:
	v_cmp_ne_u32_e32 vcc_lo, 1, v144
	s_cbranch_vccnz .LBB108_319
; %bb.318:
	v_lshlrev_b64 v[86:87], 3, v[138:139]
	v_add_co_u32 v86, vcc_lo, v84, v86
	v_add_co_ci_u32_e64 v87, null, v85, v87, vcc_lo
	flat_load_dwordx2 v[86:87], v[86:87]
	s_waitcnt vmcnt(0) lgkmcnt(0)
	v_mul_f64 v[86:87], s[10:11], v[86:87]
	v_cvt_f32_f64_e32 v86, v[86:87]
	s_branch .LBB108_320
.LBB108_319:
	v_mov_b32_e32 v86, 0
.LBB108_320:
	v_add_f64 v[87:88], v[30:31], v[78:79]
	v_add_f64 v[89:90], v[32:33], v[80:81]
	;; [unrolled: 1-line block ×4, first 2 shown]
	v_cvt_f32_f64_e32 v87, v[87:88]
	v_cvt_f32_f64_e32 v88, v[89:90]
	v_cvt_f32_f64_e32 v89, v[91:92]
	v_cvt_f32_f64_e32 v90, v[93:94]
	v_min3_f32 v87, v87, v88, v159
	v_min_f32_e32 v88, v89, v90
	v_min3_f32 v86, v86, v88, v87
	v_lshlrev_b64 v[88:89], 3, v[138:139]
	v_cvt_f64_f32_e32 v[86:87], v86
	v_add_co_u32 v88, vcc_lo, v82, v88
	v_add_co_ci_u32_e64 v89, null, v83, v89, vcc_lo
	flat_store_dwordx2 v[88:89], v[86:87]
	s_or_b32 exec_lo, exec_lo, s12
	s_and_b32 s15, s6, s8
	s_and_saveexec_b32 s12, s15
	s_cbranch_execz .LBB108_296
.LBB108_321:
	v_cmp_ne_u32_e32 vcc_lo, 1, v144
	s_cbranch_vccnz .LBB108_323
; %bb.322:
	v_lshlrev_b64 v[86:87], 3, v[140:141]
	v_add_co_u32 v86, vcc_lo, v84, v86
	v_add_co_ci_u32_e64 v87, null, v85, v87, vcc_lo
	flat_load_dwordx2 v[86:87], v[86:87]
	s_waitcnt vmcnt(0) lgkmcnt(0)
	v_mul_f64 v[86:87], s[10:11], v[86:87]
	v_cvt_f32_f64_e32 v86, v[86:87]
	s_branch .LBB108_324
.LBB108_323:
	v_mov_b32_e32 v86, 0
.LBB108_324:
	v_add_f64 v[87:88], v[22:23], v[78:79]
	v_add_f64 v[89:90], v[24:25], v[80:81]
	;; [unrolled: 1-line block ×4, first 2 shown]
	v_cvt_f32_f64_e32 v87, v[87:88]
	v_cvt_f32_f64_e32 v88, v[89:90]
	;; [unrolled: 1-line block ×4, first 2 shown]
	v_min3_f32 v87, v87, v88, v158
	v_min_f32_e32 v88, v89, v90
	v_min3_f32 v86, v86, v88, v87
	v_lshlrev_b64 v[88:89], 3, v[140:141]
	v_cvt_f64_f32_e32 v[86:87], v86
	v_add_co_u32 v88, vcc_lo, v82, v88
	v_add_co_ci_u32_e64 v89, null, v83, v89, vcc_lo
	flat_store_dwordx2 v[88:89], v[86:87]
	s_or_b32 exec_lo, exec_lo, s12
	s_and_b32 s12, s7, s8
	s_and_saveexec_b32 s8, s12
	s_cbranch_execz .LBB108_329
.LBB108_325:
	v_cmp_ne_u32_e32 vcc_lo, 1, v144
	s_cbranch_vccnz .LBB108_327
; %bb.326:
	v_lshlrev_b64 v[86:87], 3, v[142:143]
	v_add_co_u32 v84, vcc_lo, v84, v86
	v_add_co_ci_u32_e64 v85, null, v85, v87, vcc_lo
	flat_load_dwordx2 v[84:85], v[84:85]
	s_waitcnt vmcnt(0) lgkmcnt(0)
	v_mul_f64 v[84:85], s[10:11], v[84:85]
	v_cvt_f32_f64_e32 v84, v[84:85]
	s_branch .LBB108_328
.LBB108_327:
	v_mov_b32_e32 v84, 0
.LBB108_328:
	v_add_f64 v[78:79], v[6:7], v[78:79]
	v_add_f64 v[80:81], v[8:9], v[80:81]
	;; [unrolled: 1-line block ×4, first 2 shown]
	v_cvt_f32_f64_e32 v78, v[78:79]
	v_cvt_f32_f64_e32 v79, v[80:81]
	v_cvt_f32_f64_e32 v74, v[74:75]
	v_cvt_f32_f64_e32 v75, v[76:77]
	v_min3_f32 v76, v78, v79, v157
	v_min_f32_e32 v74, v74, v75
	v_min3_f32 v74, v84, v74, v76
	v_lshlrev_b64 v[76:77], 3, v[142:143]
	v_cvt_f64_f32_e32 v[74:75], v74
	v_add_co_u32 v76, vcc_lo, v82, v76
	v_add_co_ci_u32_e64 v77, null, v83, v77, vcc_lo
	flat_store_dwordx2 v[76:77], v[74:75]
.LBB108_329:
	s_or_b32 exec_lo, exec_lo, s8
	v_add_nc_u32_e32 v78, 56, v146
	v_mad_i64_i32 v[74:75], null, v78, s18, 0
	v_mad_i64_i32 v[76:77], null, v78, s14, 0
	v_cmp_gt_i32_e64 s8, s13, v78
	v_lshlrev_b64 v[74:75], 3, v[74:75]
	v_lshlrev_b64 v[78:79], 3, v[76:77]
	v_add_co_u32 v76, vcc_lo, s16, v74
	v_add_co_ci_u32_e64 v77, null, s17, v75, vcc_lo
	v_add_co_u32 v74, vcc_lo, s19, v78
	v_add_co_ci_u32_e64 v75, null, s9, v79, vcc_lo
	s_and_b32 s9, s0, s8
	s_and_saveexec_b32 s0, s9
	s_cbranch_execnz .LBB108_338
; %bb.330:
	s_or_b32 exec_lo, exec_lo, s0
	s_and_b32 s1, s1, s8
	s_and_saveexec_b32 s0, s1
	s_cbranch_execnz .LBB108_342
.LBB108_331:
	s_or_b32 exec_lo, exec_lo, s0
	s_and_b32 s1, s2, s8
	s_and_saveexec_b32 s0, s1
	s_cbranch_execnz .LBB108_346
.LBB108_332:
	s_or_b32 exec_lo, exec_lo, s0
	s_and_b32 s1, s3, s8
	s_and_saveexec_b32 s0, s1
	s_cbranch_execnz .LBB108_350
.LBB108_333:
	s_or_b32 exec_lo, exec_lo, s0
	s_and_b32 s1, s4, s8
	s_and_saveexec_b32 s0, s1
	s_cbranch_execnz .LBB108_354
.LBB108_334:
	s_or_b32 exec_lo, exec_lo, s0
	s_and_b32 s1, s5, s8
	s_and_saveexec_b32 s0, s1
	s_cbranch_execnz .LBB108_358
.LBB108_335:
	s_or_b32 exec_lo, exec_lo, s0
	s_and_b32 s1, s6, s8
	s_and_saveexec_b32 s0, s1
	s_cbranch_execnz .LBB108_362
.LBB108_336:
	s_or_b32 exec_lo, exec_lo, s0
	s_and_b32 s0, s7, s8
	s_and_saveexec_b32 s1, s0
	s_cbranch_execnz .LBB108_366
.LBB108_337:
	s_endpgm
.LBB108_338:
	v_cmp_ne_u32_e32 vcc_lo, 1, v144
	v_lshlrev_b64 v[0:1], 3, v[0:1]
	s_cbranch_vccnz .LBB108_340
; %bb.339:
	v_add_co_u32 v78, vcc_lo, v76, v0
	v_add_co_ci_u32_e64 v79, null, v77, v1, vcc_lo
	flat_load_dwordx2 v[78:79], v[78:79]
	s_waitcnt vmcnt(0) lgkmcnt(0)
	v_mul_f64 v[78:79], s[10:11], v[78:79]
	v_cvt_f32_f64_e32 v78, v[78:79]
	s_branch .LBB108_341
.LBB108_340:
	v_mov_b32_e32 v78, 0
.LBB108_341:
	v_add_f64 v[70:71], v[70:71], v[14:15]
	v_add_f64 v[72:73], v[72:73], v[16:17]
	;; [unrolled: 1-line block ×4, first 2 shown]
	v_add_co_u32 v0, vcc_lo, v74, v0
	v_add_co_ci_u32_e64 v1, null, v75, v1, vcc_lo
	v_cvt_f32_f64_e32 v70, v[70:71]
	v_cvt_f32_f64_e32 v71, v[72:73]
	;; [unrolled: 1-line block ×4, first 2 shown]
	v_min3_f32 v68, v70, v71, v156
	v_min_f32_e32 v66, v66, v67
	v_min3_f32 v66, v78, v66, v68
	v_cvt_f64_f32_e32 v[66:67], v66
	flat_store_dwordx2 v[0:1], v[66:67]
	s_or_b32 exec_lo, exec_lo, s0
	s_and_b32 s1, s1, s8
	s_and_saveexec_b32 s0, s1
	s_cbranch_execz .LBB108_331
.LBB108_342:
	v_cmp_ne_u32_e32 vcc_lo, 1, v144
	v_lshlrev_b64 v[0:1], 3, v[130:131]
	s_cbranch_vccnz .LBB108_344
; %bb.343:
	v_add_co_u32 v66, vcc_lo, v76, v0
	v_add_co_ci_u32_e64 v67, null, v77, v1, vcc_lo
	flat_load_dwordx2 v[66:67], v[66:67]
	s_waitcnt vmcnt(0) lgkmcnt(0)
	v_mul_f64 v[66:67], s[10:11], v[66:67]
	v_cvt_f32_f64_e32 v66, v[66:67]
	s_branch .LBB108_345
.LBB108_344:
	v_mov_b32_e32 v66, 0
.LBB108_345:
	v_add_f64 v[62:63], v[62:63], v[14:15]
	v_add_f64 v[64:65], v[64:65], v[16:17]
	;; [unrolled: 1-line block ×4, first 2 shown]
	v_add_co_u32 v0, vcc_lo, v74, v0
	v_add_co_ci_u32_e64 v1, null, v75, v1, vcc_lo
	v_cvt_f32_f64_e32 v62, v[62:63]
	v_cvt_f32_f64_e32 v63, v[64:65]
	;; [unrolled: 1-line block ×4, first 2 shown]
	v_min3_f32 v60, v62, v63, v155
	v_min_f32_e32 v58, v58, v59
	v_min3_f32 v58, v66, v58, v60
	v_cvt_f64_f32_e32 v[58:59], v58
	flat_store_dwordx2 v[0:1], v[58:59]
	s_or_b32 exec_lo, exec_lo, s0
	s_and_b32 s1, s2, s8
	s_and_saveexec_b32 s0, s1
	s_cbranch_execz .LBB108_332
.LBB108_346:
	v_cmp_ne_u32_e32 vcc_lo, 1, v144
	v_lshlrev_b64 v[0:1], 3, v[132:133]
	s_cbranch_vccnz .LBB108_348
; %bb.347:
	v_add_co_u32 v58, vcc_lo, v76, v0
	v_add_co_ci_u32_e64 v59, null, v77, v1, vcc_lo
	flat_load_dwordx2 v[58:59], v[58:59]
	s_waitcnt vmcnt(0) lgkmcnt(0)
	v_mul_f64 v[58:59], s[10:11], v[58:59]
	v_cvt_f32_f64_e32 v58, v[58:59]
	s_branch .LBB108_349
.LBB108_348:
	v_mov_b32_e32 v58, 0
.LBB108_349:
	v_add_f64 v[54:55], v[54:55], v[14:15]
	v_add_f64 v[56:57], v[56:57], v[16:17]
	;; [unrolled: 1-line block ×4, first 2 shown]
	v_add_co_u32 v0, vcc_lo, v74, v0
	v_add_co_ci_u32_e64 v1, null, v75, v1, vcc_lo
	v_cvt_f32_f64_e32 v54, v[54:55]
	v_cvt_f32_f64_e32 v55, v[56:57]
	;; [unrolled: 1-line block ×4, first 2 shown]
	v_min3_f32 v52, v54, v55, v154
	v_min_f32_e32 v50, v50, v51
	v_min3_f32 v50, v58, v50, v52
	v_cvt_f64_f32_e32 v[50:51], v50
	flat_store_dwordx2 v[0:1], v[50:51]
	s_or_b32 exec_lo, exec_lo, s0
	s_and_b32 s1, s3, s8
	s_and_saveexec_b32 s0, s1
	s_cbranch_execz .LBB108_333
.LBB108_350:
	v_cmp_ne_u32_e32 vcc_lo, 1, v144
	v_lshlrev_b64 v[0:1], 3, v[134:135]
	s_cbranch_vccnz .LBB108_352
; %bb.351:
	v_add_co_u32 v50, vcc_lo, v76, v0
	v_add_co_ci_u32_e64 v51, null, v77, v1, vcc_lo
	flat_load_dwordx2 v[50:51], v[50:51]
	s_waitcnt vmcnt(0) lgkmcnt(0)
	v_mul_f64 v[50:51], s[10:11], v[50:51]
	v_cvt_f32_f64_e32 v50, v[50:51]
	s_branch .LBB108_353
.LBB108_352:
	v_mov_b32_e32 v50, 0
.LBB108_353:
	v_add_f64 v[46:47], v[46:47], v[14:15]
	v_add_f64 v[48:49], v[48:49], v[16:17]
	;; [unrolled: 1-line block ×4, first 2 shown]
	v_add_co_u32 v0, vcc_lo, v74, v0
	v_add_co_ci_u32_e64 v1, null, v75, v1, vcc_lo
	v_cvt_f32_f64_e32 v46, v[46:47]
	v_cvt_f32_f64_e32 v47, v[48:49]
	;; [unrolled: 1-line block ×4, first 2 shown]
	v_min3_f32 v44, v46, v47, v153
	v_min_f32_e32 v42, v42, v43
	v_min3_f32 v42, v50, v42, v44
	v_cvt_f64_f32_e32 v[42:43], v42
	flat_store_dwordx2 v[0:1], v[42:43]
	s_or_b32 exec_lo, exec_lo, s0
	s_and_b32 s1, s4, s8
	s_and_saveexec_b32 s0, s1
	s_cbranch_execz .LBB108_334
.LBB108_354:
	v_cmp_ne_u32_e32 vcc_lo, 1, v144
	v_lshlrev_b64 v[0:1], 3, v[136:137]
	s_cbranch_vccnz .LBB108_356
; %bb.355:
	v_add_co_u32 v42, vcc_lo, v76, v0
	v_add_co_ci_u32_e64 v43, null, v77, v1, vcc_lo
	flat_load_dwordx2 v[42:43], v[42:43]
	s_waitcnt vmcnt(0) lgkmcnt(0)
	v_mul_f64 v[42:43], s[10:11], v[42:43]
	v_cvt_f32_f64_e32 v42, v[42:43]
	s_branch .LBB108_357
.LBB108_356:
	v_mov_b32_e32 v42, 0
.LBB108_357:
	v_add_f64 v[38:39], v[38:39], v[14:15]
	v_add_f64 v[40:41], v[40:41], v[16:17]
	;; [unrolled: 1-line block ×4, first 2 shown]
	v_add_co_u32 v0, vcc_lo, v74, v0
	v_add_co_ci_u32_e64 v1, null, v75, v1, vcc_lo
	v_cvt_f32_f64_e32 v38, v[38:39]
	v_cvt_f32_f64_e32 v39, v[40:41]
	v_cvt_f32_f64_e32 v34, v[34:35]
	v_cvt_f32_f64_e32 v35, v[36:37]
	v_min3_f32 v36, v38, v39, v152
	v_min_f32_e32 v34, v34, v35
	v_min3_f32 v34, v42, v34, v36
	v_cvt_f64_f32_e32 v[34:35], v34
	flat_store_dwordx2 v[0:1], v[34:35]
	s_or_b32 exec_lo, exec_lo, s0
	s_and_b32 s1, s5, s8
	s_and_saveexec_b32 s0, s1
	s_cbranch_execz .LBB108_335
.LBB108_358:
	v_cmp_ne_u32_e32 vcc_lo, 1, v144
	v_lshlrev_b64 v[0:1], 3, v[138:139]
	s_cbranch_vccnz .LBB108_360
; %bb.359:
	v_add_co_u32 v34, vcc_lo, v76, v0
	v_add_co_ci_u32_e64 v35, null, v77, v1, vcc_lo
	flat_load_dwordx2 v[34:35], v[34:35]
	s_waitcnt vmcnt(0) lgkmcnt(0)
	v_mul_f64 v[34:35], s[10:11], v[34:35]
	v_cvt_f32_f64_e32 v34, v[34:35]
	s_branch .LBB108_361
.LBB108_360:
	v_mov_b32_e32 v34, 0
.LBB108_361:
	v_add_f64 v[30:31], v[30:31], v[14:15]
	v_add_f64 v[32:33], v[32:33], v[16:17]
	;; [unrolled: 1-line block ×4, first 2 shown]
	v_add_co_u32 v0, vcc_lo, v74, v0
	v_add_co_ci_u32_e64 v1, null, v75, v1, vcc_lo
	v_cvt_f32_f64_e32 v30, v[30:31]
	v_cvt_f32_f64_e32 v31, v[32:33]
	;; [unrolled: 1-line block ×4, first 2 shown]
	v_min3_f32 v28, v30, v31, v151
	v_min_f32_e32 v26, v26, v27
	v_min3_f32 v26, v34, v26, v28
	v_cvt_f64_f32_e32 v[26:27], v26
	flat_store_dwordx2 v[0:1], v[26:27]
	s_or_b32 exec_lo, exec_lo, s0
	s_and_b32 s1, s6, s8
	s_and_saveexec_b32 s0, s1
	s_cbranch_execz .LBB108_336
.LBB108_362:
	v_cmp_ne_u32_e32 vcc_lo, 1, v144
	v_lshlrev_b64 v[0:1], 3, v[140:141]
	s_cbranch_vccnz .LBB108_364
; %bb.363:
	v_add_co_u32 v26, vcc_lo, v76, v0
	v_add_co_ci_u32_e64 v27, null, v77, v1, vcc_lo
	flat_load_dwordx2 v[26:27], v[26:27]
	s_waitcnt vmcnt(0) lgkmcnt(0)
	v_mul_f64 v[26:27], s[10:11], v[26:27]
	v_cvt_f32_f64_e32 v26, v[26:27]
	s_branch .LBB108_365
.LBB108_364:
	v_mov_b32_e32 v26, 0
.LBB108_365:
	v_add_f64 v[22:23], v[22:23], v[14:15]
	v_add_f64 v[24:25], v[24:25], v[16:17]
	;; [unrolled: 1-line block ×4, first 2 shown]
	v_add_co_u32 v0, vcc_lo, v74, v0
	v_add_co_ci_u32_e64 v1, null, v75, v1, vcc_lo
	v_cvt_f32_f64_e32 v22, v[22:23]
	v_cvt_f32_f64_e32 v23, v[24:25]
	;; [unrolled: 1-line block ×4, first 2 shown]
	v_min3_f32 v20, v22, v23, v150
	v_min_f32_e32 v18, v18, v19
	v_min3_f32 v18, v26, v18, v20
	v_cvt_f64_f32_e32 v[18:19], v18
	flat_store_dwordx2 v[0:1], v[18:19]
	s_or_b32 exec_lo, exec_lo, s0
	s_and_b32 s0, s7, s8
	s_and_saveexec_b32 s1, s0
	s_cbranch_execz .LBB108_337
.LBB108_366:
	v_cmp_ne_u32_e32 vcc_lo, 1, v144
	v_lshlrev_b64 v[0:1], 3, v[142:143]
	s_cbranch_vccnz .LBB108_368
; %bb.367:
	v_add_co_u32 v18, vcc_lo, v76, v0
	v_add_co_ci_u32_e64 v19, null, v77, v1, vcc_lo
	flat_load_dwordx2 v[18:19], v[18:19]
	s_waitcnt vmcnt(0) lgkmcnt(0)
	v_mul_f64 v[18:19], s[10:11], v[18:19]
	v_cvt_f32_f64_e32 v18, v[18:19]
	s_branch .LBB108_369
.LBB108_368:
	v_mov_b32_e32 v18, 0
.LBB108_369:
	v_add_f64 v[6:7], v[6:7], v[14:15]
	v_add_f64 v[8:9], v[8:9], v[16:17]
	;; [unrolled: 1-line block ×4, first 2 shown]
	v_add_co_u32 v0, vcc_lo, v74, v0
	v_add_co_ci_u32_e64 v1, null, v75, v1, vcc_lo
	v_cvt_f32_f64_e32 v6, v[6:7]
	v_cvt_f32_f64_e32 v7, v[8:9]
	;; [unrolled: 1-line block ×4, first 2 shown]
	v_min3_f32 v4, v6, v7, v149
	v_min_f32_e32 v2, v2, v3
	v_min3_f32 v2, v18, v2, v4
	v_cvt_f64_f32_e32 v[2:3], v2
	flat_store_dwordx2 v[0:1], v[2:3]
	s_endpgm
	.section	.rodata,"a",@progbits
	.p2align	6, 0x0
	.amdhsa_kernel _ZN12_GLOBAL__N_120geam_min_plus_kernelId15HIP_vector_typeIdLj2EEdLi32ELi8ELi256ELi64ELi4ELi64ELi4ELi4ELi64ELc78ELc78ELb0ELb1ELb1EPKdKS4_KPdEEviiiT16_PT17_ilSA_ilS8_SA_ilPT18_ili26rocblas_geam_ex_operation_
		.amdhsa_group_segment_fixed_size 20480
		.amdhsa_private_segment_fixed_size 0
		.amdhsa_kernarg_size 136
		.amdhsa_user_sgpr_count 6
		.amdhsa_user_sgpr_private_segment_buffer 1
		.amdhsa_user_sgpr_dispatch_ptr 0
		.amdhsa_user_sgpr_queue_ptr 0
		.amdhsa_user_sgpr_kernarg_segment_ptr 1
		.amdhsa_user_sgpr_dispatch_id 0
		.amdhsa_user_sgpr_flat_scratch_init 0
		.amdhsa_user_sgpr_private_segment_size 0
		.amdhsa_wavefront_size32 1
		.amdhsa_uses_dynamic_stack 0
		.amdhsa_system_sgpr_private_segment_wavefront_offset 0
		.amdhsa_system_sgpr_workgroup_id_x 1
		.amdhsa_system_sgpr_workgroup_id_y 0
		.amdhsa_system_sgpr_workgroup_id_z 1
		.amdhsa_system_sgpr_workgroup_info 0
		.amdhsa_system_vgpr_workitem_id 1
		.amdhsa_next_free_vgpr 223
		.amdhsa_next_free_sgpr 31
		.amdhsa_reserve_vcc 1
		.amdhsa_reserve_flat_scratch 0
		.amdhsa_float_round_mode_32 0
		.amdhsa_float_round_mode_16_64 0
		.amdhsa_float_denorm_mode_32 3
		.amdhsa_float_denorm_mode_16_64 3
		.amdhsa_dx10_clamp 1
		.amdhsa_ieee_mode 1
		.amdhsa_fp16_overflow 0
		.amdhsa_workgroup_processor_mode 1
		.amdhsa_memory_ordered 1
		.amdhsa_forward_progress 1
		.amdhsa_shared_vgpr_count 0
		.amdhsa_exception_fp_ieee_invalid_op 0
		.amdhsa_exception_fp_denorm_src 0
		.amdhsa_exception_fp_ieee_div_zero 0
		.amdhsa_exception_fp_ieee_overflow 0
		.amdhsa_exception_fp_ieee_underflow 0
		.amdhsa_exception_fp_ieee_inexact 0
		.amdhsa_exception_int_div_zero 0
	.end_amdhsa_kernel
	.section	.text._ZN12_GLOBAL__N_120geam_min_plus_kernelId15HIP_vector_typeIdLj2EEdLi32ELi8ELi256ELi64ELi4ELi64ELi4ELi4ELi64ELc78ELc78ELb0ELb1ELb1EPKdKS4_KPdEEviiiT16_PT17_ilSA_ilS8_SA_ilPT18_ili26rocblas_geam_ex_operation_,"axG",@progbits,_ZN12_GLOBAL__N_120geam_min_plus_kernelId15HIP_vector_typeIdLj2EEdLi32ELi8ELi256ELi64ELi4ELi64ELi4ELi4ELi64ELc78ELc78ELb0ELb1ELb1EPKdKS4_KPdEEviiiT16_PT17_ilSA_ilS8_SA_ilPT18_ili26rocblas_geam_ex_operation_,comdat
.Lfunc_end108:
	.size	_ZN12_GLOBAL__N_120geam_min_plus_kernelId15HIP_vector_typeIdLj2EEdLi32ELi8ELi256ELi64ELi4ELi64ELi4ELi4ELi64ELc78ELc78ELb0ELb1ELb1EPKdKS4_KPdEEviiiT16_PT17_ilSA_ilS8_SA_ilPT18_ili26rocblas_geam_ex_operation_, .Lfunc_end108-_ZN12_GLOBAL__N_120geam_min_plus_kernelId15HIP_vector_typeIdLj2EEdLi32ELi8ELi256ELi64ELi4ELi64ELi4ELi4ELi64ELc78ELc78ELb0ELb1ELb1EPKdKS4_KPdEEviiiT16_PT17_ilSA_ilS8_SA_ilPT18_ili26rocblas_geam_ex_operation_
                                        ; -- End function
	.set _ZN12_GLOBAL__N_120geam_min_plus_kernelId15HIP_vector_typeIdLj2EEdLi32ELi8ELi256ELi64ELi4ELi64ELi4ELi4ELi64ELc78ELc78ELb0ELb1ELb1EPKdKS4_KPdEEviiiT16_PT17_ilSA_ilS8_SA_ilPT18_ili26rocblas_geam_ex_operation_.num_vgpr, 223
	.set _ZN12_GLOBAL__N_120geam_min_plus_kernelId15HIP_vector_typeIdLj2EEdLi32ELi8ELi256ELi64ELi4ELi64ELi4ELi4ELi64ELc78ELc78ELb0ELb1ELb1EPKdKS4_KPdEEviiiT16_PT17_ilSA_ilS8_SA_ilPT18_ili26rocblas_geam_ex_operation_.num_agpr, 0
	.set _ZN12_GLOBAL__N_120geam_min_plus_kernelId15HIP_vector_typeIdLj2EEdLi32ELi8ELi256ELi64ELi4ELi64ELi4ELi4ELi64ELc78ELc78ELb0ELb1ELb1EPKdKS4_KPdEEviiiT16_PT17_ilSA_ilS8_SA_ilPT18_ili26rocblas_geam_ex_operation_.numbered_sgpr, 31
	.set _ZN12_GLOBAL__N_120geam_min_plus_kernelId15HIP_vector_typeIdLj2EEdLi32ELi8ELi256ELi64ELi4ELi64ELi4ELi4ELi64ELc78ELc78ELb0ELb1ELb1EPKdKS4_KPdEEviiiT16_PT17_ilSA_ilS8_SA_ilPT18_ili26rocblas_geam_ex_operation_.num_named_barrier, 0
	.set _ZN12_GLOBAL__N_120geam_min_plus_kernelId15HIP_vector_typeIdLj2EEdLi32ELi8ELi256ELi64ELi4ELi64ELi4ELi4ELi64ELc78ELc78ELb0ELb1ELb1EPKdKS4_KPdEEviiiT16_PT17_ilSA_ilS8_SA_ilPT18_ili26rocblas_geam_ex_operation_.private_seg_size, 0
	.set _ZN12_GLOBAL__N_120geam_min_plus_kernelId15HIP_vector_typeIdLj2EEdLi32ELi8ELi256ELi64ELi4ELi64ELi4ELi4ELi64ELc78ELc78ELb0ELb1ELb1EPKdKS4_KPdEEviiiT16_PT17_ilSA_ilS8_SA_ilPT18_ili26rocblas_geam_ex_operation_.uses_vcc, 1
	.set _ZN12_GLOBAL__N_120geam_min_plus_kernelId15HIP_vector_typeIdLj2EEdLi32ELi8ELi256ELi64ELi4ELi64ELi4ELi4ELi64ELc78ELc78ELb0ELb1ELb1EPKdKS4_KPdEEviiiT16_PT17_ilSA_ilS8_SA_ilPT18_ili26rocblas_geam_ex_operation_.uses_flat_scratch, 0
	.set _ZN12_GLOBAL__N_120geam_min_plus_kernelId15HIP_vector_typeIdLj2EEdLi32ELi8ELi256ELi64ELi4ELi64ELi4ELi4ELi64ELc78ELc78ELb0ELb1ELb1EPKdKS4_KPdEEviiiT16_PT17_ilSA_ilS8_SA_ilPT18_ili26rocblas_geam_ex_operation_.has_dyn_sized_stack, 0
	.set _ZN12_GLOBAL__N_120geam_min_plus_kernelId15HIP_vector_typeIdLj2EEdLi32ELi8ELi256ELi64ELi4ELi64ELi4ELi4ELi64ELc78ELc78ELb0ELb1ELb1EPKdKS4_KPdEEviiiT16_PT17_ilSA_ilS8_SA_ilPT18_ili26rocblas_geam_ex_operation_.has_recursion, 0
	.set _ZN12_GLOBAL__N_120geam_min_plus_kernelId15HIP_vector_typeIdLj2EEdLi32ELi8ELi256ELi64ELi4ELi64ELi4ELi4ELi64ELc78ELc78ELb0ELb1ELb1EPKdKS4_KPdEEviiiT16_PT17_ilSA_ilS8_SA_ilPT18_ili26rocblas_geam_ex_operation_.has_indirect_call, 0
	.section	.AMDGPU.csdata,"",@progbits
; Kernel info:
; codeLenInByte = 29732
; TotalNumSgprs: 33
; NumVgprs: 223
; ScratchSize: 0
; MemoryBound: 1
; FloatMode: 240
; IeeeMode: 1
; LDSByteSize: 20480 bytes/workgroup (compile time only)
; SGPRBlocks: 0
; VGPRBlocks: 27
; NumSGPRsForWavesPerEU: 33
; NumVGPRsForWavesPerEU: 223
; Occupancy: 4
; WaveLimiterHint : 1
; COMPUTE_PGM_RSRC2:SCRATCH_EN: 0
; COMPUTE_PGM_RSRC2:USER_SGPR: 6
; COMPUTE_PGM_RSRC2:TRAP_HANDLER: 0
; COMPUTE_PGM_RSRC2:TGID_X_EN: 1
; COMPUTE_PGM_RSRC2:TGID_Y_EN: 0
; COMPUTE_PGM_RSRC2:TGID_Z_EN: 1
; COMPUTE_PGM_RSRC2:TIDIG_COMP_CNT: 1
	.section	.text._ZN12_GLOBAL__N_120geam_min_plus_kernelId15HIP_vector_typeIdLj2EEdLi32ELi8ELi256ELi64ELi4ELi64ELi4ELi4ELi64ELc78ELc78ELb1ELb1ELb1EdKPKdKPdEEviiiT16_PT17_ilSA_ilS8_SA_ilPT18_ili26rocblas_geam_ex_operation_,"axG",@progbits,_ZN12_GLOBAL__N_120geam_min_plus_kernelId15HIP_vector_typeIdLj2EEdLi32ELi8ELi256ELi64ELi4ELi64ELi4ELi4ELi64ELc78ELc78ELb1ELb1ELb1EdKPKdKPdEEviiiT16_PT17_ilSA_ilS8_SA_ilPT18_ili26rocblas_geam_ex_operation_,comdat
	.globl	_ZN12_GLOBAL__N_120geam_min_plus_kernelId15HIP_vector_typeIdLj2EEdLi32ELi8ELi256ELi64ELi4ELi64ELi4ELi4ELi64ELc78ELc78ELb1ELb1ELb1EdKPKdKPdEEviiiT16_PT17_ilSA_ilS8_SA_ilPT18_ili26rocblas_geam_ex_operation_ ; -- Begin function _ZN12_GLOBAL__N_120geam_min_plus_kernelId15HIP_vector_typeIdLj2EEdLi32ELi8ELi256ELi64ELi4ELi64ELi4ELi4ELi64ELc78ELc78ELb1ELb1ELb1EdKPKdKPdEEviiiT16_PT17_ilSA_ilS8_SA_ilPT18_ili26rocblas_geam_ex_operation_
	.p2align	8
	.type	_ZN12_GLOBAL__N_120geam_min_plus_kernelId15HIP_vector_typeIdLj2EEdLi32ELi8ELi256ELi64ELi4ELi64ELi4ELi4ELi64ELc78ELc78ELb1ELb1ELb1EdKPKdKPdEEviiiT16_PT17_ilSA_ilS8_SA_ilPT18_ili26rocblas_geam_ex_operation_,@function
_ZN12_GLOBAL__N_120geam_min_plus_kernelId15HIP_vector_typeIdLj2EEdLi32ELi8ELi256ELi64ELi4ELi64ELi4ELi4ELi64ELc78ELc78ELb1ELb1ELb1EdKPKdKPdEEviiiT16_PT17_ilSA_ilS8_SA_ilPT18_ili26rocblas_geam_ex_operation_: ; @_ZN12_GLOBAL__N_120geam_min_plus_kernelId15HIP_vector_typeIdLj2EEdLi32ELi8ELi256ELi64ELi4ELi64ELi4ELi4ELi64ELc78ELc78ELb1ELb1ELb1EdKPKdKPdEEviiiT16_PT17_ilSA_ilS8_SA_ilPT18_ili26rocblas_geam_ex_operation_
; %bb.0:
	s_clause 0x1
	s_load_dwordx4 s[8:11], s[4:5], 0x10
	s_load_dwordx4 s[0:3], s[4:5], 0x28
	s_mov_b32 s22, s7
	s_mov_b64 s[18:19], 0
	s_waitcnt lgkmcnt(0)
	v_cmp_eq_f64_e64 s7, s[8:9], 0
	s_and_b32 vcc_lo, exec_lo, s7
	s_cbranch_vccnz .LBB109_2
; %bb.1:
	s_mov_b32 s23, 0
	s_lshl_b64 s[8:9], s[22:23], 3
	s_add_u32 s8, s10, s8
	s_addc_u32 s9, s11, s9
	s_lshl_b64 s[0:1], s[0:1], 3
	s_load_dwordx2 s[8:9], s[8:9], 0x0
	s_waitcnt lgkmcnt(0)
	s_add_u32 s18, s8, s0
	s_addc_u32 s19, s9, s1
.LBB109_2:
	s_clause 0x1
	s_load_dwordx4 s[8:11], s[4:5], 0x40
	s_load_dwordx2 s[12:13], s[4:5], 0x50
	s_andn2_b32 vcc_lo, exec_lo, s7
	s_mov_b32 s23, 0
	s_cbranch_vccnz .LBB109_4
; %bb.3:
	s_mov_b32 s0, s23
	s_mov_b64 s[16:17], 0
	s_andn2_b32 vcc_lo, exec_lo, s0
	s_mov_b64 s[20:21], 0
	s_cbranch_vccz .LBB109_5
	s_branch .LBB109_6
.LBB109_4:
	s_mov_b64 s[16:17], 0
	s_mov_b64 s[20:21], 0
.LBB109_5:
	s_lshl_b64 s[0:1], s[22:23], 3
	s_add_u32 s0, s2, s0
	s_addc_u32 s1, s3, s1
	s_waitcnt lgkmcnt(0)
	s_lshl_b64 s[2:3], s[8:9], 3
	s_load_dwordx2 s[0:1], s[0:1], 0x0
	s_waitcnt lgkmcnt(0)
	s_add_u32 s20, s0, s2
	s_addc_u32 s21, s1, s3
.LBB109_6:
	s_waitcnt lgkmcnt(0)
	v_cmp_eq_f64_e64 s7, s[10:11], 0
	v_cmp_neq_f64_e64 s24, s[10:11], 0
	s_load_dwordx4 s[0:3], s[4:5], 0x60
	s_and_b32 vcc_lo, exec_lo, s7
	s_cbranch_vccnz .LBB109_8
; %bb.7:
	s_lshl_b64 s[8:9], s[22:23], 3
	s_add_u32 s8, s12, s8
	s_addc_u32 s9, s13, s9
	s_waitcnt lgkmcnt(0)
	s_lshl_b64 s[0:1], s[0:1], 3
	s_load_dwordx2 s[8:9], s[8:9], 0x0
	s_waitcnt lgkmcnt(0)
	s_add_u32 s16, s8, s0
	s_addc_u32 s17, s9, s1
.LBB109_8:
	s_load_dwordx4 s[12:15], s[4:5], 0x0
	s_waitcnt lgkmcnt(0)
	s_lshl_b64 s[0:1], s[22:23], 3
	s_load_dword s22, s[4:5], 0x20
	s_add_u32 s8, s2, s0
	s_addc_u32 s9, s3, s1
	v_lshl_add_u32 v10, v1, 5, v0
	v_lshrrev_b32_e32 v148, 6, v10
	v_and_b32_e32 v12, 63, v10
	s_add_i32 s0, s12, -1
	s_waitcnt lgkmcnt(0)
	v_mad_i64_i32 v[3:4], null, s22, v148, 0
	s_ashr_i32 s1, s0, 31
	s_lshr_b32 s1, s1, 24
	s_add_i32 s0, s0, s1
	s_ashr_i32 s0, s0, 8
	v_lshlrev_b64 v[4:5], 3, v[3:4]
	s_add_i32 s1, s0, 1
	s_not_b32 s0, s0
	v_cvt_f32_u32_e32 v2, s1
	v_mov_b32_e32 v3, 0x7fefffff
	v_add_co_u32 v11, vcc_lo, s18, v4
	v_rcp_iflag_f32_e32 v2, v2
	v_add_co_ci_u32_e64 v13, null, s19, v5, vcc_lo
	v_mul_f32_e32 v2, 0x4f7ffffe, v2
	v_cvt_u32_f32_e32 v2, v2
	v_readfirstlane_b32 s2, v2
	v_mov_b32_e32 v2, -1
	v_mov_b32_e32 v5, v3
	s_mul_i32 s0, s0, s2
	v_mov_b32_e32 v4, v2
	s_mul_hi_u32 s0, s2, s0
	s_add_i32 s2, s2, s0
	s_mul_hi_u32 s0, s6, s2
	s_mul_i32 s2, s0, s1
	s_add_i32 s3, s0, 1
	s_sub_i32 s2, s6, s2
	s_sub_i32 s7, s2, s1
	s_cmp_ge_u32 s2, s1
	s_cselect_b32 s0, s3, s0
	s_cselect_b32 s2, s7, s2
	s_add_i32 s3, s0, 1
	s_cmp_ge_u32 s2, s1
	s_cselect_b32 s7, s3, s0
	v_cmp_le_i32_e64 s3, s14, v148
	s_mul_i32 s0, s7, s1
	s_sub_i32 s0, s6, s0
	s_lshl_b32 s15, s0, 8
	v_or_b32_e32 v66, s15, v12
	v_cmp_le_i32_e32 vcc_lo, s12, v66
	v_ashrrev_i32_e32 v67, 31, v66
	s_nor_b32 s0, vcc_lo, s3
	s_and_saveexec_b32 s1, s0
	s_cbranch_execz .LBB109_10
; %bb.9:
	v_lshlrev_b64 v[4:5], 3, v[66:67]
	v_add_co_u32 v4, s0, v11, v4
	v_add_co_ci_u32_e64 v5, null, v13, v5, s0
	flat_load_dwordx2 v[4:5], v[4:5]
.LBB109_10:
	s_or_b32 exec_lo, exec_lo, s1
	v_or_b32_e32 v6, 64, v66
	v_cmp_le_i32_e64 s0, s12, v6
	s_nor_b32 s1, s0, s3
	s_and_saveexec_b32 s2, s1
	s_cbranch_execz .LBB109_12
; %bb.11:
	v_lshlrev_b64 v[2:3], 3, v[66:67]
	v_add_co_u32 v2, s1, v11, v2
	v_add_co_ci_u32_e64 v3, null, v13, v3, s1
	flat_load_dwordx2 v[2:3], v[2:3] offset:512
.LBB109_12:
	s_or_b32 exec_lo, exec_lo, s2
	v_or_b32_e32 v8, 0x80, v66
	v_mov_b32_e32 v7, 0x7fefffff
	v_mov_b32_e32 v6, -1
	s_ashr_i32 s23, s22, 31
	v_cmp_le_i32_e64 s1, s12, v8
	v_mov_b32_e32 v9, v7
	v_mov_b32_e32 v8, v6
	s_nor_b32 s2, s1, s3
	s_and_saveexec_b32 s6, s2
	s_cbranch_execz .LBB109_14
; %bb.13:
	v_lshlrev_b64 v[8:9], 3, v[66:67]
	v_add_co_u32 v8, s2, v11, v8
	v_add_co_ci_u32_e64 v9, null, v13, v9, s2
	flat_load_dwordx2 v[8:9], v[8:9] offset:1024
.LBB109_14:
	s_or_b32 exec_lo, exec_lo, s6
	v_or_b32_e32 v14, 0xc0, v66
	v_cmp_le_i32_e64 s2, s12, v14
	s_nor_b32 s3, s2, s3
	s_and_saveexec_b32 s6, s3
	s_cbranch_execz .LBB109_16
; %bb.15:
	v_lshlrev_b64 v[6:7], 3, v[66:67]
	v_add_co_u32 v6, s3, v11, v6
	v_add_co_ci_u32_e64 v7, null, v13, v7, s3
	flat_load_dwordx2 v[6:7], v[6:7] offset:1536
.LBB109_16:
	s_or_b32 exec_lo, exec_lo, s6
	s_load_dword s26, s[4:5], 0x38
	v_lshrrev_b32_e32 v13, 2, v10
	s_lshl_b32 s25, s7, 6
	v_and_b32_e32 v151, 3, v0
	v_mov_b32_e32 v70, -1
	v_mov_b32_e32 v71, 0x7fefffff
	v_add_nc_u32_e32 v79, s25, v13
	v_cmp_gt_i32_e64 s6, s14, v151
	v_mov_b32_e32 v10, v70
	v_lshlrev_b32_e32 v78, 3, v151
	v_cmp_gt_i32_e64 s7, s13, v79
	v_cmp_le_i32_e64 s3, s13, v79
	v_mov_b32_e32 v11, v71
	s_and_b32 s6, s6, s7
	s_and_saveexec_b32 s7, s6
	s_cbranch_execz .LBB109_18
; %bb.17:
	s_waitcnt lgkmcnt(0)
	v_mad_i64_i32 v[10:11], null, v79, s26, 0
	v_lshlrev_b64 v[10:11], 3, v[10:11]
	v_add_co_u32 v10, s6, s20, v10
	v_add_co_ci_u32_e64 v11, null, s21, v11, s6
	v_add_co_u32 v10, s6, v10, v78
	v_add_co_ci_u32_e64 v11, null, 0, v11, s6
	flat_load_dwordx2 v[10:11], v[10:11]
.LBB109_18:
	s_or_b32 exec_lo, exec_lo, s7
	v_add_nc_u32_e32 v16, 4, v148
	v_mad_i64_i32 v[14:15], null, s22, v16, 0
	v_cmp_le_i32_e64 s6, s14, v16
	v_lshlrev_b64 v[14:15], 3, v[14:15]
	v_add_co_u32 v14, s7, s18, v14
	v_add_co_ci_u32_e64 v15, null, s19, v15, s7
	s_nor_b32 s7, vcc_lo, s6
	s_and_saveexec_b32 s27, s7
	s_cbranch_execz .LBB109_20
; %bb.19:
	v_lshlrev_b64 v[16:17], 3, v[66:67]
	v_add_co_u32 v16, s7, v14, v16
	v_add_co_ci_u32_e64 v17, null, v15, v17, s7
	flat_load_dwordx2 v[70:71], v[16:17]
.LBB109_20:
	s_or_b32 exec_lo, exec_lo, s27
	v_mov_b32_e32 v73, 0x7fefffff
	v_mov_b32_e32 v72, -1
	s_nor_b32 s7, s0, s6
	v_mov_b32_e32 v75, v73
	v_mov_b32_e32 v74, v72
	s_and_saveexec_b32 s27, s7
	s_cbranch_execz .LBB109_22
; %bb.21:
	v_lshlrev_b64 v[16:17], 3, v[66:67]
	v_add_co_u32 v16, s7, v14, v16
	v_add_co_ci_u32_e64 v17, null, v15, v17, s7
	flat_load_dwordx2 v[74:75], v[16:17] offset:512
.LBB109_22:
	s_or_b32 exec_lo, exec_lo, s27
	s_nor_b32 s7, s1, s6
	s_and_saveexec_b32 s27, s7
	s_cbranch_execz .LBB109_24
; %bb.23:
	v_lshlrev_b64 v[16:17], 3, v[66:67]
	v_add_co_u32 v16, s7, v14, v16
	v_add_co_ci_u32_e64 v17, null, v15, v17, s7
	flat_load_dwordx2 v[72:73], v[16:17] offset:1024
.LBB109_24:
	s_or_b32 exec_lo, exec_lo, s27
	v_mov_b32_e32 v69, 0x7fefffff
	v_mov_b32_e32 v68, -1
	s_nor_b32 s6, s2, s6
	v_mov_b32_e32 v77, v69
	v_mov_b32_e32 v76, v68
	s_and_saveexec_b32 s7, s6
	s_cbranch_execz .LBB109_26
; %bb.25:
	v_lshlrev_b64 v[16:17], 3, v[66:67]
	v_add_co_u32 v14, s6, v14, v16
	v_add_co_ci_u32_e64 v15, null, v15, v17, s6
	flat_load_dwordx2 v[76:77], v[14:15] offset:1536
.LBB109_26:
	s_or_b32 exec_lo, exec_lo, s7
	v_or_b32_e32 v14, 4, v151
	s_xor_b32 s7, s3, -1
	v_cmp_gt_i32_e64 s6, s14, v14
	s_and_b32 s3, s6, s7
	s_and_saveexec_b32 s6, s3
	s_cbranch_execz .LBB109_28
; %bb.27:
	s_waitcnt lgkmcnt(0)
	v_mad_i64_i32 v[14:15], null, v79, s26, 0
	v_lshlrev_b64 v[14:15], 3, v[14:15]
	v_add_co_u32 v14, s3, s20, v14
	v_add_co_ci_u32_e64 v15, null, s21, v15, s3
	v_add_co_u32 v14, s3, v14, v78
	v_add_co_ci_u32_e64 v15, null, 0, v15, s3
	flat_load_dwordx2 v[68:69], v[14:15] offset:32
.LBB109_28:
	s_or_b32 exec_lo, exec_lo, s6
	v_lshlrev_b32_e32 v12, 5, v12
	v_lshl_or_b32 v80, v13, 5, v78
	v_lshlrev_b32_e32 v150, 5, v0
	s_load_dwordx2 s[8:9], s[8:9], 0x0
	v_lshlrev_b32_e32 v149, 5, v1
	v_lshl_add_u32 v152, v148, 3, v12
	s_cmp_lt_i32 s14, 9
	s_waitcnt vmcnt(0) lgkmcnt(0)
	ds_write2st64_b64 v152, v[4:5], v[2:3] offset1:4
	ds_write2st64_b64 v152, v[8:9], v[6:7] offset0:8 offset1:12
	ds_write_b64 v80, v[10:11] offset:16384
	s_waitcnt lgkmcnt(0)
	s_barrier
	buffer_gl0_inv
	ds_read_b128 v[10:13], v150 offset:1024
	ds_read_b128 v[14:17], v150 offset:2048
	;; [unrolled: 1-line block ×14, first 2 shown]
	ds_read_b128 v[81:84], v150
	ds_read_b128 v[2:5], v150 offset:16
	ds_read_b128 v[85:88], v149 offset:16384
	;; [unrolled: 1-line block ×3, first 2 shown]
	s_waitcnt lgkmcnt(1)
	v_add_f64 v[89:90], v[83:84], v[87:88]
	v_add_f64 v[91:92], v[81:82], v[85:86]
	s_waitcnt lgkmcnt(0)
	v_add_f64 v[145:146], v[4:5], v[8:9]
	v_add_f64 v[153:154], v[2:3], v[6:7]
	v_cvt_f32_f64_e32 v89, v[89:90]
	v_cvt_f32_f64_e32 v91, v[91:92]
	;; [unrolled: 1-line block ×4, first 2 shown]
	v_min3_f32 v144, v91, v89, 0x7f800000
	v_add_f64 v[89:90], v[12:13], v[87:88]
	v_add_f64 v[91:92], v[10:11], v[85:86]
	v_min3_f32 v224, v147, v145, v144
	v_cvt_f32_f64_e32 v89, v[89:90]
	v_cvt_f32_f64_e32 v91, v[91:92]
	v_min3_f32 v143, v91, v89, 0x7f800000
	v_add_f64 v[89:90], v[16:17], v[87:88]
	v_add_f64 v[91:92], v[14:15], v[85:86]
	v_cvt_f32_f64_e32 v89, v[89:90]
	v_cvt_f32_f64_e32 v91, v[91:92]
	v_min3_f32 v142, v91, v89, 0x7f800000
	v_add_f64 v[89:90], v[20:21], v[87:88]
	v_add_f64 v[91:92], v[18:19], v[85:86]
	;; [unrolled: 5-line block ×5, first 2 shown]
	v_add_f64 v[87:88], v[36:37], v[87:88]
	v_add_f64 v[85:86], v[34:35], v[85:86]
	v_cvt_f32_f64_e32 v89, v[89:90]
	v_cvt_f32_f64_e32 v91, v[91:92]
	;; [unrolled: 1-line block ×4, first 2 shown]
	v_add_f64 v[87:88], v[81:82], v[38:39]
	v_min3_f32 v138, v91, v89, 0x7f800000
	v_min3_f32 v137, v85, v86, 0x7f800000
	v_add_f64 v[85:86], v[83:84], v[40:41]
	v_cvt_f32_f64_e32 v87, v[87:88]
	v_cvt_f32_f64_e32 v85, v[85:86]
	v_min3_f32 v136, v87, v85, 0x7f800000
	v_add_f64 v[85:86], v[12:13], v[40:41]
	v_add_f64 v[87:88], v[10:11], v[38:39]
	v_cvt_f32_f64_e32 v85, v[85:86]
	v_cvt_f32_f64_e32 v87, v[87:88]
	v_min3_f32 v135, v87, v85, 0x7f800000
	v_add_f64 v[85:86], v[16:17], v[40:41]
	;; [unrolled: 5-line block ×6, first 2 shown]
	v_add_f64 v[87:88], v[30:31], v[38:39]
	v_add_f64 v[40:41], v[36:37], v[40:41]
	;; [unrolled: 1-line block ×3, first 2 shown]
	v_cvt_f32_f64_e32 v85, v[85:86]
	v_cvt_f32_f64_e32 v87, v[87:88]
	;; [unrolled: 1-line block ×4, first 2 shown]
	v_add_f64 v[40:41], v[81:82], v[42:43]
	v_min3_f32 v130, v87, v85, 0x7f800000
	v_min3_f32 v129, v38, v39, 0x7f800000
	v_add_f64 v[38:39], v[83:84], v[44:45]
	v_cvt_f32_f64_e32 v40, v[40:41]
	v_cvt_f32_f64_e32 v38, v[38:39]
	v_min3_f32 v128, v40, v38, 0x7f800000
	v_add_f64 v[38:39], v[12:13], v[44:45]
	v_add_f64 v[40:41], v[10:11], v[42:43]
	v_cvt_f32_f64_e32 v38, v[38:39]
	v_cvt_f32_f64_e32 v40, v[40:41]
	v_min3_f32 v127, v40, v38, 0x7f800000
	v_add_f64 v[38:39], v[16:17], v[44:45]
	;; [unrolled: 5-line block ×33, first 2 shown]
	v_add_f64 v[40:41], v[10:11], v[58:59]
	v_add_f64 v[12:13], v[12:13], v[64:65]
	;; [unrolled: 1-line block ×3, first 2 shown]
	v_cvt_f32_f64_e32 v38, v[38:39]
	v_cvt_f32_f64_e32 v40, v[40:41]
	;; [unrolled: 1-line block ×4, first 2 shown]
	v_add_f64 v[12:13], v[14:15], v[62:63]
	v_min3_f32 v95, v40, v38, 0x7f800000
	v_add_f64 v[38:39], v[16:17], v[60:61]
	v_add_f64 v[40:41], v[14:15], v[58:59]
	v_min3_f32 v87, v10, v11, 0x7f800000
	v_add_f64 v[10:11], v[16:17], v[64:65]
	v_cvt_f32_f64_e32 v12, v[12:13]
	v_cvt_f32_f64_e32 v38, v[38:39]
	;; [unrolled: 1-line block ×4, first 2 shown]
	v_min3_f32 v94, v40, v38, 0x7f800000
	v_add_f64 v[38:39], v[20:21], v[60:61]
	v_add_f64 v[40:41], v[18:19], v[58:59]
	v_min3_f32 v86, v12, v10, 0x7f800000
	v_add_f64 v[10:11], v[20:21], v[64:65]
	v_add_f64 v[12:13], v[18:19], v[62:63]
	v_cvt_f32_f64_e32 v38, v[38:39]
	v_cvt_f32_f64_e32 v40, v[40:41]
	;; [unrolled: 1-line block ×4, first 2 shown]
	v_min3_f32 v93, v40, v38, 0x7f800000
	v_add_f64 v[38:39], v[24:25], v[60:61]
	v_add_f64 v[40:41], v[22:23], v[58:59]
	v_min3_f32 v85, v12, v10, 0x7f800000
	v_add_f64 v[10:11], v[24:25], v[64:65]
	v_add_f64 v[12:13], v[22:23], v[62:63]
	v_cvt_f32_f64_e32 v38, v[38:39]
	v_cvt_f32_f64_e32 v40, v[40:41]
	;; [unrolled: 1-line block ×4, first 2 shown]
	v_min3_f32 v92, v40, v38, 0x7f800000
	v_add_f64 v[38:39], v[28:29], v[60:61]
	v_add_f64 v[40:41], v[26:27], v[58:59]
	v_cvt_f32_f64_e32 v38, v[38:39]
	v_cvt_f32_f64_e32 v40, v[40:41]
	v_min3_f32 v91, v40, v38, 0x7f800000
	v_add_f64 v[38:39], v[32:33], v[60:61]
	v_add_f64 v[40:41], v[30:31], v[58:59]
	v_cvt_f32_f64_e32 v38, v[38:39]
	v_cvt_f32_f64_e32 v40, v[40:41]
	;; [unrolled: 5-line block ×3, first 2 shown]
	v_min3_f32 v89, v40, v38, 0x7f800000
	v_add_f64 v[38:39], v[83:84], v[64:65]
	v_min3_f32 v84, v12, v10, 0x7f800000
	v_add_f64 v[10:11], v[28:29], v[64:65]
	v_add_f64 v[12:13], v[26:27], v[62:63]
	;; [unrolled: 1-line block ×3, first 2 shown]
	v_cvt_f32_f64_e32 v38, v[38:39]
	v_cvt_f32_f64_e32 v10, v[10:11]
	v_cvt_f32_f64_e32 v12, v[12:13]
	v_cvt_f32_f64_e32 v40, v[40:41]
	v_min3_f32 v83, v12, v10, 0x7f800000
	v_add_f64 v[10:11], v[32:33], v[64:65]
	v_add_f64 v[12:13], v[30:31], v[62:63]
	v_min3_f32 v88, v40, v38, 0x7f800000
	v_cvt_f32_f64_e32 v10, v[10:11]
	v_cvt_f32_f64_e32 v12, v[12:13]
	v_min3_f32 v82, v12, v10, 0x7f800000
	v_add_f64 v[10:11], v[36:37], v[64:65]
	v_add_f64 v[12:13], v[34:35], v[62:63]
	v_cvt_f32_f64_e32 v10, v[10:11]
	v_cvt_f32_f64_e32 v12, v[12:13]
	v_min3_f32 v81, v12, v10, 0x7f800000
	ds_read_b128 v[34:37], v150 offset:1040
	ds_read_b128 v[30:33], v150 offset:2064
	;; [unrolled: 1-line block ×14, first 2 shown]
	ds_write2st64_b64 v152, v[70:71], v[74:75] offset0:16 offset1:20
	ds_write2st64_b64 v152, v[72:73], v[76:77] offset0:24 offset1:28
	ds_write_b64 v80, v[68:69] offset:18432
	s_waitcnt lgkmcnt(0)
	s_barrier
	buffer_gl0_inv
	v_add_f64 v[144:145], v[36:37], v[8:9]
	v_add_f64 v[146:147], v[34:35], v[6:7]
	v_cvt_f32_f64_e32 v144, v[144:145]
	v_cvt_f32_f64_e32 v146, v[146:147]
	v_min3_f32 v223, v146, v144, v143
	v_add_f64 v[143:144], v[32:33], v[8:9]
	v_add_f64 v[145:146], v[30:31], v[6:7]
	v_cvt_f32_f64_e32 v143, v[143:144]
	v_cvt_f32_f64_e32 v145, v[145:146]
	v_min3_f32 v222, v145, v143, v142
	;; [unrolled: 5-line block ×5, first 2 shown]
	v_add_f64 v[139:140], v[16:17], v[8:9]
	v_add_f64 v[141:142], v[14:15], v[6:7]
	;; [unrolled: 1-line block ×4, first 2 shown]
	v_cvt_f32_f64_e32 v139, v[139:140]
	v_cvt_f32_f64_e32 v141, v[141:142]
	;; [unrolled: 1-line block ×4, first 2 shown]
	v_add_f64 v[8:9], v[2:3], v[62:63]
	v_min3_f32 v218, v141, v139, v138
	v_min3_f32 v217, v6, v7, v137
	v_add_f64 v[6:7], v[4:5], v[64:65]
	v_cvt_f32_f64_e32 v8, v[8:9]
	v_cvt_f32_f64_e32 v6, v[6:7]
	v_min3_f32 v216, v8, v6, v136
	v_add_f64 v[6:7], v[36:37], v[64:65]
	v_add_f64 v[8:9], v[34:35], v[62:63]
	v_cvt_f32_f64_e32 v6, v[6:7]
	v_cvt_f32_f64_e32 v8, v[8:9]
	v_min3_f32 v215, v8, v6, v135
	v_add_f64 v[6:7], v[32:33], v[64:65]
	;; [unrolled: 5-line block ×40, first 2 shown]
	v_add_f64 v[8:9], v[2:3], v[42:43]
	v_add_f64 v[4:5], v[4:5], v[40:41]
	;; [unrolled: 1-line block ×3, first 2 shown]
	v_cvt_f32_f64_e32 v6, v[6:7]
	v_cvt_f32_f64_e32 v8, v[8:9]
	;; [unrolled: 1-line block ×4, first 2 shown]
	v_add_f64 v[4:5], v[34:35], v[38:39]
	v_min3_f32 v168, v8, v6, v96
	v_add_f64 v[6:7], v[36:37], v[44:45]
	v_add_f64 v[8:9], v[34:35], v[42:43]
	v_min3_f32 v160, v2, v3, v88
	v_add_f64 v[2:3], v[36:37], v[40:41]
	v_cvt_f32_f64_e32 v4, v[4:5]
	v_cvt_f32_f64_e32 v6, v[6:7]
	v_cvt_f32_f64_e32 v8, v[8:9]
	v_cvt_f32_f64_e32 v2, v[2:3]
	v_min3_f32 v167, v8, v6, v95
	v_add_f64 v[6:7], v[32:33], v[44:45]
	v_add_f64 v[8:9], v[30:31], v[42:43]
	v_min3_f32 v159, v4, v2, v87
	v_add_f64 v[2:3], v[32:33], v[40:41]
	v_add_f64 v[4:5], v[30:31], v[38:39]
	v_cvt_f32_f64_e32 v6, v[6:7]
	v_cvt_f32_f64_e32 v8, v[8:9]
	v_cvt_f32_f64_e32 v2, v[2:3]
	v_cvt_f32_f64_e32 v4, v[4:5]
	v_min3_f32 v166, v8, v6, v94
	v_add_f64 v[6:7], v[28:29], v[44:45]
	v_add_f64 v[8:9], v[26:27], v[42:43]
	v_min3_f32 v158, v4, v2, v86
	v_add_f64 v[2:3], v[28:29], v[40:41]
	;; [unrolled: 10-line block ×6, first 2 shown]
	v_add_f64 v[4:5], v[10:11], v[38:39]
	v_cvt_f32_f64_e32 v6, v[6:7]
	v_cvt_f32_f64_e32 v8, v[8:9]
	;; [unrolled: 1-line block ×4, first 2 shown]
	v_min3_f32 v161, v8, v6, v89
	v_min3_f32 v153, v4, v2, v81
	s_cbranch_scc1 .LBB109_51
; %bb.29:
	v_mad_i64_i32 v[2:3], null, s26, v79, 0
	v_add_nc_u32_e32 v4, v149, v0
	v_add_nc_u32_e32 v174, 0x4000, v80
	v_or_b32_e32 v175, 0x4000, v149
	v_or_b32_e32 v176, 0x2000, v152
	v_add_nc_u32_e32 v177, 0x4800, v80
	v_lshrrev_b32_e32 v4, 6, v4
	v_lshlrev_b64 v[2:3], 3, v[2:3]
	v_lshl_or_b32 v179, v0, 5, 0x2000
	v_add_nc_u32_e32 v180, 0x4800, v149
	v_mov_b32_e32 v136, -1
	v_add_nc_u32_e32 v5, 8, v4
	v_add_nc_u32_e32 v6, 12, v4
	v_add_co_u32 v2, s3, v2, v78
	v_add_co_ci_u32_e64 v3, null, 0, v3, s3
	v_mad_i64_i32 v[6:7], null, v6, s22, 0
	v_add_co_u32 v8, s3, s20, v2
	v_add_co_ci_u32_e64 v9, null, s21, v3, s3
	v_mad_i64_i32 v[2:3], null, v5, s22, 0
	v_lshlrev_b64 v[4:5], 3, v[66:67]
	v_add_co_u32 v130, s3, 0x60, v8
	v_add_co_ci_u32_e64 v131, null, 0, v9, s3
	v_lshlrev_b64 v[134:135], 3, v[6:7]
	v_add_co_u32 v182, s3, s18, v4
	v_lshlrev_b64 v[132:133], 3, v[2:3]
	v_add_co_ci_u32_e64 v183, null, s19, v5, s3
	v_mov_b32_e32 v137, 0x7fefffff
	s_add_i32 s20, s14, -8
	s_lshl_b64 s[18:19], s[22:23], 6
	s_mov_b32 s21, 0
	s_branch .LBB109_31
.LBB109_30:                             ;   in Loop: Header=BB109_31 Depth=1
	s_or_b32 exec_lo, exec_lo, s3
	v_add_f64 v[225:226], v[100:101], v[128:129]
	v_add_f64 v[227:228], v[98:99], v[126:127]
	v_add_co_u32 v130, s3, v130, 64
	v_add_co_ci_u32_e64 v131, null, 0, v131, s3
	v_add_co_u32 v182, s3, v182, s18
	v_add_co_ci_u32_e64 v183, null, s19, v183, s3
	s_add_i32 s21, s21, 8
	s_cmp_ge_i32 s21, s20
	v_cvt_f32_f64_e32 v225, v[225:226]
	v_cvt_f32_f64_e32 v227, v[227:228]
	v_min3_f32 v224, v227, v225, v224
	v_add_f64 v[225:226], v[96:97], v[128:129]
	v_add_f64 v[227:228], v[94:95], v[126:127]
	v_cvt_f32_f64_e32 v225, v[225:226]
	v_cvt_f32_f64_e32 v227, v[227:228]
	v_min3_f32 v223, v227, v225, v223
	v_add_f64 v[225:226], v[92:93], v[128:129]
	v_add_f64 v[227:228], v[90:91], v[126:127]
	v_cvt_f32_f64_e32 v225, v[225:226]
	v_cvt_f32_f64_e32 v227, v[227:228]
	v_min3_f32 v222, v227, v225, v222
	v_add_f64 v[225:226], v[88:89], v[128:129]
	v_add_f64 v[227:228], v[86:87], v[126:127]
	v_cvt_f32_f64_e32 v225, v[225:226]
	v_cvt_f32_f64_e32 v227, v[227:228]
	v_min3_f32 v221, v227, v225, v221
	v_add_f64 v[225:226], v[84:85], v[128:129]
	v_add_f64 v[227:228], v[82:83], v[126:127]
	v_cvt_f32_f64_e32 v225, v[225:226]
	v_cvt_f32_f64_e32 v227, v[227:228]
	v_min3_f32 v220, v227, v225, v220
	v_add_f64 v[225:226], v[80:81], v[128:129]
	v_add_f64 v[227:228], v[78:79], v[126:127]
	v_cvt_f32_f64_e32 v225, v[225:226]
	v_cvt_f32_f64_e32 v227, v[227:228]
	v_min3_f32 v219, v227, v225, v219
	v_add_f64 v[225:226], v[72:73], v[128:129]
	v_add_f64 v[227:228], v[70:71], v[126:127]
	v_add_f64 v[128:129], v[68:69], v[128:129]
	v_add_f64 v[126:127], v[66:67], v[126:127]
	v_cvt_f32_f64_e32 v225, v[225:226]
	v_cvt_f32_f64_e32 v227, v[227:228]
	v_cvt_f32_f64_e32 v126, v[126:127]
	v_cvt_f32_f64_e32 v127, v[128:129]
	v_add_f64 v[128:129], v[98:99], v[122:123]
	v_min3_f32 v218, v227, v225, v218
	v_min3_f32 v217, v126, v127, v217
	v_add_f64 v[126:127], v[100:101], v[124:125]
	v_cvt_f32_f64_e32 v128, v[128:129]
	v_cvt_f32_f64_e32 v126, v[126:127]
	v_min3_f32 v216, v128, v126, v216
	v_add_f64 v[126:127], v[96:97], v[124:125]
	v_add_f64 v[128:129], v[94:95], v[122:123]
	v_cvt_f32_f64_e32 v126, v[126:127]
	v_cvt_f32_f64_e32 v128, v[128:129]
	v_min3_f32 v215, v128, v126, v215
	v_add_f64 v[126:127], v[92:93], v[124:125]
	v_add_f64 v[128:129], v[90:91], v[122:123]
	v_cvt_f32_f64_e32 v126, v[126:127]
	v_cvt_f32_f64_e32 v128, v[128:129]
	v_min3_f32 v214, v128, v126, v214
	v_add_f64 v[126:127], v[88:89], v[124:125]
	v_add_f64 v[128:129], v[86:87], v[122:123]
	v_cvt_f32_f64_e32 v126, v[126:127]
	v_cvt_f32_f64_e32 v128, v[128:129]
	v_min3_f32 v213, v128, v126, v213
	v_add_f64 v[126:127], v[84:85], v[124:125]
	v_add_f64 v[128:129], v[82:83], v[122:123]
	v_cvt_f32_f64_e32 v126, v[126:127]
	v_cvt_f32_f64_e32 v128, v[128:129]
	v_min3_f32 v212, v128, v126, v212
	v_add_f64 v[126:127], v[80:81], v[124:125]
	v_add_f64 v[128:129], v[78:79], v[122:123]
	v_cvt_f32_f64_e32 v126, v[126:127]
	v_cvt_f32_f64_e32 v128, v[128:129]
	v_min3_f32 v211, v128, v126, v211
	v_add_f64 v[126:127], v[72:73], v[124:125]
	v_add_f64 v[128:129], v[70:71], v[122:123]
	v_add_f64 v[124:125], v[68:69], v[124:125]
	v_add_f64 v[122:123], v[66:67], v[122:123]
	v_cvt_f32_f64_e32 v126, v[126:127]
	v_cvt_f32_f64_e32 v128, v[128:129]
	v_cvt_f32_f64_e32 v122, v[122:123]
	v_cvt_f32_f64_e32 v123, v[124:125]
	v_add_f64 v[124:125], v[98:99], v[118:119]
	v_min3_f32 v210, v128, v126, v210
	v_min3_f32 v209, v122, v123, v209
	v_add_f64 v[122:123], v[100:101], v[120:121]
	;; [unrolled: 40-line block ×3, first 2 shown]
	v_cvt_f32_f64_e32 v120, v[120:121]
	v_cvt_f32_f64_e32 v118, v[118:119]
	v_min3_f32 v200, v120, v118, v200
	v_add_f64 v[118:119], v[96:97], v[116:117]
	v_add_f64 v[120:121], v[94:95], v[114:115]
	v_cvt_f32_f64_e32 v118, v[118:119]
	v_cvt_f32_f64_e32 v120, v[120:121]
	v_min3_f32 v199, v120, v118, v199
	v_add_f64 v[118:119], v[92:93], v[116:117]
	v_add_f64 v[120:121], v[90:91], v[114:115]
	;; [unrolled: 5-line block ×3, first 2 shown]
	v_cvt_f32_f64_e32 v118, v[118:119]
	v_cvt_f32_f64_e32 v120, v[120:121]
	v_add_f64 v[121:122], v[82:83], v[114:115]
	v_min3_f32 v118, v120, v118, v197
	v_add_f64 v[119:120], v[84:85], v[116:117]
	v_cvt_f32_f64_e32 v121, v[121:122]
	v_add_f64 v[122:123], v[78:79], v[114:115]
	v_cvt_f32_f64_e32 v119, v[119:120]
	v_cvt_f32_f64_e32 v122, v[122:123]
	v_add_f64 v[123:124], v[70:71], v[114:115]
	v_add_f64 v[114:115], v[66:67], v[114:115]
	v_min3_f32 v119, v121, v119, v196
	v_add_f64 v[120:121], v[80:81], v[116:117]
	v_cvt_f32_f64_e32 v123, v[123:124]
	v_cvt_f32_f64_e32 v114, v[114:115]
	v_add_f64 v[124:125], v[90:91], v[110:111]
	v_cvt_f32_f64_e32 v120, v[120:121]
	v_min3_f32 v120, v122, v120, v195
	v_add_f64 v[121:122], v[72:73], v[116:117]
	v_add_f64 v[116:117], v[68:69], v[116:117]
	v_cvt_f32_f64_e32 v121, v[121:122]
	v_cvt_f32_f64_e32 v115, v[116:117]
	v_min3_f32 v121, v123, v121, v194
	v_min3_f32 v114, v114, v115, v193
	v_add_f64 v[115:116], v[100:101], v[112:113]
	v_add_f64 v[122:123], v[98:99], v[110:111]
	v_cvt_f32_f64_e32 v115, v[115:116]
	v_cvt_f32_f64_e32 v117, v[122:123]
	v_add_f64 v[122:123], v[94:95], v[110:111]
	v_min3_f32 v115, v117, v115, v192
	v_add_f64 v[116:117], v[96:97], v[112:113]
	v_cvt_f32_f64_e32 v122, v[122:123]
	v_cvt_f32_f64_e32 v116, v[116:117]
	;; [unrolled: 1-line block ×3, first 2 shown]
	v_add_f64 v[124:125], v[86:87], v[110:111]
	v_min3_f32 v116, v122, v116, v191
	v_add_f64 v[122:123], v[92:93], v[112:113]
	v_cvt_f32_f64_e32 v124, v[124:125]
	v_add_f64 v[125:126], v[82:83], v[110:111]
	v_cvt_f32_f64_e32 v122, v[122:123]
	v_cvt_f32_f64_e32 v125, v[125:126]
	v_add_f64 v[126:127], v[78:79], v[110:111]
	v_min3_f32 v117, v117, v122, v190
	v_add_f64 v[122:123], v[88:89], v[112:113]
	v_cvt_f32_f64_e32 v126, v[126:127]
	v_add_f64 v[127:128], v[70:71], v[110:111]
	v_add_f64 v[110:111], v[66:67], v[110:111]
	v_cvt_f32_f64_e32 v122, v[122:123]
	v_cvt_f32_f64_e32 v127, v[127:128]
	;; [unrolled: 1-line block ×3, first 2 shown]
	v_min3_f32 v122, v124, v122, v189
	v_add_f64 v[123:124], v[84:85], v[112:113]
	v_cvt_f32_f64_e32 v123, v[123:124]
	v_min3_f32 v123, v125, v123, v188
	v_add_f64 v[124:125], v[80:81], v[112:113]
	v_cvt_f32_f64_e32 v124, v[124:125]
	v_min3_f32 v124, v126, v124, v187
	v_add_f64 v[125:126], v[72:73], v[112:113]
	v_add_f64 v[112:113], v[68:69], v[112:113]
	v_cvt_f32_f64_e32 v125, v[125:126]
	v_cvt_f32_f64_e32 v111, v[112:113]
	v_min3_f32 v125, v127, v125, v186
	v_min3_f32 v112, v110, v111, v185
	v_add_f64 v[110:111], v[100:101], v[108:109]
	v_add_f64 v[126:127], v[98:99], v[106:107]
	v_cvt_f32_f64_e32 v110, v[110:111]
	v_cvt_f32_f64_e32 v113, v[126:127]
	v_add_f64 v[126:127], v[94:95], v[106:107]
	v_min3_f32 v113, v113, v110, v184
	v_add_f64 v[110:111], v[96:97], v[108:109]
	v_cvt_f32_f64_e32 v126, v[126:127]
	v_add_f64 v[127:128], v[90:91], v[106:107]
	v_add_f64 v[184:185], v[82:83], v[106:107]
	v_cvt_f32_f64_e32 v110, v[110:111]
	v_cvt_f32_f64_e32 v127, v[127:128]
	v_add_f64 v[128:129], v[86:87], v[106:107]
	v_min3_f32 v126, v126, v110, v181
	v_add_f64 v[110:111], v[92:93], v[108:109]
	v_cvt_f32_f64_e32 v128, v[128:129]
	v_cvt_f32_f64_e32 v129, v[184:185]
	;; [unrolled: 1-line block ×3, first 2 shown]
	v_min3_f32 v127, v127, v110, v178
	v_add_f64 v[110:111], v[88:89], v[108:109]
	v_cvt_f32_f64_e32 v110, v[110:111]
	v_min3_f32 v128, v128, v110, v173
	v_add_f64 v[110:111], v[84:85], v[108:109]
	v_cvt_f32_f64_e32 v110, v[110:111]
	v_min3_f32 v129, v129, v110, v172
	v_add_f64 v[110:111], v[80:81], v[108:109]
	v_add_f64 v[172:173], v[78:79], v[106:107]
	v_cvt_f32_f64_e32 v110, v[110:111]
	v_cvt_f32_f64_e32 v172, v[172:173]
	v_min3_f32 v171, v172, v110, v171
	v_add_f64 v[110:111], v[72:73], v[108:109]
	v_add_f64 v[172:173], v[70:71], v[106:107]
	v_add_f64 v[108:109], v[68:69], v[108:109]
	v_add_f64 v[106:107], v[66:67], v[106:107]
	v_cvt_f32_f64_e32 v110, v[110:111]
	v_cvt_f32_f64_e32 v172, v[172:173]
	;; [unrolled: 1-line block ×4, first 2 shown]
	v_add_f64 v[108:109], v[98:99], v[102:103]
	v_add_f64 v[98:99], v[98:99], v[74:75]
	v_min3_f32 v170, v172, v110, v170
	v_min3_f32 v169, v106, v107, v169
	v_add_f64 v[106:107], v[100:101], v[104:105]
	v_cvt_f32_f64_e32 v108, v[108:109]
	v_add_f64 v[100:101], v[100:101], v[76:77]
	v_cvt_f32_f64_e32 v98, v[98:99]
	v_cvt_f32_f64_e32 v106, v[106:107]
	;; [unrolled: 1-line block ×3, first 2 shown]
	v_min3_f32 v168, v108, v106, v168
	v_add_f64 v[106:107], v[96:97], v[104:105]
	v_add_f64 v[108:109], v[94:95], v[102:103]
	v_add_f64 v[94:95], v[94:95], v[74:75]
	v_add_f64 v[96:97], v[96:97], v[76:77]
	v_min3_f32 v98, v98, v99, v160
	v_add_f64 v[99:100], v[10:11], v[46:47]
	v_cvt_f32_f64_e32 v106, v[106:107]
	v_cvt_f32_f64_e32 v108, v[108:109]
	v_add_f64 v[109:110], v[90:91], v[102:103]
	v_add_f64 v[90:91], v[90:91], v[74:75]
	v_cvt_f32_f64_e32 v94, v[94:95]
	v_cvt_f32_f64_e32 v95, v[96:97]
	v_min3_f32 v106, v108, v106, v167
	v_add_f64 v[107:108], v[92:93], v[104:105]
	v_cvt_f32_f64_e32 v109, v[109:110]
	v_add_f64 v[110:111], v[86:87], v[102:103]
	v_add_f64 v[86:87], v[86:87], v[74:75]
	;; [unrolled: 1-line block ×3, first 2 shown]
	v_cvt_f32_f64_e32 v90, v[90:91]
	v_min3_f32 v94, v94, v95, v159
	v_add_f64 v[95:96], v[6:7], v[50:51]
	v_cvt_f32_f64_e32 v107, v[107:108]
	v_cvt_f32_f64_e32 v110, v[110:111]
	;; [unrolled: 1-line block ×4, first 2 shown]
	v_min3_f32 v107, v109, v107, v166
	v_add_f64 v[108:109], v[88:89], v[104:105]
	v_add_f64 v[88:89], v[88:89], v[76:77]
	v_min3_f32 v90, v90, v91, v158
	v_add_f64 v[91:92], v[26:27], v[50:51]
	v_cvt_f32_f64_e32 v108, v[108:109]
	v_cvt_f32_f64_e32 v87, v[88:89]
	v_min3_f32 v108, v110, v108, v165
	v_add_f64 v[109:110], v[84:85], v[104:105]
	v_add_f64 v[165:166], v[82:83], v[102:103]
	;; [unrolled: 1-line block ×4, first 2 shown]
	v_min3_f32 v86, v86, v87, v157
	v_add_f64 v[87:88], v[14:15], v[54:55]
	v_cvt_f32_f64_e32 v109, v[109:110]
	v_cvt_f32_f64_e32 v111, v[165:166]
	;; [unrolled: 1-line block ×4, first 2 shown]
	v_min3_f32 v109, v111, v109, v164
	v_add_f64 v[110:111], v[80:81], v[104:105]
	v_add_f64 v[164:165], v[78:79], v[102:103]
	v_add_f64 v[78:79], v[78:79], v[74:75]
	v_add_f64 v[80:81], v[80:81], v[76:77]
	v_min3_f32 v82, v82, v83, v156
	v_add_f64 v[83:84], v[10:11], v[58:59]
	v_cvt_f32_f64_e32 v110, v[110:111]
	v_cvt_f32_f64_e32 v164, v[164:165]
	v_add_f64 v[165:166], v[70:71], v[102:103]
	v_add_f64 v[102:103], v[66:67], v[102:103]
	;; [unrolled: 1-line block ×5, first 2 shown]
	v_cvt_f32_f64_e32 v78, v[78:79]
	v_cvt_f32_f64_e32 v79, v[80:81]
	v_min3_f32 v110, v164, v110, v163
	v_add_f64 v[163:164], v[72:73], v[104:105]
	v_add_f64 v[104:105], v[68:69], v[104:105]
	;; [unrolled: 1-line block ×4, first 2 shown]
	v_cvt_f32_f64_e32 v66, v[66:67]
	v_cvt_f32_f64_e32 v70, v[70:71]
	v_add_f64 v[76:77], v[14:15], v[62:63]
	v_min3_f32 v78, v78, v79, v155
	v_add_f64 v[79:80], v[26:27], v[58:59]
	v_cvt_f32_f64_e32 v102, v[102:103]
	v_cvt_f32_f64_e32 v111, v[165:166]
	v_cvt_f32_f64_e32 v163, v[163:164]
	v_cvt_f32_f64_e32 v103, v[104:105]
	v_cvt_f32_f64_e32 v67, v[68:69]
	v_cvt_f32_f64_e32 v71, v[72:73]
	v_add_f64 v[68:69], v[34:35], v[62:63]
	v_min3_f32 v111, v111, v163, v162
	v_min3_f32 v102, v102, v103, v161
	;; [unrolled: 1-line block ×3, first 2 shown]
	v_add_f64 v[66:67], v[36:37], v[64:65]
	v_cvt_f32_f64_e32 v68, v[68:69]
	v_min3_f32 v71, v70, v71, v154
	v_add_f64 v[69:70], v[30:31], v[62:63]
	v_cvt_f32_f64_e32 v66, v[66:67]
	v_cvt_f32_f64_e32 v69, v[69:70]
	;; [unrolled: 1-line block ×3, first 2 shown]
	v_add_f64 v[74:75], v[18:19], v[62:63]
	v_min3_f32 v66, v68, v66, v224
	v_add_f64 v[67:68], v[32:33], v[64:65]
	v_cvt_f32_f64_e32 v72, v[74:75]
	v_add_f64 v[74:75], v[16:17], v[64:65]
	v_cvt_f32_f64_e32 v67, v[67:68]
	v_min3_f32 v67, v69, v67, v223
	v_add_f64 v[68:69], v[28:29], v[64:65]
	v_cvt_f32_f64_e32 v68, v[68:69]
	v_min3_f32 v68, v70, v68, v222
	v_add_f64 v[69:70], v[20:21], v[64:65]
	v_cvt_f32_f64_e32 v69, v[69:70]
	v_cvt_f32_f64_e32 v70, v[76:77]
	v_add_f64 v[76:77], v[10:11], v[62:63]
	v_min3_f32 v69, v72, v69, v221
	v_cvt_f32_f64_e32 v72, v[74:75]
	v_add_f64 v[74:75], v[12:13], v[64:65]
	v_min3_f32 v70, v70, v72, v220
	v_cvt_f32_f64_e32 v72, v[76:77]
	v_cvt_f32_f64_e32 v74, v[74:75]
	v_add_f64 v[76:77], v[6:7], v[62:63]
	v_add_f64 v[62:63], v[2:3], v[62:63]
	v_min3_f32 v72, v72, v74, v219
	v_add_f64 v[74:75], v[8:9], v[64:65]
	v_add_f64 v[64:65], v[4:5], v[64:65]
	v_cvt_f32_f64_e32 v76, v[76:77]
	v_cvt_f32_f64_e32 v62, v[62:63]
	;; [unrolled: 1-line block ×4, first 2 shown]
	v_min3_f32 v74, v76, v74, v218
	v_min3_f32 v62, v62, v63, v217
	v_add_f64 v[63:64], v[36:37], v[60:61]
	v_add_f64 v[75:76], v[34:35], v[58:59]
	v_cvt_f32_f64_e32 v63, v[63:64]
	v_cvt_f32_f64_e32 v65, v[75:76]
	v_add_f64 v[75:76], v[30:31], v[58:59]
	v_min3_f32 v63, v65, v63, v216
	v_add_f64 v[64:65], v[32:33], v[60:61]
	v_cvt_f32_f64_e32 v75, v[75:76]
	v_cvt_f32_f64_e32 v64, v[64:65]
	;; [unrolled: 1-line block ×3, first 2 shown]
	v_add_f64 v[79:80], v[18:19], v[58:59]
	v_min3_f32 v64, v75, v64, v215
	v_add_f64 v[75:76], v[28:29], v[60:61]
	v_cvt_f32_f64_e32 v77, v[79:80]
	v_add_f64 v[79:80], v[14:15], v[58:59]
	v_cvt_f32_f64_e32 v75, v[75:76]
	v_cvt_f32_f64_e32 v79, v[79:80]
	v_min3_f32 v65, v65, v75, v214
	v_add_f64 v[75:76], v[20:21], v[60:61]
	v_cvt_f32_f64_e32 v75, v[75:76]
	v_min3_f32 v75, v77, v75, v213
	v_add_f64 v[76:77], v[16:17], v[60:61]
	v_cvt_f32_f64_e32 v76, v[76:77]
	v_cvt_f32_f64_e32 v77, v[83:84]
	v_add_f64 v[83:84], v[6:7], v[58:59]
	v_add_f64 v[58:59], v[2:3], v[58:59]
	v_min3_f32 v76, v79, v76, v212
	v_add_f64 v[79:80], v[12:13], v[60:61]
	v_cvt_f32_f64_e32 v81, v[83:84]
	v_cvt_f32_f64_e32 v58, v[58:59]
	v_add_f64 v[83:84], v[26:27], v[54:55]
	v_cvt_f32_f64_e32 v79, v[79:80]
	v_min3_f32 v77, v77, v79, v211
	v_add_f64 v[79:80], v[8:9], v[60:61]
	v_add_f64 v[60:61], v[4:5], v[60:61]
	v_cvt_f32_f64_e32 v79, v[79:80]
	v_cvt_f32_f64_e32 v59, v[60:61]
	v_min3_f32 v79, v81, v79, v210
	v_min3_f32 v58, v58, v59, v209
	v_add_f64 v[59:60], v[36:37], v[56:57]
	v_add_f64 v[80:81], v[34:35], v[54:55]
	v_cvt_f32_f64_e32 v59, v[59:60]
	v_cvt_f32_f64_e32 v61, v[80:81]
	v_add_f64 v[80:81], v[30:31], v[54:55]
	v_min3_f32 v59, v61, v59, v208
	v_add_f64 v[60:61], v[32:33], v[56:57]
	v_cvt_f32_f64_e32 v80, v[80:81]
	v_cvt_f32_f64_e32 v60, v[60:61]
	;; [unrolled: 1-line block ×3, first 2 shown]
	v_add_f64 v[83:84], v[18:19], v[54:55]
	v_min3_f32 v60, v80, v60, v207
	v_add_f64 v[80:81], v[28:29], v[56:57]
	v_cvt_f32_f64_e32 v83, v[83:84]
	v_cvt_f32_f64_e32 v80, v[80:81]
	v_min3_f32 v61, v61, v80, v206
	v_add_f64 v[80:81], v[20:21], v[56:57]
	v_cvt_f32_f64_e32 v80, v[80:81]
	v_cvt_f32_f64_e32 v81, v[87:88]
	v_add_f64 v[87:88], v[10:11], v[54:55]
	v_min3_f32 v80, v83, v80, v205
	v_add_f64 v[83:84], v[16:17], v[56:57]
	v_cvt_f32_f64_e32 v85, v[87:88]
	v_add_f64 v[87:88], v[6:7], v[54:55]
	v_add_f64 v[54:55], v[2:3], v[54:55]
	v_cvt_f32_f64_e32 v83, v[83:84]
	v_cvt_f32_f64_e32 v87, v[87:88]
	v_cvt_f32_f64_e32 v54, v[54:55]
	v_min3_f32 v81, v81, v83, v204
	v_add_f64 v[83:84], v[12:13], v[56:57]
	v_cvt_f32_f64_e32 v83, v[83:84]
	v_min3_f32 v83, v85, v83, v203
	v_add_f64 v[84:85], v[8:9], v[56:57]
	v_add_f64 v[56:57], v[4:5], v[56:57]
	v_cvt_f32_f64_e32 v84, v[84:85]
	v_cvt_f32_f64_e32 v55, v[56:57]
	v_min3_f32 v84, v87, v84, v202
	v_min3_f32 v54, v54, v55, v201
	v_add_f64 v[55:56], v[36:37], v[52:53]
	v_add_f64 v[87:88], v[34:35], v[50:51]
	v_cvt_f32_f64_e32 v55, v[55:56]
	v_cvt_f32_f64_e32 v57, v[87:88]
	v_add_f64 v[87:88], v[30:31], v[50:51]
	v_min3_f32 v55, v57, v55, v200
	v_add_f64 v[56:57], v[32:33], v[52:53]
	v_cvt_f32_f64_e32 v85, v[87:88]
	v_add_f64 v[87:88], v[28:29], v[52:53]
	v_cvt_f32_f64_e32 v56, v[56:57]
	v_cvt_f32_f64_e32 v57, v[91:92]
	v_add_f64 v[91:92], v[18:19], v[50:51]
	v_min3_f32 v56, v85, v56, v199
	v_cvt_f32_f64_e32 v85, v[87:88]
	v_add_f64 v[87:88], v[20:21], v[52:53]
	v_min3_f32 v57, v57, v85, v198
	v_cvt_f32_f64_e32 v85, v[91:92]
	v_cvt_f32_f64_e32 v87, v[87:88]
	v_add_f64 v[91:92], v[14:15], v[50:51]
	v_min3_f32 v85, v85, v87, v118
	v_add_f64 v[87:88], v[16:17], v[52:53]
	v_cvt_f32_f64_e32 v89, v[91:92]
	v_add_f64 v[91:92], v[10:11], v[50:51]
	v_add_f64 v[50:51], v[2:3], v[50:51]
	v_cvt_f32_f64_e32 v87, v[87:88]
	v_cvt_f32_f64_e32 v91, v[91:92]
	;; [unrolled: 1-line block ×3, first 2 shown]
	v_min3_f32 v87, v89, v87, v119
	v_add_f64 v[88:89], v[12:13], v[52:53]
	v_cvt_f32_f64_e32 v88, v[88:89]
	v_cvt_f32_f64_e32 v89, v[95:96]
	v_add_f64 v[95:96], v[26:27], v[46:47]
	v_min3_f32 v88, v91, v88, v120
	v_add_f64 v[91:92], v[8:9], v[52:53]
	v_add_f64 v[52:53], v[4:5], v[52:53]
	v_cvt_f32_f64_e32 v91, v[91:92]
	v_cvt_f32_f64_e32 v51, v[52:53]
	v_min3_f32 v89, v89, v91, v121
	v_min3_f32 v50, v50, v51, v114
	v_add_f64 v[51:52], v[36:37], v[48:49]
	v_add_f64 v[91:92], v[34:35], v[46:47]
	v_cvt_f32_f64_e32 v51, v[51:52]
	v_cvt_f32_f64_e32 v53, v[91:92]
	v_add_f64 v[91:92], v[30:31], v[46:47]
	v_min3_f32 v51, v53, v51, v115
	v_add_f64 v[52:53], v[32:33], v[48:49]
	v_cvt_f32_f64_e32 v91, v[91:92]
	v_cvt_f32_f64_e32 v52, v[52:53]
	;; [unrolled: 1-line block ×3, first 2 shown]
	v_add_f64 v[95:96], v[18:19], v[46:47]
	v_min3_f32 v52, v91, v52, v116
	v_add_f64 v[91:92], v[28:29], v[48:49]
	v_cvt_f32_f64_e32 v93, v[95:96]
	v_add_f64 v[95:96], v[14:15], v[46:47]
	v_cvt_f32_f64_e32 v91, v[91:92]
	v_cvt_f32_f64_e32 v95, v[95:96]
	v_min3_f32 v53, v53, v91, v117
	v_add_f64 v[91:92], v[20:21], v[48:49]
	v_cvt_f32_f64_e32 v91, v[91:92]
	v_min3_f32 v91, v93, v91, v122
	v_add_f64 v[92:93], v[16:17], v[48:49]
	v_cvt_f32_f64_e32 v92, v[92:93]
	v_cvt_f32_f64_e32 v93, v[99:100]
	v_add_f64 v[99:100], v[6:7], v[46:47]
	v_add_f64 v[46:47], v[2:3], v[46:47]
	v_min3_f32 v92, v95, v92, v123
	v_add_f64 v[95:96], v[12:13], v[48:49]
	v_cvt_f32_f64_e32 v46, v[46:47]
	v_cvt_f32_f64_e32 v95, v[95:96]
	v_min3_f32 v153, v93, v95, v124
	v_add_f64 v[95:96], v[8:9], v[48:49]
	v_add_f64 v[48:49], v[4:5], v[48:49]
	v_cvt_f32_f64_e32 v93, v[99:100]
	v_add_f64 v[99:100], v[26:27], v[42:43]
	v_cvt_f32_f64_e32 v95, v[95:96]
	v_cvt_f32_f64_e32 v47, v[48:49]
	v_min3_f32 v154, v93, v95, v125
	v_min3_f32 v46, v46, v47, v112
	v_add_f64 v[47:48], v[36:37], v[44:45]
	v_add_f64 v[95:96], v[34:35], v[42:43]
	v_cvt_f32_f64_e32 v47, v[47:48]
	v_cvt_f32_f64_e32 v49, v[95:96]
	v_add_f64 v[95:96], v[30:31], v[42:43]
	v_min3_f32 v47, v49, v47, v113
	v_add_f64 v[48:49], v[32:33], v[44:45]
	v_cvt_f32_f64_e32 v93, v[95:96]
	v_add_f64 v[95:96], v[28:29], v[44:45]
	v_cvt_f32_f64_e32 v48, v[48:49]
	v_cvt_f32_f64_e32 v49, v[99:100]
	v_add_f64 v[99:100], v[18:19], v[42:43]
	v_min3_f32 v48, v93, v48, v126
	v_cvt_f32_f64_e32 v93, v[95:96]
	v_add_f64 v[95:96], v[20:21], v[44:45]
	v_min3_f32 v49, v49, v93, v127
	v_cvt_f32_f64_e32 v93, v[99:100]
	v_cvt_f32_f64_e32 v95, v[95:96]
	v_add_f64 v[99:100], v[14:15], v[42:43]
	v_min3_f32 v155, v93, v95, v128
	v_add_f64 v[95:96], v[16:17], v[44:45]
	v_cvt_f32_f64_e32 v93, v[99:100]
	v_add_f64 v[99:100], v[10:11], v[42:43]
	v_cvt_f32_f64_e32 v95, v[95:96]
	v_min3_f32 v156, v93, v95, v129
	v_add_f64 v[95:96], v[12:13], v[44:45]
	v_cvt_f32_f64_e32 v93, v[99:100]
	v_add_f64 v[99:100], v[6:7], v[42:43]
	v_add_f64 v[42:43], v[2:3], v[42:43]
	v_cvt_f32_f64_e32 v95, v[95:96]
	v_cvt_f32_f64_e32 v42, v[42:43]
	v_min3_f32 v157, v93, v95, v171
	v_add_f64 v[95:96], v[8:9], v[44:45]
	v_add_f64 v[44:45], v[4:5], v[44:45]
	v_cvt_f32_f64_e32 v93, v[99:100]
	v_add_f64 v[99:100], v[26:27], v[38:39]
	v_add_f64 v[26:27], v[26:27], v[22:23]
	v_cvt_f32_f64_e32 v95, v[95:96]
	v_cvt_f32_f64_e32 v43, v[44:45]
	;; [unrolled: 1-line block ×3, first 2 shown]
	v_min3_f32 v158, v93, v95, v170
	v_min3_f32 v42, v42, v43, v169
	v_add_f64 v[43:44], v[36:37], v[40:41]
	v_add_f64 v[95:96], v[34:35], v[38:39]
	;; [unrolled: 1-line block ×4, first 2 shown]
	v_cvt_f32_f64_e32 v43, v[43:44]
	v_cvt_f32_f64_e32 v45, v[95:96]
	v_add_f64 v[95:96], v[30:31], v[38:39]
	v_add_f64 v[30:31], v[30:31], v[22:23]
	v_cvt_f32_f64_e32 v34, v[34:35]
	v_cvt_f32_f64_e32 v35, v[36:37]
	v_min3_f32 v43, v45, v43, v168
	v_add_f64 v[44:45], v[32:33], v[40:41]
	v_cvt_f32_f64_e32 v93, v[95:96]
	v_add_f64 v[95:96], v[28:29], v[40:41]
	v_add_f64 v[32:33], v[32:33], v[24:25]
	;; [unrolled: 1-line block ×3, first 2 shown]
	v_cvt_f32_f64_e32 v30, v[30:31]
	v_min3_f32 v196, v34, v35, v98
	v_cvt_f32_f64_e32 v44, v[44:45]
	v_cvt_f32_f64_e32 v45, v[99:100]
	v_add_f64 v[99:100], v[18:19], v[38:39]
	v_add_f64 v[18:19], v[18:19], v[22:23]
	v_cvt_f32_f64_e32 v31, v[32:33]
	v_cvt_f32_f64_e32 v27, v[28:29]
	v_min3_f32 v44, v93, v44, v106
	v_cvt_f32_f64_e32 v93, v[95:96]
	v_add_f64 v[95:96], v[20:21], v[40:41]
	v_add_f64 v[20:21], v[20:21], v[24:25]
	v_cvt_f32_f64_e32 v18, v[18:19]
	v_min3_f32 v197, v30, v31, v94
	v_min3_f32 v198, v26, v27, v90
	;; [unrolled: 1-line block ×3, first 2 shown]
	v_cvt_f32_f64_e32 v93, v[99:100]
	v_cvt_f32_f64_e32 v95, v[95:96]
	v_add_f64 v[99:100], v[14:15], v[38:39]
	v_add_f64 v[14:15], v[14:15], v[22:23]
	v_cvt_f32_f64_e32 v19, v[20:21]
	v_min3_f32 v159, v93, v95, v108
	v_add_f64 v[95:96], v[16:17], v[40:41]
	v_cvt_f32_f64_e32 v93, v[99:100]
	v_add_f64 v[99:100], v[10:11], v[38:39]
	v_add_f64 v[16:17], v[16:17], v[24:25]
	;; [unrolled: 1-line block ×3, first 2 shown]
	v_cvt_f32_f64_e32 v14, v[14:15]
	v_min3_f32 v199, v18, v19, v86
	v_cvt_f32_f64_e32 v95, v[95:96]
	v_cvt_f32_f64_e32 v15, v[16:17]
	;; [unrolled: 1-line block ×3, first 2 shown]
	v_min3_f32 v160, v93, v95, v109
	v_add_f64 v[95:96], v[12:13], v[40:41]
	v_cvt_f32_f64_e32 v93, v[99:100]
	v_add_f64 v[99:100], v[6:7], v[38:39]
	v_add_f64 v[38:39], v[2:3], v[38:39]
	;; [unrolled: 1-line block ×5, first 2 shown]
	v_min3_f32 v200, v14, v15, v82
	v_cvt_f32_f64_e32 v95, v[95:96]
	v_cvt_f32_f64_e32 v38, v[38:39]
	;; [unrolled: 1-line block ×5, first 2 shown]
	v_min3_f32 v161, v93, v95, v110
	v_add_f64 v[95:96], v[8:9], v[40:41]
	v_add_f64 v[40:41], v[4:5], v[40:41]
	;; [unrolled: 1-line block ×4, first 2 shown]
	v_cvt_f32_f64_e32 v93, v[99:100]
	v_min3_f32 v201, v10, v11, v78
	v_cvt_f32_f64_e32 v95, v[95:96]
	v_cvt_f32_f64_e32 v39, v[40:41]
	;; [unrolled: 1-line block ×4, first 2 shown]
	v_min3_f32 v178, v93, v95, v111
	v_min3_f32 v181, v38, v39, v102
	v_min3_f32 v202, v6, v7, v71
	v_min3_f32 v203, v2, v3, v73
	ds_read_b128 v[6:9], v150 offset:1024
	ds_read_b128 v[10:13], v150 offset:2048
	;; [unrolled: 1-line block ×14, first 2 shown]
	ds_read_b128 v[97:100], v175
	ds_read_b128 v[34:37], v175 offset:16
	ds_read_b128 v[192:195], v150
	ds_read_b128 v[2:5], v150 offset:16
	s_waitcnt lgkmcnt(1)
	v_add_f64 v[101:102], v[194:195], v[99:100]
	v_add_f64 v[103:104], v[192:193], v[97:98]
	v_cvt_f32_f64_e32 v73, v[101:102]
	v_cvt_f32_f64_e32 v71, v[103:104]
	v_add_f64 v[101:102], v[8:9], v[99:100]
	v_add_f64 v[103:104], v[6:7], v[97:98]
	v_min3_f32 v129, v71, v73, v66
	v_cvt_f32_f64_e32 v71, v[101:102]
	v_cvt_f32_f64_e32 v66, v[103:104]
	v_add_f64 v[101:102], v[10:11], v[97:98]
	v_min3_f32 v128, v66, v71, v67
	v_add_f64 v[66:67], v[12:13], v[99:100]
	v_cvt_f32_f64_e32 v71, v[101:102]
	v_add_f64 v[101:102], v[14:15], v[97:98]
	v_cvt_f32_f64_e32 v66, v[66:67]
	v_min3_f32 v127, v71, v66, v68
	v_add_f64 v[66:67], v[16:17], v[99:100]
	v_cvt_f32_f64_e32 v68, v[101:102]
	v_cvt_f32_f64_e32 v66, v[66:67]
	v_min3_f32 v126, v68, v66, v69
	v_add_f64 v[66:67], v[20:21], v[99:100]
	v_add_f64 v[68:69], v[18:19], v[97:98]
	v_cvt_f32_f64_e32 v66, v[66:67]
	v_cvt_f32_f64_e32 v68, v[68:69]
	v_min3_f32 v125, v68, v66, v70
	v_add_f64 v[66:67], v[24:25], v[99:100]
	;; [unrolled: 5-line block ×11, first 2 shown]
	v_add_f64 v[64:65], v[26:27], v[38:39]
	v_add_f64 v[40:41], v[32:33], v[40:41]
	;; [unrolled: 1-line block ×3, first 2 shown]
	v_cvt_f32_f64_e32 v62, v[62:63]
	v_cvt_f32_f64_e32 v64, v[64:65]
	v_cvt_f32_f64_e32 v38, v[38:39]
	v_cvt_f32_f64_e32 v39, v[40:41]
	v_add_f64 v[40:41], v[192:193], v[93:94]
	v_min3_f32 v115, v64, v62, v79
	v_min3_f32 v114, v38, v39, v58
	v_add_f64 v[38:39], v[194:195], v[95:96]
	v_cvt_f32_f64_e32 v40, v[40:41]
	v_cvt_f32_f64_e32 v38, v[38:39]
	v_min3_f32 v113, v40, v38, v59
	v_add_f64 v[38:39], v[8:9], v[95:96]
	v_add_f64 v[40:41], v[6:7], v[93:94]
	v_cvt_f32_f64_e32 v38, v[38:39]
	v_cvt_f32_f64_e32 v40, v[40:41]
	v_min3_f32 v112, v40, v38, v60
	v_add_f64 v[38:39], v[12:13], v[95:96]
	v_add_f64 v[40:41], v[10:11], v[93:94]
	v_cvt_f32_f64_e32 v38, v[38:39]
	v_cvt_f32_f64_e32 v40, v[40:41]
	v_min3_f32 v111, v40, v38, v61
	v_add_f64 v[38:39], v[16:17], v[95:96]
	v_add_f64 v[40:41], v[14:15], v[93:94]
	v_cvt_f32_f64_e32 v38, v[38:39]
	v_cvt_f32_f64_e32 v40, v[40:41]
	v_min3_f32 v110, v40, v38, v80
	v_add_f64 v[38:39], v[20:21], v[95:96]
	v_add_f64 v[40:41], v[18:19], v[93:94]
	v_cvt_f32_f64_e32 v38, v[38:39]
	v_cvt_f32_f64_e32 v40, v[40:41]
	v_min3_f32 v109, v40, v38, v81
	v_add_f64 v[38:39], v[24:25], v[95:96]
	v_add_f64 v[40:41], v[22:23], v[93:94]
	v_cvt_f32_f64_e32 v38, v[38:39]
	v_cvt_f32_f64_e32 v40, v[40:41]
	v_min3_f32 v108, v40, v38, v83
	v_add_f64 v[38:39], v[28:29], v[95:96]
	v_add_f64 v[40:41], v[26:27], v[93:94]
	v_cvt_f32_f64_e32 v38, v[38:39]
	v_cvt_f32_f64_e32 v40, v[40:41]
	v_min3_f32 v107, v40, v38, v84
	v_add_f64 v[38:39], v[32:33], v[95:96]
	v_add_f64 v[40:41], v[30:31], v[93:94]
	v_cvt_f32_f64_e32 v38, v[38:39]
	v_cvt_f32_f64_e32 v40, v[40:41]
	v_min3_f32 v106, v40, v38, v54
	v_add_f64 v[38:39], v[194:195], v[164:165]
	v_add_f64 v[40:41], v[192:193], v[162:163]
	v_cvt_f32_f64_e32 v38, v[38:39]
	v_cvt_f32_f64_e32 v40, v[40:41]
	v_min3_f32 v105, v40, v38, v55
	v_add_f64 v[38:39], v[8:9], v[164:165]
	v_add_f64 v[40:41], v[6:7], v[162:163]
	v_cvt_f32_f64_e32 v38, v[38:39]
	v_cvt_f32_f64_e32 v40, v[40:41]
	v_min3_f32 v104, v40, v38, v56
	v_add_f64 v[38:39], v[12:13], v[164:165]
	v_add_f64 v[40:41], v[10:11], v[162:163]
	v_cvt_f32_f64_e32 v38, v[38:39]
	v_cvt_f32_f64_e32 v40, v[40:41]
	v_min3_f32 v103, v40, v38, v57
	v_add_f64 v[38:39], v[16:17], v[164:165]
	v_add_f64 v[40:41], v[14:15], v[162:163]
	v_cvt_f32_f64_e32 v38, v[38:39]
	v_cvt_f32_f64_e32 v40, v[40:41]
	v_min3_f32 v102, v40, v38, v85
	v_add_f64 v[38:39], v[20:21], v[164:165]
	v_add_f64 v[40:41], v[18:19], v[162:163]
	v_cvt_f32_f64_e32 v38, v[38:39]
	v_cvt_f32_f64_e32 v40, v[40:41]
	v_min3_f32 v101, v40, v38, v87
	v_add_f64 v[38:39], v[24:25], v[164:165]
	v_add_f64 v[40:41], v[22:23], v[162:163]
	v_cvt_f32_f64_e32 v38, v[38:39]
	v_cvt_f32_f64_e32 v40, v[40:41]
	v_min3_f32 v100, v40, v38, v88
	v_add_f64 v[38:39], v[28:29], v[164:165]
	v_add_f64 v[40:41], v[26:27], v[162:163]
	v_cvt_f32_f64_e32 v38, v[38:39]
	v_cvt_f32_f64_e32 v40, v[40:41]
	v_min3_f32 v99, v40, v38, v89
	v_add_f64 v[38:39], v[32:33], v[164:165]
	v_add_f64 v[40:41], v[30:31], v[162:163]
	v_cvt_f32_f64_e32 v38, v[38:39]
	v_cvt_f32_f64_e32 v40, v[40:41]
	v_min3_f32 v98, v40, v38, v50
	v_add_f64 v[38:39], v[194:195], v[168:169]
	v_add_f64 v[40:41], v[192:193], v[166:167]
	v_cvt_f32_f64_e32 v38, v[38:39]
	v_cvt_f32_f64_e32 v40, v[40:41]
	v_min3_f32 v97, v40, v38, v51
	v_add_f64 v[38:39], v[8:9], v[168:169]
	v_add_f64 v[40:41], v[6:7], v[166:167]
	v_cvt_f32_f64_e32 v38, v[38:39]
	v_cvt_f32_f64_e32 v40, v[40:41]
	v_min3_f32 v96, v40, v38, v52
	v_add_f64 v[38:39], v[12:13], v[168:169]
	v_add_f64 v[40:41], v[10:11], v[166:167]
	v_cvt_f32_f64_e32 v38, v[38:39]
	v_cvt_f32_f64_e32 v40, v[40:41]
	v_min3_f32 v95, v40, v38, v53
	v_add_f64 v[38:39], v[16:17], v[168:169]
	v_add_f64 v[40:41], v[14:15], v[166:167]
	v_cvt_f32_f64_e32 v38, v[38:39]
	v_cvt_f32_f64_e32 v40, v[40:41]
	v_min3_f32 v94, v40, v38, v91
	v_add_f64 v[38:39], v[20:21], v[168:169]
	v_add_f64 v[40:41], v[18:19], v[166:167]
	v_cvt_f32_f64_e32 v38, v[38:39]
	v_cvt_f32_f64_e32 v40, v[40:41]
	v_min3_f32 v93, v40, v38, v92
	v_add_f64 v[38:39], v[24:25], v[168:169]
	v_add_f64 v[40:41], v[22:23], v[166:167]
	v_cvt_f32_f64_e32 v38, v[38:39]
	v_cvt_f32_f64_e32 v40, v[40:41]
	v_min3_f32 v92, v40, v38, v153
	v_add_f64 v[38:39], v[28:29], v[168:169]
	v_add_f64 v[40:41], v[26:27], v[166:167]
	v_cvt_f32_f64_e32 v38, v[38:39]
	v_cvt_f32_f64_e32 v40, v[40:41]
	v_min3_f32 v91, v40, v38, v154
	v_add_f64 v[38:39], v[32:33], v[168:169]
	v_add_f64 v[40:41], v[30:31], v[166:167]
	s_waitcnt lgkmcnt(0)
	v_add_f64 v[153:154], v[4:5], v[36:37]
	v_cvt_f32_f64_e32 v38, v[38:39]
	v_cvt_f32_f64_e32 v40, v[40:41]
	;; [unrolled: 1-line block ×3, first 2 shown]
	v_min3_f32 v90, v40, v38, v46
	v_add_f64 v[38:39], v[194:195], v[172:173]
	v_add_f64 v[40:41], v[192:193], v[170:171]
	v_cvt_f32_f64_e32 v38, v[38:39]
	v_cvt_f32_f64_e32 v40, v[40:41]
	v_min3_f32 v89, v40, v38, v47
	v_add_f64 v[38:39], v[8:9], v[172:173]
	v_add_f64 v[40:41], v[6:7], v[170:171]
	v_cvt_f32_f64_e32 v38, v[38:39]
	v_cvt_f32_f64_e32 v40, v[40:41]
	;; [unrolled: 5-line block ×5, first 2 shown]
	v_min3_f32 v85, v40, v38, v156
	v_add_f64 v[38:39], v[24:25], v[172:173]
	v_add_f64 v[40:41], v[22:23], v[170:171]
	;; [unrolled: 1-line block ×3, first 2 shown]
	v_cvt_f32_f64_e32 v38, v[38:39]
	v_cvt_f32_f64_e32 v40, v[40:41]
	;; [unrolled: 1-line block ×3, first 2 shown]
	v_min3_f32 v84, v40, v38, v157
	v_add_f64 v[38:39], v[28:29], v[172:173]
	v_add_f64 v[40:41], v[26:27], v[170:171]
	v_min3_f32 v224, v155, v153, v129
	v_cvt_f32_f64_e32 v38, v[38:39]
	v_cvt_f32_f64_e32 v40, v[40:41]
	v_min3_f32 v83, v40, v38, v158
	v_add_f64 v[38:39], v[32:33], v[172:173]
	v_add_f64 v[40:41], v[30:31], v[170:171]
	v_cvt_f32_f64_e32 v38, v[38:39]
	v_cvt_f32_f64_e32 v40, v[40:41]
	v_min3_f32 v82, v40, v38, v42
	v_add_f64 v[38:39], v[194:195], v[186:187]
	v_add_f64 v[40:41], v[192:193], v[184:185]
	;; [unrolled: 5-line block ×3, first 2 shown]
	v_add_f64 v[8:9], v[8:9], v[190:191]
	v_add_f64 v[6:7], v[6:7], v[188:189]
	v_cvt_f32_f64_e32 v38, v[38:39]
	v_cvt_f32_f64_e32 v40, v[40:41]
	;; [unrolled: 1-line block ×4, first 2 shown]
	v_add_f64 v[8:9], v[10:11], v[188:189]
	v_min3_f32 v80, v40, v38, v44
	v_add_f64 v[38:39], v[12:13], v[186:187]
	v_add_f64 v[40:41], v[10:11], v[184:185]
	v_min3_f32 v72, v6, v7, v197
	v_add_f64 v[6:7], v[12:13], v[190:191]
	v_cvt_f32_f64_e32 v8, v[8:9]
	v_cvt_f32_f64_e32 v38, v[38:39]
	v_cvt_f32_f64_e32 v40, v[40:41]
	v_cvt_f32_f64_e32 v6, v[6:7]
	v_min3_f32 v79, v40, v38, v45
	v_add_f64 v[38:39], v[16:17], v[186:187]
	v_add_f64 v[40:41], v[14:15], v[184:185]
	v_min3_f32 v71, v8, v6, v198
	v_add_f64 v[6:7], v[16:17], v[190:191]
	v_add_f64 v[8:9], v[14:15], v[188:189]
	v_cvt_f32_f64_e32 v38, v[38:39]
	v_cvt_f32_f64_e32 v40, v[40:41]
	v_cvt_f32_f64_e32 v6, v[6:7]
	v_cvt_f32_f64_e32 v8, v[8:9]
	v_min3_f32 v78, v40, v38, v159
	v_add_f64 v[38:39], v[20:21], v[186:187]
	v_add_f64 v[40:41], v[18:19], v[184:185]
	v_min3_f32 v70, v8, v6, v199
	v_add_f64 v[6:7], v[20:21], v[190:191]
	v_add_f64 v[8:9], v[18:19], v[188:189]
	v_cvt_f32_f64_e32 v38, v[38:39]
	v_cvt_f32_f64_e32 v40, v[40:41]
	v_cvt_f32_f64_e32 v6, v[6:7]
	v_cvt_f32_f64_e32 v8, v[8:9]
	v_min3_f32 v77, v40, v38, v160
	v_add_f64 v[38:39], v[24:25], v[186:187]
	v_add_f64 v[40:41], v[22:23], v[184:185]
	v_min3_f32 v69, v8, v6, v200
	v_add_f64 v[6:7], v[24:25], v[190:191]
	v_add_f64 v[8:9], v[22:23], v[188:189]
	v_cvt_f32_f64_e32 v38, v[38:39]
	v_cvt_f32_f64_e32 v40, v[40:41]
	v_cvt_f32_f64_e32 v6, v[6:7]
	v_cvt_f32_f64_e32 v8, v[8:9]
	v_min3_f32 v76, v40, v38, v161
	v_add_f64 v[38:39], v[28:29], v[186:187]
	v_add_f64 v[40:41], v[26:27], v[184:185]
	v_min3_f32 v68, v8, v6, v201
	v_add_f64 v[6:7], v[28:29], v[190:191]
	v_add_f64 v[8:9], v[26:27], v[188:189]
	v_cvt_f32_f64_e32 v38, v[38:39]
	v_cvt_f32_f64_e32 v40, v[40:41]
	v_cvt_f32_f64_e32 v6, v[6:7]
	v_cvt_f32_f64_e32 v8, v[8:9]
	v_min3_f32 v75, v40, v38, v178
	v_add_f64 v[38:39], v[32:33], v[186:187]
	v_add_f64 v[40:41], v[30:31], v[184:185]
	v_min3_f32 v67, v8, v6, v202
	v_add_f64 v[6:7], v[32:33], v[190:191]
	v_add_f64 v[8:9], v[30:31], v[188:189]
	v_cvt_f32_f64_e32 v38, v[38:39]
	v_cvt_f32_f64_e32 v40, v[40:41]
	;; [unrolled: 1-line block ×4, first 2 shown]
	v_min3_f32 v74, v40, v38, v181
	v_add_f64 v[38:39], v[194:195], v[190:191]
	v_add_f64 v[40:41], v[192:193], v[188:189]
	v_min3_f32 v66, v8, v6, v203
	v_cvt_f32_f64_e32 v38, v[38:39]
	v_cvt_f32_f64_e32 v40, v[40:41]
	v_min3_f32 v73, v40, v38, v196
	ds_read_b128 v[22:25], v150 offset:1040
	ds_read_b128 v[18:21], v150 offset:2064
	;; [unrolled: 1-line block ×14, first 2 shown]
	s_waitcnt vmcnt(0)
	ds_write2st64_b64 v176, v[140:141], v[142:143] offset1:4
	ds_write2st64_b64 v176, v[144:145], v[146:147] offset0:8 offset1:12
	ds_write_b64 v177, v[138:139]
	s_waitcnt lgkmcnt(0)
	s_barrier
	buffer_gl0_inv
	v_add_f64 v[153:154], v[24:25], v[36:37]
	v_add_f64 v[155:156], v[22:23], v[34:35]
	v_cvt_f32_f64_e32 v153, v[153:154]
	v_cvt_f32_f64_e32 v129, v[155:156]
	v_min3_f32 v223, v129, v153, v128
	v_add_f64 v[128:129], v[20:21], v[36:37]
	v_add_f64 v[153:154], v[18:19], v[34:35]
	v_cvt_f32_f64_e32 v128, v[128:129]
	v_cvt_f32_f64_e32 v153, v[153:154]
	v_min3_f32 v222, v153, v128, v127
	;; [unrolled: 5-line block ×5, first 2 shown]
	v_add_f64 v[124:125], v[32:33], v[36:37]
	v_add_f64 v[126:127], v[30:31], v[34:35]
	;; [unrolled: 1-line block ×4, first 2 shown]
	v_cvt_f32_f64_e32 v124, v[124:125]
	v_cvt_f32_f64_e32 v126, v[126:127]
	;; [unrolled: 1-line block ×4, first 2 shown]
	v_add_f64 v[36:37], v[2:3], v[62:63]
	v_min3_f32 v218, v126, v124, v123
	v_min3_f32 v217, v34, v35, v122
	v_add_f64 v[34:35], v[4:5], v[64:65]
	v_cvt_f32_f64_e32 v36, v[36:37]
	v_cvt_f32_f64_e32 v34, v[34:35]
	v_min3_f32 v216, v36, v34, v121
	v_add_f64 v[34:35], v[24:25], v[64:65]
	v_add_f64 v[36:37], v[22:23], v[62:63]
	v_cvt_f32_f64_e32 v34, v[34:35]
	v_cvt_f32_f64_e32 v36, v[36:37]
	v_min3_f32 v215, v36, v34, v120
	v_add_f64 v[34:35], v[20:21], v[64:65]
	;; [unrolled: 5-line block ×40, first 2 shown]
	v_add_f64 v[36:37], v[2:3], v[42:43]
	v_add_f64 v[4:5], v[4:5], v[40:41]
	;; [unrolled: 1-line block ×3, first 2 shown]
	v_cvt_f32_f64_e32 v34, v[34:35]
	v_cvt_f32_f64_e32 v36, v[36:37]
	;; [unrolled: 1-line block ×4, first 2 shown]
	v_add_f64 v[4:5], v[22:23], v[38:39]
	v_min3_f32 v168, v36, v34, v81
	v_add_f64 v[34:35], v[24:25], v[44:45]
	v_add_f64 v[36:37], v[22:23], v[42:43]
	v_min3_f32 v160, v2, v3, v73
	v_add_f64 v[2:3], v[24:25], v[40:41]
	v_cvt_f32_f64_e32 v4, v[4:5]
	v_cvt_f32_f64_e32 v34, v[34:35]
	v_cvt_f32_f64_e32 v36, v[36:37]
	v_cvt_f32_f64_e32 v2, v[2:3]
	v_min3_f32 v167, v36, v34, v80
	v_add_f64 v[34:35], v[20:21], v[44:45]
	v_add_f64 v[36:37], v[18:19], v[42:43]
	v_min3_f32 v159, v4, v2, v72
	v_add_f64 v[2:3], v[20:21], v[40:41]
	v_add_f64 v[4:5], v[18:19], v[38:39]
	v_cvt_f32_f64_e32 v34, v[34:35]
	v_cvt_f32_f64_e32 v36, v[36:37]
	v_cvt_f32_f64_e32 v2, v[2:3]
	v_cvt_f32_f64_e32 v4, v[4:5]
	v_min3_f32 v166, v36, v34, v79
	v_add_f64 v[34:35], v[16:17], v[44:45]
	v_add_f64 v[36:37], v[14:15], v[42:43]
	v_min3_f32 v158, v4, v2, v71
	v_add_f64 v[2:3], v[16:17], v[40:41]
	;; [unrolled: 10-line block ×6, first 2 shown]
	v_add_f64 v[4:5], v[26:27], v[38:39]
	v_cvt_f32_f64_e32 v34, v[34:35]
	v_cvt_f32_f64_e32 v36, v[36:37]
	;; [unrolled: 1-line block ×4, first 2 shown]
	v_min3_f32 v161, v36, v34, v74
	v_min3_f32 v153, v4, v2, v66
	s_cbranch_scc1 .LBB109_51
.LBB109_31:                             ; =>This Inner Loop Header: Depth=1
	v_add_nc_u32_e32 v226, s21, v148
	v_mov_b32_e32 v139, v137
	v_mov_b32_e32 v138, v136
	v_add_nc_u32_e32 v2, 8, v226
	v_cmp_le_i32_e64 s3, s14, v2
	s_nor_b32 s6, vcc_lo, s3
	s_and_saveexec_b32 s22, s6
	s_cbranch_execz .LBB109_33
; %bb.32:                               ;   in Loop: Header=BB109_31 Depth=1
	v_add_co_u32 v2, s6, v182, v132
	v_add_co_ci_u32_e64 v3, null, v183, v133, s6
	flat_load_dwordx2 v[138:139], v[2:3]
.LBB109_33:                             ;   in Loop: Header=BB109_31 Depth=1
	s_or_b32 exec_lo, exec_lo, s22
	v_mov_b32_e32 v141, v137
	v_mov_b32_e32 v140, v136
	s_nor_b32 s6, s0, s3
	s_and_saveexec_b32 s22, s6
	s_cbranch_execz .LBB109_35
; %bb.34:                               ;   in Loop: Header=BB109_31 Depth=1
	v_add_co_u32 v2, s6, v182, v132
	v_add_co_ci_u32_e64 v3, null, v183, v133, s6
	flat_load_dwordx2 v[140:141], v[2:3] offset:512
.LBB109_35:                             ;   in Loop: Header=BB109_31 Depth=1
	s_or_b32 exec_lo, exec_lo, s22
	v_mov_b32_e32 v143, v137
	v_mov_b32_e32 v142, v136
	s_nor_b32 s6, s1, s3
	s_and_saveexec_b32 s22, s6
	s_cbranch_execz .LBB109_37
; %bb.36:                               ;   in Loop: Header=BB109_31 Depth=1
	v_add_co_u32 v2, s6, v182, v132
	v_add_co_ci_u32_e64 v3, null, v183, v133, s6
	flat_load_dwordx2 v[142:143], v[2:3] offset:1024
.LBB109_37:                             ;   in Loop: Header=BB109_31 Depth=1
	;; [unrolled: 11-line block ×3, first 2 shown]
	s_or_b32 exec_lo, exec_lo, s6
	v_add_nc_u32_e32 v225, s21, v151
	v_mov_b32_e32 v147, v137
	v_mov_b32_e32 v146, v136
	v_add_nc_u32_e32 v2, 8, v225
	v_cmp_gt_i32_e64 s3, s14, v2
	s_and_b32 s3, s3, s7
	s_and_saveexec_b32 s6, s3
	s_cbranch_execz .LBB109_41
; %bb.40:                               ;   in Loop: Header=BB109_31 Depth=1
	v_add_co_u32 v2, s3, 0xffffffe0, v130
	v_add_co_ci_u32_e64 v3, null, -1, v131, s3
	flat_load_dwordx2 v[146:147], v[2:3]
.LBB109_41:                             ;   in Loop: Header=BB109_31 Depth=1
	s_or_b32 exec_lo, exec_lo, s6
	ds_read_b128 v[126:129], v180
	ds_read_b128 v[62:65], v180 offset:16
	ds_read_b128 v[98:101], v179
	ds_read_b128 v[34:37], v179 offset:16
	ds_read_b128 v[94:97], v179 offset:1024
	;; [unrolled: 1-line block ×29, first 2 shown]
	v_add_nc_u32_e32 v226, 12, v226
	s_waitcnt vmcnt(0) lgkmcnt(32)
	ds_write2st64_b64 v152, v[138:139], v[140:141] offset1:4
	ds_write2st64_b64 v152, v[142:143], v[144:145] offset0:8 offset1:12
	v_mov_b32_e32 v141, v137
	v_mov_b32_e32 v140, v136
	ds_write_b64 v174, v[146:147]
	v_cmp_le_i32_e64 s3, s14, v226
	s_waitcnt lgkmcnt(0)
	s_barrier
	buffer_gl0_inv
	s_nor_b32 s6, vcc_lo, s3
	s_and_saveexec_b32 s22, s6
	s_cbranch_execz .LBB109_43
; %bb.42:                               ;   in Loop: Header=BB109_31 Depth=1
	v_add_co_u32 v138, s6, v182, v134
	v_add_co_ci_u32_e64 v139, null, v183, v135, s6
	flat_load_dwordx2 v[140:141], v[138:139]
.LBB109_43:                             ;   in Loop: Header=BB109_31 Depth=1
	s_or_b32 exec_lo, exec_lo, s22
	v_mov_b32_e32 v143, v137
	v_mov_b32_e32 v142, v136
	s_nor_b32 s6, s0, s3
	s_and_saveexec_b32 s22, s6
	s_cbranch_execz .LBB109_45
; %bb.44:                               ;   in Loop: Header=BB109_31 Depth=1
	v_add_co_u32 v138, s6, v182, v134
	v_add_co_ci_u32_e64 v139, null, v183, v135, s6
	flat_load_dwordx2 v[142:143], v[138:139] offset:512
.LBB109_45:                             ;   in Loop: Header=BB109_31 Depth=1
	s_or_b32 exec_lo, exec_lo, s22
	v_mov_b32_e32 v145, v137
	v_mov_b32_e32 v144, v136
	s_nor_b32 s6, s1, s3
	s_and_saveexec_b32 s22, s6
	s_cbranch_execz .LBB109_47
; %bb.46:                               ;   in Loop: Header=BB109_31 Depth=1
	v_add_co_u32 v138, s6, v182, v134
	v_add_co_ci_u32_e64 v139, null, v183, v135, s6
	flat_load_dwordx2 v[144:145], v[138:139] offset:1024
.LBB109_47:                             ;   in Loop: Header=BB109_31 Depth=1
	;; [unrolled: 11-line block ×3, first 2 shown]
	s_or_b32 exec_lo, exec_lo, s6
	v_add_nc_u32_e32 v138, 12, v225
	v_cmp_gt_i32_e64 s3, s14, v138
	v_mov_b32_e32 v139, v137
	v_mov_b32_e32 v138, v136
	s_and_b32 s6, s3, s7
	s_and_saveexec_b32 s3, s6
	s_cbranch_execz .LBB109_30
; %bb.50:                               ;   in Loop: Header=BB109_31 Depth=1
	flat_load_dwordx2 v[138:139], v[130:131]
	s_branch .LBB109_30
.LBB109_51:
	s_clause 0x2
	s_load_dwordx2 s[0:1], s[4:5], 0x78
	s_load_dword s18, s[4:5], 0x58
	s_load_dword s14, s[4:5], 0x70
	ds_read_b128 v[70:73], v150 offset:8192
	ds_read_b128 v[66:69], v150 offset:8208
	ds_read_b128 v[126:129], v149 offset:18432
	ds_read_b128 v[122:125], v149 offset:18448
	ds_read_b128 v[62:65], v150 offset:9216
	ds_read_b128 v[58:61], v150 offset:9232
	ds_read_b128 v[54:57], v150 offset:10240
	ds_read_b128 v[50:53], v150 offset:10256
	ds_read_b128 v[46:49], v150 offset:11264
	ds_read_b128 v[42:45], v150 offset:11280
	ds_read_b128 v[38:41], v150 offset:12288
	ds_read_b128 v[34:37], v150 offset:12304
	ds_read_b128 v[30:33], v150 offset:13312
	ds_read_b128 v[26:29], v150 offset:13328
	ds_read_b128 v[22:25], v150 offset:14336
	ds_read_b128 v[18:21], v150 offset:14352
	ds_read_b128 v[6:9], v150 offset:15360
	v_add_nc_u32_e32 v145, s25, v1
	ds_read_b128 v[2:5], v150 offset:15376
	ds_read_b128 v[118:121], v149 offset:18688
	;; [unrolled: 1-line block ×15, first 2 shown]
	v_add_nc_u32_e32 v0, s15, v0
	v_cndmask_b32_e64 v144, 0, 1, s24
	v_ashrrev_i32_e32 v1, 31, v0
	s_waitcnt lgkmcnt(0)
	s_lshl_b64 s[0:1], s[0:1], 3
	v_mad_i64_i32 v[130:131], null, v145, s18, 0
	v_mad_i64_i32 v[132:133], null, v145, s14, 0
	s_add_u32 s19, s8, s0
	s_addc_u32 s9, s9, s1
	v_cmp_gt_i32_e64 s0, s12, v0
	v_cmp_gt_i32_e64 s8, s13, v145
	v_lshlrev_b64 v[130:131], 3, v[130:131]
	v_lshlrev_b64 v[132:133], 3, v[132:133]
	s_and_b32 s2, s0, s8
	v_add_co_u32 v148, vcc_lo, s16, v130
	v_add_co_ci_u32_e64 v149, null, s17, v131, vcc_lo
	v_add_co_u32 v146, vcc_lo, s19, v132
	v_add_co_ci_u32_e64 v147, null, s9, v133, vcc_lo
	s_and_saveexec_b32 s1, s2
	s_cbranch_execz .LBB109_56
; %bb.52:
	s_andn2_b32 vcc_lo, exec_lo, s24
	s_cbranch_vccnz .LBB109_54
; %bb.53:
	v_lshlrev_b64 v[130:131], 3, v[0:1]
	v_add_co_u32 v130, vcc_lo, v148, v130
	v_add_co_ci_u32_e64 v131, null, v149, v131, vcc_lo
	flat_load_dwordx2 v[130:131], v[130:131]
	s_waitcnt vmcnt(0) lgkmcnt(0)
	v_mul_f64 v[130:131], s[10:11], v[130:131]
	v_cvt_f32_f64_e32 v130, v[130:131]
	s_branch .LBB109_55
.LBB109_54:
	v_mov_b32_e32 v130, 0
.LBB109_55:
	v_add_f64 v[131:132], v[70:71], v[126:127]
	v_add_f64 v[133:134], v[72:73], v[128:129]
	;; [unrolled: 1-line block ×4, first 2 shown]
	v_cvt_f32_f64_e32 v131, v[131:132]
	v_cvt_f32_f64_e32 v132, v[133:134]
	v_cvt_f32_f64_e32 v133, v[135:136]
	v_cvt_f32_f64_e32 v134, v[137:138]
	v_min3_f32 v131, v131, v132, v224
	v_min_f32_e32 v132, v133, v134
	v_min3_f32 v130, v130, v132, v131
	v_lshlrev_b64 v[132:133], 3, v[0:1]
	v_cvt_f64_f32_e32 v[130:131], v130
	v_add_co_u32 v132, vcc_lo, v146, v132
	v_add_co_ci_u32_e64 v133, null, v147, v133, vcc_lo
	flat_store_dwordx2 v[132:133], v[130:131]
.LBB109_56:
	s_or_b32 exec_lo, exec_lo, s1
	v_add_nc_u32_e32 v130, 32, v0
	v_cmp_gt_i32_e64 s1, s12, v130
	v_ashrrev_i32_e32 v131, 31, v130
	s_and_b32 s3, s1, s8
	s_and_saveexec_b32 s2, s3
	s_cbranch_execz .LBB109_61
; %bb.57:
	v_cmp_ne_u32_e32 vcc_lo, 1, v144
	s_cbranch_vccnz .LBB109_59
; %bb.58:
	v_lshlrev_b64 v[132:133], 3, v[130:131]
	v_add_co_u32 v132, vcc_lo, v148, v132
	v_add_co_ci_u32_e64 v133, null, v149, v133, vcc_lo
	flat_load_dwordx2 v[132:133], v[132:133]
	s_waitcnt vmcnt(0) lgkmcnt(0)
	v_mul_f64 v[132:133], s[10:11], v[132:133]
	v_cvt_f32_f64_e32 v132, v[132:133]
	s_branch .LBB109_60
.LBB109_59:
	v_mov_b32_e32 v132, 0
.LBB109_60:
	v_add_f64 v[133:134], v[62:63], v[126:127]
	v_add_f64 v[135:136], v[64:65], v[128:129]
	v_add_f64 v[137:138], v[58:59], v[122:123]
	v_add_f64 v[139:140], v[60:61], v[124:125]
	v_cvt_f32_f64_e32 v133, v[133:134]
	v_cvt_f32_f64_e32 v134, v[135:136]
	v_cvt_f32_f64_e32 v135, v[137:138]
	v_cvt_f32_f64_e32 v136, v[139:140]
	v_min3_f32 v133, v133, v134, v223
	v_min_f32_e32 v134, v135, v136
	v_min3_f32 v132, v132, v134, v133
	v_lshlrev_b64 v[134:135], 3, v[130:131]
	v_cvt_f64_f32_e32 v[132:133], v132
	v_add_co_u32 v134, vcc_lo, v146, v134
	v_add_co_ci_u32_e64 v135, null, v147, v135, vcc_lo
	flat_store_dwordx2 v[134:135], v[132:133]
.LBB109_61:
	s_or_b32 exec_lo, exec_lo, s2
	v_add_nc_u32_e32 v132, 64, v0
	v_cmp_gt_i32_e64 s2, s12, v132
	v_ashrrev_i32_e32 v133, 31, v132
	s_and_b32 s4, s2, s8
	s_and_saveexec_b32 s3, s4
	s_cbranch_execz .LBB109_66
; %bb.62:
	v_cmp_ne_u32_e32 vcc_lo, 1, v144
	s_cbranch_vccnz .LBB109_64
; %bb.63:
	v_lshlrev_b64 v[134:135], 3, v[132:133]
	v_add_co_u32 v134, vcc_lo, v148, v134
	v_add_co_ci_u32_e64 v135, null, v149, v135, vcc_lo
	flat_load_dwordx2 v[134:135], v[134:135]
	s_waitcnt vmcnt(0) lgkmcnt(0)
	v_mul_f64 v[134:135], s[10:11], v[134:135]
	v_cvt_f32_f64_e32 v134, v[134:135]
	s_branch .LBB109_65
.LBB109_64:
	v_mov_b32_e32 v134, 0
.LBB109_65:
	v_add_f64 v[135:136], v[54:55], v[126:127]
	v_add_f64 v[137:138], v[56:57], v[128:129]
	v_add_f64 v[139:140], v[50:51], v[122:123]
	v_add_f64 v[141:142], v[52:53], v[124:125]
	v_cvt_f32_f64_e32 v135, v[135:136]
	v_cvt_f32_f64_e32 v136, v[137:138]
	v_cvt_f32_f64_e32 v137, v[139:140]
	v_cvt_f32_f64_e32 v138, v[141:142]
	v_min3_f32 v135, v135, v136, v222
	v_min_f32_e32 v136, v137, v138
	v_min3_f32 v134, v134, v136, v135
	v_lshlrev_b64 v[136:137], 3, v[132:133]
	v_cvt_f64_f32_e32 v[134:135], v134
	v_add_co_u32 v136, vcc_lo, v146, v136
	v_add_co_ci_u32_e64 v137, null, v147, v137, vcc_lo
	flat_store_dwordx2 v[136:137], v[134:135]
.LBB109_66:
	;; [unrolled: 39-line block ×7, first 2 shown]
	s_or_b32 exec_lo, exec_lo, s8
	v_add_nc_u32_e32 v126, 8, v145
	v_mad_i64_i32 v[122:123], null, v126, s18, 0
	v_mad_i64_i32 v[124:125], null, v126, s14, 0
	v_cmp_gt_i32_e64 s8, s13, v126
	v_lshlrev_b64 v[122:123], 3, v[122:123]
	s_and_b32 s15, s0, s8
	v_lshlrev_b64 v[126:127], 3, v[124:125]
	v_add_co_u32 v124, vcc_lo, s16, v122
	v_add_co_ci_u32_e64 v125, null, s17, v123, vcc_lo
	v_add_co_u32 v122, vcc_lo, s19, v126
	v_add_co_ci_u32_e64 v123, null, s9, v127, vcc_lo
	s_and_saveexec_b32 s12, s15
	s_cbranch_execnz .LBB109_99
; %bb.92:
	s_or_b32 exec_lo, exec_lo, s12
	s_and_b32 s15, s1, s8
	s_and_saveexec_b32 s12, s15
	s_cbranch_execnz .LBB109_103
.LBB109_93:
	s_or_b32 exec_lo, exec_lo, s12
	s_and_b32 s15, s2, s8
	s_and_saveexec_b32 s12, s15
	s_cbranch_execnz .LBB109_107
.LBB109_94:
	s_or_b32 exec_lo, exec_lo, s12
	s_and_b32 s15, s3, s8
	s_and_saveexec_b32 s12, s15
	s_cbranch_execnz .LBB109_111
.LBB109_95:
	s_or_b32 exec_lo, exec_lo, s12
	s_and_b32 s15, s4, s8
	s_and_saveexec_b32 s12, s15
	s_cbranch_execnz .LBB109_115
.LBB109_96:
	s_or_b32 exec_lo, exec_lo, s12
	s_and_b32 s15, s5, s8
	s_and_saveexec_b32 s12, s15
	s_cbranch_execnz .LBB109_119
.LBB109_97:
	s_or_b32 exec_lo, exec_lo, s12
	s_and_b32 s15, s6, s8
	s_and_saveexec_b32 s12, s15
	s_cbranch_execnz .LBB109_123
.LBB109_98:
	s_or_b32 exec_lo, exec_lo, s12
	s_and_b32 s12, s7, s8
	s_and_saveexec_b32 s8, s12
	s_cbranch_execnz .LBB109_127
	s_branch .LBB109_131
.LBB109_99:
	v_cmp_ne_u32_e32 vcc_lo, 1, v144
	s_cbranch_vccnz .LBB109_101
; %bb.100:
	v_lshlrev_b64 v[126:127], 3, v[0:1]
	v_add_co_u32 v126, vcc_lo, v124, v126
	v_add_co_ci_u32_e64 v127, null, v125, v127, vcc_lo
	flat_load_dwordx2 v[126:127], v[126:127]
	s_waitcnt vmcnt(0) lgkmcnt(0)
	v_mul_f64 v[126:127], s[10:11], v[126:127]
	v_cvt_f32_f64_e32 v126, v[126:127]
	s_branch .LBB109_102
.LBB109_101:
	v_mov_b32_e32 v126, 0
.LBB109_102:
	v_add_f64 v[127:128], v[70:71], v[118:119]
	v_add_f64 v[146:147], v[72:73], v[120:121]
	;; [unrolled: 1-line block ×4, first 2 shown]
	v_cvt_f32_f64_e32 v127, v[127:128]
	v_cvt_f32_f64_e32 v128, v[146:147]
	;; [unrolled: 1-line block ×4, first 2 shown]
	v_min3_f32 v127, v127, v128, v216
	v_min_f32_e32 v128, v129, v146
	v_min3_f32 v126, v126, v128, v127
	v_lshlrev_b64 v[128:129], 3, v[0:1]
	v_cvt_f64_f32_e32 v[126:127], v126
	v_add_co_u32 v128, vcc_lo, v122, v128
	v_add_co_ci_u32_e64 v129, null, v123, v129, vcc_lo
	flat_store_dwordx2 v[128:129], v[126:127]
	s_or_b32 exec_lo, exec_lo, s12
	s_and_b32 s15, s1, s8
	s_and_saveexec_b32 s12, s15
	s_cbranch_execz .LBB109_93
.LBB109_103:
	v_cmp_ne_u32_e32 vcc_lo, 1, v144
	s_cbranch_vccnz .LBB109_105
; %bb.104:
	v_lshlrev_b64 v[126:127], 3, v[130:131]
	v_add_co_u32 v126, vcc_lo, v124, v126
	v_add_co_ci_u32_e64 v127, null, v125, v127, vcc_lo
	flat_load_dwordx2 v[126:127], v[126:127]
	s_waitcnt vmcnt(0) lgkmcnt(0)
	v_mul_f64 v[126:127], s[10:11], v[126:127]
	v_cvt_f32_f64_e32 v126, v[126:127]
	s_branch .LBB109_106
.LBB109_105:
	v_mov_b32_e32 v126, 0
.LBB109_106:
	v_add_f64 v[127:128], v[62:63], v[118:119]
	v_add_f64 v[146:147], v[64:65], v[120:121]
	;; [unrolled: 1-line block ×4, first 2 shown]
	v_cvt_f32_f64_e32 v127, v[127:128]
	v_cvt_f32_f64_e32 v128, v[146:147]
	;; [unrolled: 1-line block ×4, first 2 shown]
	v_min3_f32 v127, v127, v128, v215
	v_min_f32_e32 v128, v129, v146
	v_min3_f32 v126, v126, v128, v127
	v_lshlrev_b64 v[128:129], 3, v[130:131]
	v_cvt_f64_f32_e32 v[126:127], v126
	v_add_co_u32 v128, vcc_lo, v122, v128
	v_add_co_ci_u32_e64 v129, null, v123, v129, vcc_lo
	flat_store_dwordx2 v[128:129], v[126:127]
	s_or_b32 exec_lo, exec_lo, s12
	s_and_b32 s15, s2, s8
	s_and_saveexec_b32 s12, s15
	s_cbranch_execz .LBB109_94
.LBB109_107:
	v_cmp_ne_u32_e32 vcc_lo, 1, v144
	s_cbranch_vccnz .LBB109_109
; %bb.108:
	v_lshlrev_b64 v[126:127], 3, v[132:133]
	v_add_co_u32 v126, vcc_lo, v124, v126
	v_add_co_ci_u32_e64 v127, null, v125, v127, vcc_lo
	flat_load_dwordx2 v[126:127], v[126:127]
	s_waitcnt vmcnt(0) lgkmcnt(0)
	v_mul_f64 v[126:127], s[10:11], v[126:127]
	v_cvt_f32_f64_e32 v126, v[126:127]
	s_branch .LBB109_110
.LBB109_109:
	v_mov_b32_e32 v126, 0
.LBB109_110:
	v_add_f64 v[127:128], v[54:55], v[118:119]
	v_add_f64 v[146:147], v[56:57], v[120:121]
	v_add_f64 v[148:149], v[50:51], v[114:115]
	v_add_f64 v[150:151], v[52:53], v[116:117]
	v_cvt_f32_f64_e32 v127, v[127:128]
	v_cvt_f32_f64_e32 v128, v[146:147]
	;; [unrolled: 1-line block ×4, first 2 shown]
	v_min3_f32 v127, v127, v128, v214
	v_min_f32_e32 v128, v129, v146
	v_min3_f32 v126, v126, v128, v127
	v_lshlrev_b64 v[128:129], 3, v[132:133]
	v_cvt_f64_f32_e32 v[126:127], v126
	v_add_co_u32 v128, vcc_lo, v122, v128
	v_add_co_ci_u32_e64 v129, null, v123, v129, vcc_lo
	flat_store_dwordx2 v[128:129], v[126:127]
	s_or_b32 exec_lo, exec_lo, s12
	s_and_b32 s15, s3, s8
	s_and_saveexec_b32 s12, s15
	s_cbranch_execz .LBB109_95
.LBB109_111:
	v_cmp_ne_u32_e32 vcc_lo, 1, v144
	s_cbranch_vccnz .LBB109_113
; %bb.112:
	v_lshlrev_b64 v[126:127], 3, v[134:135]
	v_add_co_u32 v126, vcc_lo, v124, v126
	v_add_co_ci_u32_e64 v127, null, v125, v127, vcc_lo
	flat_load_dwordx2 v[126:127], v[126:127]
	s_waitcnt vmcnt(0) lgkmcnt(0)
	v_mul_f64 v[126:127], s[10:11], v[126:127]
	v_cvt_f32_f64_e32 v126, v[126:127]
	s_branch .LBB109_114
.LBB109_113:
	v_mov_b32_e32 v126, 0
.LBB109_114:
	v_add_f64 v[127:128], v[46:47], v[118:119]
	v_add_f64 v[146:147], v[48:49], v[120:121]
	;; [unrolled: 1-line block ×4, first 2 shown]
	v_cvt_f32_f64_e32 v127, v[127:128]
	v_cvt_f32_f64_e32 v128, v[146:147]
	;; [unrolled: 1-line block ×4, first 2 shown]
	v_min3_f32 v127, v127, v128, v213
	v_min_f32_e32 v128, v129, v146
	v_min3_f32 v126, v126, v128, v127
	v_lshlrev_b64 v[128:129], 3, v[134:135]
	v_cvt_f64_f32_e32 v[126:127], v126
	v_add_co_u32 v128, vcc_lo, v122, v128
	v_add_co_ci_u32_e64 v129, null, v123, v129, vcc_lo
	flat_store_dwordx2 v[128:129], v[126:127]
	s_or_b32 exec_lo, exec_lo, s12
	s_and_b32 s15, s4, s8
	s_and_saveexec_b32 s12, s15
	s_cbranch_execz .LBB109_96
.LBB109_115:
	v_cmp_ne_u32_e32 vcc_lo, 1, v144
	s_cbranch_vccnz .LBB109_117
; %bb.116:
	v_lshlrev_b64 v[126:127], 3, v[136:137]
	v_add_co_u32 v126, vcc_lo, v124, v126
	v_add_co_ci_u32_e64 v127, null, v125, v127, vcc_lo
	flat_load_dwordx2 v[126:127], v[126:127]
	s_waitcnt vmcnt(0) lgkmcnt(0)
	v_mul_f64 v[126:127], s[10:11], v[126:127]
	v_cvt_f32_f64_e32 v126, v[126:127]
	s_branch .LBB109_118
.LBB109_117:
	v_mov_b32_e32 v126, 0
.LBB109_118:
	v_add_f64 v[127:128], v[38:39], v[118:119]
	v_add_f64 v[146:147], v[40:41], v[120:121]
	;; [unrolled: 1-line block ×4, first 2 shown]
	v_cvt_f32_f64_e32 v127, v[127:128]
	v_cvt_f32_f64_e32 v128, v[146:147]
	;; [unrolled: 1-line block ×4, first 2 shown]
	v_min3_f32 v127, v127, v128, v212
	v_min_f32_e32 v128, v129, v146
	v_min3_f32 v126, v126, v128, v127
	v_lshlrev_b64 v[128:129], 3, v[136:137]
	v_cvt_f64_f32_e32 v[126:127], v126
	v_add_co_u32 v128, vcc_lo, v122, v128
	v_add_co_ci_u32_e64 v129, null, v123, v129, vcc_lo
	flat_store_dwordx2 v[128:129], v[126:127]
	s_or_b32 exec_lo, exec_lo, s12
	s_and_b32 s15, s5, s8
	s_and_saveexec_b32 s12, s15
	s_cbranch_execz .LBB109_97
.LBB109_119:
	v_cmp_ne_u32_e32 vcc_lo, 1, v144
	s_cbranch_vccnz .LBB109_121
; %bb.120:
	v_lshlrev_b64 v[126:127], 3, v[138:139]
	v_add_co_u32 v126, vcc_lo, v124, v126
	v_add_co_ci_u32_e64 v127, null, v125, v127, vcc_lo
	flat_load_dwordx2 v[126:127], v[126:127]
	s_waitcnt vmcnt(0) lgkmcnt(0)
	v_mul_f64 v[126:127], s[10:11], v[126:127]
	v_cvt_f32_f64_e32 v126, v[126:127]
	s_branch .LBB109_122
.LBB109_121:
	v_mov_b32_e32 v126, 0
.LBB109_122:
	v_add_f64 v[127:128], v[30:31], v[118:119]
	v_add_f64 v[146:147], v[32:33], v[120:121]
	;; [unrolled: 1-line block ×4, first 2 shown]
	v_cvt_f32_f64_e32 v127, v[127:128]
	v_cvt_f32_f64_e32 v128, v[146:147]
	;; [unrolled: 1-line block ×4, first 2 shown]
	v_min3_f32 v127, v127, v128, v211
	v_min_f32_e32 v128, v129, v146
	v_min3_f32 v126, v126, v128, v127
	v_lshlrev_b64 v[128:129], 3, v[138:139]
	v_cvt_f64_f32_e32 v[126:127], v126
	v_add_co_u32 v128, vcc_lo, v122, v128
	v_add_co_ci_u32_e64 v129, null, v123, v129, vcc_lo
	flat_store_dwordx2 v[128:129], v[126:127]
	s_or_b32 exec_lo, exec_lo, s12
	s_and_b32 s15, s6, s8
	s_and_saveexec_b32 s12, s15
	s_cbranch_execz .LBB109_98
.LBB109_123:
	v_cmp_ne_u32_e32 vcc_lo, 1, v144
	s_cbranch_vccnz .LBB109_125
; %bb.124:
	v_lshlrev_b64 v[126:127], 3, v[140:141]
	v_add_co_u32 v126, vcc_lo, v124, v126
	v_add_co_ci_u32_e64 v127, null, v125, v127, vcc_lo
	flat_load_dwordx2 v[126:127], v[126:127]
	s_waitcnt vmcnt(0) lgkmcnt(0)
	v_mul_f64 v[126:127], s[10:11], v[126:127]
	v_cvt_f32_f64_e32 v126, v[126:127]
	s_branch .LBB109_126
.LBB109_125:
	v_mov_b32_e32 v126, 0
.LBB109_126:
	v_add_f64 v[127:128], v[22:23], v[118:119]
	v_add_f64 v[146:147], v[24:25], v[120:121]
	;; [unrolled: 1-line block ×4, first 2 shown]
	v_cvt_f32_f64_e32 v127, v[127:128]
	v_cvt_f32_f64_e32 v128, v[146:147]
	;; [unrolled: 1-line block ×4, first 2 shown]
	v_min3_f32 v127, v127, v128, v210
	v_min_f32_e32 v128, v129, v146
	v_min3_f32 v126, v126, v128, v127
	v_lshlrev_b64 v[128:129], 3, v[140:141]
	v_cvt_f64_f32_e32 v[126:127], v126
	v_add_co_u32 v128, vcc_lo, v122, v128
	v_add_co_ci_u32_e64 v129, null, v123, v129, vcc_lo
	flat_store_dwordx2 v[128:129], v[126:127]
	s_or_b32 exec_lo, exec_lo, s12
	s_and_b32 s12, s7, s8
	s_and_saveexec_b32 s8, s12
	s_cbranch_execz .LBB109_131
.LBB109_127:
	v_cmp_ne_u32_e32 vcc_lo, 1, v144
	s_cbranch_vccnz .LBB109_129
; %bb.128:
	v_lshlrev_b64 v[126:127], 3, v[142:143]
	v_add_co_u32 v124, vcc_lo, v124, v126
	v_add_co_ci_u32_e64 v125, null, v125, v127, vcc_lo
	flat_load_dwordx2 v[124:125], v[124:125]
	s_waitcnt vmcnt(0) lgkmcnt(0)
	v_mul_f64 v[124:125], s[10:11], v[124:125]
	v_cvt_f32_f64_e32 v124, v[124:125]
	s_branch .LBB109_130
.LBB109_129:
	v_mov_b32_e32 v124, 0
.LBB109_130:
	v_add_f64 v[118:119], v[6:7], v[118:119]
	v_add_f64 v[120:121], v[8:9], v[120:121]
	;; [unrolled: 1-line block ×4, first 2 shown]
	v_cvt_f32_f64_e32 v118, v[118:119]
	v_cvt_f32_f64_e32 v119, v[120:121]
	;; [unrolled: 1-line block ×4, first 2 shown]
	v_min3_f32 v116, v118, v119, v209
	v_min_f32_e32 v114, v114, v115
	v_min3_f32 v114, v124, v114, v116
	v_lshlrev_b64 v[116:117], 3, v[142:143]
	v_cvt_f64_f32_e32 v[114:115], v114
	v_add_co_u32 v116, vcc_lo, v122, v116
	v_add_co_ci_u32_e64 v117, null, v123, v117, vcc_lo
	flat_store_dwordx2 v[116:117], v[114:115]
.LBB109_131:
	s_or_b32 exec_lo, exec_lo, s8
	v_add_nc_u32_e32 v118, 16, v145
	v_mad_i64_i32 v[114:115], null, v118, s18, 0
	v_mad_i64_i32 v[116:117], null, v118, s14, 0
	v_cmp_gt_i32_e64 s8, s13, v118
	v_lshlrev_b64 v[114:115], 3, v[114:115]
	s_and_b32 s15, s0, s8
	v_lshlrev_b64 v[118:119], 3, v[116:117]
	v_add_co_u32 v116, vcc_lo, s16, v114
	v_add_co_ci_u32_e64 v117, null, s17, v115, vcc_lo
	v_add_co_u32 v114, vcc_lo, s19, v118
	v_add_co_ci_u32_e64 v115, null, s9, v119, vcc_lo
	s_and_saveexec_b32 s12, s15
	s_cbranch_execnz .LBB109_139
; %bb.132:
	s_or_b32 exec_lo, exec_lo, s12
	s_and_b32 s15, s1, s8
	s_and_saveexec_b32 s12, s15
	s_cbranch_execnz .LBB109_143
.LBB109_133:
	s_or_b32 exec_lo, exec_lo, s12
	s_and_b32 s15, s2, s8
	s_and_saveexec_b32 s12, s15
	s_cbranch_execnz .LBB109_147
.LBB109_134:
	s_or_b32 exec_lo, exec_lo, s12
	s_and_b32 s15, s3, s8
	s_and_saveexec_b32 s12, s15
	s_cbranch_execnz .LBB109_151
.LBB109_135:
	s_or_b32 exec_lo, exec_lo, s12
	s_and_b32 s15, s4, s8
	s_and_saveexec_b32 s12, s15
	s_cbranch_execnz .LBB109_155
.LBB109_136:
	s_or_b32 exec_lo, exec_lo, s12
	s_and_b32 s15, s5, s8
	s_and_saveexec_b32 s12, s15
	s_cbranch_execnz .LBB109_159
.LBB109_137:
	s_or_b32 exec_lo, exec_lo, s12
	s_and_b32 s15, s6, s8
	s_and_saveexec_b32 s12, s15
	s_cbranch_execnz .LBB109_163
.LBB109_138:
	s_or_b32 exec_lo, exec_lo, s12
	s_and_b32 s12, s7, s8
	s_and_saveexec_b32 s8, s12
	s_cbranch_execnz .LBB109_167
	s_branch .LBB109_171
.LBB109_139:
	v_cmp_ne_u32_e32 vcc_lo, 1, v144
	s_cbranch_vccnz .LBB109_141
; %bb.140:
	v_lshlrev_b64 v[118:119], 3, v[0:1]
	v_add_co_u32 v118, vcc_lo, v116, v118
	v_add_co_ci_u32_e64 v119, null, v117, v119, vcc_lo
	flat_load_dwordx2 v[118:119], v[118:119]
	s_waitcnt vmcnt(0) lgkmcnt(0)
	v_mul_f64 v[118:119], s[10:11], v[118:119]
	v_cvt_f32_f64_e32 v118, v[118:119]
	s_branch .LBB109_142
.LBB109_141:
	v_mov_b32_e32 v118, 0
.LBB109_142:
	v_add_f64 v[119:120], v[70:71], v[110:111]
	v_add_f64 v[121:122], v[72:73], v[112:113]
	;; [unrolled: 1-line block ×4, first 2 shown]
	v_cvt_f32_f64_e32 v119, v[119:120]
	v_cvt_f32_f64_e32 v120, v[121:122]
	;; [unrolled: 1-line block ×4, first 2 shown]
	v_min3_f32 v119, v119, v120, v208
	v_min_f32_e32 v120, v121, v122
	v_min3_f32 v118, v118, v120, v119
	v_lshlrev_b64 v[120:121], 3, v[0:1]
	v_cvt_f64_f32_e32 v[118:119], v118
	v_add_co_u32 v120, vcc_lo, v114, v120
	v_add_co_ci_u32_e64 v121, null, v115, v121, vcc_lo
	flat_store_dwordx2 v[120:121], v[118:119]
	s_or_b32 exec_lo, exec_lo, s12
	s_and_b32 s15, s1, s8
	s_and_saveexec_b32 s12, s15
	s_cbranch_execz .LBB109_133
.LBB109_143:
	v_cmp_ne_u32_e32 vcc_lo, 1, v144
	s_cbranch_vccnz .LBB109_145
; %bb.144:
	v_lshlrev_b64 v[118:119], 3, v[130:131]
	v_add_co_u32 v118, vcc_lo, v116, v118
	v_add_co_ci_u32_e64 v119, null, v117, v119, vcc_lo
	flat_load_dwordx2 v[118:119], v[118:119]
	s_waitcnt vmcnt(0) lgkmcnt(0)
	v_mul_f64 v[118:119], s[10:11], v[118:119]
	v_cvt_f32_f64_e32 v118, v[118:119]
	s_branch .LBB109_146
.LBB109_145:
	v_mov_b32_e32 v118, 0
.LBB109_146:
	v_add_f64 v[119:120], v[62:63], v[110:111]
	v_add_f64 v[121:122], v[64:65], v[112:113]
	v_add_f64 v[123:124], v[58:59], v[106:107]
	v_add_f64 v[125:126], v[60:61], v[108:109]
	v_cvt_f32_f64_e32 v119, v[119:120]
	v_cvt_f32_f64_e32 v120, v[121:122]
	;; [unrolled: 1-line block ×4, first 2 shown]
	v_min3_f32 v119, v119, v120, v207
	v_min_f32_e32 v120, v121, v122
	v_min3_f32 v118, v118, v120, v119
	v_lshlrev_b64 v[120:121], 3, v[130:131]
	v_cvt_f64_f32_e32 v[118:119], v118
	v_add_co_u32 v120, vcc_lo, v114, v120
	v_add_co_ci_u32_e64 v121, null, v115, v121, vcc_lo
	flat_store_dwordx2 v[120:121], v[118:119]
	s_or_b32 exec_lo, exec_lo, s12
	s_and_b32 s15, s2, s8
	s_and_saveexec_b32 s12, s15
	s_cbranch_execz .LBB109_134
.LBB109_147:
	v_cmp_ne_u32_e32 vcc_lo, 1, v144
	s_cbranch_vccnz .LBB109_149
; %bb.148:
	v_lshlrev_b64 v[118:119], 3, v[132:133]
	v_add_co_u32 v118, vcc_lo, v116, v118
	v_add_co_ci_u32_e64 v119, null, v117, v119, vcc_lo
	flat_load_dwordx2 v[118:119], v[118:119]
	s_waitcnt vmcnt(0) lgkmcnt(0)
	v_mul_f64 v[118:119], s[10:11], v[118:119]
	v_cvt_f32_f64_e32 v118, v[118:119]
	s_branch .LBB109_150
.LBB109_149:
	v_mov_b32_e32 v118, 0
.LBB109_150:
	v_add_f64 v[119:120], v[54:55], v[110:111]
	v_add_f64 v[121:122], v[56:57], v[112:113]
	;; [unrolled: 1-line block ×4, first 2 shown]
	v_cvt_f32_f64_e32 v119, v[119:120]
	v_cvt_f32_f64_e32 v120, v[121:122]
	;; [unrolled: 1-line block ×4, first 2 shown]
	v_min3_f32 v119, v119, v120, v206
	v_min_f32_e32 v120, v121, v122
	v_min3_f32 v118, v118, v120, v119
	v_lshlrev_b64 v[120:121], 3, v[132:133]
	v_cvt_f64_f32_e32 v[118:119], v118
	v_add_co_u32 v120, vcc_lo, v114, v120
	v_add_co_ci_u32_e64 v121, null, v115, v121, vcc_lo
	flat_store_dwordx2 v[120:121], v[118:119]
	s_or_b32 exec_lo, exec_lo, s12
	s_and_b32 s15, s3, s8
	s_and_saveexec_b32 s12, s15
	s_cbranch_execz .LBB109_135
.LBB109_151:
	v_cmp_ne_u32_e32 vcc_lo, 1, v144
	s_cbranch_vccnz .LBB109_153
; %bb.152:
	v_lshlrev_b64 v[118:119], 3, v[134:135]
	v_add_co_u32 v118, vcc_lo, v116, v118
	v_add_co_ci_u32_e64 v119, null, v117, v119, vcc_lo
	flat_load_dwordx2 v[118:119], v[118:119]
	s_waitcnt vmcnt(0) lgkmcnt(0)
	v_mul_f64 v[118:119], s[10:11], v[118:119]
	v_cvt_f32_f64_e32 v118, v[118:119]
	s_branch .LBB109_154
.LBB109_153:
	v_mov_b32_e32 v118, 0
.LBB109_154:
	v_add_f64 v[119:120], v[46:47], v[110:111]
	v_add_f64 v[121:122], v[48:49], v[112:113]
	;; [unrolled: 1-line block ×4, first 2 shown]
	v_cvt_f32_f64_e32 v119, v[119:120]
	v_cvt_f32_f64_e32 v120, v[121:122]
	;; [unrolled: 1-line block ×4, first 2 shown]
	v_min3_f32 v119, v119, v120, v205
	v_min_f32_e32 v120, v121, v122
	v_min3_f32 v118, v118, v120, v119
	v_lshlrev_b64 v[120:121], 3, v[134:135]
	v_cvt_f64_f32_e32 v[118:119], v118
	v_add_co_u32 v120, vcc_lo, v114, v120
	v_add_co_ci_u32_e64 v121, null, v115, v121, vcc_lo
	flat_store_dwordx2 v[120:121], v[118:119]
	s_or_b32 exec_lo, exec_lo, s12
	s_and_b32 s15, s4, s8
	s_and_saveexec_b32 s12, s15
	s_cbranch_execz .LBB109_136
.LBB109_155:
	v_cmp_ne_u32_e32 vcc_lo, 1, v144
	s_cbranch_vccnz .LBB109_157
; %bb.156:
	v_lshlrev_b64 v[118:119], 3, v[136:137]
	v_add_co_u32 v118, vcc_lo, v116, v118
	v_add_co_ci_u32_e64 v119, null, v117, v119, vcc_lo
	flat_load_dwordx2 v[118:119], v[118:119]
	s_waitcnt vmcnt(0) lgkmcnt(0)
	v_mul_f64 v[118:119], s[10:11], v[118:119]
	v_cvt_f32_f64_e32 v118, v[118:119]
	s_branch .LBB109_158
.LBB109_157:
	v_mov_b32_e32 v118, 0
.LBB109_158:
	v_add_f64 v[119:120], v[38:39], v[110:111]
	v_add_f64 v[121:122], v[40:41], v[112:113]
	v_add_f64 v[123:124], v[34:35], v[106:107]
	v_add_f64 v[125:126], v[36:37], v[108:109]
	v_cvt_f32_f64_e32 v119, v[119:120]
	v_cvt_f32_f64_e32 v120, v[121:122]
	;; [unrolled: 1-line block ×4, first 2 shown]
	v_min3_f32 v119, v119, v120, v204
	v_min_f32_e32 v120, v121, v122
	v_min3_f32 v118, v118, v120, v119
	v_lshlrev_b64 v[120:121], 3, v[136:137]
	v_cvt_f64_f32_e32 v[118:119], v118
	v_add_co_u32 v120, vcc_lo, v114, v120
	v_add_co_ci_u32_e64 v121, null, v115, v121, vcc_lo
	flat_store_dwordx2 v[120:121], v[118:119]
	s_or_b32 exec_lo, exec_lo, s12
	s_and_b32 s15, s5, s8
	s_and_saveexec_b32 s12, s15
	s_cbranch_execz .LBB109_137
.LBB109_159:
	v_cmp_ne_u32_e32 vcc_lo, 1, v144
	s_cbranch_vccnz .LBB109_161
; %bb.160:
	v_lshlrev_b64 v[118:119], 3, v[138:139]
	v_add_co_u32 v118, vcc_lo, v116, v118
	v_add_co_ci_u32_e64 v119, null, v117, v119, vcc_lo
	flat_load_dwordx2 v[118:119], v[118:119]
	s_waitcnt vmcnt(0) lgkmcnt(0)
	v_mul_f64 v[118:119], s[10:11], v[118:119]
	v_cvt_f32_f64_e32 v118, v[118:119]
	s_branch .LBB109_162
.LBB109_161:
	v_mov_b32_e32 v118, 0
.LBB109_162:
	v_add_f64 v[119:120], v[30:31], v[110:111]
	v_add_f64 v[121:122], v[32:33], v[112:113]
	;; [unrolled: 1-line block ×4, first 2 shown]
	v_cvt_f32_f64_e32 v119, v[119:120]
	v_cvt_f32_f64_e32 v120, v[121:122]
	;; [unrolled: 1-line block ×4, first 2 shown]
	v_min3_f32 v119, v119, v120, v203
	v_min_f32_e32 v120, v121, v122
	v_min3_f32 v118, v118, v120, v119
	v_lshlrev_b64 v[120:121], 3, v[138:139]
	v_cvt_f64_f32_e32 v[118:119], v118
	v_add_co_u32 v120, vcc_lo, v114, v120
	v_add_co_ci_u32_e64 v121, null, v115, v121, vcc_lo
	flat_store_dwordx2 v[120:121], v[118:119]
	s_or_b32 exec_lo, exec_lo, s12
	s_and_b32 s15, s6, s8
	s_and_saveexec_b32 s12, s15
	s_cbranch_execz .LBB109_138
.LBB109_163:
	v_cmp_ne_u32_e32 vcc_lo, 1, v144
	s_cbranch_vccnz .LBB109_165
; %bb.164:
	v_lshlrev_b64 v[118:119], 3, v[140:141]
	v_add_co_u32 v118, vcc_lo, v116, v118
	v_add_co_ci_u32_e64 v119, null, v117, v119, vcc_lo
	flat_load_dwordx2 v[118:119], v[118:119]
	s_waitcnt vmcnt(0) lgkmcnt(0)
	v_mul_f64 v[118:119], s[10:11], v[118:119]
	v_cvt_f32_f64_e32 v118, v[118:119]
	s_branch .LBB109_166
.LBB109_165:
	v_mov_b32_e32 v118, 0
.LBB109_166:
	v_add_f64 v[119:120], v[22:23], v[110:111]
	v_add_f64 v[121:122], v[24:25], v[112:113]
	v_add_f64 v[123:124], v[18:19], v[106:107]
	v_add_f64 v[125:126], v[20:21], v[108:109]
	v_cvt_f32_f64_e32 v119, v[119:120]
	v_cvt_f32_f64_e32 v120, v[121:122]
	;; [unrolled: 1-line block ×4, first 2 shown]
	v_min3_f32 v119, v119, v120, v202
	v_min_f32_e32 v120, v121, v122
	v_min3_f32 v118, v118, v120, v119
	v_lshlrev_b64 v[120:121], 3, v[140:141]
	v_cvt_f64_f32_e32 v[118:119], v118
	v_add_co_u32 v120, vcc_lo, v114, v120
	v_add_co_ci_u32_e64 v121, null, v115, v121, vcc_lo
	flat_store_dwordx2 v[120:121], v[118:119]
	s_or_b32 exec_lo, exec_lo, s12
	s_and_b32 s12, s7, s8
	s_and_saveexec_b32 s8, s12
	s_cbranch_execz .LBB109_171
.LBB109_167:
	v_cmp_ne_u32_e32 vcc_lo, 1, v144
	s_cbranch_vccnz .LBB109_169
; %bb.168:
	v_lshlrev_b64 v[118:119], 3, v[142:143]
	v_add_co_u32 v116, vcc_lo, v116, v118
	v_add_co_ci_u32_e64 v117, null, v117, v119, vcc_lo
	flat_load_dwordx2 v[116:117], v[116:117]
	s_waitcnt vmcnt(0) lgkmcnt(0)
	v_mul_f64 v[116:117], s[10:11], v[116:117]
	v_cvt_f32_f64_e32 v116, v[116:117]
	s_branch .LBB109_170
.LBB109_169:
	v_mov_b32_e32 v116, 0
.LBB109_170:
	v_add_f64 v[110:111], v[6:7], v[110:111]
	v_add_f64 v[112:113], v[8:9], v[112:113]
	;; [unrolled: 1-line block ×4, first 2 shown]
	v_cvt_f32_f64_e32 v110, v[110:111]
	v_cvt_f32_f64_e32 v111, v[112:113]
	;; [unrolled: 1-line block ×4, first 2 shown]
	v_min3_f32 v108, v110, v111, v201
	v_min_f32_e32 v106, v106, v107
	v_min3_f32 v106, v116, v106, v108
	v_lshlrev_b64 v[108:109], 3, v[142:143]
	v_cvt_f64_f32_e32 v[106:107], v106
	v_add_co_u32 v108, vcc_lo, v114, v108
	v_add_co_ci_u32_e64 v109, null, v115, v109, vcc_lo
	flat_store_dwordx2 v[108:109], v[106:107]
.LBB109_171:
	s_or_b32 exec_lo, exec_lo, s8
	v_add_nc_u32_e32 v110, 24, v145
	v_mad_i64_i32 v[106:107], null, v110, s18, 0
	v_mad_i64_i32 v[108:109], null, v110, s14, 0
	v_cmp_gt_i32_e64 s8, s13, v110
	v_lshlrev_b64 v[106:107], 3, v[106:107]
	s_and_b32 s15, s0, s8
	v_lshlrev_b64 v[110:111], 3, v[108:109]
	v_add_co_u32 v108, vcc_lo, s16, v106
	v_add_co_ci_u32_e64 v109, null, s17, v107, vcc_lo
	v_add_co_u32 v106, vcc_lo, s19, v110
	v_add_co_ci_u32_e64 v107, null, s9, v111, vcc_lo
	s_and_saveexec_b32 s12, s15
	s_cbranch_execnz .LBB109_179
; %bb.172:
	s_or_b32 exec_lo, exec_lo, s12
	s_and_b32 s15, s1, s8
	s_and_saveexec_b32 s12, s15
	s_cbranch_execnz .LBB109_183
.LBB109_173:
	s_or_b32 exec_lo, exec_lo, s12
	s_and_b32 s15, s2, s8
	s_and_saveexec_b32 s12, s15
	s_cbranch_execnz .LBB109_187
.LBB109_174:
	s_or_b32 exec_lo, exec_lo, s12
	s_and_b32 s15, s3, s8
	s_and_saveexec_b32 s12, s15
	s_cbranch_execnz .LBB109_191
.LBB109_175:
	s_or_b32 exec_lo, exec_lo, s12
	s_and_b32 s15, s4, s8
	s_and_saveexec_b32 s12, s15
	s_cbranch_execnz .LBB109_195
.LBB109_176:
	s_or_b32 exec_lo, exec_lo, s12
	s_and_b32 s15, s5, s8
	s_and_saveexec_b32 s12, s15
	s_cbranch_execnz .LBB109_199
.LBB109_177:
	s_or_b32 exec_lo, exec_lo, s12
	s_and_b32 s15, s6, s8
	s_and_saveexec_b32 s12, s15
	s_cbranch_execnz .LBB109_203
.LBB109_178:
	s_or_b32 exec_lo, exec_lo, s12
	s_and_b32 s12, s7, s8
	s_and_saveexec_b32 s8, s12
	s_cbranch_execnz .LBB109_207
	s_branch .LBB109_211
.LBB109_179:
	v_cmp_ne_u32_e32 vcc_lo, 1, v144
	s_cbranch_vccnz .LBB109_181
; %bb.180:
	v_lshlrev_b64 v[110:111], 3, v[0:1]
	v_add_co_u32 v110, vcc_lo, v108, v110
	v_add_co_ci_u32_e64 v111, null, v109, v111, vcc_lo
	flat_load_dwordx2 v[110:111], v[110:111]
	s_waitcnt vmcnt(0) lgkmcnt(0)
	v_mul_f64 v[110:111], s[10:11], v[110:111]
	v_cvt_f32_f64_e32 v110, v[110:111]
	s_branch .LBB109_182
.LBB109_181:
	v_mov_b32_e32 v110, 0
.LBB109_182:
	v_add_f64 v[111:112], v[70:71], v[102:103]
	v_add_f64 v[113:114], v[72:73], v[104:105]
	;; [unrolled: 1-line block ×4, first 2 shown]
	v_cvt_f32_f64_e32 v111, v[111:112]
	v_cvt_f32_f64_e32 v112, v[113:114]
	;; [unrolled: 1-line block ×4, first 2 shown]
	v_min3_f32 v111, v111, v112, v200
	v_min_f32_e32 v112, v113, v114
	v_min3_f32 v110, v110, v112, v111
	v_lshlrev_b64 v[112:113], 3, v[0:1]
	v_cvt_f64_f32_e32 v[110:111], v110
	v_add_co_u32 v112, vcc_lo, v106, v112
	v_add_co_ci_u32_e64 v113, null, v107, v113, vcc_lo
	flat_store_dwordx2 v[112:113], v[110:111]
	s_or_b32 exec_lo, exec_lo, s12
	s_and_b32 s15, s1, s8
	s_and_saveexec_b32 s12, s15
	s_cbranch_execz .LBB109_173
.LBB109_183:
	v_cmp_ne_u32_e32 vcc_lo, 1, v144
	s_cbranch_vccnz .LBB109_185
; %bb.184:
	v_lshlrev_b64 v[110:111], 3, v[130:131]
	v_add_co_u32 v110, vcc_lo, v108, v110
	v_add_co_ci_u32_e64 v111, null, v109, v111, vcc_lo
	flat_load_dwordx2 v[110:111], v[110:111]
	s_waitcnt vmcnt(0) lgkmcnt(0)
	v_mul_f64 v[110:111], s[10:11], v[110:111]
	v_cvt_f32_f64_e32 v110, v[110:111]
	s_branch .LBB109_186
.LBB109_185:
	v_mov_b32_e32 v110, 0
.LBB109_186:
	v_add_f64 v[111:112], v[62:63], v[102:103]
	v_add_f64 v[113:114], v[64:65], v[104:105]
	;; [unrolled: 1-line block ×4, first 2 shown]
	v_cvt_f32_f64_e32 v111, v[111:112]
	v_cvt_f32_f64_e32 v112, v[113:114]
	;; [unrolled: 1-line block ×4, first 2 shown]
	v_min3_f32 v111, v111, v112, v199
	v_min_f32_e32 v112, v113, v114
	v_min3_f32 v110, v110, v112, v111
	v_lshlrev_b64 v[112:113], 3, v[130:131]
	v_cvt_f64_f32_e32 v[110:111], v110
	v_add_co_u32 v112, vcc_lo, v106, v112
	v_add_co_ci_u32_e64 v113, null, v107, v113, vcc_lo
	flat_store_dwordx2 v[112:113], v[110:111]
	s_or_b32 exec_lo, exec_lo, s12
	s_and_b32 s15, s2, s8
	s_and_saveexec_b32 s12, s15
	s_cbranch_execz .LBB109_174
.LBB109_187:
	v_cmp_ne_u32_e32 vcc_lo, 1, v144
	s_cbranch_vccnz .LBB109_189
; %bb.188:
	v_lshlrev_b64 v[110:111], 3, v[132:133]
	v_add_co_u32 v110, vcc_lo, v108, v110
	v_add_co_ci_u32_e64 v111, null, v109, v111, vcc_lo
	flat_load_dwordx2 v[110:111], v[110:111]
	s_waitcnt vmcnt(0) lgkmcnt(0)
	v_mul_f64 v[110:111], s[10:11], v[110:111]
	v_cvt_f32_f64_e32 v110, v[110:111]
	s_branch .LBB109_190
.LBB109_189:
	v_mov_b32_e32 v110, 0
.LBB109_190:
	v_add_f64 v[111:112], v[54:55], v[102:103]
	v_add_f64 v[113:114], v[56:57], v[104:105]
	;; [unrolled: 1-line block ×4, first 2 shown]
	v_cvt_f32_f64_e32 v111, v[111:112]
	v_cvt_f32_f64_e32 v112, v[113:114]
	;; [unrolled: 1-line block ×4, first 2 shown]
	v_min3_f32 v111, v111, v112, v198
	v_min_f32_e32 v112, v113, v114
	v_min3_f32 v110, v110, v112, v111
	v_lshlrev_b64 v[112:113], 3, v[132:133]
	v_cvt_f64_f32_e32 v[110:111], v110
	v_add_co_u32 v112, vcc_lo, v106, v112
	v_add_co_ci_u32_e64 v113, null, v107, v113, vcc_lo
	flat_store_dwordx2 v[112:113], v[110:111]
	s_or_b32 exec_lo, exec_lo, s12
	s_and_b32 s15, s3, s8
	s_and_saveexec_b32 s12, s15
	s_cbranch_execz .LBB109_175
.LBB109_191:
	v_cmp_ne_u32_e32 vcc_lo, 1, v144
	s_cbranch_vccnz .LBB109_193
; %bb.192:
	v_lshlrev_b64 v[110:111], 3, v[134:135]
	v_add_co_u32 v110, vcc_lo, v108, v110
	v_add_co_ci_u32_e64 v111, null, v109, v111, vcc_lo
	flat_load_dwordx2 v[110:111], v[110:111]
	s_waitcnt vmcnt(0) lgkmcnt(0)
	v_mul_f64 v[110:111], s[10:11], v[110:111]
	v_cvt_f32_f64_e32 v110, v[110:111]
	s_branch .LBB109_194
.LBB109_193:
	v_mov_b32_e32 v110, 0
.LBB109_194:
	v_add_f64 v[111:112], v[46:47], v[102:103]
	v_add_f64 v[113:114], v[48:49], v[104:105]
	v_add_f64 v[115:116], v[42:43], v[98:99]
	v_add_f64 v[117:118], v[44:45], v[100:101]
	v_cvt_f32_f64_e32 v111, v[111:112]
	v_cvt_f32_f64_e32 v112, v[113:114]
	;; [unrolled: 1-line block ×4, first 2 shown]
	v_min3_f32 v111, v111, v112, v197
	v_min_f32_e32 v112, v113, v114
	v_min3_f32 v110, v110, v112, v111
	v_lshlrev_b64 v[112:113], 3, v[134:135]
	v_cvt_f64_f32_e32 v[110:111], v110
	v_add_co_u32 v112, vcc_lo, v106, v112
	v_add_co_ci_u32_e64 v113, null, v107, v113, vcc_lo
	flat_store_dwordx2 v[112:113], v[110:111]
	s_or_b32 exec_lo, exec_lo, s12
	s_and_b32 s15, s4, s8
	s_and_saveexec_b32 s12, s15
	s_cbranch_execz .LBB109_176
.LBB109_195:
	v_cmp_ne_u32_e32 vcc_lo, 1, v144
	s_cbranch_vccnz .LBB109_197
; %bb.196:
	v_lshlrev_b64 v[110:111], 3, v[136:137]
	v_add_co_u32 v110, vcc_lo, v108, v110
	v_add_co_ci_u32_e64 v111, null, v109, v111, vcc_lo
	flat_load_dwordx2 v[110:111], v[110:111]
	s_waitcnt vmcnt(0) lgkmcnt(0)
	v_mul_f64 v[110:111], s[10:11], v[110:111]
	v_cvt_f32_f64_e32 v110, v[110:111]
	s_branch .LBB109_198
.LBB109_197:
	v_mov_b32_e32 v110, 0
.LBB109_198:
	v_add_f64 v[111:112], v[38:39], v[102:103]
	v_add_f64 v[113:114], v[40:41], v[104:105]
	;; [unrolled: 1-line block ×4, first 2 shown]
	v_cvt_f32_f64_e32 v111, v[111:112]
	v_cvt_f32_f64_e32 v112, v[113:114]
	;; [unrolled: 1-line block ×4, first 2 shown]
	v_min3_f32 v111, v111, v112, v196
	v_min_f32_e32 v112, v113, v114
	v_min3_f32 v110, v110, v112, v111
	v_lshlrev_b64 v[112:113], 3, v[136:137]
	v_cvt_f64_f32_e32 v[110:111], v110
	v_add_co_u32 v112, vcc_lo, v106, v112
	v_add_co_ci_u32_e64 v113, null, v107, v113, vcc_lo
	flat_store_dwordx2 v[112:113], v[110:111]
	s_or_b32 exec_lo, exec_lo, s12
	s_and_b32 s15, s5, s8
	s_and_saveexec_b32 s12, s15
	s_cbranch_execz .LBB109_177
.LBB109_199:
	v_cmp_ne_u32_e32 vcc_lo, 1, v144
	s_cbranch_vccnz .LBB109_201
; %bb.200:
	v_lshlrev_b64 v[110:111], 3, v[138:139]
	v_add_co_u32 v110, vcc_lo, v108, v110
	v_add_co_ci_u32_e64 v111, null, v109, v111, vcc_lo
	flat_load_dwordx2 v[110:111], v[110:111]
	s_waitcnt vmcnt(0) lgkmcnt(0)
	v_mul_f64 v[110:111], s[10:11], v[110:111]
	v_cvt_f32_f64_e32 v110, v[110:111]
	s_branch .LBB109_202
.LBB109_201:
	v_mov_b32_e32 v110, 0
.LBB109_202:
	v_add_f64 v[111:112], v[30:31], v[102:103]
	v_add_f64 v[113:114], v[32:33], v[104:105]
	;; [unrolled: 1-line block ×4, first 2 shown]
	v_cvt_f32_f64_e32 v111, v[111:112]
	v_cvt_f32_f64_e32 v112, v[113:114]
	;; [unrolled: 1-line block ×4, first 2 shown]
	v_min3_f32 v111, v111, v112, v195
	v_min_f32_e32 v112, v113, v114
	v_min3_f32 v110, v110, v112, v111
	v_lshlrev_b64 v[112:113], 3, v[138:139]
	v_cvt_f64_f32_e32 v[110:111], v110
	v_add_co_u32 v112, vcc_lo, v106, v112
	v_add_co_ci_u32_e64 v113, null, v107, v113, vcc_lo
	flat_store_dwordx2 v[112:113], v[110:111]
	s_or_b32 exec_lo, exec_lo, s12
	s_and_b32 s15, s6, s8
	s_and_saveexec_b32 s12, s15
	s_cbranch_execz .LBB109_178
.LBB109_203:
	v_cmp_ne_u32_e32 vcc_lo, 1, v144
	s_cbranch_vccnz .LBB109_205
; %bb.204:
	v_lshlrev_b64 v[110:111], 3, v[140:141]
	v_add_co_u32 v110, vcc_lo, v108, v110
	v_add_co_ci_u32_e64 v111, null, v109, v111, vcc_lo
	flat_load_dwordx2 v[110:111], v[110:111]
	s_waitcnt vmcnt(0) lgkmcnt(0)
	v_mul_f64 v[110:111], s[10:11], v[110:111]
	v_cvt_f32_f64_e32 v110, v[110:111]
	s_branch .LBB109_206
.LBB109_205:
	v_mov_b32_e32 v110, 0
.LBB109_206:
	v_add_f64 v[111:112], v[22:23], v[102:103]
	v_add_f64 v[113:114], v[24:25], v[104:105]
	;; [unrolled: 1-line block ×4, first 2 shown]
	v_cvt_f32_f64_e32 v111, v[111:112]
	v_cvt_f32_f64_e32 v112, v[113:114]
	;; [unrolled: 1-line block ×4, first 2 shown]
	v_min3_f32 v111, v111, v112, v194
	v_min_f32_e32 v112, v113, v114
	v_min3_f32 v110, v110, v112, v111
	v_lshlrev_b64 v[112:113], 3, v[140:141]
	v_cvt_f64_f32_e32 v[110:111], v110
	v_add_co_u32 v112, vcc_lo, v106, v112
	v_add_co_ci_u32_e64 v113, null, v107, v113, vcc_lo
	flat_store_dwordx2 v[112:113], v[110:111]
	s_or_b32 exec_lo, exec_lo, s12
	s_and_b32 s12, s7, s8
	s_and_saveexec_b32 s8, s12
	s_cbranch_execz .LBB109_211
.LBB109_207:
	v_cmp_ne_u32_e32 vcc_lo, 1, v144
	s_cbranch_vccnz .LBB109_209
; %bb.208:
	v_lshlrev_b64 v[110:111], 3, v[142:143]
	v_add_co_u32 v108, vcc_lo, v108, v110
	v_add_co_ci_u32_e64 v109, null, v109, v111, vcc_lo
	flat_load_dwordx2 v[108:109], v[108:109]
	s_waitcnt vmcnt(0) lgkmcnt(0)
	v_mul_f64 v[108:109], s[10:11], v[108:109]
	v_cvt_f32_f64_e32 v108, v[108:109]
	s_branch .LBB109_210
.LBB109_209:
	v_mov_b32_e32 v108, 0
.LBB109_210:
	v_add_f64 v[102:103], v[6:7], v[102:103]
	v_add_f64 v[104:105], v[8:9], v[104:105]
	;; [unrolled: 1-line block ×4, first 2 shown]
	v_cvt_f32_f64_e32 v102, v[102:103]
	v_cvt_f32_f64_e32 v103, v[104:105]
	;; [unrolled: 1-line block ×4, first 2 shown]
	v_min3_f32 v100, v102, v103, v193
	v_min_f32_e32 v98, v98, v99
	v_min3_f32 v98, v108, v98, v100
	v_lshlrev_b64 v[100:101], 3, v[142:143]
	v_cvt_f64_f32_e32 v[98:99], v98
	v_add_co_u32 v100, vcc_lo, v106, v100
	v_add_co_ci_u32_e64 v101, null, v107, v101, vcc_lo
	flat_store_dwordx2 v[100:101], v[98:99]
.LBB109_211:
	s_or_b32 exec_lo, exec_lo, s8
	v_add_nc_u32_e32 v102, 32, v145
	v_mad_i64_i32 v[98:99], null, v102, s18, 0
	v_mad_i64_i32 v[100:101], null, v102, s14, 0
	v_cmp_gt_i32_e64 s8, s13, v102
	v_lshlrev_b64 v[98:99], 3, v[98:99]
	s_and_b32 s15, s0, s8
	v_lshlrev_b64 v[102:103], 3, v[100:101]
	v_add_co_u32 v100, vcc_lo, s16, v98
	v_add_co_ci_u32_e64 v101, null, s17, v99, vcc_lo
	v_add_co_u32 v98, vcc_lo, s19, v102
	v_add_co_ci_u32_e64 v99, null, s9, v103, vcc_lo
	s_and_saveexec_b32 s12, s15
	s_cbranch_execnz .LBB109_219
; %bb.212:
	s_or_b32 exec_lo, exec_lo, s12
	s_and_b32 s15, s1, s8
	s_and_saveexec_b32 s12, s15
	s_cbranch_execnz .LBB109_223
.LBB109_213:
	s_or_b32 exec_lo, exec_lo, s12
	s_and_b32 s15, s2, s8
	s_and_saveexec_b32 s12, s15
	s_cbranch_execnz .LBB109_227
.LBB109_214:
	s_or_b32 exec_lo, exec_lo, s12
	s_and_b32 s15, s3, s8
	s_and_saveexec_b32 s12, s15
	s_cbranch_execnz .LBB109_231
.LBB109_215:
	s_or_b32 exec_lo, exec_lo, s12
	s_and_b32 s15, s4, s8
	s_and_saveexec_b32 s12, s15
	s_cbranch_execnz .LBB109_235
.LBB109_216:
	s_or_b32 exec_lo, exec_lo, s12
	s_and_b32 s15, s5, s8
	s_and_saveexec_b32 s12, s15
	s_cbranch_execnz .LBB109_239
.LBB109_217:
	s_or_b32 exec_lo, exec_lo, s12
	s_and_b32 s15, s6, s8
	s_and_saveexec_b32 s12, s15
	s_cbranch_execnz .LBB109_243
.LBB109_218:
	s_or_b32 exec_lo, exec_lo, s12
	s_and_b32 s12, s7, s8
	s_and_saveexec_b32 s8, s12
	s_cbranch_execnz .LBB109_247
	s_branch .LBB109_251
.LBB109_219:
	v_cmp_ne_u32_e32 vcc_lo, 1, v144
	s_cbranch_vccnz .LBB109_221
; %bb.220:
	v_lshlrev_b64 v[102:103], 3, v[0:1]
	v_add_co_u32 v102, vcc_lo, v100, v102
	v_add_co_ci_u32_e64 v103, null, v101, v103, vcc_lo
	flat_load_dwordx2 v[102:103], v[102:103]
	s_waitcnt vmcnt(0) lgkmcnt(0)
	v_mul_f64 v[102:103], s[10:11], v[102:103]
	v_cvt_f32_f64_e32 v102, v[102:103]
	s_branch .LBB109_222
.LBB109_221:
	v_mov_b32_e32 v102, 0
.LBB109_222:
	v_add_f64 v[103:104], v[70:71], v[94:95]
	v_add_f64 v[105:106], v[72:73], v[96:97]
	v_add_f64 v[107:108], v[66:67], v[90:91]
	v_add_f64 v[109:110], v[68:69], v[92:93]
	v_cvt_f32_f64_e32 v103, v[103:104]
	v_cvt_f32_f64_e32 v104, v[105:106]
	;; [unrolled: 1-line block ×4, first 2 shown]
	v_min3_f32 v103, v103, v104, v192
	v_min_f32_e32 v104, v105, v106
	v_min3_f32 v102, v102, v104, v103
	v_lshlrev_b64 v[104:105], 3, v[0:1]
	v_cvt_f64_f32_e32 v[102:103], v102
	v_add_co_u32 v104, vcc_lo, v98, v104
	v_add_co_ci_u32_e64 v105, null, v99, v105, vcc_lo
	flat_store_dwordx2 v[104:105], v[102:103]
	s_or_b32 exec_lo, exec_lo, s12
	s_and_b32 s15, s1, s8
	s_and_saveexec_b32 s12, s15
	s_cbranch_execz .LBB109_213
.LBB109_223:
	v_cmp_ne_u32_e32 vcc_lo, 1, v144
	s_cbranch_vccnz .LBB109_225
; %bb.224:
	v_lshlrev_b64 v[102:103], 3, v[130:131]
	v_add_co_u32 v102, vcc_lo, v100, v102
	v_add_co_ci_u32_e64 v103, null, v101, v103, vcc_lo
	flat_load_dwordx2 v[102:103], v[102:103]
	s_waitcnt vmcnt(0) lgkmcnt(0)
	v_mul_f64 v[102:103], s[10:11], v[102:103]
	v_cvt_f32_f64_e32 v102, v[102:103]
	s_branch .LBB109_226
.LBB109_225:
	v_mov_b32_e32 v102, 0
.LBB109_226:
	v_add_f64 v[103:104], v[62:63], v[94:95]
	v_add_f64 v[105:106], v[64:65], v[96:97]
	;; [unrolled: 1-line block ×4, first 2 shown]
	v_cvt_f32_f64_e32 v103, v[103:104]
	v_cvt_f32_f64_e32 v104, v[105:106]
	;; [unrolled: 1-line block ×4, first 2 shown]
	v_min3_f32 v103, v103, v104, v191
	v_min_f32_e32 v104, v105, v106
	v_min3_f32 v102, v102, v104, v103
	v_lshlrev_b64 v[104:105], 3, v[130:131]
	v_cvt_f64_f32_e32 v[102:103], v102
	v_add_co_u32 v104, vcc_lo, v98, v104
	v_add_co_ci_u32_e64 v105, null, v99, v105, vcc_lo
	flat_store_dwordx2 v[104:105], v[102:103]
	s_or_b32 exec_lo, exec_lo, s12
	s_and_b32 s15, s2, s8
	s_and_saveexec_b32 s12, s15
	s_cbranch_execz .LBB109_214
.LBB109_227:
	v_cmp_ne_u32_e32 vcc_lo, 1, v144
	s_cbranch_vccnz .LBB109_229
; %bb.228:
	v_lshlrev_b64 v[102:103], 3, v[132:133]
	v_add_co_u32 v102, vcc_lo, v100, v102
	v_add_co_ci_u32_e64 v103, null, v101, v103, vcc_lo
	flat_load_dwordx2 v[102:103], v[102:103]
	s_waitcnt vmcnt(0) lgkmcnt(0)
	v_mul_f64 v[102:103], s[10:11], v[102:103]
	v_cvt_f32_f64_e32 v102, v[102:103]
	s_branch .LBB109_230
.LBB109_229:
	v_mov_b32_e32 v102, 0
.LBB109_230:
	v_add_f64 v[103:104], v[54:55], v[94:95]
	v_add_f64 v[105:106], v[56:57], v[96:97]
	;; [unrolled: 1-line block ×4, first 2 shown]
	v_cvt_f32_f64_e32 v103, v[103:104]
	v_cvt_f32_f64_e32 v104, v[105:106]
	;; [unrolled: 1-line block ×4, first 2 shown]
	v_min3_f32 v103, v103, v104, v190
	v_min_f32_e32 v104, v105, v106
	v_min3_f32 v102, v102, v104, v103
	v_lshlrev_b64 v[104:105], 3, v[132:133]
	v_cvt_f64_f32_e32 v[102:103], v102
	v_add_co_u32 v104, vcc_lo, v98, v104
	v_add_co_ci_u32_e64 v105, null, v99, v105, vcc_lo
	flat_store_dwordx2 v[104:105], v[102:103]
	s_or_b32 exec_lo, exec_lo, s12
	s_and_b32 s15, s3, s8
	s_and_saveexec_b32 s12, s15
	s_cbranch_execz .LBB109_215
.LBB109_231:
	v_cmp_ne_u32_e32 vcc_lo, 1, v144
	s_cbranch_vccnz .LBB109_233
; %bb.232:
	v_lshlrev_b64 v[102:103], 3, v[134:135]
	v_add_co_u32 v102, vcc_lo, v100, v102
	v_add_co_ci_u32_e64 v103, null, v101, v103, vcc_lo
	flat_load_dwordx2 v[102:103], v[102:103]
	s_waitcnt vmcnt(0) lgkmcnt(0)
	v_mul_f64 v[102:103], s[10:11], v[102:103]
	v_cvt_f32_f64_e32 v102, v[102:103]
	s_branch .LBB109_234
.LBB109_233:
	v_mov_b32_e32 v102, 0
.LBB109_234:
	v_add_f64 v[103:104], v[46:47], v[94:95]
	v_add_f64 v[105:106], v[48:49], v[96:97]
	;; [unrolled: 1-line block ×4, first 2 shown]
	v_cvt_f32_f64_e32 v103, v[103:104]
	v_cvt_f32_f64_e32 v104, v[105:106]
	;; [unrolled: 1-line block ×4, first 2 shown]
	v_min3_f32 v103, v103, v104, v189
	v_min_f32_e32 v104, v105, v106
	v_min3_f32 v102, v102, v104, v103
	v_lshlrev_b64 v[104:105], 3, v[134:135]
	v_cvt_f64_f32_e32 v[102:103], v102
	v_add_co_u32 v104, vcc_lo, v98, v104
	v_add_co_ci_u32_e64 v105, null, v99, v105, vcc_lo
	flat_store_dwordx2 v[104:105], v[102:103]
	s_or_b32 exec_lo, exec_lo, s12
	s_and_b32 s15, s4, s8
	s_and_saveexec_b32 s12, s15
	s_cbranch_execz .LBB109_216
.LBB109_235:
	v_cmp_ne_u32_e32 vcc_lo, 1, v144
	s_cbranch_vccnz .LBB109_237
; %bb.236:
	v_lshlrev_b64 v[102:103], 3, v[136:137]
	v_add_co_u32 v102, vcc_lo, v100, v102
	v_add_co_ci_u32_e64 v103, null, v101, v103, vcc_lo
	flat_load_dwordx2 v[102:103], v[102:103]
	s_waitcnt vmcnt(0) lgkmcnt(0)
	v_mul_f64 v[102:103], s[10:11], v[102:103]
	v_cvt_f32_f64_e32 v102, v[102:103]
	s_branch .LBB109_238
.LBB109_237:
	v_mov_b32_e32 v102, 0
.LBB109_238:
	v_add_f64 v[103:104], v[38:39], v[94:95]
	v_add_f64 v[105:106], v[40:41], v[96:97]
	;; [unrolled: 1-line block ×4, first 2 shown]
	v_cvt_f32_f64_e32 v103, v[103:104]
	v_cvt_f32_f64_e32 v104, v[105:106]
	v_cvt_f32_f64_e32 v105, v[107:108]
	v_cvt_f32_f64_e32 v106, v[109:110]
	v_min3_f32 v103, v103, v104, v188
	v_min_f32_e32 v104, v105, v106
	v_min3_f32 v102, v102, v104, v103
	v_lshlrev_b64 v[104:105], 3, v[136:137]
	v_cvt_f64_f32_e32 v[102:103], v102
	v_add_co_u32 v104, vcc_lo, v98, v104
	v_add_co_ci_u32_e64 v105, null, v99, v105, vcc_lo
	flat_store_dwordx2 v[104:105], v[102:103]
	s_or_b32 exec_lo, exec_lo, s12
	s_and_b32 s15, s5, s8
	s_and_saveexec_b32 s12, s15
	s_cbranch_execz .LBB109_217
.LBB109_239:
	v_cmp_ne_u32_e32 vcc_lo, 1, v144
	s_cbranch_vccnz .LBB109_241
; %bb.240:
	v_lshlrev_b64 v[102:103], 3, v[138:139]
	v_add_co_u32 v102, vcc_lo, v100, v102
	v_add_co_ci_u32_e64 v103, null, v101, v103, vcc_lo
	flat_load_dwordx2 v[102:103], v[102:103]
	s_waitcnt vmcnt(0) lgkmcnt(0)
	v_mul_f64 v[102:103], s[10:11], v[102:103]
	v_cvt_f32_f64_e32 v102, v[102:103]
	s_branch .LBB109_242
.LBB109_241:
	v_mov_b32_e32 v102, 0
.LBB109_242:
	v_add_f64 v[103:104], v[30:31], v[94:95]
	v_add_f64 v[105:106], v[32:33], v[96:97]
	;; [unrolled: 1-line block ×4, first 2 shown]
	v_cvt_f32_f64_e32 v103, v[103:104]
	v_cvt_f32_f64_e32 v104, v[105:106]
	;; [unrolled: 1-line block ×4, first 2 shown]
	v_min3_f32 v103, v103, v104, v187
	v_min_f32_e32 v104, v105, v106
	v_min3_f32 v102, v102, v104, v103
	v_lshlrev_b64 v[104:105], 3, v[138:139]
	v_cvt_f64_f32_e32 v[102:103], v102
	v_add_co_u32 v104, vcc_lo, v98, v104
	v_add_co_ci_u32_e64 v105, null, v99, v105, vcc_lo
	flat_store_dwordx2 v[104:105], v[102:103]
	s_or_b32 exec_lo, exec_lo, s12
	s_and_b32 s15, s6, s8
	s_and_saveexec_b32 s12, s15
	s_cbranch_execz .LBB109_218
.LBB109_243:
	v_cmp_ne_u32_e32 vcc_lo, 1, v144
	s_cbranch_vccnz .LBB109_245
; %bb.244:
	v_lshlrev_b64 v[102:103], 3, v[140:141]
	v_add_co_u32 v102, vcc_lo, v100, v102
	v_add_co_ci_u32_e64 v103, null, v101, v103, vcc_lo
	flat_load_dwordx2 v[102:103], v[102:103]
	s_waitcnt vmcnt(0) lgkmcnt(0)
	v_mul_f64 v[102:103], s[10:11], v[102:103]
	v_cvt_f32_f64_e32 v102, v[102:103]
	s_branch .LBB109_246
.LBB109_245:
	v_mov_b32_e32 v102, 0
.LBB109_246:
	v_add_f64 v[103:104], v[22:23], v[94:95]
	v_add_f64 v[105:106], v[24:25], v[96:97]
	;; [unrolled: 1-line block ×4, first 2 shown]
	v_cvt_f32_f64_e32 v103, v[103:104]
	v_cvt_f32_f64_e32 v104, v[105:106]
	;; [unrolled: 1-line block ×4, first 2 shown]
	v_min3_f32 v103, v103, v104, v186
	v_min_f32_e32 v104, v105, v106
	v_min3_f32 v102, v102, v104, v103
	v_lshlrev_b64 v[104:105], 3, v[140:141]
	v_cvt_f64_f32_e32 v[102:103], v102
	v_add_co_u32 v104, vcc_lo, v98, v104
	v_add_co_ci_u32_e64 v105, null, v99, v105, vcc_lo
	flat_store_dwordx2 v[104:105], v[102:103]
	s_or_b32 exec_lo, exec_lo, s12
	s_and_b32 s12, s7, s8
	s_and_saveexec_b32 s8, s12
	s_cbranch_execz .LBB109_251
.LBB109_247:
	v_cmp_ne_u32_e32 vcc_lo, 1, v144
	s_cbranch_vccnz .LBB109_249
; %bb.248:
	v_lshlrev_b64 v[102:103], 3, v[142:143]
	v_add_co_u32 v100, vcc_lo, v100, v102
	v_add_co_ci_u32_e64 v101, null, v101, v103, vcc_lo
	flat_load_dwordx2 v[100:101], v[100:101]
	s_waitcnt vmcnt(0) lgkmcnt(0)
	v_mul_f64 v[100:101], s[10:11], v[100:101]
	v_cvt_f32_f64_e32 v100, v[100:101]
	s_branch .LBB109_250
.LBB109_249:
	v_mov_b32_e32 v100, 0
.LBB109_250:
	v_add_f64 v[94:95], v[6:7], v[94:95]
	v_add_f64 v[96:97], v[8:9], v[96:97]
	;; [unrolled: 1-line block ×4, first 2 shown]
	v_cvt_f32_f64_e32 v94, v[94:95]
	v_cvt_f32_f64_e32 v95, v[96:97]
	;; [unrolled: 1-line block ×4, first 2 shown]
	v_min3_f32 v92, v94, v95, v185
	v_min_f32_e32 v90, v90, v91
	v_min3_f32 v90, v100, v90, v92
	v_lshlrev_b64 v[92:93], 3, v[142:143]
	v_cvt_f64_f32_e32 v[90:91], v90
	v_add_co_u32 v92, vcc_lo, v98, v92
	v_add_co_ci_u32_e64 v93, null, v99, v93, vcc_lo
	flat_store_dwordx2 v[92:93], v[90:91]
.LBB109_251:
	s_or_b32 exec_lo, exec_lo, s8
	v_add_nc_u32_e32 v94, 40, v145
	v_mad_i64_i32 v[90:91], null, v94, s18, 0
	v_mad_i64_i32 v[92:93], null, v94, s14, 0
	v_cmp_gt_i32_e64 s8, s13, v94
	v_lshlrev_b64 v[90:91], 3, v[90:91]
	s_and_b32 s15, s0, s8
	v_lshlrev_b64 v[94:95], 3, v[92:93]
	v_add_co_u32 v92, vcc_lo, s16, v90
	v_add_co_ci_u32_e64 v93, null, s17, v91, vcc_lo
	v_add_co_u32 v90, vcc_lo, s19, v94
	v_add_co_ci_u32_e64 v91, null, s9, v95, vcc_lo
	s_and_saveexec_b32 s12, s15
	s_cbranch_execnz .LBB109_259
; %bb.252:
	s_or_b32 exec_lo, exec_lo, s12
	s_and_b32 s15, s1, s8
	s_and_saveexec_b32 s12, s15
	s_cbranch_execnz .LBB109_263
.LBB109_253:
	s_or_b32 exec_lo, exec_lo, s12
	s_and_b32 s15, s2, s8
	s_and_saveexec_b32 s12, s15
	s_cbranch_execnz .LBB109_267
.LBB109_254:
	s_or_b32 exec_lo, exec_lo, s12
	s_and_b32 s15, s3, s8
	s_and_saveexec_b32 s12, s15
	s_cbranch_execnz .LBB109_271
.LBB109_255:
	s_or_b32 exec_lo, exec_lo, s12
	s_and_b32 s15, s4, s8
	s_and_saveexec_b32 s12, s15
	s_cbranch_execnz .LBB109_275
.LBB109_256:
	s_or_b32 exec_lo, exec_lo, s12
	s_and_b32 s15, s5, s8
	s_and_saveexec_b32 s12, s15
	s_cbranch_execnz .LBB109_279
.LBB109_257:
	s_or_b32 exec_lo, exec_lo, s12
	s_and_b32 s15, s6, s8
	s_and_saveexec_b32 s12, s15
	s_cbranch_execnz .LBB109_283
.LBB109_258:
	s_or_b32 exec_lo, exec_lo, s12
	s_and_b32 s12, s7, s8
	s_and_saveexec_b32 s8, s12
	s_cbranch_execnz .LBB109_287
	s_branch .LBB109_291
.LBB109_259:
	v_cmp_ne_u32_e32 vcc_lo, 1, v144
	s_cbranch_vccnz .LBB109_261
; %bb.260:
	v_lshlrev_b64 v[94:95], 3, v[0:1]
	v_add_co_u32 v94, vcc_lo, v92, v94
	v_add_co_ci_u32_e64 v95, null, v93, v95, vcc_lo
	flat_load_dwordx2 v[94:95], v[94:95]
	s_waitcnt vmcnt(0) lgkmcnt(0)
	v_mul_f64 v[94:95], s[10:11], v[94:95]
	v_cvt_f32_f64_e32 v94, v[94:95]
	s_branch .LBB109_262
.LBB109_261:
	v_mov_b32_e32 v94, 0
.LBB109_262:
	v_add_f64 v[95:96], v[70:71], v[86:87]
	v_add_f64 v[97:98], v[72:73], v[88:89]
	v_add_f64 v[99:100], v[66:67], v[82:83]
	v_add_f64 v[101:102], v[68:69], v[84:85]
	v_cvt_f32_f64_e32 v95, v[95:96]
	v_cvt_f32_f64_e32 v96, v[97:98]
	v_cvt_f32_f64_e32 v97, v[99:100]
	v_cvt_f32_f64_e32 v98, v[101:102]
	v_min3_f32 v95, v95, v96, v184
	v_min_f32_e32 v96, v97, v98
	v_min3_f32 v94, v94, v96, v95
	v_lshlrev_b64 v[96:97], 3, v[0:1]
	v_cvt_f64_f32_e32 v[94:95], v94
	v_add_co_u32 v96, vcc_lo, v90, v96
	v_add_co_ci_u32_e64 v97, null, v91, v97, vcc_lo
	flat_store_dwordx2 v[96:97], v[94:95]
	s_or_b32 exec_lo, exec_lo, s12
	s_and_b32 s15, s1, s8
	s_and_saveexec_b32 s12, s15
	s_cbranch_execz .LBB109_253
.LBB109_263:
	v_cmp_ne_u32_e32 vcc_lo, 1, v144
	s_cbranch_vccnz .LBB109_265
; %bb.264:
	v_lshlrev_b64 v[94:95], 3, v[130:131]
	v_add_co_u32 v94, vcc_lo, v92, v94
	v_add_co_ci_u32_e64 v95, null, v93, v95, vcc_lo
	flat_load_dwordx2 v[94:95], v[94:95]
	s_waitcnt vmcnt(0) lgkmcnt(0)
	v_mul_f64 v[94:95], s[10:11], v[94:95]
	v_cvt_f32_f64_e32 v94, v[94:95]
	s_branch .LBB109_266
.LBB109_265:
	v_mov_b32_e32 v94, 0
.LBB109_266:
	v_add_f64 v[95:96], v[62:63], v[86:87]
	v_add_f64 v[97:98], v[64:65], v[88:89]
	;; [unrolled: 1-line block ×4, first 2 shown]
	v_cvt_f32_f64_e32 v95, v[95:96]
	v_cvt_f32_f64_e32 v96, v[97:98]
	;; [unrolled: 1-line block ×4, first 2 shown]
	v_min3_f32 v95, v95, v96, v181
	v_min_f32_e32 v96, v97, v98
	v_min3_f32 v94, v94, v96, v95
	v_lshlrev_b64 v[96:97], 3, v[130:131]
	v_cvt_f64_f32_e32 v[94:95], v94
	v_add_co_u32 v96, vcc_lo, v90, v96
	v_add_co_ci_u32_e64 v97, null, v91, v97, vcc_lo
	flat_store_dwordx2 v[96:97], v[94:95]
	s_or_b32 exec_lo, exec_lo, s12
	s_and_b32 s15, s2, s8
	s_and_saveexec_b32 s12, s15
	s_cbranch_execz .LBB109_254
.LBB109_267:
	v_cmp_ne_u32_e32 vcc_lo, 1, v144
	s_cbranch_vccnz .LBB109_269
; %bb.268:
	v_lshlrev_b64 v[94:95], 3, v[132:133]
	v_add_co_u32 v94, vcc_lo, v92, v94
	v_add_co_ci_u32_e64 v95, null, v93, v95, vcc_lo
	flat_load_dwordx2 v[94:95], v[94:95]
	s_waitcnt vmcnt(0) lgkmcnt(0)
	v_mul_f64 v[94:95], s[10:11], v[94:95]
	v_cvt_f32_f64_e32 v94, v[94:95]
	s_branch .LBB109_270
.LBB109_269:
	v_mov_b32_e32 v94, 0
.LBB109_270:
	v_add_f64 v[95:96], v[54:55], v[86:87]
	v_add_f64 v[97:98], v[56:57], v[88:89]
	v_add_f64 v[99:100], v[50:51], v[82:83]
	v_add_f64 v[101:102], v[52:53], v[84:85]
	v_cvt_f32_f64_e32 v95, v[95:96]
	v_cvt_f32_f64_e32 v96, v[97:98]
	;; [unrolled: 1-line block ×4, first 2 shown]
	v_min3_f32 v95, v95, v96, v178
	v_min_f32_e32 v96, v97, v98
	v_min3_f32 v94, v94, v96, v95
	v_lshlrev_b64 v[96:97], 3, v[132:133]
	v_cvt_f64_f32_e32 v[94:95], v94
	v_add_co_u32 v96, vcc_lo, v90, v96
	v_add_co_ci_u32_e64 v97, null, v91, v97, vcc_lo
	flat_store_dwordx2 v[96:97], v[94:95]
	s_or_b32 exec_lo, exec_lo, s12
	s_and_b32 s15, s3, s8
	s_and_saveexec_b32 s12, s15
	s_cbranch_execz .LBB109_255
.LBB109_271:
	v_cmp_ne_u32_e32 vcc_lo, 1, v144
	s_cbranch_vccnz .LBB109_273
; %bb.272:
	v_lshlrev_b64 v[94:95], 3, v[134:135]
	v_add_co_u32 v94, vcc_lo, v92, v94
	v_add_co_ci_u32_e64 v95, null, v93, v95, vcc_lo
	flat_load_dwordx2 v[94:95], v[94:95]
	s_waitcnt vmcnt(0) lgkmcnt(0)
	v_mul_f64 v[94:95], s[10:11], v[94:95]
	v_cvt_f32_f64_e32 v94, v[94:95]
	s_branch .LBB109_274
.LBB109_273:
	v_mov_b32_e32 v94, 0
.LBB109_274:
	v_add_f64 v[95:96], v[46:47], v[86:87]
	v_add_f64 v[97:98], v[48:49], v[88:89]
	;; [unrolled: 1-line block ×4, first 2 shown]
	v_cvt_f32_f64_e32 v95, v[95:96]
	v_cvt_f32_f64_e32 v96, v[97:98]
	;; [unrolled: 1-line block ×4, first 2 shown]
	v_min3_f32 v95, v95, v96, v173
	v_min_f32_e32 v96, v97, v98
	v_min3_f32 v94, v94, v96, v95
	v_lshlrev_b64 v[96:97], 3, v[134:135]
	v_cvt_f64_f32_e32 v[94:95], v94
	v_add_co_u32 v96, vcc_lo, v90, v96
	v_add_co_ci_u32_e64 v97, null, v91, v97, vcc_lo
	flat_store_dwordx2 v[96:97], v[94:95]
	s_or_b32 exec_lo, exec_lo, s12
	s_and_b32 s15, s4, s8
	s_and_saveexec_b32 s12, s15
	s_cbranch_execz .LBB109_256
.LBB109_275:
	v_cmp_ne_u32_e32 vcc_lo, 1, v144
	s_cbranch_vccnz .LBB109_277
; %bb.276:
	v_lshlrev_b64 v[94:95], 3, v[136:137]
	v_add_co_u32 v94, vcc_lo, v92, v94
	v_add_co_ci_u32_e64 v95, null, v93, v95, vcc_lo
	flat_load_dwordx2 v[94:95], v[94:95]
	s_waitcnt vmcnt(0) lgkmcnt(0)
	v_mul_f64 v[94:95], s[10:11], v[94:95]
	v_cvt_f32_f64_e32 v94, v[94:95]
	s_branch .LBB109_278
.LBB109_277:
	v_mov_b32_e32 v94, 0
.LBB109_278:
	v_add_f64 v[95:96], v[38:39], v[86:87]
	v_add_f64 v[97:98], v[40:41], v[88:89]
	;; [unrolled: 1-line block ×4, first 2 shown]
	v_cvt_f32_f64_e32 v95, v[95:96]
	v_cvt_f32_f64_e32 v96, v[97:98]
	;; [unrolled: 1-line block ×4, first 2 shown]
	v_min3_f32 v95, v95, v96, v172
	v_min_f32_e32 v96, v97, v98
	v_min3_f32 v94, v94, v96, v95
	v_lshlrev_b64 v[96:97], 3, v[136:137]
	v_cvt_f64_f32_e32 v[94:95], v94
	v_add_co_u32 v96, vcc_lo, v90, v96
	v_add_co_ci_u32_e64 v97, null, v91, v97, vcc_lo
	flat_store_dwordx2 v[96:97], v[94:95]
	s_or_b32 exec_lo, exec_lo, s12
	s_and_b32 s15, s5, s8
	s_and_saveexec_b32 s12, s15
	s_cbranch_execz .LBB109_257
.LBB109_279:
	v_cmp_ne_u32_e32 vcc_lo, 1, v144
	s_cbranch_vccnz .LBB109_281
; %bb.280:
	v_lshlrev_b64 v[94:95], 3, v[138:139]
	v_add_co_u32 v94, vcc_lo, v92, v94
	v_add_co_ci_u32_e64 v95, null, v93, v95, vcc_lo
	flat_load_dwordx2 v[94:95], v[94:95]
	s_waitcnt vmcnt(0) lgkmcnt(0)
	v_mul_f64 v[94:95], s[10:11], v[94:95]
	v_cvt_f32_f64_e32 v94, v[94:95]
	s_branch .LBB109_282
.LBB109_281:
	v_mov_b32_e32 v94, 0
.LBB109_282:
	v_add_f64 v[95:96], v[30:31], v[86:87]
	v_add_f64 v[97:98], v[32:33], v[88:89]
	;; [unrolled: 1-line block ×4, first 2 shown]
	v_cvt_f32_f64_e32 v95, v[95:96]
	v_cvt_f32_f64_e32 v96, v[97:98]
	;; [unrolled: 1-line block ×4, first 2 shown]
	v_min3_f32 v95, v95, v96, v171
	v_min_f32_e32 v96, v97, v98
	v_min3_f32 v94, v94, v96, v95
	v_lshlrev_b64 v[96:97], 3, v[138:139]
	v_cvt_f64_f32_e32 v[94:95], v94
	v_add_co_u32 v96, vcc_lo, v90, v96
	v_add_co_ci_u32_e64 v97, null, v91, v97, vcc_lo
	flat_store_dwordx2 v[96:97], v[94:95]
	s_or_b32 exec_lo, exec_lo, s12
	s_and_b32 s15, s6, s8
	s_and_saveexec_b32 s12, s15
	s_cbranch_execz .LBB109_258
.LBB109_283:
	v_cmp_ne_u32_e32 vcc_lo, 1, v144
	s_cbranch_vccnz .LBB109_285
; %bb.284:
	v_lshlrev_b64 v[94:95], 3, v[140:141]
	v_add_co_u32 v94, vcc_lo, v92, v94
	v_add_co_ci_u32_e64 v95, null, v93, v95, vcc_lo
	flat_load_dwordx2 v[94:95], v[94:95]
	s_waitcnt vmcnt(0) lgkmcnt(0)
	v_mul_f64 v[94:95], s[10:11], v[94:95]
	v_cvt_f32_f64_e32 v94, v[94:95]
	s_branch .LBB109_286
.LBB109_285:
	v_mov_b32_e32 v94, 0
.LBB109_286:
	v_add_f64 v[95:96], v[22:23], v[86:87]
	v_add_f64 v[97:98], v[24:25], v[88:89]
	;; [unrolled: 1-line block ×4, first 2 shown]
	v_cvt_f32_f64_e32 v95, v[95:96]
	v_cvt_f32_f64_e32 v96, v[97:98]
	;; [unrolled: 1-line block ×4, first 2 shown]
	v_min3_f32 v95, v95, v96, v170
	v_min_f32_e32 v96, v97, v98
	v_min3_f32 v94, v94, v96, v95
	v_lshlrev_b64 v[96:97], 3, v[140:141]
	v_cvt_f64_f32_e32 v[94:95], v94
	v_add_co_u32 v96, vcc_lo, v90, v96
	v_add_co_ci_u32_e64 v97, null, v91, v97, vcc_lo
	flat_store_dwordx2 v[96:97], v[94:95]
	s_or_b32 exec_lo, exec_lo, s12
	s_and_b32 s12, s7, s8
	s_and_saveexec_b32 s8, s12
	s_cbranch_execz .LBB109_291
.LBB109_287:
	v_cmp_ne_u32_e32 vcc_lo, 1, v144
	s_cbranch_vccnz .LBB109_289
; %bb.288:
	v_lshlrev_b64 v[94:95], 3, v[142:143]
	v_add_co_u32 v92, vcc_lo, v92, v94
	v_add_co_ci_u32_e64 v93, null, v93, v95, vcc_lo
	flat_load_dwordx2 v[92:93], v[92:93]
	s_waitcnt vmcnt(0) lgkmcnt(0)
	v_mul_f64 v[92:93], s[10:11], v[92:93]
	v_cvt_f32_f64_e32 v92, v[92:93]
	s_branch .LBB109_290
.LBB109_289:
	v_mov_b32_e32 v92, 0
.LBB109_290:
	v_add_f64 v[86:87], v[6:7], v[86:87]
	v_add_f64 v[88:89], v[8:9], v[88:89]
	;; [unrolled: 1-line block ×4, first 2 shown]
	v_cvt_f32_f64_e32 v86, v[86:87]
	v_cvt_f32_f64_e32 v87, v[88:89]
	;; [unrolled: 1-line block ×4, first 2 shown]
	v_min3_f32 v84, v86, v87, v169
	v_min_f32_e32 v82, v82, v83
	v_min3_f32 v82, v92, v82, v84
	v_lshlrev_b64 v[84:85], 3, v[142:143]
	v_cvt_f64_f32_e32 v[82:83], v82
	v_add_co_u32 v84, vcc_lo, v90, v84
	v_add_co_ci_u32_e64 v85, null, v91, v85, vcc_lo
	flat_store_dwordx2 v[84:85], v[82:83]
.LBB109_291:
	s_or_b32 exec_lo, exec_lo, s8
	v_add_nc_u32_e32 v86, 48, v145
	v_mad_i64_i32 v[82:83], null, v86, s18, 0
	v_mad_i64_i32 v[84:85], null, v86, s14, 0
	v_cmp_gt_i32_e64 s8, s13, v86
	v_lshlrev_b64 v[82:83], 3, v[82:83]
	s_and_b32 s15, s0, s8
	v_lshlrev_b64 v[86:87], 3, v[84:85]
	v_add_co_u32 v84, vcc_lo, s16, v82
	v_add_co_ci_u32_e64 v85, null, s17, v83, vcc_lo
	v_add_co_u32 v82, vcc_lo, s19, v86
	v_add_co_ci_u32_e64 v83, null, s9, v87, vcc_lo
	s_and_saveexec_b32 s12, s15
	s_cbranch_execnz .LBB109_299
; %bb.292:
	s_or_b32 exec_lo, exec_lo, s12
	s_and_b32 s15, s1, s8
	s_and_saveexec_b32 s12, s15
	s_cbranch_execnz .LBB109_303
.LBB109_293:
	s_or_b32 exec_lo, exec_lo, s12
	s_and_b32 s15, s2, s8
	s_and_saveexec_b32 s12, s15
	s_cbranch_execnz .LBB109_307
.LBB109_294:
	s_or_b32 exec_lo, exec_lo, s12
	s_and_b32 s15, s3, s8
	s_and_saveexec_b32 s12, s15
	s_cbranch_execnz .LBB109_311
.LBB109_295:
	s_or_b32 exec_lo, exec_lo, s12
	s_and_b32 s15, s4, s8
	s_and_saveexec_b32 s12, s15
	s_cbranch_execnz .LBB109_315
.LBB109_296:
	s_or_b32 exec_lo, exec_lo, s12
	s_and_b32 s15, s5, s8
	s_and_saveexec_b32 s12, s15
	s_cbranch_execnz .LBB109_319
.LBB109_297:
	s_or_b32 exec_lo, exec_lo, s12
	s_and_b32 s15, s6, s8
	s_and_saveexec_b32 s12, s15
	s_cbranch_execnz .LBB109_323
.LBB109_298:
	s_or_b32 exec_lo, exec_lo, s12
	s_and_b32 s12, s7, s8
	s_and_saveexec_b32 s8, s12
	s_cbranch_execnz .LBB109_327
	s_branch .LBB109_331
.LBB109_299:
	v_cmp_ne_u32_e32 vcc_lo, 1, v144
	s_cbranch_vccnz .LBB109_301
; %bb.300:
	v_lshlrev_b64 v[86:87], 3, v[0:1]
	v_add_co_u32 v86, vcc_lo, v84, v86
	v_add_co_ci_u32_e64 v87, null, v85, v87, vcc_lo
	flat_load_dwordx2 v[86:87], v[86:87]
	s_waitcnt vmcnt(0) lgkmcnt(0)
	v_mul_f64 v[86:87], s[10:11], v[86:87]
	v_cvt_f32_f64_e32 v86, v[86:87]
	s_branch .LBB109_302
.LBB109_301:
	v_mov_b32_e32 v86, 0
.LBB109_302:
	v_add_f64 v[87:88], v[70:71], v[78:79]
	v_add_f64 v[89:90], v[72:73], v[80:81]
	;; [unrolled: 1-line block ×4, first 2 shown]
	v_cvt_f32_f64_e32 v87, v[87:88]
	v_cvt_f32_f64_e32 v88, v[89:90]
	;; [unrolled: 1-line block ×4, first 2 shown]
	v_min3_f32 v87, v87, v88, v168
	v_min_f32_e32 v88, v89, v90
	v_min3_f32 v86, v86, v88, v87
	v_lshlrev_b64 v[88:89], 3, v[0:1]
	v_cvt_f64_f32_e32 v[86:87], v86
	v_add_co_u32 v88, vcc_lo, v82, v88
	v_add_co_ci_u32_e64 v89, null, v83, v89, vcc_lo
	flat_store_dwordx2 v[88:89], v[86:87]
	s_or_b32 exec_lo, exec_lo, s12
	s_and_b32 s15, s1, s8
	s_and_saveexec_b32 s12, s15
	s_cbranch_execz .LBB109_293
.LBB109_303:
	v_cmp_ne_u32_e32 vcc_lo, 1, v144
	s_cbranch_vccnz .LBB109_305
; %bb.304:
	v_lshlrev_b64 v[86:87], 3, v[130:131]
	v_add_co_u32 v86, vcc_lo, v84, v86
	v_add_co_ci_u32_e64 v87, null, v85, v87, vcc_lo
	flat_load_dwordx2 v[86:87], v[86:87]
	s_waitcnt vmcnt(0) lgkmcnt(0)
	v_mul_f64 v[86:87], s[10:11], v[86:87]
	v_cvt_f32_f64_e32 v86, v[86:87]
	s_branch .LBB109_306
.LBB109_305:
	v_mov_b32_e32 v86, 0
.LBB109_306:
	v_add_f64 v[87:88], v[62:63], v[78:79]
	v_add_f64 v[89:90], v[64:65], v[80:81]
	;; [unrolled: 1-line block ×4, first 2 shown]
	v_cvt_f32_f64_e32 v87, v[87:88]
	v_cvt_f32_f64_e32 v88, v[89:90]
	;; [unrolled: 1-line block ×4, first 2 shown]
	v_min3_f32 v87, v87, v88, v167
	v_min_f32_e32 v88, v89, v90
	v_min3_f32 v86, v86, v88, v87
	v_lshlrev_b64 v[88:89], 3, v[130:131]
	v_cvt_f64_f32_e32 v[86:87], v86
	v_add_co_u32 v88, vcc_lo, v82, v88
	v_add_co_ci_u32_e64 v89, null, v83, v89, vcc_lo
	flat_store_dwordx2 v[88:89], v[86:87]
	s_or_b32 exec_lo, exec_lo, s12
	s_and_b32 s15, s2, s8
	s_and_saveexec_b32 s12, s15
	s_cbranch_execz .LBB109_294
.LBB109_307:
	v_cmp_ne_u32_e32 vcc_lo, 1, v144
	s_cbranch_vccnz .LBB109_309
; %bb.308:
	v_lshlrev_b64 v[86:87], 3, v[132:133]
	v_add_co_u32 v86, vcc_lo, v84, v86
	v_add_co_ci_u32_e64 v87, null, v85, v87, vcc_lo
	flat_load_dwordx2 v[86:87], v[86:87]
	s_waitcnt vmcnt(0) lgkmcnt(0)
	v_mul_f64 v[86:87], s[10:11], v[86:87]
	v_cvt_f32_f64_e32 v86, v[86:87]
	s_branch .LBB109_310
.LBB109_309:
	v_mov_b32_e32 v86, 0
.LBB109_310:
	v_add_f64 v[87:88], v[54:55], v[78:79]
	v_add_f64 v[89:90], v[56:57], v[80:81]
	;; [unrolled: 1-line block ×4, first 2 shown]
	v_cvt_f32_f64_e32 v87, v[87:88]
	v_cvt_f32_f64_e32 v88, v[89:90]
	;; [unrolled: 1-line block ×4, first 2 shown]
	v_min3_f32 v87, v87, v88, v166
	v_min_f32_e32 v88, v89, v90
	v_min3_f32 v86, v86, v88, v87
	v_lshlrev_b64 v[88:89], 3, v[132:133]
	v_cvt_f64_f32_e32 v[86:87], v86
	v_add_co_u32 v88, vcc_lo, v82, v88
	v_add_co_ci_u32_e64 v89, null, v83, v89, vcc_lo
	flat_store_dwordx2 v[88:89], v[86:87]
	s_or_b32 exec_lo, exec_lo, s12
	s_and_b32 s15, s3, s8
	s_and_saveexec_b32 s12, s15
	s_cbranch_execz .LBB109_295
.LBB109_311:
	v_cmp_ne_u32_e32 vcc_lo, 1, v144
	s_cbranch_vccnz .LBB109_313
; %bb.312:
	v_lshlrev_b64 v[86:87], 3, v[134:135]
	v_add_co_u32 v86, vcc_lo, v84, v86
	v_add_co_ci_u32_e64 v87, null, v85, v87, vcc_lo
	flat_load_dwordx2 v[86:87], v[86:87]
	s_waitcnt vmcnt(0) lgkmcnt(0)
	v_mul_f64 v[86:87], s[10:11], v[86:87]
	v_cvt_f32_f64_e32 v86, v[86:87]
	s_branch .LBB109_314
.LBB109_313:
	v_mov_b32_e32 v86, 0
.LBB109_314:
	v_add_f64 v[87:88], v[46:47], v[78:79]
	v_add_f64 v[89:90], v[48:49], v[80:81]
	;; [unrolled: 1-line block ×4, first 2 shown]
	v_cvt_f32_f64_e32 v87, v[87:88]
	v_cvt_f32_f64_e32 v88, v[89:90]
	;; [unrolled: 1-line block ×4, first 2 shown]
	v_min3_f32 v87, v87, v88, v165
	v_min_f32_e32 v88, v89, v90
	v_min3_f32 v86, v86, v88, v87
	v_lshlrev_b64 v[88:89], 3, v[134:135]
	v_cvt_f64_f32_e32 v[86:87], v86
	v_add_co_u32 v88, vcc_lo, v82, v88
	v_add_co_ci_u32_e64 v89, null, v83, v89, vcc_lo
	flat_store_dwordx2 v[88:89], v[86:87]
	s_or_b32 exec_lo, exec_lo, s12
	s_and_b32 s15, s4, s8
	s_and_saveexec_b32 s12, s15
	s_cbranch_execz .LBB109_296
.LBB109_315:
	v_cmp_ne_u32_e32 vcc_lo, 1, v144
	s_cbranch_vccnz .LBB109_317
; %bb.316:
	v_lshlrev_b64 v[86:87], 3, v[136:137]
	v_add_co_u32 v86, vcc_lo, v84, v86
	v_add_co_ci_u32_e64 v87, null, v85, v87, vcc_lo
	flat_load_dwordx2 v[86:87], v[86:87]
	s_waitcnt vmcnt(0) lgkmcnt(0)
	v_mul_f64 v[86:87], s[10:11], v[86:87]
	v_cvt_f32_f64_e32 v86, v[86:87]
	s_branch .LBB109_318
.LBB109_317:
	v_mov_b32_e32 v86, 0
.LBB109_318:
	v_add_f64 v[87:88], v[38:39], v[78:79]
	v_add_f64 v[89:90], v[40:41], v[80:81]
	;; [unrolled: 1-line block ×4, first 2 shown]
	v_cvt_f32_f64_e32 v87, v[87:88]
	v_cvt_f32_f64_e32 v88, v[89:90]
	;; [unrolled: 1-line block ×4, first 2 shown]
	v_min3_f32 v87, v87, v88, v164
	v_min_f32_e32 v88, v89, v90
	v_min3_f32 v86, v86, v88, v87
	v_lshlrev_b64 v[88:89], 3, v[136:137]
	v_cvt_f64_f32_e32 v[86:87], v86
	v_add_co_u32 v88, vcc_lo, v82, v88
	v_add_co_ci_u32_e64 v89, null, v83, v89, vcc_lo
	flat_store_dwordx2 v[88:89], v[86:87]
	s_or_b32 exec_lo, exec_lo, s12
	s_and_b32 s15, s5, s8
	s_and_saveexec_b32 s12, s15
	s_cbranch_execz .LBB109_297
.LBB109_319:
	v_cmp_ne_u32_e32 vcc_lo, 1, v144
	s_cbranch_vccnz .LBB109_321
; %bb.320:
	v_lshlrev_b64 v[86:87], 3, v[138:139]
	v_add_co_u32 v86, vcc_lo, v84, v86
	v_add_co_ci_u32_e64 v87, null, v85, v87, vcc_lo
	flat_load_dwordx2 v[86:87], v[86:87]
	s_waitcnt vmcnt(0) lgkmcnt(0)
	v_mul_f64 v[86:87], s[10:11], v[86:87]
	v_cvt_f32_f64_e32 v86, v[86:87]
	s_branch .LBB109_322
.LBB109_321:
	v_mov_b32_e32 v86, 0
.LBB109_322:
	v_add_f64 v[87:88], v[30:31], v[78:79]
	v_add_f64 v[89:90], v[32:33], v[80:81]
	;; [unrolled: 1-line block ×4, first 2 shown]
	v_cvt_f32_f64_e32 v87, v[87:88]
	v_cvt_f32_f64_e32 v88, v[89:90]
	;; [unrolled: 1-line block ×4, first 2 shown]
	v_min3_f32 v87, v87, v88, v163
	v_min_f32_e32 v88, v89, v90
	v_min3_f32 v86, v86, v88, v87
	v_lshlrev_b64 v[88:89], 3, v[138:139]
	v_cvt_f64_f32_e32 v[86:87], v86
	v_add_co_u32 v88, vcc_lo, v82, v88
	v_add_co_ci_u32_e64 v89, null, v83, v89, vcc_lo
	flat_store_dwordx2 v[88:89], v[86:87]
	s_or_b32 exec_lo, exec_lo, s12
	s_and_b32 s15, s6, s8
	s_and_saveexec_b32 s12, s15
	s_cbranch_execz .LBB109_298
.LBB109_323:
	v_cmp_ne_u32_e32 vcc_lo, 1, v144
	s_cbranch_vccnz .LBB109_325
; %bb.324:
	v_lshlrev_b64 v[86:87], 3, v[140:141]
	v_add_co_u32 v86, vcc_lo, v84, v86
	v_add_co_ci_u32_e64 v87, null, v85, v87, vcc_lo
	flat_load_dwordx2 v[86:87], v[86:87]
	s_waitcnt vmcnt(0) lgkmcnt(0)
	v_mul_f64 v[86:87], s[10:11], v[86:87]
	v_cvt_f32_f64_e32 v86, v[86:87]
	s_branch .LBB109_326
.LBB109_325:
	v_mov_b32_e32 v86, 0
.LBB109_326:
	v_add_f64 v[87:88], v[22:23], v[78:79]
	v_add_f64 v[89:90], v[24:25], v[80:81]
	;; [unrolled: 1-line block ×4, first 2 shown]
	v_cvt_f32_f64_e32 v87, v[87:88]
	v_cvt_f32_f64_e32 v88, v[89:90]
	;; [unrolled: 1-line block ×4, first 2 shown]
	v_min3_f32 v87, v87, v88, v162
	v_min_f32_e32 v88, v89, v90
	v_min3_f32 v86, v86, v88, v87
	v_lshlrev_b64 v[88:89], 3, v[140:141]
	v_cvt_f64_f32_e32 v[86:87], v86
	v_add_co_u32 v88, vcc_lo, v82, v88
	v_add_co_ci_u32_e64 v89, null, v83, v89, vcc_lo
	flat_store_dwordx2 v[88:89], v[86:87]
	s_or_b32 exec_lo, exec_lo, s12
	s_and_b32 s12, s7, s8
	s_and_saveexec_b32 s8, s12
	s_cbranch_execz .LBB109_331
.LBB109_327:
	v_cmp_ne_u32_e32 vcc_lo, 1, v144
	s_cbranch_vccnz .LBB109_329
; %bb.328:
	v_lshlrev_b64 v[86:87], 3, v[142:143]
	v_add_co_u32 v84, vcc_lo, v84, v86
	v_add_co_ci_u32_e64 v85, null, v85, v87, vcc_lo
	flat_load_dwordx2 v[84:85], v[84:85]
	s_waitcnt vmcnt(0) lgkmcnt(0)
	v_mul_f64 v[84:85], s[10:11], v[84:85]
	v_cvt_f32_f64_e32 v84, v[84:85]
	s_branch .LBB109_330
.LBB109_329:
	v_mov_b32_e32 v84, 0
.LBB109_330:
	v_add_f64 v[78:79], v[6:7], v[78:79]
	v_add_f64 v[80:81], v[8:9], v[80:81]
	;; [unrolled: 1-line block ×4, first 2 shown]
	v_cvt_f32_f64_e32 v78, v[78:79]
	v_cvt_f32_f64_e32 v79, v[80:81]
	;; [unrolled: 1-line block ×4, first 2 shown]
	v_min3_f32 v76, v78, v79, v161
	v_min_f32_e32 v74, v74, v75
	v_min3_f32 v74, v84, v74, v76
	v_lshlrev_b64 v[76:77], 3, v[142:143]
	v_cvt_f64_f32_e32 v[74:75], v74
	v_add_co_u32 v76, vcc_lo, v82, v76
	v_add_co_ci_u32_e64 v77, null, v83, v77, vcc_lo
	flat_store_dwordx2 v[76:77], v[74:75]
.LBB109_331:
	s_or_b32 exec_lo, exec_lo, s8
	v_add_nc_u32_e32 v78, 56, v145
	v_mad_i64_i32 v[74:75], null, v78, s18, 0
	v_mad_i64_i32 v[76:77], null, v78, s14, 0
	v_cmp_gt_i32_e64 s8, s13, v78
	v_lshlrev_b64 v[74:75], 3, v[74:75]
	v_lshlrev_b64 v[78:79], 3, v[76:77]
	v_add_co_u32 v76, vcc_lo, s16, v74
	v_add_co_ci_u32_e64 v77, null, s17, v75, vcc_lo
	v_add_co_u32 v74, vcc_lo, s19, v78
	v_add_co_ci_u32_e64 v75, null, s9, v79, vcc_lo
	s_and_b32 s9, s0, s8
	s_and_saveexec_b32 s0, s9
	s_cbranch_execnz .LBB109_340
; %bb.332:
	s_or_b32 exec_lo, exec_lo, s0
	s_and_b32 s1, s1, s8
	s_and_saveexec_b32 s0, s1
	s_cbranch_execnz .LBB109_344
.LBB109_333:
	s_or_b32 exec_lo, exec_lo, s0
	s_and_b32 s1, s2, s8
	s_and_saveexec_b32 s0, s1
	s_cbranch_execnz .LBB109_348
.LBB109_334:
	s_or_b32 exec_lo, exec_lo, s0
	s_and_b32 s1, s3, s8
	s_and_saveexec_b32 s0, s1
	s_cbranch_execnz .LBB109_352
.LBB109_335:
	s_or_b32 exec_lo, exec_lo, s0
	s_and_b32 s1, s4, s8
	s_and_saveexec_b32 s0, s1
	s_cbranch_execnz .LBB109_356
.LBB109_336:
	s_or_b32 exec_lo, exec_lo, s0
	s_and_b32 s1, s5, s8
	s_and_saveexec_b32 s0, s1
	s_cbranch_execnz .LBB109_360
.LBB109_337:
	s_or_b32 exec_lo, exec_lo, s0
	s_and_b32 s1, s6, s8
	s_and_saveexec_b32 s0, s1
	s_cbranch_execnz .LBB109_364
.LBB109_338:
	s_or_b32 exec_lo, exec_lo, s0
	s_and_b32 s0, s7, s8
	s_and_saveexec_b32 s1, s0
	s_cbranch_execnz .LBB109_368
.LBB109_339:
	s_endpgm
.LBB109_340:
	v_cmp_ne_u32_e32 vcc_lo, 1, v144
	v_lshlrev_b64 v[0:1], 3, v[0:1]
	s_cbranch_vccnz .LBB109_342
; %bb.341:
	v_add_co_u32 v78, vcc_lo, v76, v0
	v_add_co_ci_u32_e64 v79, null, v77, v1, vcc_lo
	flat_load_dwordx2 v[78:79], v[78:79]
	s_waitcnt vmcnt(0) lgkmcnt(0)
	v_mul_f64 v[78:79], s[10:11], v[78:79]
	v_cvt_f32_f64_e32 v78, v[78:79]
	s_branch .LBB109_343
.LBB109_342:
	v_mov_b32_e32 v78, 0
.LBB109_343:
	v_add_f64 v[70:71], v[70:71], v[14:15]
	v_add_f64 v[72:73], v[72:73], v[16:17]
	v_add_f64 v[66:67], v[66:67], v[10:11]
	v_add_f64 v[68:69], v[68:69], v[12:13]
	v_add_co_u32 v0, vcc_lo, v74, v0
	v_add_co_ci_u32_e64 v1, null, v75, v1, vcc_lo
	v_cvt_f32_f64_e32 v70, v[70:71]
	v_cvt_f32_f64_e32 v71, v[72:73]
	;; [unrolled: 1-line block ×4, first 2 shown]
	v_min3_f32 v68, v70, v71, v160
	v_min_f32_e32 v66, v66, v67
	v_min3_f32 v66, v78, v66, v68
	v_cvt_f64_f32_e32 v[66:67], v66
	flat_store_dwordx2 v[0:1], v[66:67]
	s_or_b32 exec_lo, exec_lo, s0
	s_and_b32 s1, s1, s8
	s_and_saveexec_b32 s0, s1
	s_cbranch_execz .LBB109_333
.LBB109_344:
	v_cmp_ne_u32_e32 vcc_lo, 1, v144
	v_lshlrev_b64 v[0:1], 3, v[130:131]
	s_cbranch_vccnz .LBB109_346
; %bb.345:
	v_add_co_u32 v66, vcc_lo, v76, v0
	v_add_co_ci_u32_e64 v67, null, v77, v1, vcc_lo
	flat_load_dwordx2 v[66:67], v[66:67]
	s_waitcnt vmcnt(0) lgkmcnt(0)
	v_mul_f64 v[66:67], s[10:11], v[66:67]
	v_cvt_f32_f64_e32 v66, v[66:67]
	s_branch .LBB109_347
.LBB109_346:
	v_mov_b32_e32 v66, 0
.LBB109_347:
	v_add_f64 v[62:63], v[62:63], v[14:15]
	v_add_f64 v[64:65], v[64:65], v[16:17]
	;; [unrolled: 1-line block ×4, first 2 shown]
	v_add_co_u32 v0, vcc_lo, v74, v0
	v_add_co_ci_u32_e64 v1, null, v75, v1, vcc_lo
	v_cvt_f32_f64_e32 v62, v[62:63]
	v_cvt_f32_f64_e32 v63, v[64:65]
	v_cvt_f32_f64_e32 v58, v[58:59]
	v_cvt_f32_f64_e32 v59, v[60:61]
	v_min3_f32 v60, v62, v63, v159
	v_min_f32_e32 v58, v58, v59
	v_min3_f32 v58, v66, v58, v60
	v_cvt_f64_f32_e32 v[58:59], v58
	flat_store_dwordx2 v[0:1], v[58:59]
	s_or_b32 exec_lo, exec_lo, s0
	s_and_b32 s1, s2, s8
	s_and_saveexec_b32 s0, s1
	s_cbranch_execz .LBB109_334
.LBB109_348:
	v_cmp_ne_u32_e32 vcc_lo, 1, v144
	v_lshlrev_b64 v[0:1], 3, v[132:133]
	s_cbranch_vccnz .LBB109_350
; %bb.349:
	v_add_co_u32 v58, vcc_lo, v76, v0
	v_add_co_ci_u32_e64 v59, null, v77, v1, vcc_lo
	flat_load_dwordx2 v[58:59], v[58:59]
	s_waitcnt vmcnt(0) lgkmcnt(0)
	v_mul_f64 v[58:59], s[10:11], v[58:59]
	v_cvt_f32_f64_e32 v58, v[58:59]
	s_branch .LBB109_351
.LBB109_350:
	v_mov_b32_e32 v58, 0
.LBB109_351:
	v_add_f64 v[54:55], v[54:55], v[14:15]
	v_add_f64 v[56:57], v[56:57], v[16:17]
	;; [unrolled: 1-line block ×4, first 2 shown]
	v_add_co_u32 v0, vcc_lo, v74, v0
	v_add_co_ci_u32_e64 v1, null, v75, v1, vcc_lo
	v_cvt_f32_f64_e32 v54, v[54:55]
	v_cvt_f32_f64_e32 v55, v[56:57]
	;; [unrolled: 1-line block ×4, first 2 shown]
	v_min3_f32 v52, v54, v55, v158
	v_min_f32_e32 v50, v50, v51
	v_min3_f32 v50, v58, v50, v52
	v_cvt_f64_f32_e32 v[50:51], v50
	flat_store_dwordx2 v[0:1], v[50:51]
	s_or_b32 exec_lo, exec_lo, s0
	s_and_b32 s1, s3, s8
	s_and_saveexec_b32 s0, s1
	s_cbranch_execz .LBB109_335
.LBB109_352:
	v_cmp_ne_u32_e32 vcc_lo, 1, v144
	v_lshlrev_b64 v[0:1], 3, v[134:135]
	s_cbranch_vccnz .LBB109_354
; %bb.353:
	v_add_co_u32 v50, vcc_lo, v76, v0
	v_add_co_ci_u32_e64 v51, null, v77, v1, vcc_lo
	flat_load_dwordx2 v[50:51], v[50:51]
	s_waitcnt vmcnt(0) lgkmcnt(0)
	v_mul_f64 v[50:51], s[10:11], v[50:51]
	v_cvt_f32_f64_e32 v50, v[50:51]
	s_branch .LBB109_355
.LBB109_354:
	v_mov_b32_e32 v50, 0
.LBB109_355:
	v_add_f64 v[46:47], v[46:47], v[14:15]
	v_add_f64 v[48:49], v[48:49], v[16:17]
	;; [unrolled: 1-line block ×4, first 2 shown]
	v_add_co_u32 v0, vcc_lo, v74, v0
	v_add_co_ci_u32_e64 v1, null, v75, v1, vcc_lo
	v_cvt_f32_f64_e32 v46, v[46:47]
	v_cvt_f32_f64_e32 v47, v[48:49]
	v_cvt_f32_f64_e32 v42, v[42:43]
	v_cvt_f32_f64_e32 v43, v[44:45]
	v_min3_f32 v44, v46, v47, v157
	v_min_f32_e32 v42, v42, v43
	v_min3_f32 v42, v50, v42, v44
	v_cvt_f64_f32_e32 v[42:43], v42
	flat_store_dwordx2 v[0:1], v[42:43]
	s_or_b32 exec_lo, exec_lo, s0
	s_and_b32 s1, s4, s8
	s_and_saveexec_b32 s0, s1
	s_cbranch_execz .LBB109_336
.LBB109_356:
	v_cmp_ne_u32_e32 vcc_lo, 1, v144
	v_lshlrev_b64 v[0:1], 3, v[136:137]
	s_cbranch_vccnz .LBB109_358
; %bb.357:
	v_add_co_u32 v42, vcc_lo, v76, v0
	v_add_co_ci_u32_e64 v43, null, v77, v1, vcc_lo
	flat_load_dwordx2 v[42:43], v[42:43]
	s_waitcnt vmcnt(0) lgkmcnt(0)
	v_mul_f64 v[42:43], s[10:11], v[42:43]
	v_cvt_f32_f64_e32 v42, v[42:43]
	s_branch .LBB109_359
.LBB109_358:
	v_mov_b32_e32 v42, 0
.LBB109_359:
	v_add_f64 v[38:39], v[38:39], v[14:15]
	v_add_f64 v[40:41], v[40:41], v[16:17]
	;; [unrolled: 1-line block ×4, first 2 shown]
	v_add_co_u32 v0, vcc_lo, v74, v0
	v_add_co_ci_u32_e64 v1, null, v75, v1, vcc_lo
	v_cvt_f32_f64_e32 v38, v[38:39]
	v_cvt_f32_f64_e32 v39, v[40:41]
	;; [unrolled: 1-line block ×4, first 2 shown]
	v_min3_f32 v36, v38, v39, v156
	v_min_f32_e32 v34, v34, v35
	v_min3_f32 v34, v42, v34, v36
	v_cvt_f64_f32_e32 v[34:35], v34
	flat_store_dwordx2 v[0:1], v[34:35]
	s_or_b32 exec_lo, exec_lo, s0
	s_and_b32 s1, s5, s8
	s_and_saveexec_b32 s0, s1
	s_cbranch_execz .LBB109_337
.LBB109_360:
	v_cmp_ne_u32_e32 vcc_lo, 1, v144
	v_lshlrev_b64 v[0:1], 3, v[138:139]
	s_cbranch_vccnz .LBB109_362
; %bb.361:
	v_add_co_u32 v34, vcc_lo, v76, v0
	v_add_co_ci_u32_e64 v35, null, v77, v1, vcc_lo
	flat_load_dwordx2 v[34:35], v[34:35]
	s_waitcnt vmcnt(0) lgkmcnt(0)
	v_mul_f64 v[34:35], s[10:11], v[34:35]
	v_cvt_f32_f64_e32 v34, v[34:35]
	s_branch .LBB109_363
.LBB109_362:
	v_mov_b32_e32 v34, 0
.LBB109_363:
	v_add_f64 v[30:31], v[30:31], v[14:15]
	v_add_f64 v[32:33], v[32:33], v[16:17]
	;; [unrolled: 1-line block ×4, first 2 shown]
	v_add_co_u32 v0, vcc_lo, v74, v0
	v_add_co_ci_u32_e64 v1, null, v75, v1, vcc_lo
	v_cvt_f32_f64_e32 v30, v[30:31]
	v_cvt_f32_f64_e32 v31, v[32:33]
	;; [unrolled: 1-line block ×4, first 2 shown]
	v_min3_f32 v28, v30, v31, v155
	v_min_f32_e32 v26, v26, v27
	v_min3_f32 v26, v34, v26, v28
	v_cvt_f64_f32_e32 v[26:27], v26
	flat_store_dwordx2 v[0:1], v[26:27]
	s_or_b32 exec_lo, exec_lo, s0
	s_and_b32 s1, s6, s8
	s_and_saveexec_b32 s0, s1
	s_cbranch_execz .LBB109_338
.LBB109_364:
	v_cmp_ne_u32_e32 vcc_lo, 1, v144
	v_lshlrev_b64 v[0:1], 3, v[140:141]
	s_cbranch_vccnz .LBB109_366
; %bb.365:
	v_add_co_u32 v26, vcc_lo, v76, v0
	v_add_co_ci_u32_e64 v27, null, v77, v1, vcc_lo
	flat_load_dwordx2 v[26:27], v[26:27]
	s_waitcnt vmcnt(0) lgkmcnt(0)
	v_mul_f64 v[26:27], s[10:11], v[26:27]
	v_cvt_f32_f64_e32 v26, v[26:27]
	s_branch .LBB109_367
.LBB109_366:
	v_mov_b32_e32 v26, 0
.LBB109_367:
	v_add_f64 v[22:23], v[22:23], v[14:15]
	v_add_f64 v[24:25], v[24:25], v[16:17]
	;; [unrolled: 1-line block ×4, first 2 shown]
	v_add_co_u32 v0, vcc_lo, v74, v0
	v_add_co_ci_u32_e64 v1, null, v75, v1, vcc_lo
	v_cvt_f32_f64_e32 v22, v[22:23]
	v_cvt_f32_f64_e32 v23, v[24:25]
	;; [unrolled: 1-line block ×4, first 2 shown]
	v_min3_f32 v20, v22, v23, v154
	v_min_f32_e32 v18, v18, v19
	v_min3_f32 v18, v26, v18, v20
	v_cvt_f64_f32_e32 v[18:19], v18
	flat_store_dwordx2 v[0:1], v[18:19]
	s_or_b32 exec_lo, exec_lo, s0
	s_and_b32 s0, s7, s8
	s_and_saveexec_b32 s1, s0
	s_cbranch_execz .LBB109_339
.LBB109_368:
	v_cmp_ne_u32_e32 vcc_lo, 1, v144
	v_lshlrev_b64 v[0:1], 3, v[142:143]
	s_cbranch_vccnz .LBB109_370
; %bb.369:
	v_add_co_u32 v18, vcc_lo, v76, v0
	v_add_co_ci_u32_e64 v19, null, v77, v1, vcc_lo
	flat_load_dwordx2 v[18:19], v[18:19]
	s_waitcnt vmcnt(0) lgkmcnt(0)
	v_mul_f64 v[18:19], s[10:11], v[18:19]
	v_cvt_f32_f64_e32 v18, v[18:19]
	s_branch .LBB109_371
.LBB109_370:
	v_mov_b32_e32 v18, 0
.LBB109_371:
	v_add_f64 v[6:7], v[6:7], v[14:15]
	v_add_f64 v[8:9], v[8:9], v[16:17]
	;; [unrolled: 1-line block ×4, first 2 shown]
	v_add_co_u32 v0, vcc_lo, v74, v0
	v_add_co_ci_u32_e64 v1, null, v75, v1, vcc_lo
	v_cvt_f32_f64_e32 v6, v[6:7]
	v_cvt_f32_f64_e32 v7, v[8:9]
	;; [unrolled: 1-line block ×4, first 2 shown]
	v_min3_f32 v4, v6, v7, v153
	v_min_f32_e32 v2, v2, v3
	v_min3_f32 v2, v18, v2, v4
	v_cvt_f64_f32_e32 v[2:3], v2
	flat_store_dwordx2 v[0:1], v[2:3]
	s_endpgm
	.section	.rodata,"a",@progbits
	.p2align	6, 0x0
	.amdhsa_kernel _ZN12_GLOBAL__N_120geam_min_plus_kernelId15HIP_vector_typeIdLj2EEdLi32ELi8ELi256ELi64ELi4ELi64ELi4ELi4ELi64ELc78ELc78ELb1ELb1ELb1EdKPKdKPdEEviiiT16_PT17_ilSA_ilS8_SA_ilPT18_ili26rocblas_geam_ex_operation_
		.amdhsa_group_segment_fixed_size 20480
		.amdhsa_private_segment_fixed_size 0
		.amdhsa_kernarg_size 136
		.amdhsa_user_sgpr_count 6
		.amdhsa_user_sgpr_private_segment_buffer 1
		.amdhsa_user_sgpr_dispatch_ptr 0
		.amdhsa_user_sgpr_queue_ptr 0
		.amdhsa_user_sgpr_kernarg_segment_ptr 1
		.amdhsa_user_sgpr_dispatch_id 0
		.amdhsa_user_sgpr_flat_scratch_init 0
		.amdhsa_user_sgpr_private_segment_size 0
		.amdhsa_wavefront_size32 1
		.amdhsa_uses_dynamic_stack 0
		.amdhsa_system_sgpr_private_segment_wavefront_offset 0
		.amdhsa_system_sgpr_workgroup_id_x 1
		.amdhsa_system_sgpr_workgroup_id_y 0
		.amdhsa_system_sgpr_workgroup_id_z 1
		.amdhsa_system_sgpr_workgroup_info 0
		.amdhsa_system_vgpr_workitem_id 1
		.amdhsa_next_free_vgpr 229
		.amdhsa_next_free_sgpr 28
		.amdhsa_reserve_vcc 1
		.amdhsa_reserve_flat_scratch 0
		.amdhsa_float_round_mode_32 0
		.amdhsa_float_round_mode_16_64 0
		.amdhsa_float_denorm_mode_32 3
		.amdhsa_float_denorm_mode_16_64 3
		.amdhsa_dx10_clamp 1
		.amdhsa_ieee_mode 1
		.amdhsa_fp16_overflow 0
		.amdhsa_workgroup_processor_mode 1
		.amdhsa_memory_ordered 1
		.amdhsa_forward_progress 1
		.amdhsa_shared_vgpr_count 0
		.amdhsa_exception_fp_ieee_invalid_op 0
		.amdhsa_exception_fp_denorm_src 0
		.amdhsa_exception_fp_ieee_div_zero 0
		.amdhsa_exception_fp_ieee_overflow 0
		.amdhsa_exception_fp_ieee_underflow 0
		.amdhsa_exception_fp_ieee_inexact 0
		.amdhsa_exception_int_div_zero 0
	.end_amdhsa_kernel
	.section	.text._ZN12_GLOBAL__N_120geam_min_plus_kernelId15HIP_vector_typeIdLj2EEdLi32ELi8ELi256ELi64ELi4ELi64ELi4ELi4ELi64ELc78ELc78ELb1ELb1ELb1EdKPKdKPdEEviiiT16_PT17_ilSA_ilS8_SA_ilPT18_ili26rocblas_geam_ex_operation_,"axG",@progbits,_ZN12_GLOBAL__N_120geam_min_plus_kernelId15HIP_vector_typeIdLj2EEdLi32ELi8ELi256ELi64ELi4ELi64ELi4ELi4ELi64ELc78ELc78ELb1ELb1ELb1EdKPKdKPdEEviiiT16_PT17_ilSA_ilS8_SA_ilPT18_ili26rocblas_geam_ex_operation_,comdat
.Lfunc_end109:
	.size	_ZN12_GLOBAL__N_120geam_min_plus_kernelId15HIP_vector_typeIdLj2EEdLi32ELi8ELi256ELi64ELi4ELi64ELi4ELi4ELi64ELc78ELc78ELb1ELb1ELb1EdKPKdKPdEEviiiT16_PT17_ilSA_ilS8_SA_ilPT18_ili26rocblas_geam_ex_operation_, .Lfunc_end109-_ZN12_GLOBAL__N_120geam_min_plus_kernelId15HIP_vector_typeIdLj2EEdLi32ELi8ELi256ELi64ELi4ELi64ELi4ELi4ELi64ELc78ELc78ELb1ELb1ELb1EdKPKdKPdEEviiiT16_PT17_ilSA_ilS8_SA_ilPT18_ili26rocblas_geam_ex_operation_
                                        ; -- End function
	.set _ZN12_GLOBAL__N_120geam_min_plus_kernelId15HIP_vector_typeIdLj2EEdLi32ELi8ELi256ELi64ELi4ELi64ELi4ELi4ELi64ELc78ELc78ELb1ELb1ELb1EdKPKdKPdEEviiiT16_PT17_ilSA_ilS8_SA_ilPT18_ili26rocblas_geam_ex_operation_.num_vgpr, 229
	.set _ZN12_GLOBAL__N_120geam_min_plus_kernelId15HIP_vector_typeIdLj2EEdLi32ELi8ELi256ELi64ELi4ELi64ELi4ELi4ELi64ELc78ELc78ELb1ELb1ELb1EdKPKdKPdEEviiiT16_PT17_ilSA_ilS8_SA_ilPT18_ili26rocblas_geam_ex_operation_.num_agpr, 0
	.set _ZN12_GLOBAL__N_120geam_min_plus_kernelId15HIP_vector_typeIdLj2EEdLi32ELi8ELi256ELi64ELi4ELi64ELi4ELi4ELi64ELc78ELc78ELb1ELb1ELb1EdKPKdKPdEEviiiT16_PT17_ilSA_ilS8_SA_ilPT18_ili26rocblas_geam_ex_operation_.numbered_sgpr, 28
	.set _ZN12_GLOBAL__N_120geam_min_plus_kernelId15HIP_vector_typeIdLj2EEdLi32ELi8ELi256ELi64ELi4ELi64ELi4ELi4ELi64ELc78ELc78ELb1ELb1ELb1EdKPKdKPdEEviiiT16_PT17_ilSA_ilS8_SA_ilPT18_ili26rocblas_geam_ex_operation_.num_named_barrier, 0
	.set _ZN12_GLOBAL__N_120geam_min_plus_kernelId15HIP_vector_typeIdLj2EEdLi32ELi8ELi256ELi64ELi4ELi64ELi4ELi4ELi64ELc78ELc78ELb1ELb1ELb1EdKPKdKPdEEviiiT16_PT17_ilSA_ilS8_SA_ilPT18_ili26rocblas_geam_ex_operation_.private_seg_size, 0
	.set _ZN12_GLOBAL__N_120geam_min_plus_kernelId15HIP_vector_typeIdLj2EEdLi32ELi8ELi256ELi64ELi4ELi64ELi4ELi4ELi64ELc78ELc78ELb1ELb1ELb1EdKPKdKPdEEviiiT16_PT17_ilSA_ilS8_SA_ilPT18_ili26rocblas_geam_ex_operation_.uses_vcc, 1
	.set _ZN12_GLOBAL__N_120geam_min_plus_kernelId15HIP_vector_typeIdLj2EEdLi32ELi8ELi256ELi64ELi4ELi64ELi4ELi4ELi64ELc78ELc78ELb1ELb1ELb1EdKPKdKPdEEviiiT16_PT17_ilSA_ilS8_SA_ilPT18_ili26rocblas_geam_ex_operation_.uses_flat_scratch, 0
	.set _ZN12_GLOBAL__N_120geam_min_plus_kernelId15HIP_vector_typeIdLj2EEdLi32ELi8ELi256ELi64ELi4ELi64ELi4ELi4ELi64ELc78ELc78ELb1ELb1ELb1EdKPKdKPdEEviiiT16_PT17_ilSA_ilS8_SA_ilPT18_ili26rocblas_geam_ex_operation_.has_dyn_sized_stack, 0
	.set _ZN12_GLOBAL__N_120geam_min_plus_kernelId15HIP_vector_typeIdLj2EEdLi32ELi8ELi256ELi64ELi4ELi64ELi4ELi4ELi64ELc78ELc78ELb1ELb1ELb1EdKPKdKPdEEviiiT16_PT17_ilSA_ilS8_SA_ilPT18_ili26rocblas_geam_ex_operation_.has_recursion, 0
	.set _ZN12_GLOBAL__N_120geam_min_plus_kernelId15HIP_vector_typeIdLj2EEdLi32ELi8ELi256ELi64ELi4ELi64ELi4ELi4ELi64ELc78ELc78ELb1ELb1ELb1EdKPKdKPdEEviiiT16_PT17_ilSA_ilS8_SA_ilPT18_ili26rocblas_geam_ex_operation_.has_indirect_call, 0
	.section	.AMDGPU.csdata,"",@progbits
; Kernel info:
; codeLenInByte = 29212
; TotalNumSgprs: 30
; NumVgprs: 229
; ScratchSize: 0
; MemoryBound: 0
; FloatMode: 240
; IeeeMode: 1
; LDSByteSize: 20480 bytes/workgroup (compile time only)
; SGPRBlocks: 0
; VGPRBlocks: 28
; NumSGPRsForWavesPerEU: 30
; NumVGPRsForWavesPerEU: 229
; Occupancy: 4
; WaveLimiterHint : 1
; COMPUTE_PGM_RSRC2:SCRATCH_EN: 0
; COMPUTE_PGM_RSRC2:USER_SGPR: 6
; COMPUTE_PGM_RSRC2:TRAP_HANDLER: 0
; COMPUTE_PGM_RSRC2:TGID_X_EN: 1
; COMPUTE_PGM_RSRC2:TGID_Y_EN: 0
; COMPUTE_PGM_RSRC2:TGID_Z_EN: 1
; COMPUTE_PGM_RSRC2:TIDIG_COMP_CNT: 1
	.section	.text._ZN12_GLOBAL__N_120geam_min_plus_kernelId15HIP_vector_typeIdLj2EEdLi32ELi8ELi256ELi64ELi4ELi64ELi4ELi4ELi64ELc78ELc78ELb0ELb1ELb1EdKPKdKPdEEviiiT16_PT17_ilSA_ilS8_SA_ilPT18_ili26rocblas_geam_ex_operation_,"axG",@progbits,_ZN12_GLOBAL__N_120geam_min_plus_kernelId15HIP_vector_typeIdLj2EEdLi32ELi8ELi256ELi64ELi4ELi64ELi4ELi4ELi64ELc78ELc78ELb0ELb1ELb1EdKPKdKPdEEviiiT16_PT17_ilSA_ilS8_SA_ilPT18_ili26rocblas_geam_ex_operation_,comdat
	.globl	_ZN12_GLOBAL__N_120geam_min_plus_kernelId15HIP_vector_typeIdLj2EEdLi32ELi8ELi256ELi64ELi4ELi64ELi4ELi4ELi64ELc78ELc78ELb0ELb1ELb1EdKPKdKPdEEviiiT16_PT17_ilSA_ilS8_SA_ilPT18_ili26rocblas_geam_ex_operation_ ; -- Begin function _ZN12_GLOBAL__N_120geam_min_plus_kernelId15HIP_vector_typeIdLj2EEdLi32ELi8ELi256ELi64ELi4ELi64ELi4ELi4ELi64ELc78ELc78ELb0ELb1ELb1EdKPKdKPdEEviiiT16_PT17_ilSA_ilS8_SA_ilPT18_ili26rocblas_geam_ex_operation_
	.p2align	8
	.type	_ZN12_GLOBAL__N_120geam_min_plus_kernelId15HIP_vector_typeIdLj2EEdLi32ELi8ELi256ELi64ELi4ELi64ELi4ELi4ELi64ELc78ELc78ELb0ELb1ELb1EdKPKdKPdEEviiiT16_PT17_ilSA_ilS8_SA_ilPT18_ili26rocblas_geam_ex_operation_,@function
_ZN12_GLOBAL__N_120geam_min_plus_kernelId15HIP_vector_typeIdLj2EEdLi32ELi8ELi256ELi64ELi4ELi64ELi4ELi4ELi64ELc78ELc78ELb0ELb1ELb1EdKPKdKPdEEviiiT16_PT17_ilSA_ilS8_SA_ilPT18_ili26rocblas_geam_ex_operation_: ; @_ZN12_GLOBAL__N_120geam_min_plus_kernelId15HIP_vector_typeIdLj2EEdLi32ELi8ELi256ELi64ELi4ELi64ELi4ELi4ELi64ELc78ELc78ELb0ELb1ELb1EdKPKdKPdEEviiiT16_PT17_ilSA_ilS8_SA_ilPT18_ili26rocblas_geam_ex_operation_
; %bb.0:
	s_clause 0x1
	s_load_dwordx4 s[16:19], s[4:5], 0x10
	s_load_dwordx4 s[0:3], s[4:5], 0x28
	s_mov_b32 s24, s7
	s_mov_b64 s[20:21], 0
	s_waitcnt lgkmcnt(0)
	v_cmp_eq_f64_e64 s7, s[16:17], 0
	s_and_b32 vcc_lo, exec_lo, s7
	s_cbranch_vccnz .LBB110_2
; %bb.1:
	s_mov_b32 s25, 0
	s_lshl_b64 s[8:9], s[24:25], 3
	s_add_u32 s8, s18, s8
	s_addc_u32 s9, s19, s9
	s_lshl_b64 s[0:1], s[0:1], 3
	s_load_dwordx2 s[8:9], s[8:9], 0x0
	s_waitcnt lgkmcnt(0)
	s_add_u32 s20, s8, s0
	s_addc_u32 s21, s9, s1
.LBB110_2:
	s_clause 0x1
	s_load_dwordx4 s[8:11], s[4:5], 0x40
	s_load_dwordx2 s[12:13], s[4:5], 0x50
	s_andn2_b32 vcc_lo, exec_lo, s7
	s_mov_b32 s25, 0
	s_cbranch_vccnz .LBB110_4
; %bb.3:
	s_mov_b32 s0, s25
	s_mov_b64 s[18:19], 0
	s_andn2_b32 vcc_lo, exec_lo, s0
	s_mov_b64 s[22:23], 0
	s_cbranch_vccz .LBB110_5
	s_branch .LBB110_6
.LBB110_4:
	s_mov_b64 s[18:19], 0
	s_mov_b64 s[22:23], 0
.LBB110_5:
	s_lshl_b64 s[0:1], s[24:25], 3
	s_add_u32 s0, s2, s0
	s_addc_u32 s1, s3, s1
	s_waitcnt lgkmcnt(0)
	s_lshl_b64 s[2:3], s[8:9], 3
	s_load_dwordx2 s[0:1], s[0:1], 0x0
	s_waitcnt lgkmcnt(0)
	s_add_u32 s22, s0, s2
	s_addc_u32 s23, s1, s3
.LBB110_6:
	s_waitcnt lgkmcnt(0)
	v_cmp_eq_f64_e64 s7, s[10:11], 0
	v_cmp_neq_f64_e64 s26, s[10:11], 0
	s_load_dwordx4 s[0:3], s[4:5], 0x60
	s_and_b32 vcc_lo, exec_lo, s7
	s_cbranch_vccnz .LBB110_8
; %bb.7:
	s_lshl_b64 s[8:9], s[24:25], 3
	s_add_u32 s8, s12, s8
	s_addc_u32 s9, s13, s9
	s_waitcnt lgkmcnt(0)
	s_lshl_b64 s[0:1], s[0:1], 3
	s_load_dwordx2 s[8:9], s[8:9], 0x0
	s_waitcnt lgkmcnt(0)
	s_add_u32 s18, s8, s0
	s_addc_u32 s19, s9, s1
.LBB110_8:
	s_load_dwordx4 s[12:15], s[4:5], 0x0
	s_waitcnt lgkmcnt(0)
	s_lshl_b64 s[0:1], s[24:25], 3
	s_load_dword s25, s[4:5], 0x20
	s_add_u32 s8, s2, s0
	s_addc_u32 s9, s3, s1
	v_lshl_add_u32 v10, v1, 5, v0
	v_cmp_eq_f64_e64 s28, s[16:17], 0
	v_lshrrev_b32_e32 v144, 6, v10
	v_and_b32_e32 v12, 63, v10
	s_add_i32 s0, s12, -1
	s_ashr_i32 s1, s0, 31
	s_lshr_b32 s1, s1, 24
	s_add_i32 s0, s0, s1
	s_ashr_i32 s0, s0, 8
	s_add_i32 s1, s0, 1
	s_not_b32 s0, s0
	v_cvt_f32_u32_e32 v2, s1
	v_rcp_iflag_f32_e32 v2, v2
	v_mul_f32_e32 v2, 0x4f7ffffe, v2
	v_cvt_u32_f32_e32 v2, v2
	v_readfirstlane_b32 s2, v2
	s_mul_i32 s0, s0, s2
	s_mul_hi_u32 s0, s2, s0
	s_add_i32 s2, s2, s0
	s_mul_hi_u32 s0, s6, s2
	s_mul_i32 s2, s0, s1
	s_add_i32 s3, s0, 1
	s_sub_i32 s2, s6, s2
	s_sub_i32 s7, s2, s1
	s_cmp_ge_u32 s2, s1
	s_cselect_b32 s0, s3, s0
	s_cselect_b32 s2, s7, s2
	s_add_i32 s3, s0, 1
	s_cmp_ge_u32 s2, s1
	s_cselect_b32 s7, s3, s0
	s_add_i32 s27, s14, -1
	s_mul_i32 s0, s7, s1
	v_min_i32_e32 v2, s27, v144
	s_sub_i32 s0, s6, s0
	v_cmp_le_i32_e64 s3, s14, v144
	s_lshl_b32 s15, s0, 8
	s_waitcnt lgkmcnt(0)
	v_mad_i64_i32 v[2:3], null, s25, v2, 0
	v_or_b32_e32 v66, s15, v12
	v_cmp_le_i32_e32 vcc_lo, s12, v66
	v_lshlrev_b64 v[4:5], 3, v[2:3]
	v_ashrrev_i32_e32 v67, 31, v66
	s_or_b32 s1, vcc_lo, s3
	v_add_co_u32 v11, s0, s20, v4
	v_cndmask_b32_e64 v3, 0, 0x7fefffff, s1
	v_cndmask_b32_e64 v2, 0, -1, s1
	v_add_co_ci_u32_e64 v13, null, s21, v5, s0
	s_nor_b32 s0, s28, s1
	s_and_saveexec_b32 s1, s0
	s_cbranch_execz .LBB110_10
; %bb.9:
	v_lshlrev_b64 v[2:3], 3, v[66:67]
	v_add_co_u32 v2, s0, v11, v2
	v_add_co_ci_u32_e64 v3, null, v13, v3, s0
	flat_load_dwordx2 v[2:3], v[2:3]
	s_waitcnt vmcnt(0) lgkmcnt(0)
	v_mul_f64 v[2:3], s[16:17], v[2:3]
.LBB110_10:
	s_or_b32 exec_lo, exec_lo, s1
	v_or_b32_e32 v4, 64, v66
	v_cmp_le_i32_e64 s0, s12, v4
	s_or_b32 s1, s0, s3
	v_cndmask_b32_e64 v5, 0, 0x7fefffff, s1
	v_cndmask_b32_e64 v4, 0, -1, s1
	s_nor_b32 s1, s28, s1
	s_and_saveexec_b32 s2, s1
	s_cbranch_execz .LBB110_12
; %bb.11:
	v_lshlrev_b64 v[4:5], 3, v[66:67]
	v_add_co_u32 v4, s1, v11, v4
	v_add_co_ci_u32_e64 v5, null, v13, v5, s1
	flat_load_dwordx2 v[4:5], v[4:5] offset:512
	s_waitcnt vmcnt(0) lgkmcnt(0)
	v_mul_f64 v[4:5], s[16:17], v[4:5]
.LBB110_12:
	s_or_b32 exec_lo, exec_lo, s2
	v_or_b32_e32 v6, 0x80, v66
	v_cmp_le_i32_e64 s1, s12, v6
	s_or_b32 s2, s1, s3
	v_cndmask_b32_e64 v7, 0, 0x7fefffff, s2
	v_cndmask_b32_e64 v6, 0, -1, s2
	s_nor_b32 s2, s28, s2
	s_and_saveexec_b32 s6, s2
	s_cbranch_execz .LBB110_14
; %bb.13:
	v_lshlrev_b64 v[6:7], 3, v[66:67]
	v_add_co_u32 v6, s2, v11, v6
	v_add_co_ci_u32_e64 v7, null, v13, v7, s2
	flat_load_dwordx2 v[6:7], v[6:7] offset:1024
	s_waitcnt vmcnt(0) lgkmcnt(0)
	v_mul_f64 v[6:7], s[16:17], v[6:7]
.LBB110_14:
	;; [unrolled: 17-line block ×3, first 2 shown]
	s_or_b32 exec_lo, exec_lo, s6
	v_lshrrev_b32_e32 v13, 2, v10
	s_load_dword s29, s[4:5], 0x38
	s_lshl_b32 s24, s7, 6
	v_and_b32_e32 v146, 3, v0
	v_add_nc_u32_e32 v78, s24, v13
	v_cmp_le_i32_e64 s6, s14, v146
	v_cmp_le_i32_e64 s3, s13, v78
	s_or_b32 s6, s6, s3
	v_cndmask_b32_e64 v11, 0, 0x7fefffff, s6
	v_cndmask_b32_e64 v10, 0, -1, s6
	s_nor_b32 s6, s28, s6
	s_and_saveexec_b32 s7, s6
	s_cbranch_execz .LBB110_18
; %bb.17:
	s_waitcnt lgkmcnt(0)
	v_mad_i64_i32 v[10:11], null, v78, s29, 0
	v_min_u32_e32 v14, s27, v146
	v_lshlrev_b32_e32 v14, 3, v14
	v_lshlrev_b64 v[10:11], 3, v[10:11]
	v_add_co_u32 v10, s6, s22, v10
	v_add_co_ci_u32_e64 v11, null, s23, v11, s6
	v_add_co_u32 v10, s6, v10, v14
	v_add_co_ci_u32_e64 v11, null, 0, v11, s6
	flat_load_dwordx2 v[10:11], v[10:11]
	s_waitcnt vmcnt(0) lgkmcnt(0)
	v_mul_f64 v[10:11], s[16:17], v[10:11]
.LBB110_18:
	s_or_b32 exec_lo, exec_lo, s7
	v_add_nc_u32_e32 v16, 4, v144
	v_min_i32_e32 v14, s27, v16
	v_cmp_le_i32_e64 s6, s14, v16
	v_mad_i64_i32 v[14:15], null, s25, v14, 0
	s_or_b32 s30, vcc_lo, s6
	v_cndmask_b32_e64 v71, 0, 0x7fefffff, s30
	v_cndmask_b32_e64 v70, 0, -1, s30
	v_lshlrev_b64 v[14:15], 3, v[14:15]
	v_add_co_u32 v14, s7, s20, v14
	v_add_co_ci_u32_e64 v15, null, s21, v15, s7
	s_nor_b32 s7, s28, s30
	s_and_saveexec_b32 s30, s7
	s_cbranch_execz .LBB110_20
; %bb.19:
	v_lshlrev_b64 v[16:17], 3, v[66:67]
	v_add_co_u32 v16, s7, v14, v16
	v_add_co_ci_u32_e64 v17, null, v15, v17, s7
	flat_load_dwordx2 v[16:17], v[16:17]
	s_waitcnt vmcnt(0) lgkmcnt(0)
	v_mul_f64 v[70:71], s[16:17], v[16:17]
.LBB110_20:
	s_or_b32 exec_lo, exec_lo, s30
	s_or_b32 s7, s0, s6
	v_cndmask_b32_e64 v73, 0, 0x7fefffff, s7
	v_cndmask_b32_e64 v72, 0, -1, s7
	s_nor_b32 s7, s28, s7
	s_and_saveexec_b32 s30, s7
	s_cbranch_execz .LBB110_22
; %bb.21:
	v_lshlrev_b64 v[16:17], 3, v[66:67]
	v_add_co_u32 v16, s7, v14, v16
	v_add_co_ci_u32_e64 v17, null, v15, v17, s7
	flat_load_dwordx2 v[16:17], v[16:17] offset:512
	s_waitcnt vmcnt(0) lgkmcnt(0)
	v_mul_f64 v[72:73], s[16:17], v[16:17]
.LBB110_22:
	s_or_b32 exec_lo, exec_lo, s30
	s_or_b32 s7, s1, s6
	v_cndmask_b32_e64 v75, 0, 0x7fefffff, s7
	v_cndmask_b32_e64 v74, 0, -1, s7
	s_nor_b32 s7, s28, s7
	s_and_saveexec_b32 s30, s7
	s_cbranch_execz .LBB110_24
; %bb.23:
	v_lshlrev_b64 v[16:17], 3, v[66:67]
	v_add_co_u32 v16, s7, v14, v16
	v_add_co_ci_u32_e64 v17, null, v15, v17, s7
	flat_load_dwordx2 v[16:17], v[16:17] offset:1024
	s_waitcnt vmcnt(0) lgkmcnt(0)
	v_mul_f64 v[74:75], s[16:17], v[16:17]
.LBB110_24:
	s_or_b32 exec_lo, exec_lo, s30
	s_or_b32 s6, s2, s6
	v_cndmask_b32_e64 v77, 0, 0x7fefffff, s6
	v_cndmask_b32_e64 v76, 0, -1, s6
	s_nor_b32 s6, s28, s6
	s_and_saveexec_b32 s7, s6
	s_cbranch_execz .LBB110_26
; %bb.25:
	v_lshlrev_b64 v[16:17], 3, v[66:67]
	v_add_co_u32 v14, s6, v14, v16
	v_add_co_ci_u32_e64 v15, null, v15, v17, s6
	flat_load_dwordx2 v[14:15], v[14:15] offset:1536
	s_waitcnt vmcnt(0) lgkmcnt(0)
	v_mul_f64 v[76:77], s[16:17], v[14:15]
.LBB110_26:
	s_or_b32 exec_lo, exec_lo, s7
	v_or_b32_e32 v14, 4, v146
	v_cmp_le_i32_e64 s6, s14, v14
	s_or_b32 s6, s6, s3
	v_cndmask_b32_e64 v69, 0, 0x7fefffff, s6
	v_cndmask_b32_e64 v68, 0, -1, s6
	s_nor_b32 s6, s28, s6
	s_and_saveexec_b32 s7, s6
	s_cbranch_execz .LBB110_28
; %bb.27:
	s_waitcnt lgkmcnt(0)
	v_mad_i64_i32 v[15:16], null, v78, s29, 0
	v_min_u32_e32 v17, s27, v14
	v_lshlrev_b64 v[14:15], 3, v[15:16]
	v_lshlrev_b32_e32 v16, 3, v17
	v_add_co_u32 v14, s6, s22, v14
	v_add_co_ci_u32_e64 v15, null, s23, v15, s6
	v_add_co_u32 v14, s6, v14, v16
	v_add_co_ci_u32_e64 v15, null, 0, v15, s6
	flat_load_dwordx2 v[14:15], v[14:15]
	s_waitcnt vmcnt(0) lgkmcnt(0)
	v_mul_f64 v[68:69], s[16:17], v[14:15]
.LBB110_28:
	s_or_b32 exec_lo, exec_lo, s7
	v_lshlrev_b32_e32 v12, 5, v12
	v_lshlrev_b32_e32 v79, 3, v146
	;; [unrolled: 1-line block ×3, first 2 shown]
	s_load_dwordx2 s[8:9], s[8:9], 0x0
	v_lshlrev_b32_e32 v145, 5, v1
	v_lshl_add_u32 v148, v144, 3, v12
	v_lshl_or_b32 v80, v13, 5, v79
	s_cmp_lt_i32 s14, 9
	ds_write2st64_b64 v148, v[2:3], v[4:5] offset1:4
	ds_write2st64_b64 v148, v[6:7], v[8:9] offset0:8 offset1:12
	ds_write_b64 v80, v[10:11] offset:16384
	s_waitcnt lgkmcnt(0)
	s_barrier
	buffer_gl0_inv
	ds_read_b128 v[10:13], v147 offset:1024
	ds_read_b128 v[14:17], v147 offset:2048
	;; [unrolled: 1-line block ×14, first 2 shown]
	ds_read_b128 v[81:84], v147
	ds_read_b128 v[2:5], v147 offset:16
	ds_read_b128 v[85:88], v145 offset:16384
	;; [unrolled: 1-line block ×3, first 2 shown]
	s_waitcnt lgkmcnt(1)
	v_add_f64 v[89:90], v[83:84], v[87:88]
	v_add_f64 v[91:92], v[81:82], v[85:86]
	s_waitcnt lgkmcnt(0)
	v_add_f64 v[150:151], v[4:5], v[8:9]
	v_add_f64 v[152:153], v[2:3], v[6:7]
	v_cvt_f32_f64_e32 v89, v[89:90]
	v_cvt_f32_f64_e32 v91, v[91:92]
	;; [unrolled: 1-line block ×4, first 2 shown]
	v_min3_f32 v149, v91, v89, 0x7f800000
	v_add_f64 v[89:90], v[12:13], v[87:88]
	v_add_f64 v[91:92], v[10:11], v[85:86]
	v_min3_f32 v218, v152, v150, v149
	v_cvt_f32_f64_e32 v89, v[89:90]
	v_cvt_f32_f64_e32 v91, v[91:92]
	v_min3_f32 v143, v91, v89, 0x7f800000
	v_add_f64 v[89:90], v[16:17], v[87:88]
	v_add_f64 v[91:92], v[14:15], v[85:86]
	v_cvt_f32_f64_e32 v89, v[89:90]
	v_cvt_f32_f64_e32 v91, v[91:92]
	v_min3_f32 v142, v91, v89, 0x7f800000
	v_add_f64 v[89:90], v[20:21], v[87:88]
	v_add_f64 v[91:92], v[18:19], v[85:86]
	;; [unrolled: 5-line block ×5, first 2 shown]
	v_add_f64 v[87:88], v[36:37], v[87:88]
	v_add_f64 v[85:86], v[34:35], v[85:86]
	v_cvt_f32_f64_e32 v89, v[89:90]
	v_cvt_f32_f64_e32 v91, v[91:92]
	;; [unrolled: 1-line block ×4, first 2 shown]
	v_add_f64 v[87:88], v[81:82], v[38:39]
	v_min3_f32 v138, v91, v89, 0x7f800000
	v_min3_f32 v137, v85, v86, 0x7f800000
	v_add_f64 v[85:86], v[83:84], v[40:41]
	v_cvt_f32_f64_e32 v87, v[87:88]
	v_cvt_f32_f64_e32 v85, v[85:86]
	v_min3_f32 v136, v87, v85, 0x7f800000
	v_add_f64 v[85:86], v[12:13], v[40:41]
	v_add_f64 v[87:88], v[10:11], v[38:39]
	v_cvt_f32_f64_e32 v85, v[85:86]
	v_cvt_f32_f64_e32 v87, v[87:88]
	v_min3_f32 v135, v87, v85, 0x7f800000
	v_add_f64 v[85:86], v[16:17], v[40:41]
	;; [unrolled: 5-line block ×6, first 2 shown]
	v_add_f64 v[87:88], v[30:31], v[38:39]
	v_add_f64 v[40:41], v[36:37], v[40:41]
	;; [unrolled: 1-line block ×3, first 2 shown]
	v_cvt_f32_f64_e32 v85, v[85:86]
	v_cvt_f32_f64_e32 v87, v[87:88]
	;; [unrolled: 1-line block ×4, first 2 shown]
	v_add_f64 v[40:41], v[81:82], v[42:43]
	v_min3_f32 v130, v87, v85, 0x7f800000
	v_min3_f32 v129, v38, v39, 0x7f800000
	v_add_f64 v[38:39], v[83:84], v[44:45]
	v_cvt_f32_f64_e32 v40, v[40:41]
	v_cvt_f32_f64_e32 v38, v[38:39]
	v_min3_f32 v128, v40, v38, 0x7f800000
	v_add_f64 v[38:39], v[12:13], v[44:45]
	v_add_f64 v[40:41], v[10:11], v[42:43]
	v_cvt_f32_f64_e32 v38, v[38:39]
	v_cvt_f32_f64_e32 v40, v[40:41]
	v_min3_f32 v127, v40, v38, 0x7f800000
	v_add_f64 v[38:39], v[16:17], v[44:45]
	v_add_f64 v[40:41], v[14:15], v[42:43]
	v_cvt_f32_f64_e32 v38, v[38:39]
	v_cvt_f32_f64_e32 v40, v[40:41]
	v_min3_f32 v126, v40, v38, 0x7f800000
	v_add_f64 v[38:39], v[20:21], v[44:45]
	v_add_f64 v[40:41], v[18:19], v[42:43]
	v_cvt_f32_f64_e32 v38, v[38:39]
	v_cvt_f32_f64_e32 v40, v[40:41]
	v_min3_f32 v125, v40, v38, 0x7f800000
	v_add_f64 v[38:39], v[24:25], v[44:45]
	v_add_f64 v[40:41], v[22:23], v[42:43]
	v_cvt_f32_f64_e32 v38, v[38:39]
	v_cvt_f32_f64_e32 v40, v[40:41]
	v_min3_f32 v124, v40, v38, 0x7f800000
	v_add_f64 v[38:39], v[28:29], v[44:45]
	v_add_f64 v[40:41], v[26:27], v[42:43]
	v_cvt_f32_f64_e32 v38, v[38:39]
	v_cvt_f32_f64_e32 v40, v[40:41]
	v_min3_f32 v123, v40, v38, 0x7f800000
	v_add_f64 v[38:39], v[32:33], v[44:45]
	v_add_f64 v[40:41], v[30:31], v[42:43]
	v_cvt_f32_f64_e32 v38, v[38:39]
	v_cvt_f32_f64_e32 v40, v[40:41]
	v_min3_f32 v122, v40, v38, 0x7f800000
	v_add_f64 v[38:39], v[36:37], v[44:45]
	v_add_f64 v[40:41], v[34:35], v[42:43]
	v_cvt_f32_f64_e32 v38, v[38:39]
	v_cvt_f32_f64_e32 v40, v[40:41]
	v_min3_f32 v121, v40, v38, 0x7f800000
	v_add_f64 v[38:39], v[83:84], v[48:49]
	v_add_f64 v[40:41], v[81:82], v[46:47]
	v_cvt_f32_f64_e32 v38, v[38:39]
	v_cvt_f32_f64_e32 v40, v[40:41]
	v_min3_f32 v120, v40, v38, 0x7f800000
	v_add_f64 v[38:39], v[12:13], v[48:49]
	v_add_f64 v[40:41], v[10:11], v[46:47]
	v_cvt_f32_f64_e32 v38, v[38:39]
	v_cvt_f32_f64_e32 v40, v[40:41]
	v_min3_f32 v119, v40, v38, 0x7f800000
	v_add_f64 v[38:39], v[16:17], v[48:49]
	v_add_f64 v[40:41], v[14:15], v[46:47]
	v_cvt_f32_f64_e32 v38, v[38:39]
	v_cvt_f32_f64_e32 v40, v[40:41]
	v_min3_f32 v118, v40, v38, 0x7f800000
	v_add_f64 v[38:39], v[20:21], v[48:49]
	v_add_f64 v[40:41], v[18:19], v[46:47]
	v_cvt_f32_f64_e32 v38, v[38:39]
	v_cvt_f32_f64_e32 v40, v[40:41]
	v_min3_f32 v117, v40, v38, 0x7f800000
	v_add_f64 v[38:39], v[24:25], v[48:49]
	v_add_f64 v[40:41], v[22:23], v[46:47]
	v_cvt_f32_f64_e32 v38, v[38:39]
	v_cvt_f32_f64_e32 v40, v[40:41]
	v_min3_f32 v116, v40, v38, 0x7f800000
	v_add_f64 v[38:39], v[28:29], v[48:49]
	v_add_f64 v[40:41], v[26:27], v[46:47]
	v_cvt_f32_f64_e32 v38, v[38:39]
	v_cvt_f32_f64_e32 v40, v[40:41]
	v_min3_f32 v115, v40, v38, 0x7f800000
	v_add_f64 v[38:39], v[32:33], v[48:49]
	v_add_f64 v[40:41], v[30:31], v[46:47]
	v_cvt_f32_f64_e32 v38, v[38:39]
	v_cvt_f32_f64_e32 v40, v[40:41]
	v_min3_f32 v114, v40, v38, 0x7f800000
	v_add_f64 v[38:39], v[36:37], v[48:49]
	v_add_f64 v[40:41], v[34:35], v[46:47]
	v_cvt_f32_f64_e32 v38, v[38:39]
	v_cvt_f32_f64_e32 v40, v[40:41]
	v_min3_f32 v113, v40, v38, 0x7f800000
	v_add_f64 v[38:39], v[83:84], v[52:53]
	v_add_f64 v[40:41], v[81:82], v[50:51]
	v_cvt_f32_f64_e32 v38, v[38:39]
	v_cvt_f32_f64_e32 v40, v[40:41]
	v_min3_f32 v112, v40, v38, 0x7f800000
	v_add_f64 v[38:39], v[12:13], v[52:53]
	v_add_f64 v[40:41], v[10:11], v[50:51]
	v_cvt_f32_f64_e32 v38, v[38:39]
	v_cvt_f32_f64_e32 v40, v[40:41]
	v_min3_f32 v111, v40, v38, 0x7f800000
	v_add_f64 v[38:39], v[16:17], v[52:53]
	v_add_f64 v[40:41], v[14:15], v[50:51]
	v_cvt_f32_f64_e32 v38, v[38:39]
	v_cvt_f32_f64_e32 v40, v[40:41]
	v_min3_f32 v110, v40, v38, 0x7f800000
	v_add_f64 v[38:39], v[20:21], v[52:53]
	v_add_f64 v[40:41], v[18:19], v[50:51]
	v_cvt_f32_f64_e32 v38, v[38:39]
	v_cvt_f32_f64_e32 v40, v[40:41]
	v_min3_f32 v109, v40, v38, 0x7f800000
	v_add_f64 v[38:39], v[24:25], v[52:53]
	v_add_f64 v[40:41], v[22:23], v[50:51]
	v_cvt_f32_f64_e32 v38, v[38:39]
	v_cvt_f32_f64_e32 v40, v[40:41]
	v_min3_f32 v108, v40, v38, 0x7f800000
	v_add_f64 v[38:39], v[28:29], v[52:53]
	v_add_f64 v[40:41], v[26:27], v[50:51]
	v_cvt_f32_f64_e32 v38, v[38:39]
	v_cvt_f32_f64_e32 v40, v[40:41]
	v_min3_f32 v107, v40, v38, 0x7f800000
	v_add_f64 v[38:39], v[32:33], v[52:53]
	v_add_f64 v[40:41], v[30:31], v[50:51]
	v_cvt_f32_f64_e32 v38, v[38:39]
	v_cvt_f32_f64_e32 v40, v[40:41]
	v_min3_f32 v106, v40, v38, 0x7f800000
	v_add_f64 v[38:39], v[36:37], v[52:53]
	v_add_f64 v[40:41], v[34:35], v[50:51]
	v_cvt_f32_f64_e32 v38, v[38:39]
	v_cvt_f32_f64_e32 v40, v[40:41]
	v_min3_f32 v105, v40, v38, 0x7f800000
	v_add_f64 v[38:39], v[83:84], v[56:57]
	v_add_f64 v[40:41], v[81:82], v[54:55]
	v_cvt_f32_f64_e32 v38, v[38:39]
	v_cvt_f32_f64_e32 v40, v[40:41]
	v_min3_f32 v104, v40, v38, 0x7f800000
	v_add_f64 v[38:39], v[12:13], v[56:57]
	v_add_f64 v[40:41], v[10:11], v[54:55]
	v_cvt_f32_f64_e32 v38, v[38:39]
	v_cvt_f32_f64_e32 v40, v[40:41]
	v_min3_f32 v103, v40, v38, 0x7f800000
	v_add_f64 v[38:39], v[16:17], v[56:57]
	v_add_f64 v[40:41], v[14:15], v[54:55]
	v_cvt_f32_f64_e32 v38, v[38:39]
	v_cvt_f32_f64_e32 v40, v[40:41]
	v_min3_f32 v102, v40, v38, 0x7f800000
	v_add_f64 v[38:39], v[20:21], v[56:57]
	v_add_f64 v[40:41], v[18:19], v[54:55]
	v_cvt_f32_f64_e32 v38, v[38:39]
	v_cvt_f32_f64_e32 v40, v[40:41]
	v_min3_f32 v101, v40, v38, 0x7f800000
	v_add_f64 v[38:39], v[24:25], v[56:57]
	v_add_f64 v[40:41], v[22:23], v[54:55]
	v_cvt_f32_f64_e32 v38, v[38:39]
	v_cvt_f32_f64_e32 v40, v[40:41]
	v_min3_f32 v100, v40, v38, 0x7f800000
	v_add_f64 v[38:39], v[28:29], v[56:57]
	v_add_f64 v[40:41], v[26:27], v[54:55]
	v_cvt_f32_f64_e32 v38, v[38:39]
	v_cvt_f32_f64_e32 v40, v[40:41]
	v_min3_f32 v99, v40, v38, 0x7f800000
	v_add_f64 v[38:39], v[32:33], v[56:57]
	v_add_f64 v[40:41], v[30:31], v[54:55]
	v_cvt_f32_f64_e32 v38, v[38:39]
	v_cvt_f32_f64_e32 v40, v[40:41]
	v_min3_f32 v98, v40, v38, 0x7f800000
	v_add_f64 v[38:39], v[36:37], v[56:57]
	v_add_f64 v[40:41], v[34:35], v[54:55]
	v_cvt_f32_f64_e32 v38, v[38:39]
	v_cvt_f32_f64_e32 v40, v[40:41]
	v_min3_f32 v97, v40, v38, 0x7f800000
	v_add_f64 v[38:39], v[83:84], v[60:61]
	v_add_f64 v[40:41], v[81:82], v[58:59]
	v_cvt_f32_f64_e32 v38, v[38:39]
	v_cvt_f32_f64_e32 v40, v[40:41]
	v_min3_f32 v96, v40, v38, 0x7f800000
	v_add_f64 v[38:39], v[12:13], v[60:61]
	v_add_f64 v[40:41], v[10:11], v[58:59]
	v_add_f64 v[12:13], v[12:13], v[64:65]
	;; [unrolled: 1-line block ×3, first 2 shown]
	v_cvt_f32_f64_e32 v38, v[38:39]
	v_cvt_f32_f64_e32 v40, v[40:41]
	;; [unrolled: 1-line block ×4, first 2 shown]
	v_add_f64 v[12:13], v[14:15], v[62:63]
	v_min3_f32 v95, v40, v38, 0x7f800000
	v_add_f64 v[38:39], v[16:17], v[60:61]
	v_add_f64 v[40:41], v[14:15], v[58:59]
	v_min3_f32 v87, v10, v11, 0x7f800000
	v_add_f64 v[10:11], v[16:17], v[64:65]
	v_cvt_f32_f64_e32 v12, v[12:13]
	v_cvt_f32_f64_e32 v38, v[38:39]
	;; [unrolled: 1-line block ×4, first 2 shown]
	v_min3_f32 v94, v40, v38, 0x7f800000
	v_add_f64 v[38:39], v[20:21], v[60:61]
	v_add_f64 v[40:41], v[18:19], v[58:59]
	v_min3_f32 v86, v12, v10, 0x7f800000
	v_add_f64 v[10:11], v[20:21], v[64:65]
	v_add_f64 v[12:13], v[18:19], v[62:63]
	v_cvt_f32_f64_e32 v38, v[38:39]
	v_cvt_f32_f64_e32 v40, v[40:41]
	;; [unrolled: 1-line block ×4, first 2 shown]
	v_min3_f32 v93, v40, v38, 0x7f800000
	v_add_f64 v[38:39], v[24:25], v[60:61]
	v_add_f64 v[40:41], v[22:23], v[58:59]
	v_min3_f32 v85, v12, v10, 0x7f800000
	v_add_f64 v[10:11], v[24:25], v[64:65]
	v_add_f64 v[12:13], v[22:23], v[62:63]
	v_cvt_f32_f64_e32 v38, v[38:39]
	v_cvt_f32_f64_e32 v40, v[40:41]
	v_cvt_f32_f64_e32 v10, v[10:11]
	v_cvt_f32_f64_e32 v12, v[12:13]
	v_min3_f32 v92, v40, v38, 0x7f800000
	v_add_f64 v[38:39], v[28:29], v[60:61]
	v_add_f64 v[40:41], v[26:27], v[58:59]
	v_cvt_f32_f64_e32 v38, v[38:39]
	v_cvt_f32_f64_e32 v40, v[40:41]
	v_min3_f32 v91, v40, v38, 0x7f800000
	v_add_f64 v[38:39], v[32:33], v[60:61]
	v_add_f64 v[40:41], v[30:31], v[58:59]
	v_cvt_f32_f64_e32 v38, v[38:39]
	v_cvt_f32_f64_e32 v40, v[40:41]
	;; [unrolled: 5-line block ×3, first 2 shown]
	v_min3_f32 v89, v40, v38, 0x7f800000
	v_add_f64 v[38:39], v[83:84], v[64:65]
	v_min3_f32 v84, v12, v10, 0x7f800000
	v_add_f64 v[10:11], v[28:29], v[64:65]
	v_add_f64 v[12:13], v[26:27], v[62:63]
	;; [unrolled: 1-line block ×3, first 2 shown]
	v_cvt_f32_f64_e32 v38, v[38:39]
	v_cvt_f32_f64_e32 v10, v[10:11]
	;; [unrolled: 1-line block ×4, first 2 shown]
	v_min3_f32 v83, v12, v10, 0x7f800000
	v_add_f64 v[10:11], v[32:33], v[64:65]
	v_add_f64 v[12:13], v[30:31], v[62:63]
	v_min3_f32 v88, v40, v38, 0x7f800000
	v_cvt_f32_f64_e32 v10, v[10:11]
	v_cvt_f32_f64_e32 v12, v[12:13]
	v_min3_f32 v82, v12, v10, 0x7f800000
	v_add_f64 v[10:11], v[36:37], v[64:65]
	v_add_f64 v[12:13], v[34:35], v[62:63]
	v_cvt_f32_f64_e32 v10, v[10:11]
	v_cvt_f32_f64_e32 v12, v[12:13]
	v_min3_f32 v81, v12, v10, 0x7f800000
	ds_read_b128 v[34:37], v147 offset:1040
	ds_read_b128 v[30:33], v147 offset:2064
	ds_read_b128 v[26:29], v147 offset:3088
	ds_read_b128 v[22:25], v147 offset:4112
	ds_read_b128 v[18:21], v147 offset:5136
	ds_read_b128 v[14:17], v147 offset:6160
	ds_read_b128 v[10:13], v147 offset:7184
	ds_read_b128 v[62:65], v145 offset:16656
	ds_read_b128 v[58:61], v145 offset:16912
	ds_read_b128 v[54:57], v145 offset:17168
	ds_read_b128 v[50:53], v145 offset:17424
	ds_read_b128 v[46:49], v145 offset:17680
	ds_read_b128 v[42:45], v145 offset:17936
	ds_read_b128 v[38:41], v145 offset:18192
	ds_write2st64_b64 v148, v[70:71], v[72:73] offset0:16 offset1:20
	ds_write2st64_b64 v148, v[74:75], v[76:77] offset0:24 offset1:28
	ds_write_b64 v80, v[68:69] offset:18432
	s_waitcnt lgkmcnt(0)
	s_barrier
	buffer_gl0_inv
	v_add_f64 v[149:150], v[36:37], v[8:9]
	v_add_f64 v[151:152], v[34:35], v[6:7]
	v_cvt_f32_f64_e32 v149, v[149:150]
	v_cvt_f32_f64_e32 v151, v[151:152]
	v_min3_f32 v217, v151, v149, v143
	v_add_f64 v[149:150], v[32:33], v[8:9]
	v_add_f64 v[151:152], v[30:31], v[6:7]
	v_cvt_f32_f64_e32 v149, v[149:150]
	v_cvt_f32_f64_e32 v143, v[151:152]
	v_min3_f32 v216, v143, v149, v142
	;; [unrolled: 5-line block ×5, first 2 shown]
	v_add_f64 v[139:140], v[16:17], v[8:9]
	v_add_f64 v[141:142], v[14:15], v[6:7]
	;; [unrolled: 1-line block ×4, first 2 shown]
	v_cvt_f32_f64_e32 v139, v[139:140]
	v_cvt_f32_f64_e32 v141, v[141:142]
	;; [unrolled: 1-line block ×4, first 2 shown]
	v_add_f64 v[8:9], v[2:3], v[62:63]
	v_min3_f32 v212, v141, v139, v138
	v_min3_f32 v211, v6, v7, v137
	v_add_f64 v[6:7], v[4:5], v[64:65]
	v_cvt_f32_f64_e32 v8, v[8:9]
	v_cvt_f32_f64_e32 v6, v[6:7]
	v_min3_f32 v210, v8, v6, v136
	v_add_f64 v[6:7], v[36:37], v[64:65]
	v_add_f64 v[8:9], v[34:35], v[62:63]
	v_cvt_f32_f64_e32 v6, v[6:7]
	v_cvt_f32_f64_e32 v8, v[8:9]
	v_min3_f32 v209, v8, v6, v135
	v_add_f64 v[6:7], v[32:33], v[64:65]
	;; [unrolled: 5-line block ×40, first 2 shown]
	v_add_f64 v[8:9], v[2:3], v[42:43]
	v_add_f64 v[4:5], v[4:5], v[40:41]
	;; [unrolled: 1-line block ×3, first 2 shown]
	v_cvt_f32_f64_e32 v6, v[6:7]
	v_cvt_f32_f64_e32 v8, v[8:9]
	;; [unrolled: 1-line block ×4, first 2 shown]
	v_add_f64 v[4:5], v[34:35], v[38:39]
	v_min3_f32 v164, v8, v6, v96
	v_add_f64 v[6:7], v[36:37], v[44:45]
	v_add_f64 v[8:9], v[34:35], v[42:43]
	v_min3_f32 v156, v2, v3, v88
	v_add_f64 v[2:3], v[36:37], v[40:41]
	v_cvt_f32_f64_e32 v4, v[4:5]
	v_cvt_f32_f64_e32 v6, v[6:7]
	v_cvt_f32_f64_e32 v8, v[8:9]
	v_cvt_f32_f64_e32 v2, v[2:3]
	v_min3_f32 v163, v8, v6, v95
	v_add_f64 v[6:7], v[32:33], v[44:45]
	v_add_f64 v[8:9], v[30:31], v[42:43]
	v_min3_f32 v155, v4, v2, v87
	v_add_f64 v[2:3], v[32:33], v[40:41]
	v_add_f64 v[4:5], v[30:31], v[38:39]
	v_cvt_f32_f64_e32 v6, v[6:7]
	v_cvt_f32_f64_e32 v8, v[8:9]
	v_cvt_f32_f64_e32 v2, v[2:3]
	v_cvt_f32_f64_e32 v4, v[4:5]
	v_min3_f32 v162, v8, v6, v94
	v_add_f64 v[6:7], v[28:29], v[44:45]
	v_add_f64 v[8:9], v[26:27], v[42:43]
	v_min3_f32 v154, v4, v2, v86
	v_add_f64 v[2:3], v[28:29], v[40:41]
	;; [unrolled: 10-line block ×6, first 2 shown]
	v_add_f64 v[4:5], v[10:11], v[38:39]
	v_cvt_f32_f64_e32 v6, v[6:7]
	v_cvt_f32_f64_e32 v8, v[8:9]
	v_cvt_f32_f64_e32 v2, v[2:3]
	v_cvt_f32_f64_e32 v4, v[4:5]
	v_min3_f32 v157, v8, v6, v89
	v_min3_f32 v149, v4, v2, v81
	s_cbranch_scc1 .LBB110_51
; %bb.29:
	v_mad_i64_i32 v[2:3], null, s29, v78, 0
	v_lshlrev_b64 v[130:131], 3, v[66:67]
	v_add_nc_u32_e32 v170, 0x4000, v80
	v_or_b32_e32 v171, 0x4000, v145
	v_or_b32_e32 v172, 0x2000, v148
	v_add_nc_u32_e32 v173, 0x4800, v80
	v_lshl_or_b32 v174, v0, 5, 0x2000
	v_lshlrev_b64 v[2:3], 3, v[2:3]
	v_lshl_add_u32 v175, v1, 5, 0x4800
	v_add_co_u32 v2, s6, v2, v79
	v_add_co_ci_u32_e64 v3, null, 0, v3, s6
	v_add_co_u32 v2, s6, s22, v2
	v_add_co_ci_u32_e64 v3, null, s23, v3, s6
	s_add_i32 s22, s14, -8
	v_add_co_u32 v132, s6, 0x60, v2
	v_add_co_ci_u32_e64 v133, null, 0, v3, s6
	s_mov_b32 s23, 0
	s_branch .LBB110_31
.LBB110_30:                             ;   in Loop: Header=BB110_31 Depth=1
	s_or_b32 exec_lo, exec_lo, s6
	v_add_f64 v[219:220], v[100:101], v[128:129]
	v_add_f64 v[221:222], v[98:99], v[126:127]
	v_add_co_u32 v132, s6, v132, 64
	v_add_co_ci_u32_e64 v133, null, 0, v133, s6
	s_add_i32 s23, s23, 8
	s_cmp_ge_i32 s23, s22
	v_cvt_f32_f64_e32 v219, v[219:220]
	v_cvt_f32_f64_e32 v221, v[221:222]
	v_min3_f32 v218, v221, v219, v218
	v_add_f64 v[219:220], v[96:97], v[128:129]
	v_add_f64 v[221:222], v[94:95], v[126:127]
	v_cvt_f32_f64_e32 v219, v[219:220]
	v_cvt_f32_f64_e32 v221, v[221:222]
	v_min3_f32 v217, v221, v219, v217
	v_add_f64 v[219:220], v[92:93], v[128:129]
	v_add_f64 v[221:222], v[90:91], v[126:127]
	;; [unrolled: 5-line block ×6, first 2 shown]
	v_add_f64 v[128:129], v[68:69], v[128:129]
	v_add_f64 v[126:127], v[66:67], v[126:127]
	v_cvt_f32_f64_e32 v219, v[219:220]
	v_cvt_f32_f64_e32 v221, v[221:222]
	;; [unrolled: 1-line block ×4, first 2 shown]
	v_add_f64 v[128:129], v[98:99], v[122:123]
	v_min3_f32 v212, v221, v219, v212
	v_min3_f32 v211, v126, v127, v211
	v_add_f64 v[126:127], v[100:101], v[124:125]
	v_cvt_f32_f64_e32 v128, v[128:129]
	v_cvt_f32_f64_e32 v126, v[126:127]
	v_min3_f32 v210, v128, v126, v210
	v_add_f64 v[126:127], v[96:97], v[124:125]
	v_add_f64 v[128:129], v[94:95], v[122:123]
	v_cvt_f32_f64_e32 v126, v[126:127]
	v_cvt_f32_f64_e32 v128, v[128:129]
	v_min3_f32 v209, v128, v126, v209
	v_add_f64 v[126:127], v[92:93], v[124:125]
	;; [unrolled: 5-line block ×6, first 2 shown]
	v_add_f64 v[128:129], v[70:71], v[122:123]
	v_add_f64 v[124:125], v[68:69], v[124:125]
	;; [unrolled: 1-line block ×3, first 2 shown]
	v_cvt_f32_f64_e32 v126, v[126:127]
	v_cvt_f32_f64_e32 v128, v[128:129]
	;; [unrolled: 1-line block ×4, first 2 shown]
	v_add_f64 v[124:125], v[98:99], v[118:119]
	v_min3_f32 v204, v128, v126, v204
	v_min3_f32 v203, v122, v123, v203
	v_add_f64 v[122:123], v[100:101], v[120:121]
	v_cvt_f32_f64_e32 v124, v[124:125]
	v_add_f64 v[125:126], v[94:95], v[118:119]
	v_cvt_f32_f64_e32 v122, v[122:123]
	v_cvt_f32_f64_e32 v125, v[125:126]
	v_min3_f32 v122, v124, v122, v202
	v_add_f64 v[123:124], v[96:97], v[120:121]
	v_cvt_f32_f64_e32 v123, v[123:124]
	v_min3_f32 v201, v125, v123, v201
	v_add_f64 v[123:124], v[92:93], v[120:121]
	v_add_f64 v[125:126], v[90:91], v[118:119]
	v_cvt_f32_f64_e32 v123, v[123:124]
	v_cvt_f32_f64_e32 v125, v[125:126]
	v_min3_f32 v200, v125, v123, v200
	v_add_f64 v[123:124], v[88:89], v[120:121]
	v_add_f64 v[125:126], v[86:87], v[118:119]
	v_cvt_f32_f64_e32 v123, v[123:124]
	;; [unrolled: 5-line block ×4, first 2 shown]
	v_cvt_f32_f64_e32 v125, v[125:126]
	v_min3_f32 v197, v125, v123, v197
	v_add_f64 v[123:124], v[72:73], v[120:121]
	v_add_f64 v[125:126], v[70:71], v[118:119]
	;; [unrolled: 1-line block ×4, first 2 shown]
	v_cvt_f32_f64_e32 v123, v[123:124]
	v_cvt_f32_f64_e32 v125, v[125:126]
	;; [unrolled: 1-line block ×4, first 2 shown]
	v_add_f64 v[120:121], v[98:99], v[114:115]
	v_min3_f32 v196, v125, v123, v196
	v_add_f64 v[123:124], v[82:83], v[114:115]
	v_add_f64 v[125:126], v[70:71], v[114:115]
	v_min3_f32 v195, v118, v119, v195
	v_add_f64 v[118:119], v[100:101], v[116:117]
	v_cvt_f32_f64_e32 v120, v[120:121]
	v_cvt_f32_f64_e32 v118, v[118:119]
	v_min3_f32 v194, v120, v118, v194
	v_add_f64 v[118:119], v[96:97], v[116:117]
	v_add_f64 v[120:121], v[94:95], v[114:115]
	v_cvt_f32_f64_e32 v118, v[118:119]
	v_cvt_f32_f64_e32 v120, v[120:121]
	v_min3_f32 v193, v120, v118, v193
	v_add_f64 v[118:119], v[92:93], v[116:117]
	;; [unrolled: 5-line block ×3, first 2 shown]
	v_add_f64 v[120:121], v[86:87], v[114:115]
	v_cvt_f32_f64_e32 v118, v[118:119]
	v_cvt_f32_f64_e32 v120, v[120:121]
	;; [unrolled: 1-line block ×3, first 2 shown]
	v_add_f64 v[123:124], v[74:75], v[114:115]
	v_add_f64 v[114:115], v[66:67], v[114:115]
	v_min3_f32 v118, v120, v118, v191
	v_add_f64 v[119:120], v[84:85], v[116:117]
	v_cvt_f32_f64_e32 v123, v[123:124]
	v_cvt_f32_f64_e32 v114, v[114:115]
	;; [unrolled: 1-line block ×3, first 2 shown]
	v_min3_f32 v119, v121, v119, v190
	v_add_f64 v[120:121], v[76:77], v[116:117]
	v_cvt_f32_f64_e32 v120, v[120:121]
	v_cvt_f32_f64_e32 v121, v[125:126]
	v_add_f64 v[125:126], v[90:91], v[110:111]
	v_min3_f32 v120, v123, v120, v189
	v_add_f64 v[123:124], v[72:73], v[116:117]
	v_add_f64 v[116:117], v[68:69], v[116:117]
	v_cvt_f32_f64_e32 v123, v[123:124]
	v_cvt_f32_f64_e32 v115, v[116:117]
	v_min3_f32 v121, v121, v123, v188
	v_min3_f32 v114, v114, v115, v187
	v_add_f64 v[115:116], v[100:101], v[112:113]
	v_add_f64 v[123:124], v[98:99], v[110:111]
	v_cvt_f32_f64_e32 v115, v[115:116]
	v_cvt_f32_f64_e32 v117, v[123:124]
	v_add_f64 v[123:124], v[94:95], v[110:111]
	v_min3_f32 v115, v117, v115, v186
	v_add_f64 v[116:117], v[96:97], v[112:113]
	v_cvt_f32_f64_e32 v123, v[123:124]
	v_cvt_f32_f64_e32 v116, v[116:117]
	;; [unrolled: 1-line block ×3, first 2 shown]
	v_add_f64 v[125:126], v[86:87], v[110:111]
	v_min3_f32 v116, v123, v116, v185
	v_add_f64 v[123:124], v[92:93], v[112:113]
	v_cvt_f32_f64_e32 v125, v[125:126]
	v_add_f64 v[126:127], v[82:83], v[110:111]
	v_cvt_f32_f64_e32 v123, v[123:124]
	v_cvt_f32_f64_e32 v126, v[126:127]
	v_add_f64 v[127:128], v[74:75], v[110:111]
	v_min3_f32 v117, v117, v123, v184
	v_add_f64 v[123:124], v[88:89], v[112:113]
	v_cvt_f32_f64_e32 v127, v[127:128]
	v_cvt_f32_f64_e32 v123, v[123:124]
	v_min3_f32 v123, v125, v123, v183
	v_add_f64 v[124:125], v[84:85], v[112:113]
	v_cvt_f32_f64_e32 v124, v[124:125]
	v_min3_f32 v124, v126, v124, v182
	v_add_f64 v[125:126], v[76:77], v[112:113]
	;; [unrolled: 3-line block ×3, first 2 shown]
	v_add_f64 v[127:128], v[70:71], v[110:111]
	v_add_f64 v[112:113], v[68:69], v[112:113]
	;; [unrolled: 1-line block ×3, first 2 shown]
	v_cvt_f32_f64_e32 v125, v[125:126]
	v_cvt_f32_f64_e32 v127, v[127:128]
	;; [unrolled: 1-line block ×4, first 2 shown]
	v_min3_f32 v125, v127, v125, v180
	v_add_f64 v[126:127], v[98:99], v[106:107]
	v_min3_f32 v112, v110, v111, v179
	v_add_f64 v[110:111], v[100:101], v[108:109]
	v_cvt_f32_f64_e32 v113, v[126:127]
	v_add_f64 v[126:127], v[94:95], v[106:107]
	v_cvt_f32_f64_e32 v110, v[110:111]
	v_cvt_f32_f64_e32 v126, v[126:127]
	v_add_f64 v[127:128], v[90:91], v[106:107]
	v_min3_f32 v113, v113, v110, v178
	v_add_f64 v[110:111], v[96:97], v[108:109]
	v_cvt_f32_f64_e32 v127, v[127:128]
	v_add_f64 v[128:129], v[86:87], v[106:107]
	v_cvt_f32_f64_e32 v110, v[110:111]
	v_cvt_f32_f64_e32 v128, v[128:129]
	v_min3_f32 v126, v126, v110, v177
	v_add_f64 v[110:111], v[92:93], v[108:109]
	v_cvt_f32_f64_e32 v110, v[110:111]
	v_min3_f32 v127, v127, v110, v176
	v_add_f64 v[110:111], v[88:89], v[108:109]
	v_add_f64 v[176:177], v[82:83], v[106:107]
	v_cvt_f32_f64_e32 v110, v[110:111]
	v_cvt_f32_f64_e32 v129, v[176:177]
	v_min3_f32 v128, v128, v110, v169
	v_add_f64 v[110:111], v[84:85], v[108:109]
	v_cvt_f32_f64_e32 v110, v[110:111]
	v_min3_f32 v129, v129, v110, v168
	v_add_f64 v[110:111], v[76:77], v[108:109]
	v_add_f64 v[168:169], v[74:75], v[106:107]
	v_cvt_f32_f64_e32 v110, v[110:111]
	v_cvt_f32_f64_e32 v168, v[168:169]
	v_min3_f32 v167, v168, v110, v167
	v_add_f64 v[110:111], v[72:73], v[108:109]
	v_add_f64 v[168:169], v[70:71], v[106:107]
	;; [unrolled: 1-line block ×4, first 2 shown]
	v_cvt_f32_f64_e32 v110, v[110:111]
	v_cvt_f32_f64_e32 v168, v[168:169]
	;; [unrolled: 1-line block ×4, first 2 shown]
	v_add_f64 v[108:109], v[98:99], v[102:103]
	v_add_f64 v[98:99], v[98:99], v[78:79]
	v_min3_f32 v166, v168, v110, v166
	v_min3_f32 v165, v106, v107, v165
	v_add_f64 v[106:107], v[100:101], v[104:105]
	v_cvt_f32_f64_e32 v108, v[108:109]
	v_add_f64 v[100:101], v[100:101], v[80:81]
	v_cvt_f32_f64_e32 v98, v[98:99]
	v_cvt_f32_f64_e32 v106, v[106:107]
	;; [unrolled: 1-line block ×3, first 2 shown]
	v_min3_f32 v164, v108, v106, v164
	v_add_f64 v[106:107], v[96:97], v[104:105]
	v_add_f64 v[108:109], v[94:95], v[102:103]
	;; [unrolled: 1-line block ×4, first 2 shown]
	v_min3_f32 v98, v98, v99, v156
	v_add_f64 v[99:100], v[10:11], v[46:47]
	v_cvt_f32_f64_e32 v106, v[106:107]
	v_cvt_f32_f64_e32 v108, v[108:109]
	v_add_f64 v[109:110], v[90:91], v[102:103]
	v_add_f64 v[90:91], v[90:91], v[78:79]
	v_cvt_f32_f64_e32 v94, v[94:95]
	v_cvt_f32_f64_e32 v95, v[96:97]
	v_min3_f32 v106, v108, v106, v163
	v_add_f64 v[107:108], v[92:93], v[104:105]
	v_cvt_f32_f64_e32 v109, v[109:110]
	v_add_f64 v[110:111], v[86:87], v[102:103]
	v_add_f64 v[86:87], v[86:87], v[78:79]
	v_add_f64 v[92:93], v[92:93], v[80:81]
	v_cvt_f32_f64_e32 v90, v[90:91]
	v_min3_f32 v94, v94, v95, v155
	v_add_f64 v[95:96], v[6:7], v[50:51]
	v_cvt_f32_f64_e32 v107, v[107:108]
	v_cvt_f32_f64_e32 v110, v[110:111]
	;; [unrolled: 1-line block ×4, first 2 shown]
	v_min3_f32 v107, v109, v107, v162
	v_add_f64 v[108:109], v[88:89], v[104:105]
	v_add_f64 v[88:89], v[88:89], v[80:81]
	v_min3_f32 v90, v90, v91, v154
	v_add_f64 v[91:92], v[22:23], v[50:51]
	v_cvt_f32_f64_e32 v108, v[108:109]
	v_cvt_f32_f64_e32 v87, v[88:89]
	v_min3_f32 v108, v110, v108, v161
	v_add_f64 v[109:110], v[84:85], v[104:105]
	v_add_f64 v[161:162], v[82:83], v[102:103]
	;; [unrolled: 1-line block ×4, first 2 shown]
	v_min3_f32 v86, v86, v87, v153
	v_add_f64 v[87:88], v[14:15], v[54:55]
	v_cvt_f32_f64_e32 v109, v[109:110]
	v_cvt_f32_f64_e32 v111, v[161:162]
	;; [unrolled: 1-line block ×4, first 2 shown]
	v_min3_f32 v109, v111, v109, v160
	v_add_f64 v[110:111], v[76:77], v[104:105]
	v_add_f64 v[160:161], v[74:75], v[102:103]
	;; [unrolled: 1-line block ×4, first 2 shown]
	v_min3_f32 v82, v82, v83, v152
	v_add_f64 v[83:84], v[6:7], v[58:59]
	v_cvt_f32_f64_e32 v110, v[110:111]
	v_cvt_f32_f64_e32 v160, v[160:161]
	v_add_f64 v[161:162], v[70:71], v[102:103]
	v_add_f64 v[102:103], v[66:67], v[102:103]
	;; [unrolled: 1-line block ×4, first 2 shown]
	v_cvt_f32_f64_e32 v74, v[74:75]
	v_cvt_f32_f64_e32 v75, v[76:77]
	v_add_f64 v[77:78], v[14:15], v[62:63]
	v_min3_f32 v110, v160, v110, v159
	v_add_f64 v[159:160], v[72:73], v[104:105]
	v_add_f64 v[104:105], v[68:69], v[104:105]
	v_add_f64 v[68:69], v[68:69], v[80:81]
	v_add_f64 v[72:73], v[72:73], v[80:81]
	v_cvt_f32_f64_e32 v66, v[66:67]
	v_cvt_f32_f64_e32 v70, v[70:71]
	v_min3_f32 v74, v74, v75, v151
	v_add_f64 v[75:76], v[22:23], v[62:63]
	v_cvt_f32_f64_e32 v102, v[102:103]
	v_cvt_f32_f64_e32 v111, v[161:162]
	;; [unrolled: 1-line block ×6, first 2 shown]
	v_add_f64 v[68:69], v[34:35], v[62:63]
	v_min3_f32 v111, v111, v159, v158
	v_min3_f32 v102, v102, v103, v157
	;; [unrolled: 1-line block ×3, first 2 shown]
	v_add_f64 v[66:67], v[36:37], v[64:65]
	v_cvt_f32_f64_e32 v68, v[68:69]
	v_min3_f32 v71, v70, v71, v150
	v_add_f64 v[69:70], v[26:27], v[62:63]
	v_cvt_f32_f64_e32 v66, v[66:67]
	v_cvt_f32_f64_e32 v69, v[69:70]
	;; [unrolled: 1-line block ×3, first 2 shown]
	v_add_f64 v[75:76], v[18:19], v[62:63]
	v_min3_f32 v66, v68, v66, v218
	v_add_f64 v[67:68], v[28:29], v[64:65]
	v_cvt_f32_f64_e32 v72, v[75:76]
	v_add_f64 v[75:76], v[16:17], v[64:65]
	v_cvt_f32_f64_e32 v67, v[67:68]
	v_min3_f32 v67, v69, v67, v217
	v_add_f64 v[68:69], v[24:25], v[64:65]
	v_cvt_f32_f64_e32 v68, v[68:69]
	v_min3_f32 v68, v70, v68, v216
	v_add_f64 v[69:70], v[20:21], v[64:65]
	v_cvt_f32_f64_e32 v69, v[69:70]
	v_cvt_f32_f64_e32 v70, v[77:78]
	v_add_f64 v[77:78], v[10:11], v[62:63]
	v_min3_f32 v69, v72, v69, v215
	v_cvt_f32_f64_e32 v72, v[75:76]
	v_add_f64 v[75:76], v[12:13], v[64:65]
	v_min3_f32 v70, v70, v72, v214
	v_cvt_f32_f64_e32 v72, v[77:78]
	v_cvt_f32_f64_e32 v75, v[75:76]
	v_add_f64 v[77:78], v[6:7], v[62:63]
	v_add_f64 v[62:63], v[2:3], v[62:63]
	v_min3_f32 v72, v72, v75, v213
	v_add_f64 v[75:76], v[8:9], v[64:65]
	v_add_f64 v[64:65], v[4:5], v[64:65]
	v_cvt_f32_f64_e32 v77, v[77:78]
	v_cvt_f32_f64_e32 v62, v[62:63]
	v_add_f64 v[78:79], v[22:23], v[58:59]
	v_cvt_f32_f64_e32 v75, v[75:76]
	v_cvt_f32_f64_e32 v63, v[64:65]
	v_min3_f32 v75, v77, v75, v212
	v_min3_f32 v62, v62, v63, v211
	v_add_f64 v[63:64], v[36:37], v[60:61]
	v_add_f64 v[76:77], v[34:35], v[58:59]
	v_cvt_f32_f64_e32 v63, v[63:64]
	v_cvt_f32_f64_e32 v65, v[76:77]
	v_add_f64 v[76:77], v[26:27], v[58:59]
	v_min3_f32 v63, v65, v63, v210
	v_add_f64 v[64:65], v[28:29], v[60:61]
	v_cvt_f32_f64_e32 v76, v[76:77]
	v_cvt_f32_f64_e32 v64, v[64:65]
	;; [unrolled: 1-line block ×3, first 2 shown]
	v_add_f64 v[78:79], v[18:19], v[58:59]
	v_min3_f32 v64, v76, v64, v209
	v_add_f64 v[76:77], v[24:25], v[60:61]
	v_cvt_f32_f64_e32 v78, v[78:79]
	v_add_f64 v[79:80], v[14:15], v[58:59]
	v_cvt_f32_f64_e32 v76, v[76:77]
	v_cvt_f32_f64_e32 v79, v[79:80]
	v_add_f64 v[80:81], v[10:11], v[58:59]
	v_add_f64 v[58:59], v[2:3], v[58:59]
	v_min3_f32 v65, v65, v76, v208
	v_add_f64 v[76:77], v[20:21], v[60:61]
	v_cvt_f32_f64_e32 v80, v[80:81]
	v_cvt_f32_f64_e32 v81, v[83:84]
	;; [unrolled: 1-line block ×3, first 2 shown]
	v_add_f64 v[83:84], v[22:23], v[54:55]
	v_cvt_f32_f64_e32 v76, v[76:77]
	v_min3_f32 v76, v78, v76, v207
	v_add_f64 v[77:78], v[16:17], v[60:61]
	v_cvt_f32_f64_e32 v77, v[77:78]
	v_min3_f32 v77, v79, v77, v206
	;; [unrolled: 3-line block ×3, first 2 shown]
	v_add_f64 v[79:80], v[8:9], v[60:61]
	v_add_f64 v[60:61], v[4:5], v[60:61]
	v_cvt_f32_f64_e32 v79, v[79:80]
	v_cvt_f32_f64_e32 v59, v[60:61]
	v_min3_f32 v79, v81, v79, v204
	v_min3_f32 v58, v58, v59, v203
	v_add_f64 v[59:60], v[36:37], v[56:57]
	v_add_f64 v[80:81], v[34:35], v[54:55]
	v_cvt_f32_f64_e32 v59, v[59:60]
	v_cvt_f32_f64_e32 v61, v[80:81]
	v_add_f64 v[80:81], v[26:27], v[54:55]
	v_min3_f32 v59, v61, v59, v122
	v_add_f64 v[60:61], v[28:29], v[56:57]
	v_cvt_f32_f64_e32 v80, v[80:81]
	v_cvt_f32_f64_e32 v60, v[60:61]
	v_cvt_f32_f64_e32 v61, v[83:84]
	v_add_f64 v[83:84], v[18:19], v[54:55]
	v_min3_f32 v60, v80, v60, v201
	v_add_f64 v[80:81], v[24:25], v[56:57]
	v_cvt_f32_f64_e32 v83, v[83:84]
	v_cvt_f32_f64_e32 v80, v[80:81]
	v_min3_f32 v61, v61, v80, v200
	v_add_f64 v[80:81], v[20:21], v[56:57]
	v_cvt_f32_f64_e32 v80, v[80:81]
	v_cvt_f32_f64_e32 v81, v[87:88]
	v_add_f64 v[87:88], v[10:11], v[54:55]
	v_min3_f32 v80, v83, v80, v199
	v_add_f64 v[83:84], v[16:17], v[56:57]
	v_cvt_f32_f64_e32 v85, v[87:88]
	v_add_f64 v[87:88], v[6:7], v[54:55]
	v_add_f64 v[54:55], v[2:3], v[54:55]
	v_cvt_f32_f64_e32 v83, v[83:84]
	v_cvt_f32_f64_e32 v87, v[87:88]
	;; [unrolled: 1-line block ×3, first 2 shown]
	v_min3_f32 v81, v81, v83, v198
	v_add_f64 v[83:84], v[12:13], v[56:57]
	v_cvt_f32_f64_e32 v83, v[83:84]
	v_min3_f32 v83, v85, v83, v197
	v_add_f64 v[84:85], v[8:9], v[56:57]
	v_add_f64 v[56:57], v[4:5], v[56:57]
	v_cvt_f32_f64_e32 v84, v[84:85]
	v_cvt_f32_f64_e32 v55, v[56:57]
	v_min3_f32 v84, v87, v84, v196
	v_min3_f32 v54, v54, v55, v195
	v_add_f64 v[55:56], v[36:37], v[52:53]
	v_add_f64 v[87:88], v[34:35], v[50:51]
	v_cvt_f32_f64_e32 v55, v[55:56]
	v_cvt_f32_f64_e32 v57, v[87:88]
	v_add_f64 v[87:88], v[26:27], v[50:51]
	v_min3_f32 v55, v57, v55, v194
	v_add_f64 v[56:57], v[28:29], v[52:53]
	v_cvt_f32_f64_e32 v85, v[87:88]
	v_add_f64 v[87:88], v[24:25], v[52:53]
	v_cvt_f32_f64_e32 v56, v[56:57]
	v_cvt_f32_f64_e32 v57, v[91:92]
	v_add_f64 v[91:92], v[18:19], v[50:51]
	v_min3_f32 v56, v85, v56, v193
	v_cvt_f32_f64_e32 v85, v[87:88]
	v_add_f64 v[87:88], v[20:21], v[52:53]
	v_min3_f32 v57, v57, v85, v192
	v_cvt_f32_f64_e32 v85, v[91:92]
	v_cvt_f32_f64_e32 v87, v[87:88]
	v_add_f64 v[91:92], v[14:15], v[50:51]
	v_min3_f32 v85, v85, v87, v118
	v_add_f64 v[87:88], v[16:17], v[52:53]
	v_cvt_f32_f64_e32 v89, v[91:92]
	v_add_f64 v[91:92], v[10:11], v[50:51]
	v_add_f64 v[50:51], v[2:3], v[50:51]
	v_cvt_f32_f64_e32 v87, v[87:88]
	v_cvt_f32_f64_e32 v91, v[91:92]
	;; [unrolled: 1-line block ×3, first 2 shown]
	v_min3_f32 v87, v89, v87, v119
	v_add_f64 v[88:89], v[12:13], v[52:53]
	v_cvt_f32_f64_e32 v88, v[88:89]
	v_cvt_f32_f64_e32 v89, v[95:96]
	v_add_f64 v[95:96], v[22:23], v[46:47]
	v_min3_f32 v88, v91, v88, v120
	v_add_f64 v[91:92], v[8:9], v[52:53]
	v_add_f64 v[52:53], v[4:5], v[52:53]
	v_cvt_f32_f64_e32 v91, v[91:92]
	v_cvt_f32_f64_e32 v51, v[52:53]
	v_min3_f32 v89, v89, v91, v121
	v_min3_f32 v50, v50, v51, v114
	v_add_f64 v[51:52], v[36:37], v[48:49]
	v_add_f64 v[91:92], v[34:35], v[46:47]
	v_cvt_f32_f64_e32 v51, v[51:52]
	v_cvt_f32_f64_e32 v53, v[91:92]
	v_add_f64 v[91:92], v[26:27], v[46:47]
	v_min3_f32 v51, v53, v51, v115
	v_add_f64 v[52:53], v[28:29], v[48:49]
	v_cvt_f32_f64_e32 v91, v[91:92]
	v_cvt_f32_f64_e32 v52, v[52:53]
	;; [unrolled: 1-line block ×3, first 2 shown]
	v_add_f64 v[95:96], v[18:19], v[46:47]
	v_min3_f32 v52, v91, v52, v116
	v_add_f64 v[91:92], v[24:25], v[48:49]
	v_cvt_f32_f64_e32 v93, v[95:96]
	v_add_f64 v[95:96], v[14:15], v[46:47]
	v_cvt_f32_f64_e32 v91, v[91:92]
	v_cvt_f32_f64_e32 v95, v[95:96]
	v_min3_f32 v53, v53, v91, v117
	v_add_f64 v[91:92], v[20:21], v[48:49]
	v_cvt_f32_f64_e32 v91, v[91:92]
	v_min3_f32 v91, v93, v91, v123
	v_add_f64 v[92:93], v[16:17], v[48:49]
	v_cvt_f32_f64_e32 v92, v[92:93]
	v_cvt_f32_f64_e32 v93, v[99:100]
	v_add_f64 v[99:100], v[6:7], v[46:47]
	v_add_f64 v[46:47], v[2:3], v[46:47]
	v_min3_f32 v92, v95, v92, v124
	v_add_f64 v[95:96], v[12:13], v[48:49]
	v_cvt_f32_f64_e32 v46, v[46:47]
	v_cvt_f32_f64_e32 v95, v[95:96]
	v_min3_f32 v149, v93, v95, v181
	v_add_f64 v[95:96], v[8:9], v[48:49]
	v_add_f64 v[48:49], v[4:5], v[48:49]
	v_cvt_f32_f64_e32 v93, v[99:100]
	v_add_f64 v[99:100], v[22:23], v[42:43]
	v_cvt_f32_f64_e32 v95, v[95:96]
	v_cvt_f32_f64_e32 v47, v[48:49]
	v_min3_f32 v150, v93, v95, v125
	v_min3_f32 v46, v46, v47, v112
	v_add_f64 v[47:48], v[36:37], v[44:45]
	v_add_f64 v[95:96], v[34:35], v[42:43]
	v_cvt_f32_f64_e32 v47, v[47:48]
	v_cvt_f32_f64_e32 v49, v[95:96]
	v_add_f64 v[95:96], v[26:27], v[42:43]
	v_min3_f32 v47, v49, v47, v113
	v_add_f64 v[48:49], v[28:29], v[44:45]
	v_cvt_f32_f64_e32 v93, v[95:96]
	v_add_f64 v[95:96], v[24:25], v[44:45]
	v_cvt_f32_f64_e32 v48, v[48:49]
	v_cvt_f32_f64_e32 v49, v[99:100]
	v_add_f64 v[99:100], v[18:19], v[42:43]
	v_min3_f32 v48, v93, v48, v126
	v_cvt_f32_f64_e32 v93, v[95:96]
	v_add_f64 v[95:96], v[20:21], v[44:45]
	v_min3_f32 v49, v49, v93, v127
	v_cvt_f32_f64_e32 v93, v[99:100]
	v_cvt_f32_f64_e32 v95, v[95:96]
	v_add_f64 v[99:100], v[14:15], v[42:43]
	v_min3_f32 v151, v93, v95, v128
	v_add_f64 v[95:96], v[16:17], v[44:45]
	v_cvt_f32_f64_e32 v93, v[99:100]
	v_add_f64 v[99:100], v[10:11], v[42:43]
	v_cvt_f32_f64_e32 v95, v[95:96]
	v_min3_f32 v152, v93, v95, v129
	v_add_f64 v[95:96], v[12:13], v[44:45]
	v_cvt_f32_f64_e32 v93, v[99:100]
	v_add_f64 v[99:100], v[6:7], v[42:43]
	v_add_f64 v[42:43], v[2:3], v[42:43]
	v_cvt_f32_f64_e32 v95, v[95:96]
	v_cvt_f32_f64_e32 v42, v[42:43]
	v_min3_f32 v153, v93, v95, v167
	v_add_f64 v[95:96], v[8:9], v[44:45]
	v_add_f64 v[44:45], v[4:5], v[44:45]
	v_cvt_f32_f64_e32 v93, v[99:100]
	v_add_f64 v[99:100], v[22:23], v[38:39]
	v_add_f64 v[22:23], v[22:23], v[30:31]
	v_cvt_f32_f64_e32 v95, v[95:96]
	v_cvt_f32_f64_e32 v43, v[44:45]
	;; [unrolled: 1-line block ×3, first 2 shown]
	v_min3_f32 v154, v93, v95, v166
	v_min3_f32 v42, v42, v43, v165
	v_add_f64 v[43:44], v[36:37], v[40:41]
	v_add_f64 v[95:96], v[34:35], v[38:39]
	;; [unrolled: 1-line block ×4, first 2 shown]
	v_cvt_f32_f64_e32 v43, v[43:44]
	v_cvt_f32_f64_e32 v45, v[95:96]
	v_add_f64 v[95:96], v[26:27], v[38:39]
	v_add_f64 v[26:27], v[26:27], v[30:31]
	v_cvt_f32_f64_e32 v34, v[34:35]
	v_cvt_f32_f64_e32 v35, v[36:37]
	v_min3_f32 v43, v45, v43, v164
	v_add_f64 v[44:45], v[28:29], v[40:41]
	v_cvt_f32_f64_e32 v93, v[95:96]
	v_add_f64 v[95:96], v[24:25], v[40:41]
	v_add_f64 v[28:29], v[28:29], v[32:33]
	v_add_f64 v[24:25], v[24:25], v[32:33]
	v_cvt_f32_f64_e32 v26, v[26:27]
	v_min3_f32 v190, v34, v35, v98
	v_cvt_f32_f64_e32 v44, v[44:45]
	v_cvt_f32_f64_e32 v45, v[99:100]
	v_add_f64 v[99:100], v[18:19], v[38:39]
	v_add_f64 v[18:19], v[18:19], v[30:31]
	v_cvt_f32_f64_e32 v27, v[28:29]
	v_cvt_f32_f64_e32 v23, v[24:25]
	v_min3_f32 v44, v93, v44, v106
	v_cvt_f32_f64_e32 v93, v[95:96]
	v_add_f64 v[95:96], v[20:21], v[40:41]
	v_add_f64 v[20:21], v[20:21], v[32:33]
	v_cvt_f32_f64_e32 v18, v[18:19]
	v_min3_f32 v191, v26, v27, v94
	v_min3_f32 v192, v22, v23, v90
	;; [unrolled: 1-line block ×3, first 2 shown]
	v_cvt_f32_f64_e32 v93, v[99:100]
	v_cvt_f32_f64_e32 v95, v[95:96]
	v_add_f64 v[99:100], v[14:15], v[38:39]
	v_add_f64 v[14:15], v[14:15], v[30:31]
	v_cvt_f32_f64_e32 v19, v[20:21]
	v_min3_f32 v155, v93, v95, v108
	v_add_f64 v[95:96], v[16:17], v[40:41]
	v_cvt_f32_f64_e32 v93, v[99:100]
	v_add_f64 v[99:100], v[10:11], v[38:39]
	v_add_f64 v[16:17], v[16:17], v[32:33]
	;; [unrolled: 1-line block ×3, first 2 shown]
	v_cvt_f32_f64_e32 v14, v[14:15]
	v_min3_f32 v193, v18, v19, v86
	v_cvt_f32_f64_e32 v95, v[95:96]
	v_cvt_f32_f64_e32 v15, v[16:17]
	v_cvt_f32_f64_e32 v10, v[10:11]
	v_min3_f32 v156, v93, v95, v109
	v_add_f64 v[95:96], v[12:13], v[40:41]
	v_cvt_f32_f64_e32 v93, v[99:100]
	v_add_f64 v[99:100], v[6:7], v[38:39]
	v_add_f64 v[38:39], v[2:3], v[38:39]
	;; [unrolled: 1-line block ×5, first 2 shown]
	v_min3_f32 v194, v14, v15, v82
	v_cvt_f32_f64_e32 v95, v[95:96]
	v_cvt_f32_f64_e32 v38, v[38:39]
	;; [unrolled: 1-line block ×5, first 2 shown]
	v_min3_f32 v157, v93, v95, v110
	v_add_f64 v[95:96], v[8:9], v[40:41]
	v_add_f64 v[40:41], v[4:5], v[40:41]
	;; [unrolled: 1-line block ×4, first 2 shown]
	v_cvt_f32_f64_e32 v93, v[99:100]
	v_min3_f32 v195, v10, v11, v74
	v_cvt_f32_f64_e32 v95, v[95:96]
	v_cvt_f32_f64_e32 v39, v[40:41]
	;; [unrolled: 1-line block ×4, first 2 shown]
	v_min3_f32 v188, v93, v95, v111
	v_min3_f32 v189, v38, v39, v102
	;; [unrolled: 1-line block ×4, first 2 shown]
	ds_read_b128 v[6:9], v147 offset:1024
	ds_read_b128 v[10:13], v147 offset:2048
	;; [unrolled: 1-line block ×14, first 2 shown]
	ds_read_b128 v[97:100], v171
	ds_read_b128 v[34:37], v171 offset:16
	ds_read_b128 v[184:187], v147
	ds_read_b128 v[2:5], v147 offset:16
	s_waitcnt lgkmcnt(1)
	v_add_f64 v[73:74], v[186:187], v[99:100]
	v_add_f64 v[101:102], v[184:185], v[97:98]
	v_cvt_f32_f64_e32 v73, v[73:74]
	v_cvt_f32_f64_e32 v71, v[101:102]
	v_add_f64 v[101:102], v[6:7], v[97:98]
	v_min3_f32 v129, v71, v73, v66
	v_add_f64 v[73:74], v[8:9], v[99:100]
	v_cvt_f32_f64_e32 v66, v[101:102]
	v_cvt_f32_f64_e32 v71, v[73:74]
	v_add_f64 v[73:74], v[10:11], v[97:98]
	v_min3_f32 v128, v66, v71, v67
	v_add_f64 v[66:67], v[12:13], v[99:100]
	v_cvt_f32_f64_e32 v71, v[73:74]
	v_add_f64 v[73:74], v[14:15], v[97:98]
	v_cvt_f32_f64_e32 v66, v[66:67]
	v_min3_f32 v127, v71, v66, v68
	v_add_f64 v[66:67], v[16:17], v[99:100]
	v_cvt_f32_f64_e32 v68, v[73:74]
	v_cvt_f32_f64_e32 v66, v[66:67]
	v_min3_f32 v126, v68, v66, v69
	v_add_f64 v[66:67], v[20:21], v[99:100]
	v_add_f64 v[68:69], v[18:19], v[97:98]
	v_cvt_f32_f64_e32 v66, v[66:67]
	v_cvt_f32_f64_e32 v68, v[68:69]
	v_min3_f32 v125, v68, v66, v70
	v_add_f64 v[66:67], v[24:25], v[99:100]
	;; [unrolled: 5-line block ×11, first 2 shown]
	v_add_f64 v[64:65], v[26:27], v[38:39]
	v_add_f64 v[40:41], v[32:33], v[40:41]
	;; [unrolled: 1-line block ×3, first 2 shown]
	v_cvt_f32_f64_e32 v62, v[62:63]
	v_cvt_f32_f64_e32 v64, v[64:65]
	;; [unrolled: 1-line block ×4, first 2 shown]
	v_add_f64 v[40:41], v[184:185], v[93:94]
	v_min3_f32 v115, v64, v62, v79
	v_min3_f32 v114, v38, v39, v58
	v_add_f64 v[38:39], v[186:187], v[95:96]
	v_cvt_f32_f64_e32 v40, v[40:41]
	v_cvt_f32_f64_e32 v38, v[38:39]
	v_min3_f32 v113, v40, v38, v59
	v_add_f64 v[38:39], v[8:9], v[95:96]
	v_add_f64 v[40:41], v[6:7], v[93:94]
	v_cvt_f32_f64_e32 v38, v[38:39]
	v_cvt_f32_f64_e32 v40, v[40:41]
	v_min3_f32 v112, v40, v38, v60
	v_add_f64 v[38:39], v[12:13], v[95:96]
	;; [unrolled: 5-line block ×23, first 2 shown]
	v_add_f64 v[40:41], v[30:31], v[162:163]
	s_waitcnt lgkmcnt(0)
	v_add_f64 v[149:150], v[4:5], v[36:37]
	v_cvt_f32_f64_e32 v38, v[38:39]
	v_cvt_f32_f64_e32 v40, v[40:41]
	v_cvt_f32_f64_e32 v149, v[149:150]
	v_min3_f32 v90, v40, v38, v46
	v_add_f64 v[38:39], v[186:187], v[168:169]
	v_add_f64 v[40:41], v[184:185], v[166:167]
	v_cvt_f32_f64_e32 v38, v[38:39]
	v_cvt_f32_f64_e32 v40, v[40:41]
	v_min3_f32 v89, v40, v38, v47
	v_add_f64 v[38:39], v[8:9], v[168:169]
	v_add_f64 v[40:41], v[6:7], v[166:167]
	v_cvt_f32_f64_e32 v38, v[38:39]
	v_cvt_f32_f64_e32 v40, v[40:41]
	;; [unrolled: 5-line block ×5, first 2 shown]
	v_min3_f32 v85, v40, v38, v152
	v_add_f64 v[38:39], v[24:25], v[168:169]
	v_add_f64 v[40:41], v[22:23], v[166:167]
	;; [unrolled: 1-line block ×3, first 2 shown]
	v_cvt_f32_f64_e32 v38, v[38:39]
	v_cvt_f32_f64_e32 v40, v[40:41]
	;; [unrolled: 1-line block ×3, first 2 shown]
	v_min3_f32 v84, v40, v38, v153
	v_add_f64 v[38:39], v[28:29], v[168:169]
	v_add_f64 v[40:41], v[26:27], v[166:167]
	v_min3_f32 v218, v151, v149, v129
	v_cvt_f32_f64_e32 v38, v[38:39]
	v_cvt_f32_f64_e32 v40, v[40:41]
	v_min3_f32 v83, v40, v38, v154
	v_add_f64 v[38:39], v[32:33], v[168:169]
	v_add_f64 v[40:41], v[30:31], v[166:167]
	v_cvt_f32_f64_e32 v38, v[38:39]
	v_cvt_f32_f64_e32 v40, v[40:41]
	v_min3_f32 v82, v40, v38, v42
	v_add_f64 v[38:39], v[186:187], v[178:179]
	v_add_f64 v[40:41], v[184:185], v[176:177]
	;; [unrolled: 5-line block ×3, first 2 shown]
	v_add_f64 v[8:9], v[8:9], v[182:183]
	v_add_f64 v[6:7], v[6:7], v[180:181]
	v_cvt_f32_f64_e32 v38, v[38:39]
	v_cvt_f32_f64_e32 v40, v[40:41]
	;; [unrolled: 1-line block ×4, first 2 shown]
	v_add_f64 v[8:9], v[10:11], v[180:181]
	v_min3_f32 v80, v40, v38, v44
	v_add_f64 v[38:39], v[12:13], v[178:179]
	v_add_f64 v[40:41], v[10:11], v[176:177]
	v_min3_f32 v72, v6, v7, v191
	v_add_f64 v[6:7], v[12:13], v[182:183]
	v_cvt_f32_f64_e32 v8, v[8:9]
	v_cvt_f32_f64_e32 v38, v[38:39]
	v_cvt_f32_f64_e32 v40, v[40:41]
	v_cvt_f32_f64_e32 v6, v[6:7]
	v_min3_f32 v79, v40, v38, v45
	v_add_f64 v[38:39], v[16:17], v[178:179]
	v_add_f64 v[40:41], v[14:15], v[176:177]
	v_min3_f32 v71, v8, v6, v192
	v_add_f64 v[6:7], v[16:17], v[182:183]
	v_add_f64 v[8:9], v[14:15], v[180:181]
	v_cvt_f32_f64_e32 v38, v[38:39]
	v_cvt_f32_f64_e32 v40, v[40:41]
	v_cvt_f32_f64_e32 v6, v[6:7]
	v_cvt_f32_f64_e32 v8, v[8:9]
	v_min3_f32 v78, v40, v38, v155
	v_add_f64 v[38:39], v[20:21], v[178:179]
	v_add_f64 v[40:41], v[18:19], v[176:177]
	v_min3_f32 v70, v8, v6, v193
	v_add_f64 v[6:7], v[20:21], v[182:183]
	;; [unrolled: 10-line block ×5, first 2 shown]
	v_add_f64 v[8:9], v[30:31], v[180:181]
	v_cvt_f32_f64_e32 v38, v[38:39]
	v_cvt_f32_f64_e32 v40, v[40:41]
	;; [unrolled: 1-line block ×4, first 2 shown]
	v_min3_f32 v74, v40, v38, v189
	v_add_f64 v[38:39], v[186:187], v[182:183]
	v_add_f64 v[40:41], v[184:185], v[180:181]
	v_min3_f32 v66, v8, v6, v197
	v_cvt_f32_f64_e32 v38, v[38:39]
	v_cvt_f32_f64_e32 v40, v[40:41]
	v_min3_f32 v73, v40, v38, v190
	ds_read_b128 v[22:25], v147 offset:1040
	ds_read_b128 v[18:21], v147 offset:2064
	;; [unrolled: 1-line block ×14, first 2 shown]
	ds_write2st64_b64 v172, v[136:137], v[138:139] offset1:4
	ds_write2st64_b64 v172, v[140:141], v[142:143] offset0:8 offset1:12
	ds_write_b64 v173, v[134:135]
	s_waitcnt lgkmcnt(0)
	s_barrier
	buffer_gl0_inv
	v_add_f64 v[149:150], v[24:25], v[36:37]
	v_add_f64 v[151:152], v[22:23], v[34:35]
	v_cvt_f32_f64_e32 v149, v[149:150]
	v_cvt_f32_f64_e32 v129, v[151:152]
	v_min3_f32 v217, v129, v149, v128
	v_add_f64 v[128:129], v[20:21], v[36:37]
	v_add_f64 v[149:150], v[18:19], v[34:35]
	v_cvt_f32_f64_e32 v128, v[128:129]
	v_cvt_f32_f64_e32 v149, v[149:150]
	v_min3_f32 v216, v149, v128, v127
	;; [unrolled: 5-line block ×5, first 2 shown]
	v_add_f64 v[124:125], v[32:33], v[36:37]
	v_add_f64 v[126:127], v[30:31], v[34:35]
	;; [unrolled: 1-line block ×4, first 2 shown]
	v_cvt_f32_f64_e32 v124, v[124:125]
	v_cvt_f32_f64_e32 v126, v[126:127]
	;; [unrolled: 1-line block ×4, first 2 shown]
	v_add_f64 v[36:37], v[2:3], v[62:63]
	v_min3_f32 v212, v126, v124, v123
	v_min3_f32 v211, v34, v35, v122
	v_add_f64 v[34:35], v[4:5], v[64:65]
	v_cvt_f32_f64_e32 v36, v[36:37]
	v_cvt_f32_f64_e32 v34, v[34:35]
	v_min3_f32 v210, v36, v34, v121
	v_add_f64 v[34:35], v[24:25], v[64:65]
	v_add_f64 v[36:37], v[22:23], v[62:63]
	v_cvt_f32_f64_e32 v34, v[34:35]
	v_cvt_f32_f64_e32 v36, v[36:37]
	v_min3_f32 v209, v36, v34, v120
	v_add_f64 v[34:35], v[20:21], v[64:65]
	v_add_f64 v[36:37], v[18:19], v[62:63]
	v_cvt_f32_f64_e32 v34, v[34:35]
	v_cvt_f32_f64_e32 v36, v[36:37]
	v_min3_f32 v208, v36, v34, v119
	v_add_f64 v[34:35], v[16:17], v[64:65]
	v_add_f64 v[36:37], v[14:15], v[62:63]
	v_cvt_f32_f64_e32 v34, v[34:35]
	v_cvt_f32_f64_e32 v36, v[36:37]
	v_min3_f32 v207, v36, v34, v118
	v_add_f64 v[34:35], v[12:13], v[64:65]
	v_add_f64 v[36:37], v[10:11], v[62:63]
	v_cvt_f32_f64_e32 v34, v[34:35]
	v_cvt_f32_f64_e32 v36, v[36:37]
	v_min3_f32 v206, v36, v34, v117
	v_add_f64 v[34:35], v[8:9], v[64:65]
	v_add_f64 v[36:37], v[6:7], v[62:63]
	v_cvt_f32_f64_e32 v34, v[34:35]
	v_cvt_f32_f64_e32 v36, v[36:37]
	v_min3_f32 v205, v36, v34, v116
	v_add_f64 v[34:35], v[32:33], v[64:65]
	v_add_f64 v[36:37], v[30:31], v[62:63]
	v_cvt_f32_f64_e32 v34, v[34:35]
	v_cvt_f32_f64_e32 v36, v[36:37]
	v_min3_f32 v204, v36, v34, v115
	v_add_f64 v[34:35], v[28:29], v[64:65]
	v_add_f64 v[36:37], v[26:27], v[62:63]
	v_cvt_f32_f64_e32 v34, v[34:35]
	v_cvt_f32_f64_e32 v36, v[36:37]
	v_min3_f32 v203, v36, v34, v114
	v_add_f64 v[34:35], v[4:5], v[60:61]
	v_add_f64 v[36:37], v[2:3], v[58:59]
	v_cvt_f32_f64_e32 v34, v[34:35]
	v_cvt_f32_f64_e32 v36, v[36:37]
	v_min3_f32 v202, v36, v34, v113
	v_add_f64 v[34:35], v[24:25], v[60:61]
	v_add_f64 v[36:37], v[22:23], v[58:59]
	v_cvt_f32_f64_e32 v34, v[34:35]
	v_cvt_f32_f64_e32 v36, v[36:37]
	v_min3_f32 v201, v36, v34, v112
	v_add_f64 v[34:35], v[20:21], v[60:61]
	v_add_f64 v[36:37], v[18:19], v[58:59]
	v_cvt_f32_f64_e32 v34, v[34:35]
	v_cvt_f32_f64_e32 v36, v[36:37]
	v_min3_f32 v200, v36, v34, v111
	v_add_f64 v[34:35], v[16:17], v[60:61]
	v_add_f64 v[36:37], v[14:15], v[58:59]
	v_cvt_f32_f64_e32 v34, v[34:35]
	v_cvt_f32_f64_e32 v36, v[36:37]
	v_min3_f32 v199, v36, v34, v110
	v_add_f64 v[34:35], v[12:13], v[60:61]
	v_add_f64 v[36:37], v[10:11], v[58:59]
	v_cvt_f32_f64_e32 v34, v[34:35]
	v_cvt_f32_f64_e32 v36, v[36:37]
	v_min3_f32 v198, v36, v34, v109
	v_add_f64 v[34:35], v[8:9], v[60:61]
	v_add_f64 v[36:37], v[6:7], v[58:59]
	v_cvt_f32_f64_e32 v34, v[34:35]
	v_cvt_f32_f64_e32 v36, v[36:37]
	v_min3_f32 v197, v36, v34, v108
	v_add_f64 v[34:35], v[32:33], v[60:61]
	v_add_f64 v[36:37], v[30:31], v[58:59]
	v_cvt_f32_f64_e32 v34, v[34:35]
	v_cvt_f32_f64_e32 v36, v[36:37]
	v_min3_f32 v196, v36, v34, v107
	v_add_f64 v[34:35], v[28:29], v[60:61]
	v_add_f64 v[36:37], v[26:27], v[58:59]
	v_cvt_f32_f64_e32 v34, v[34:35]
	v_cvt_f32_f64_e32 v36, v[36:37]
	v_min3_f32 v195, v36, v34, v106
	v_add_f64 v[34:35], v[4:5], v[56:57]
	v_add_f64 v[36:37], v[2:3], v[54:55]
	v_cvt_f32_f64_e32 v34, v[34:35]
	v_cvt_f32_f64_e32 v36, v[36:37]
	v_min3_f32 v194, v36, v34, v105
	v_add_f64 v[34:35], v[24:25], v[56:57]
	v_add_f64 v[36:37], v[22:23], v[54:55]
	v_cvt_f32_f64_e32 v34, v[34:35]
	v_cvt_f32_f64_e32 v36, v[36:37]
	v_min3_f32 v193, v36, v34, v104
	v_add_f64 v[34:35], v[20:21], v[56:57]
	v_add_f64 v[36:37], v[18:19], v[54:55]
	v_cvt_f32_f64_e32 v34, v[34:35]
	v_cvt_f32_f64_e32 v36, v[36:37]
	v_min3_f32 v192, v36, v34, v103
	v_add_f64 v[34:35], v[16:17], v[56:57]
	v_add_f64 v[36:37], v[14:15], v[54:55]
	v_cvt_f32_f64_e32 v34, v[34:35]
	v_cvt_f32_f64_e32 v36, v[36:37]
	v_min3_f32 v191, v36, v34, v102
	v_add_f64 v[34:35], v[12:13], v[56:57]
	v_add_f64 v[36:37], v[10:11], v[54:55]
	v_cvt_f32_f64_e32 v34, v[34:35]
	v_cvt_f32_f64_e32 v36, v[36:37]
	v_min3_f32 v190, v36, v34, v101
	v_add_f64 v[34:35], v[8:9], v[56:57]
	v_add_f64 v[36:37], v[6:7], v[54:55]
	v_cvt_f32_f64_e32 v34, v[34:35]
	v_cvt_f32_f64_e32 v36, v[36:37]
	v_min3_f32 v189, v36, v34, v100
	v_add_f64 v[34:35], v[32:33], v[56:57]
	v_add_f64 v[36:37], v[30:31], v[54:55]
	v_cvt_f32_f64_e32 v34, v[34:35]
	v_cvt_f32_f64_e32 v36, v[36:37]
	v_min3_f32 v188, v36, v34, v99
	v_add_f64 v[34:35], v[28:29], v[56:57]
	v_add_f64 v[36:37], v[26:27], v[54:55]
	v_cvt_f32_f64_e32 v34, v[34:35]
	v_cvt_f32_f64_e32 v36, v[36:37]
	v_min3_f32 v187, v36, v34, v98
	v_add_f64 v[34:35], v[4:5], v[52:53]
	v_add_f64 v[36:37], v[2:3], v[50:51]
	v_cvt_f32_f64_e32 v34, v[34:35]
	v_cvt_f32_f64_e32 v36, v[36:37]
	v_min3_f32 v186, v36, v34, v97
	v_add_f64 v[34:35], v[24:25], v[52:53]
	v_add_f64 v[36:37], v[22:23], v[50:51]
	v_cvt_f32_f64_e32 v34, v[34:35]
	v_cvt_f32_f64_e32 v36, v[36:37]
	v_min3_f32 v185, v36, v34, v96
	v_add_f64 v[34:35], v[20:21], v[52:53]
	v_add_f64 v[36:37], v[18:19], v[50:51]
	v_cvt_f32_f64_e32 v34, v[34:35]
	v_cvt_f32_f64_e32 v36, v[36:37]
	v_min3_f32 v184, v36, v34, v95
	v_add_f64 v[34:35], v[16:17], v[52:53]
	v_add_f64 v[36:37], v[14:15], v[50:51]
	v_cvt_f32_f64_e32 v34, v[34:35]
	v_cvt_f32_f64_e32 v36, v[36:37]
	v_min3_f32 v183, v36, v34, v94
	v_add_f64 v[34:35], v[12:13], v[52:53]
	v_add_f64 v[36:37], v[10:11], v[50:51]
	v_cvt_f32_f64_e32 v34, v[34:35]
	v_cvt_f32_f64_e32 v36, v[36:37]
	v_min3_f32 v182, v36, v34, v93
	v_add_f64 v[34:35], v[8:9], v[52:53]
	v_add_f64 v[36:37], v[6:7], v[50:51]
	v_cvt_f32_f64_e32 v34, v[34:35]
	v_cvt_f32_f64_e32 v36, v[36:37]
	v_min3_f32 v181, v36, v34, v92
	v_add_f64 v[34:35], v[32:33], v[52:53]
	v_add_f64 v[36:37], v[30:31], v[50:51]
	v_cvt_f32_f64_e32 v34, v[34:35]
	v_cvt_f32_f64_e32 v36, v[36:37]
	v_min3_f32 v180, v36, v34, v91
	v_add_f64 v[34:35], v[28:29], v[52:53]
	v_add_f64 v[36:37], v[26:27], v[50:51]
	v_cvt_f32_f64_e32 v34, v[34:35]
	v_cvt_f32_f64_e32 v36, v[36:37]
	v_min3_f32 v179, v36, v34, v90
	v_add_f64 v[34:35], v[4:5], v[48:49]
	v_add_f64 v[36:37], v[2:3], v[46:47]
	v_cvt_f32_f64_e32 v34, v[34:35]
	v_cvt_f32_f64_e32 v36, v[36:37]
	v_min3_f32 v178, v36, v34, v89
	v_add_f64 v[34:35], v[24:25], v[48:49]
	v_add_f64 v[36:37], v[22:23], v[46:47]
	v_cvt_f32_f64_e32 v34, v[34:35]
	v_cvt_f32_f64_e32 v36, v[36:37]
	v_min3_f32 v177, v36, v34, v88
	v_add_f64 v[34:35], v[20:21], v[48:49]
	v_add_f64 v[36:37], v[18:19], v[46:47]
	v_cvt_f32_f64_e32 v34, v[34:35]
	v_cvt_f32_f64_e32 v36, v[36:37]
	v_min3_f32 v176, v36, v34, v87
	v_add_f64 v[34:35], v[16:17], v[48:49]
	v_add_f64 v[36:37], v[14:15], v[46:47]
	v_cvt_f32_f64_e32 v34, v[34:35]
	v_cvt_f32_f64_e32 v36, v[36:37]
	v_min3_f32 v169, v36, v34, v86
	v_add_f64 v[34:35], v[12:13], v[48:49]
	v_add_f64 v[36:37], v[10:11], v[46:47]
	v_cvt_f32_f64_e32 v34, v[34:35]
	v_cvt_f32_f64_e32 v36, v[36:37]
	v_min3_f32 v168, v36, v34, v85
	v_add_f64 v[34:35], v[8:9], v[48:49]
	v_add_f64 v[36:37], v[6:7], v[46:47]
	v_cvt_f32_f64_e32 v34, v[34:35]
	v_cvt_f32_f64_e32 v36, v[36:37]
	v_min3_f32 v167, v36, v34, v84
	v_add_f64 v[34:35], v[32:33], v[48:49]
	v_add_f64 v[36:37], v[30:31], v[46:47]
	v_cvt_f32_f64_e32 v34, v[34:35]
	v_cvt_f32_f64_e32 v36, v[36:37]
	v_min3_f32 v166, v36, v34, v83
	v_add_f64 v[34:35], v[28:29], v[48:49]
	v_add_f64 v[36:37], v[26:27], v[46:47]
	v_cvt_f32_f64_e32 v34, v[34:35]
	v_cvt_f32_f64_e32 v36, v[36:37]
	v_min3_f32 v165, v36, v34, v82
	v_add_f64 v[34:35], v[4:5], v[44:45]
	v_add_f64 v[36:37], v[2:3], v[42:43]
	v_add_f64 v[4:5], v[4:5], v[40:41]
	;; [unrolled: 1-line block ×3, first 2 shown]
	v_cvt_f32_f64_e32 v34, v[34:35]
	v_cvt_f32_f64_e32 v36, v[36:37]
	v_cvt_f32_f64_e32 v2, v[2:3]
	v_cvt_f32_f64_e32 v3, v[4:5]
	v_add_f64 v[4:5], v[22:23], v[38:39]
	v_min3_f32 v164, v36, v34, v81
	v_add_f64 v[34:35], v[24:25], v[44:45]
	v_add_f64 v[36:37], v[22:23], v[42:43]
	v_min3_f32 v156, v2, v3, v73
	v_add_f64 v[2:3], v[24:25], v[40:41]
	v_cvt_f32_f64_e32 v4, v[4:5]
	v_cvt_f32_f64_e32 v34, v[34:35]
	v_cvt_f32_f64_e32 v36, v[36:37]
	v_cvt_f32_f64_e32 v2, v[2:3]
	v_min3_f32 v163, v36, v34, v80
	v_add_f64 v[34:35], v[20:21], v[44:45]
	v_add_f64 v[36:37], v[18:19], v[42:43]
	v_min3_f32 v155, v4, v2, v72
	v_add_f64 v[2:3], v[20:21], v[40:41]
	v_add_f64 v[4:5], v[18:19], v[38:39]
	v_cvt_f32_f64_e32 v34, v[34:35]
	v_cvt_f32_f64_e32 v36, v[36:37]
	v_cvt_f32_f64_e32 v2, v[2:3]
	v_cvt_f32_f64_e32 v4, v[4:5]
	v_min3_f32 v162, v36, v34, v79
	v_add_f64 v[34:35], v[16:17], v[44:45]
	v_add_f64 v[36:37], v[14:15], v[42:43]
	v_min3_f32 v154, v4, v2, v71
	v_add_f64 v[2:3], v[16:17], v[40:41]
	;; [unrolled: 10-line block ×6, first 2 shown]
	v_add_f64 v[4:5], v[26:27], v[38:39]
	v_cvt_f32_f64_e32 v34, v[34:35]
	v_cvt_f32_f64_e32 v36, v[36:37]
	;; [unrolled: 1-line block ×4, first 2 shown]
	v_min3_f32 v157, v36, v34, v74
	v_min3_f32 v149, v4, v2, v66
	s_cbranch_scc1 .LBB110_51
.LBB110_31:                             ; =>This Inner Loop Header: Depth=1
	v_add_nc_u32_e32 v30, s23, v144
	v_add_nc_u32_e32 v4, 8, v30
	v_min_i32_e32 v2, s27, v4
	v_cmp_le_i32_e64 s6, s14, v4
	v_mad_i64_i32 v[2:3], null, v2, s25, 0
	s_or_b32 s29, vcc_lo, s6
	v_cndmask_b32_e64 v135, 0, 0x7fefffff, s29
	v_cndmask_b32_e64 v134, 0, -1, s29
	v_lshlrev_b64 v[2:3], 3, v[2:3]
	v_add_co_u32 v2, s7, s20, v2
	v_add_co_ci_u32_e64 v3, null, s21, v3, s7
	s_nor_b32 s7, s28, s29
	s_and_saveexec_b32 s29, s7
	s_cbranch_execz .LBB110_33
; %bb.32:                               ;   in Loop: Header=BB110_31 Depth=1
	v_add_co_u32 v4, s7, v2, v130
	v_add_co_ci_u32_e64 v5, null, v3, v131, s7
	flat_load_dwordx2 v[4:5], v[4:5]
	s_waitcnt vmcnt(0) lgkmcnt(0)
	v_mul_f64 v[134:135], s[16:17], v[4:5]
.LBB110_33:                             ;   in Loop: Header=BB110_31 Depth=1
	s_or_b32 exec_lo, exec_lo, s29
	s_or_b32 s7, s0, s6
	v_cndmask_b32_e64 v137, 0, 0x7fefffff, s7
	v_cndmask_b32_e64 v136, 0, -1, s7
	s_nor_b32 s7, s28, s7
	s_and_saveexec_b32 s29, s7
	s_cbranch_execz .LBB110_35
; %bb.34:                               ;   in Loop: Header=BB110_31 Depth=1
	v_add_co_u32 v4, s7, v2, v130
	v_add_co_ci_u32_e64 v5, null, v3, v131, s7
	flat_load_dwordx2 v[4:5], v[4:5] offset:512
	s_waitcnt vmcnt(0) lgkmcnt(0)
	v_mul_f64 v[136:137], s[16:17], v[4:5]
.LBB110_35:                             ;   in Loop: Header=BB110_31 Depth=1
	s_or_b32 exec_lo, exec_lo, s29
	s_or_b32 s7, s1, s6
	v_cndmask_b32_e64 v139, 0, 0x7fefffff, s7
	v_cndmask_b32_e64 v138, 0, -1, s7
	s_nor_b32 s7, s28, s7
	s_and_saveexec_b32 s29, s7
	s_cbranch_execz .LBB110_37
; %bb.36:                               ;   in Loop: Header=BB110_31 Depth=1
	v_add_co_u32 v4, s7, v2, v130
	v_add_co_ci_u32_e64 v5, null, v3, v131, s7
	flat_load_dwordx2 v[4:5], v[4:5] offset:1024
	s_waitcnt vmcnt(0) lgkmcnt(0)
	v_mul_f64 v[138:139], s[16:17], v[4:5]
.LBB110_37:                             ;   in Loop: Header=BB110_31 Depth=1
	;; [unrolled: 14-line block ×3, first 2 shown]
	s_or_b32 exec_lo, exec_lo, s7
	v_add_nc_u32_e32 v219, s23, v146
	v_add_nc_u32_e32 v2, 8, v219
	v_cmp_le_i32_e64 s6, s14, v2
	s_or_b32 s6, s6, s3
	v_cndmask_b32_e64 v143, 0, 0x7fefffff, s6
	v_cndmask_b32_e64 v142, 0, -1, s6
	s_nor_b32 s6, s28, s6
	s_and_saveexec_b32 s7, s6
	s_cbranch_execz .LBB110_41
; %bb.40:                               ;   in Loop: Header=BB110_31 Depth=1
	v_add_co_u32 v2, s6, 0xffffffe0, v132
	v_add_co_ci_u32_e64 v3, null, -1, v133, s6
	flat_load_dwordx2 v[2:3], v[2:3]
	s_waitcnt vmcnt(0) lgkmcnt(0)
	v_mul_f64 v[142:143], s[16:17], v[2:3]
.LBB110_41:                             ;   in Loop: Header=BB110_31 Depth=1
	s_or_b32 exec_lo, exec_lo, s7
	ds_read_b128 v[126:129], v175
	ds_read_b128 v[62:65], v175 offset:16
	ds_read_b128 v[98:101], v174
	ds_read_b128 v[34:37], v174 offset:16
	ds_read_b128 v[94:97], v174 offset:1024
	;; [unrolled: 1-line block ×17, first 2 shown]
	v_add_nc_u32_e32 v222, 12, v30
	ds_read_b128 v[118:121], v175 offset:512
	ds_read_b128 v[54:57], v175 offset:528
	;; [unrolled: 1-line block ×8, first 2 shown]
	v_min_i32_e32 v30, s27, v222
	v_cmp_le_i32_e64 s6, s14, v222
	v_mad_i64_i32 v[220:221], null, v30, s25, 0
	ds_read_b128 v[102:105], v175 offset:1536
	ds_read_b128 v[38:41], v175 offset:1552
	;; [unrolled: 1-line block ×4, first 2 shown]
	ds_write2st64_b64 v148, v[134:135], v[136:137] offset1:4
	ds_write2st64_b64 v148, v[138:139], v[140:141] offset0:8 offset1:12
	ds_write_b64 v170, v[142:143]
	s_waitcnt lgkmcnt(0)
	s_barrier
	buffer_gl0_inv
	v_lshlrev_b64 v[220:221], 3, v[220:221]
	v_add_co_u32 v134, s7, s20, v220
	v_add_co_ci_u32_e64 v135, null, s21, v221, s7
	s_or_b32 s7, vcc_lo, s6
	v_cndmask_b32_e64 v137, 0, 0x7fefffff, s7
	v_cndmask_b32_e64 v136, 0, -1, s7
	s_nor_b32 s7, s28, s7
	s_and_saveexec_b32 s29, s7
	s_cbranch_execz .LBB110_43
; %bb.42:                               ;   in Loop: Header=BB110_31 Depth=1
	v_add_co_u32 v136, s7, v134, v130
	v_add_co_ci_u32_e64 v137, null, v135, v131, s7
	flat_load_dwordx2 v[136:137], v[136:137]
	s_waitcnt vmcnt(0) lgkmcnt(0)
	v_mul_f64 v[136:137], s[16:17], v[136:137]
.LBB110_43:                             ;   in Loop: Header=BB110_31 Depth=1
	s_or_b32 exec_lo, exec_lo, s29
	s_or_b32 s7, s0, s6
	v_cndmask_b32_e64 v139, 0, 0x7fefffff, s7
	v_cndmask_b32_e64 v138, 0, -1, s7
	s_nor_b32 s7, s28, s7
	s_and_saveexec_b32 s29, s7
	s_cbranch_execz .LBB110_45
; %bb.44:                               ;   in Loop: Header=BB110_31 Depth=1
	v_add_co_u32 v138, s7, v134, v130
	v_add_co_ci_u32_e64 v139, null, v135, v131, s7
	flat_load_dwordx2 v[138:139], v[138:139] offset:512
	s_waitcnt vmcnt(0) lgkmcnt(0)
	v_mul_f64 v[138:139], s[16:17], v[138:139]
.LBB110_45:                             ;   in Loop: Header=BB110_31 Depth=1
	s_or_b32 exec_lo, exec_lo, s29
	s_or_b32 s7, s1, s6
	v_cndmask_b32_e64 v141, 0, 0x7fefffff, s7
	v_cndmask_b32_e64 v140, 0, -1, s7
	s_nor_b32 s7, s28, s7
	s_and_saveexec_b32 s29, s7
	s_cbranch_execz .LBB110_47
; %bb.46:                               ;   in Loop: Header=BB110_31 Depth=1
	v_add_co_u32 v140, s7, v134, v130
	v_add_co_ci_u32_e64 v141, null, v135, v131, s7
	flat_load_dwordx2 v[140:141], v[140:141] offset:1024
	s_waitcnt vmcnt(0) lgkmcnt(0)
	v_mul_f64 v[140:141], s[16:17], v[140:141]
.LBB110_47:                             ;   in Loop: Header=BB110_31 Depth=1
	;; [unrolled: 14-line block ×3, first 2 shown]
	s_or_b32 exec_lo, exec_lo, s7
	v_add_nc_u32_e32 v134, 12, v219
	v_cmp_le_i32_e64 s6, s14, v134
	s_or_b32 s6, s6, s3
	v_cndmask_b32_e64 v135, 0, 0x7fefffff, s6
	v_cndmask_b32_e64 v134, 0, -1, s6
	s_nor_b32 s7, s28, s6
	s_and_saveexec_b32 s6, s7
	s_cbranch_execz .LBB110_30
; %bb.50:                               ;   in Loop: Header=BB110_31 Depth=1
	flat_load_dwordx2 v[134:135], v[132:133]
	s_waitcnt vmcnt(0) lgkmcnt(0)
	v_mul_f64 v[134:135], s[16:17], v[134:135]
	s_branch .LBB110_30
.LBB110_51:
	s_clause 0x2
	s_load_dwordx2 s[0:1], s[4:5], 0x78
	s_load_dword s16, s[4:5], 0x58
	s_load_dword s14, s[4:5], 0x70
	ds_read_b128 v[70:73], v147 offset:8192
	ds_read_b128 v[66:69], v147 offset:8208
	;; [unrolled: 1-line block ×17, first 2 shown]
	v_add_nc_u32_e32 v146, s24, v1
	ds_read_b128 v[2:5], v147 offset:15376
	ds_read_b128 v[118:121], v145 offset:18688
	;; [unrolled: 1-line block ×15, first 2 shown]
	v_add_nc_u32_e32 v0, s15, v0
	v_cndmask_b32_e64 v144, 0, 1, s26
	v_ashrrev_i32_e32 v1, 31, v0
	s_waitcnt lgkmcnt(0)
	s_lshl_b64 s[0:1], s[0:1], 3
	v_mad_i64_i32 v[130:131], null, v146, s16, 0
	v_mad_i64_i32 v[132:133], null, v146, s14, 0
	s_add_u32 s17, s8, s0
	s_addc_u32 s9, s9, s1
	v_cmp_gt_i32_e64 s0, s12, v0
	v_cmp_gt_i32_e64 s8, s13, v146
	v_lshlrev_b64 v[130:131], 3, v[130:131]
	v_lshlrev_b64 v[132:133], 3, v[132:133]
	s_and_b32 s2, s0, s8
	v_add_co_u32 v148, vcc_lo, s18, v130
	v_add_co_ci_u32_e64 v170, null, s19, v131, vcc_lo
	v_add_co_u32 v145, vcc_lo, s17, v132
	v_add_co_ci_u32_e64 v147, null, s9, v133, vcc_lo
	s_and_saveexec_b32 s1, s2
	s_cbranch_execz .LBB110_56
; %bb.52:
	s_andn2_b32 vcc_lo, exec_lo, s26
	s_cbranch_vccnz .LBB110_54
; %bb.53:
	v_lshlrev_b64 v[130:131], 3, v[0:1]
	v_add_co_u32 v130, vcc_lo, v148, v130
	v_add_co_ci_u32_e64 v131, null, v170, v131, vcc_lo
	flat_load_dwordx2 v[130:131], v[130:131]
	s_waitcnt vmcnt(0) lgkmcnt(0)
	v_mul_f64 v[130:131], s[10:11], v[130:131]
	v_cvt_f32_f64_e32 v130, v[130:131]
	s_branch .LBB110_55
.LBB110_54:
	v_mov_b32_e32 v130, 0
.LBB110_55:
	v_add_f64 v[131:132], v[70:71], v[126:127]
	v_add_f64 v[133:134], v[72:73], v[128:129]
	;; [unrolled: 1-line block ×4, first 2 shown]
	v_cvt_f32_f64_e32 v131, v[131:132]
	v_cvt_f32_f64_e32 v132, v[133:134]
	v_cvt_f32_f64_e32 v133, v[135:136]
	v_cvt_f32_f64_e32 v134, v[137:138]
	v_min3_f32 v131, v131, v132, v218
	v_min_f32_e32 v132, v133, v134
	v_min3_f32 v130, v130, v132, v131
	v_lshlrev_b64 v[132:133], 3, v[0:1]
	v_cvt_f64_f32_e32 v[130:131], v130
	v_add_co_u32 v132, vcc_lo, v145, v132
	v_add_co_ci_u32_e64 v133, null, v147, v133, vcc_lo
	flat_store_dwordx2 v[132:133], v[130:131]
.LBB110_56:
	s_or_b32 exec_lo, exec_lo, s1
	v_add_nc_u32_e32 v130, 32, v0
	v_cmp_gt_i32_e64 s1, s12, v130
	v_ashrrev_i32_e32 v131, 31, v130
	s_and_b32 s3, s1, s8
	s_and_saveexec_b32 s2, s3
	s_cbranch_execz .LBB110_61
; %bb.57:
	v_cmp_ne_u32_e32 vcc_lo, 1, v144
	s_cbranch_vccnz .LBB110_59
; %bb.58:
	v_lshlrev_b64 v[132:133], 3, v[130:131]
	v_add_co_u32 v132, vcc_lo, v148, v132
	v_add_co_ci_u32_e64 v133, null, v170, v133, vcc_lo
	flat_load_dwordx2 v[132:133], v[132:133]
	s_waitcnt vmcnt(0) lgkmcnt(0)
	v_mul_f64 v[132:133], s[10:11], v[132:133]
	v_cvt_f32_f64_e32 v132, v[132:133]
	s_branch .LBB110_60
.LBB110_59:
	v_mov_b32_e32 v132, 0
.LBB110_60:
	v_add_f64 v[133:134], v[62:63], v[126:127]
	v_add_f64 v[135:136], v[64:65], v[128:129]
	v_add_f64 v[137:138], v[58:59], v[122:123]
	v_add_f64 v[139:140], v[60:61], v[124:125]
	v_cvt_f32_f64_e32 v133, v[133:134]
	v_cvt_f32_f64_e32 v134, v[135:136]
	v_cvt_f32_f64_e32 v135, v[137:138]
	v_cvt_f32_f64_e32 v136, v[139:140]
	v_min3_f32 v133, v133, v134, v217
	v_min_f32_e32 v134, v135, v136
	v_min3_f32 v132, v132, v134, v133
	v_lshlrev_b64 v[134:135], 3, v[130:131]
	v_cvt_f64_f32_e32 v[132:133], v132
	v_add_co_u32 v134, vcc_lo, v145, v134
	v_add_co_ci_u32_e64 v135, null, v147, v135, vcc_lo
	flat_store_dwordx2 v[134:135], v[132:133]
.LBB110_61:
	s_or_b32 exec_lo, exec_lo, s2
	v_add_nc_u32_e32 v132, 64, v0
	v_cmp_gt_i32_e64 s2, s12, v132
	v_ashrrev_i32_e32 v133, 31, v132
	s_and_b32 s4, s2, s8
	s_and_saveexec_b32 s3, s4
	s_cbranch_execz .LBB110_66
; %bb.62:
	v_cmp_ne_u32_e32 vcc_lo, 1, v144
	s_cbranch_vccnz .LBB110_64
; %bb.63:
	v_lshlrev_b64 v[134:135], 3, v[132:133]
	v_add_co_u32 v134, vcc_lo, v148, v134
	v_add_co_ci_u32_e64 v135, null, v170, v135, vcc_lo
	flat_load_dwordx2 v[134:135], v[134:135]
	s_waitcnt vmcnt(0) lgkmcnt(0)
	v_mul_f64 v[134:135], s[10:11], v[134:135]
	v_cvt_f32_f64_e32 v134, v[134:135]
	s_branch .LBB110_65
.LBB110_64:
	v_mov_b32_e32 v134, 0
.LBB110_65:
	v_add_f64 v[135:136], v[54:55], v[126:127]
	v_add_f64 v[137:138], v[56:57], v[128:129]
	v_add_f64 v[139:140], v[50:51], v[122:123]
	v_add_f64 v[141:142], v[52:53], v[124:125]
	v_cvt_f32_f64_e32 v135, v[135:136]
	v_cvt_f32_f64_e32 v136, v[137:138]
	v_cvt_f32_f64_e32 v137, v[139:140]
	v_cvt_f32_f64_e32 v138, v[141:142]
	v_min3_f32 v135, v135, v136, v216
	v_min_f32_e32 v136, v137, v138
	v_min3_f32 v134, v134, v136, v135
	v_lshlrev_b64 v[136:137], 3, v[132:133]
	v_cvt_f64_f32_e32 v[134:135], v134
	v_add_co_u32 v136, vcc_lo, v145, v136
	v_add_co_ci_u32_e64 v137, null, v147, v137, vcc_lo
	flat_store_dwordx2 v[136:137], v[134:135]
.LBB110_66:
	;; [unrolled: 39-line block ×7, first 2 shown]
	s_or_b32 exec_lo, exec_lo, s8
	v_add_nc_u32_e32 v126, 8, v146
	v_mad_i64_i32 v[122:123], null, v126, s16, 0
	v_mad_i64_i32 v[124:125], null, v126, s14, 0
	v_cmp_gt_i32_e64 s8, s13, v126
	v_lshlrev_b64 v[122:123], 3, v[122:123]
	s_and_b32 s15, s0, s8
	v_lshlrev_b64 v[126:127], 3, v[124:125]
	v_add_co_u32 v124, vcc_lo, s18, v122
	v_add_co_ci_u32_e64 v125, null, s19, v123, vcc_lo
	v_add_co_u32 v122, vcc_lo, s17, v126
	v_add_co_ci_u32_e64 v123, null, s9, v127, vcc_lo
	s_and_saveexec_b32 s12, s15
	s_cbranch_execnz .LBB110_99
; %bb.92:
	s_or_b32 exec_lo, exec_lo, s12
	s_and_b32 s15, s1, s8
	s_and_saveexec_b32 s12, s15
	s_cbranch_execnz .LBB110_103
.LBB110_93:
	s_or_b32 exec_lo, exec_lo, s12
	s_and_b32 s15, s2, s8
	s_and_saveexec_b32 s12, s15
	s_cbranch_execnz .LBB110_107
.LBB110_94:
	s_or_b32 exec_lo, exec_lo, s12
	s_and_b32 s15, s3, s8
	s_and_saveexec_b32 s12, s15
	s_cbranch_execnz .LBB110_111
.LBB110_95:
	s_or_b32 exec_lo, exec_lo, s12
	s_and_b32 s15, s4, s8
	s_and_saveexec_b32 s12, s15
	s_cbranch_execnz .LBB110_115
.LBB110_96:
	s_or_b32 exec_lo, exec_lo, s12
	s_and_b32 s15, s5, s8
	s_and_saveexec_b32 s12, s15
	s_cbranch_execnz .LBB110_119
.LBB110_97:
	s_or_b32 exec_lo, exec_lo, s12
	s_and_b32 s15, s6, s8
	s_and_saveexec_b32 s12, s15
	s_cbranch_execnz .LBB110_123
.LBB110_98:
	s_or_b32 exec_lo, exec_lo, s12
	s_and_b32 s12, s7, s8
	s_and_saveexec_b32 s8, s12
	s_cbranch_execnz .LBB110_127
	s_branch .LBB110_131
.LBB110_99:
	v_cmp_ne_u32_e32 vcc_lo, 1, v144
	s_cbranch_vccnz .LBB110_101
; %bb.100:
	v_lshlrev_b64 v[126:127], 3, v[0:1]
	v_add_co_u32 v126, vcc_lo, v124, v126
	v_add_co_ci_u32_e64 v127, null, v125, v127, vcc_lo
	flat_load_dwordx2 v[126:127], v[126:127]
	s_waitcnt vmcnt(0) lgkmcnt(0)
	v_mul_f64 v[126:127], s[10:11], v[126:127]
	v_cvt_f32_f64_e32 v126, v[126:127]
	s_branch .LBB110_102
.LBB110_101:
	v_mov_b32_e32 v126, 0
.LBB110_102:
	v_add_f64 v[127:128], v[70:71], v[118:119]
	v_add_f64 v[147:148], v[72:73], v[120:121]
	;; [unrolled: 1-line block ×4, first 2 shown]
	v_cvt_f32_f64_e32 v127, v[127:128]
	v_cvt_f32_f64_e32 v128, v[147:148]
	;; [unrolled: 1-line block ×4, first 2 shown]
	v_min3_f32 v127, v127, v128, v210
	v_min_f32_e32 v128, v129, v145
	v_min3_f32 v126, v126, v128, v127
	v_lshlrev_b64 v[128:129], 3, v[0:1]
	v_cvt_f64_f32_e32 v[126:127], v126
	v_add_co_u32 v128, vcc_lo, v122, v128
	v_add_co_ci_u32_e64 v129, null, v123, v129, vcc_lo
	flat_store_dwordx2 v[128:129], v[126:127]
	s_or_b32 exec_lo, exec_lo, s12
	s_and_b32 s15, s1, s8
	s_and_saveexec_b32 s12, s15
	s_cbranch_execz .LBB110_93
.LBB110_103:
	v_cmp_ne_u32_e32 vcc_lo, 1, v144
	s_cbranch_vccnz .LBB110_105
; %bb.104:
	v_lshlrev_b64 v[126:127], 3, v[130:131]
	v_add_co_u32 v126, vcc_lo, v124, v126
	v_add_co_ci_u32_e64 v127, null, v125, v127, vcc_lo
	flat_load_dwordx2 v[126:127], v[126:127]
	s_waitcnt vmcnt(0) lgkmcnt(0)
	v_mul_f64 v[126:127], s[10:11], v[126:127]
	v_cvt_f32_f64_e32 v126, v[126:127]
	s_branch .LBB110_106
.LBB110_105:
	v_mov_b32_e32 v126, 0
.LBB110_106:
	v_add_f64 v[127:128], v[62:63], v[118:119]
	v_add_f64 v[147:148], v[64:65], v[120:121]
	;; [unrolled: 1-line block ×4, first 2 shown]
	v_cvt_f32_f64_e32 v127, v[127:128]
	v_cvt_f32_f64_e32 v128, v[147:148]
	;; [unrolled: 1-line block ×4, first 2 shown]
	v_min3_f32 v127, v127, v128, v209
	v_min_f32_e32 v128, v129, v145
	v_min3_f32 v126, v126, v128, v127
	v_lshlrev_b64 v[128:129], 3, v[130:131]
	v_cvt_f64_f32_e32 v[126:127], v126
	v_add_co_u32 v128, vcc_lo, v122, v128
	v_add_co_ci_u32_e64 v129, null, v123, v129, vcc_lo
	flat_store_dwordx2 v[128:129], v[126:127]
	s_or_b32 exec_lo, exec_lo, s12
	s_and_b32 s15, s2, s8
	s_and_saveexec_b32 s12, s15
	s_cbranch_execz .LBB110_94
.LBB110_107:
	v_cmp_ne_u32_e32 vcc_lo, 1, v144
	s_cbranch_vccnz .LBB110_109
; %bb.108:
	v_lshlrev_b64 v[126:127], 3, v[132:133]
	v_add_co_u32 v126, vcc_lo, v124, v126
	v_add_co_ci_u32_e64 v127, null, v125, v127, vcc_lo
	flat_load_dwordx2 v[126:127], v[126:127]
	s_waitcnt vmcnt(0) lgkmcnt(0)
	v_mul_f64 v[126:127], s[10:11], v[126:127]
	v_cvt_f32_f64_e32 v126, v[126:127]
	s_branch .LBB110_110
.LBB110_109:
	v_mov_b32_e32 v126, 0
.LBB110_110:
	v_add_f64 v[127:128], v[54:55], v[118:119]
	v_add_f64 v[147:148], v[56:57], v[120:121]
	;; [unrolled: 1-line block ×4, first 2 shown]
	v_cvt_f32_f64_e32 v127, v[127:128]
	v_cvt_f32_f64_e32 v128, v[147:148]
	;; [unrolled: 1-line block ×4, first 2 shown]
	v_min3_f32 v127, v127, v128, v208
	v_min_f32_e32 v128, v129, v145
	v_min3_f32 v126, v126, v128, v127
	v_lshlrev_b64 v[128:129], 3, v[132:133]
	v_cvt_f64_f32_e32 v[126:127], v126
	v_add_co_u32 v128, vcc_lo, v122, v128
	v_add_co_ci_u32_e64 v129, null, v123, v129, vcc_lo
	flat_store_dwordx2 v[128:129], v[126:127]
	s_or_b32 exec_lo, exec_lo, s12
	s_and_b32 s15, s3, s8
	s_and_saveexec_b32 s12, s15
	s_cbranch_execz .LBB110_95
.LBB110_111:
	v_cmp_ne_u32_e32 vcc_lo, 1, v144
	s_cbranch_vccnz .LBB110_113
; %bb.112:
	v_lshlrev_b64 v[126:127], 3, v[134:135]
	v_add_co_u32 v126, vcc_lo, v124, v126
	v_add_co_ci_u32_e64 v127, null, v125, v127, vcc_lo
	flat_load_dwordx2 v[126:127], v[126:127]
	s_waitcnt vmcnt(0) lgkmcnt(0)
	v_mul_f64 v[126:127], s[10:11], v[126:127]
	v_cvt_f32_f64_e32 v126, v[126:127]
	s_branch .LBB110_114
.LBB110_113:
	v_mov_b32_e32 v126, 0
.LBB110_114:
	v_add_f64 v[127:128], v[46:47], v[118:119]
	v_add_f64 v[147:148], v[48:49], v[120:121]
	;; [unrolled: 1-line block ×4, first 2 shown]
	v_cvt_f32_f64_e32 v127, v[127:128]
	v_cvt_f32_f64_e32 v128, v[147:148]
	;; [unrolled: 1-line block ×4, first 2 shown]
	v_min3_f32 v127, v127, v128, v207
	v_min_f32_e32 v128, v129, v145
	v_min3_f32 v126, v126, v128, v127
	v_lshlrev_b64 v[128:129], 3, v[134:135]
	v_cvt_f64_f32_e32 v[126:127], v126
	v_add_co_u32 v128, vcc_lo, v122, v128
	v_add_co_ci_u32_e64 v129, null, v123, v129, vcc_lo
	flat_store_dwordx2 v[128:129], v[126:127]
	s_or_b32 exec_lo, exec_lo, s12
	s_and_b32 s15, s4, s8
	s_and_saveexec_b32 s12, s15
	s_cbranch_execz .LBB110_96
.LBB110_115:
	v_cmp_ne_u32_e32 vcc_lo, 1, v144
	s_cbranch_vccnz .LBB110_117
; %bb.116:
	v_lshlrev_b64 v[126:127], 3, v[136:137]
	v_add_co_u32 v126, vcc_lo, v124, v126
	v_add_co_ci_u32_e64 v127, null, v125, v127, vcc_lo
	flat_load_dwordx2 v[126:127], v[126:127]
	s_waitcnt vmcnt(0) lgkmcnt(0)
	v_mul_f64 v[126:127], s[10:11], v[126:127]
	v_cvt_f32_f64_e32 v126, v[126:127]
	s_branch .LBB110_118
.LBB110_117:
	v_mov_b32_e32 v126, 0
.LBB110_118:
	v_add_f64 v[127:128], v[38:39], v[118:119]
	v_add_f64 v[147:148], v[40:41], v[120:121]
	;; [unrolled: 1-line block ×4, first 2 shown]
	v_cvt_f32_f64_e32 v127, v[127:128]
	v_cvt_f32_f64_e32 v128, v[147:148]
	;; [unrolled: 1-line block ×4, first 2 shown]
	v_min3_f32 v127, v127, v128, v206
	v_min_f32_e32 v128, v129, v145
	v_min3_f32 v126, v126, v128, v127
	v_lshlrev_b64 v[128:129], 3, v[136:137]
	v_cvt_f64_f32_e32 v[126:127], v126
	v_add_co_u32 v128, vcc_lo, v122, v128
	v_add_co_ci_u32_e64 v129, null, v123, v129, vcc_lo
	flat_store_dwordx2 v[128:129], v[126:127]
	s_or_b32 exec_lo, exec_lo, s12
	s_and_b32 s15, s5, s8
	s_and_saveexec_b32 s12, s15
	s_cbranch_execz .LBB110_97
.LBB110_119:
	v_cmp_ne_u32_e32 vcc_lo, 1, v144
	s_cbranch_vccnz .LBB110_121
; %bb.120:
	v_lshlrev_b64 v[126:127], 3, v[138:139]
	v_add_co_u32 v126, vcc_lo, v124, v126
	v_add_co_ci_u32_e64 v127, null, v125, v127, vcc_lo
	flat_load_dwordx2 v[126:127], v[126:127]
	s_waitcnt vmcnt(0) lgkmcnt(0)
	v_mul_f64 v[126:127], s[10:11], v[126:127]
	v_cvt_f32_f64_e32 v126, v[126:127]
	s_branch .LBB110_122
.LBB110_121:
	v_mov_b32_e32 v126, 0
.LBB110_122:
	v_add_f64 v[127:128], v[30:31], v[118:119]
	v_add_f64 v[147:148], v[32:33], v[120:121]
	;; [unrolled: 1-line block ×4, first 2 shown]
	v_cvt_f32_f64_e32 v127, v[127:128]
	v_cvt_f32_f64_e32 v128, v[147:148]
	v_cvt_f32_f64_e32 v129, v[170:171]
	v_cvt_f32_f64_e32 v145, v[172:173]
	v_min3_f32 v127, v127, v128, v205
	v_min_f32_e32 v128, v129, v145
	v_min3_f32 v126, v126, v128, v127
	v_lshlrev_b64 v[128:129], 3, v[138:139]
	v_cvt_f64_f32_e32 v[126:127], v126
	v_add_co_u32 v128, vcc_lo, v122, v128
	v_add_co_ci_u32_e64 v129, null, v123, v129, vcc_lo
	flat_store_dwordx2 v[128:129], v[126:127]
	s_or_b32 exec_lo, exec_lo, s12
	s_and_b32 s15, s6, s8
	s_and_saveexec_b32 s12, s15
	s_cbranch_execz .LBB110_98
.LBB110_123:
	v_cmp_ne_u32_e32 vcc_lo, 1, v144
	s_cbranch_vccnz .LBB110_125
; %bb.124:
	v_lshlrev_b64 v[126:127], 3, v[140:141]
	v_add_co_u32 v126, vcc_lo, v124, v126
	v_add_co_ci_u32_e64 v127, null, v125, v127, vcc_lo
	flat_load_dwordx2 v[126:127], v[126:127]
	s_waitcnt vmcnt(0) lgkmcnt(0)
	v_mul_f64 v[126:127], s[10:11], v[126:127]
	v_cvt_f32_f64_e32 v126, v[126:127]
	s_branch .LBB110_126
.LBB110_125:
	v_mov_b32_e32 v126, 0
.LBB110_126:
	v_add_f64 v[127:128], v[22:23], v[118:119]
	v_add_f64 v[147:148], v[24:25], v[120:121]
	;; [unrolled: 1-line block ×4, first 2 shown]
	v_cvt_f32_f64_e32 v127, v[127:128]
	v_cvt_f32_f64_e32 v128, v[147:148]
	;; [unrolled: 1-line block ×4, first 2 shown]
	v_min3_f32 v127, v127, v128, v204
	v_min_f32_e32 v128, v129, v145
	v_min3_f32 v126, v126, v128, v127
	v_lshlrev_b64 v[128:129], 3, v[140:141]
	v_cvt_f64_f32_e32 v[126:127], v126
	v_add_co_u32 v128, vcc_lo, v122, v128
	v_add_co_ci_u32_e64 v129, null, v123, v129, vcc_lo
	flat_store_dwordx2 v[128:129], v[126:127]
	s_or_b32 exec_lo, exec_lo, s12
	s_and_b32 s12, s7, s8
	s_and_saveexec_b32 s8, s12
	s_cbranch_execz .LBB110_131
.LBB110_127:
	v_cmp_ne_u32_e32 vcc_lo, 1, v144
	s_cbranch_vccnz .LBB110_129
; %bb.128:
	v_lshlrev_b64 v[126:127], 3, v[142:143]
	v_add_co_u32 v124, vcc_lo, v124, v126
	v_add_co_ci_u32_e64 v125, null, v125, v127, vcc_lo
	flat_load_dwordx2 v[124:125], v[124:125]
	s_waitcnt vmcnt(0) lgkmcnt(0)
	v_mul_f64 v[124:125], s[10:11], v[124:125]
	v_cvt_f32_f64_e32 v124, v[124:125]
	s_branch .LBB110_130
.LBB110_129:
	v_mov_b32_e32 v124, 0
.LBB110_130:
	v_add_f64 v[118:119], v[6:7], v[118:119]
	v_add_f64 v[120:121], v[8:9], v[120:121]
	;; [unrolled: 1-line block ×4, first 2 shown]
	v_cvt_f32_f64_e32 v118, v[118:119]
	v_cvt_f32_f64_e32 v119, v[120:121]
	;; [unrolled: 1-line block ×4, first 2 shown]
	v_min3_f32 v116, v118, v119, v203
	v_min_f32_e32 v114, v114, v115
	v_min3_f32 v114, v124, v114, v116
	v_lshlrev_b64 v[116:117], 3, v[142:143]
	v_cvt_f64_f32_e32 v[114:115], v114
	v_add_co_u32 v116, vcc_lo, v122, v116
	v_add_co_ci_u32_e64 v117, null, v123, v117, vcc_lo
	flat_store_dwordx2 v[116:117], v[114:115]
.LBB110_131:
	s_or_b32 exec_lo, exec_lo, s8
	v_add_nc_u32_e32 v118, 16, v146
	v_mad_i64_i32 v[114:115], null, v118, s16, 0
	v_mad_i64_i32 v[116:117], null, v118, s14, 0
	v_cmp_gt_i32_e64 s8, s13, v118
	v_lshlrev_b64 v[114:115], 3, v[114:115]
	s_and_b32 s15, s0, s8
	v_lshlrev_b64 v[118:119], 3, v[116:117]
	v_add_co_u32 v116, vcc_lo, s18, v114
	v_add_co_ci_u32_e64 v117, null, s19, v115, vcc_lo
	v_add_co_u32 v114, vcc_lo, s17, v118
	v_add_co_ci_u32_e64 v115, null, s9, v119, vcc_lo
	s_and_saveexec_b32 s12, s15
	s_cbranch_execnz .LBB110_139
; %bb.132:
	s_or_b32 exec_lo, exec_lo, s12
	s_and_b32 s15, s1, s8
	s_and_saveexec_b32 s12, s15
	s_cbranch_execnz .LBB110_143
.LBB110_133:
	s_or_b32 exec_lo, exec_lo, s12
	s_and_b32 s15, s2, s8
	s_and_saveexec_b32 s12, s15
	s_cbranch_execnz .LBB110_147
.LBB110_134:
	s_or_b32 exec_lo, exec_lo, s12
	s_and_b32 s15, s3, s8
	s_and_saveexec_b32 s12, s15
	s_cbranch_execnz .LBB110_151
.LBB110_135:
	s_or_b32 exec_lo, exec_lo, s12
	s_and_b32 s15, s4, s8
	s_and_saveexec_b32 s12, s15
	s_cbranch_execnz .LBB110_155
.LBB110_136:
	s_or_b32 exec_lo, exec_lo, s12
	s_and_b32 s15, s5, s8
	s_and_saveexec_b32 s12, s15
	s_cbranch_execnz .LBB110_159
.LBB110_137:
	s_or_b32 exec_lo, exec_lo, s12
	s_and_b32 s15, s6, s8
	s_and_saveexec_b32 s12, s15
	s_cbranch_execnz .LBB110_163
.LBB110_138:
	s_or_b32 exec_lo, exec_lo, s12
	s_and_b32 s12, s7, s8
	s_and_saveexec_b32 s8, s12
	s_cbranch_execnz .LBB110_167
	s_branch .LBB110_171
.LBB110_139:
	v_cmp_ne_u32_e32 vcc_lo, 1, v144
	s_cbranch_vccnz .LBB110_141
; %bb.140:
	v_lshlrev_b64 v[118:119], 3, v[0:1]
	v_add_co_u32 v118, vcc_lo, v116, v118
	v_add_co_ci_u32_e64 v119, null, v117, v119, vcc_lo
	flat_load_dwordx2 v[118:119], v[118:119]
	s_waitcnt vmcnt(0) lgkmcnt(0)
	v_mul_f64 v[118:119], s[10:11], v[118:119]
	v_cvt_f32_f64_e32 v118, v[118:119]
	s_branch .LBB110_142
.LBB110_141:
	v_mov_b32_e32 v118, 0
.LBB110_142:
	v_add_f64 v[119:120], v[70:71], v[110:111]
	v_add_f64 v[121:122], v[72:73], v[112:113]
	;; [unrolled: 1-line block ×4, first 2 shown]
	v_cvt_f32_f64_e32 v119, v[119:120]
	v_cvt_f32_f64_e32 v120, v[121:122]
	;; [unrolled: 1-line block ×4, first 2 shown]
	v_min3_f32 v119, v119, v120, v202
	v_min_f32_e32 v120, v121, v122
	v_min3_f32 v118, v118, v120, v119
	v_lshlrev_b64 v[120:121], 3, v[0:1]
	v_cvt_f64_f32_e32 v[118:119], v118
	v_add_co_u32 v120, vcc_lo, v114, v120
	v_add_co_ci_u32_e64 v121, null, v115, v121, vcc_lo
	flat_store_dwordx2 v[120:121], v[118:119]
	s_or_b32 exec_lo, exec_lo, s12
	s_and_b32 s15, s1, s8
	s_and_saveexec_b32 s12, s15
	s_cbranch_execz .LBB110_133
.LBB110_143:
	v_cmp_ne_u32_e32 vcc_lo, 1, v144
	s_cbranch_vccnz .LBB110_145
; %bb.144:
	v_lshlrev_b64 v[118:119], 3, v[130:131]
	v_add_co_u32 v118, vcc_lo, v116, v118
	v_add_co_ci_u32_e64 v119, null, v117, v119, vcc_lo
	flat_load_dwordx2 v[118:119], v[118:119]
	s_waitcnt vmcnt(0) lgkmcnt(0)
	v_mul_f64 v[118:119], s[10:11], v[118:119]
	v_cvt_f32_f64_e32 v118, v[118:119]
	s_branch .LBB110_146
.LBB110_145:
	v_mov_b32_e32 v118, 0
.LBB110_146:
	v_add_f64 v[119:120], v[62:63], v[110:111]
	v_add_f64 v[121:122], v[64:65], v[112:113]
	;; [unrolled: 1-line block ×4, first 2 shown]
	v_cvt_f32_f64_e32 v119, v[119:120]
	v_cvt_f32_f64_e32 v120, v[121:122]
	;; [unrolled: 1-line block ×4, first 2 shown]
	v_min3_f32 v119, v119, v120, v201
	v_min_f32_e32 v120, v121, v122
	v_min3_f32 v118, v118, v120, v119
	v_lshlrev_b64 v[120:121], 3, v[130:131]
	v_cvt_f64_f32_e32 v[118:119], v118
	v_add_co_u32 v120, vcc_lo, v114, v120
	v_add_co_ci_u32_e64 v121, null, v115, v121, vcc_lo
	flat_store_dwordx2 v[120:121], v[118:119]
	s_or_b32 exec_lo, exec_lo, s12
	s_and_b32 s15, s2, s8
	s_and_saveexec_b32 s12, s15
	s_cbranch_execz .LBB110_134
.LBB110_147:
	v_cmp_ne_u32_e32 vcc_lo, 1, v144
	s_cbranch_vccnz .LBB110_149
; %bb.148:
	v_lshlrev_b64 v[118:119], 3, v[132:133]
	v_add_co_u32 v118, vcc_lo, v116, v118
	v_add_co_ci_u32_e64 v119, null, v117, v119, vcc_lo
	flat_load_dwordx2 v[118:119], v[118:119]
	s_waitcnt vmcnt(0) lgkmcnt(0)
	v_mul_f64 v[118:119], s[10:11], v[118:119]
	v_cvt_f32_f64_e32 v118, v[118:119]
	s_branch .LBB110_150
.LBB110_149:
	v_mov_b32_e32 v118, 0
.LBB110_150:
	v_add_f64 v[119:120], v[54:55], v[110:111]
	v_add_f64 v[121:122], v[56:57], v[112:113]
	;; [unrolled: 1-line block ×4, first 2 shown]
	v_cvt_f32_f64_e32 v119, v[119:120]
	v_cvt_f32_f64_e32 v120, v[121:122]
	;; [unrolled: 1-line block ×4, first 2 shown]
	v_min3_f32 v119, v119, v120, v200
	v_min_f32_e32 v120, v121, v122
	v_min3_f32 v118, v118, v120, v119
	v_lshlrev_b64 v[120:121], 3, v[132:133]
	v_cvt_f64_f32_e32 v[118:119], v118
	v_add_co_u32 v120, vcc_lo, v114, v120
	v_add_co_ci_u32_e64 v121, null, v115, v121, vcc_lo
	flat_store_dwordx2 v[120:121], v[118:119]
	s_or_b32 exec_lo, exec_lo, s12
	s_and_b32 s15, s3, s8
	s_and_saveexec_b32 s12, s15
	s_cbranch_execz .LBB110_135
.LBB110_151:
	v_cmp_ne_u32_e32 vcc_lo, 1, v144
	s_cbranch_vccnz .LBB110_153
; %bb.152:
	v_lshlrev_b64 v[118:119], 3, v[134:135]
	v_add_co_u32 v118, vcc_lo, v116, v118
	v_add_co_ci_u32_e64 v119, null, v117, v119, vcc_lo
	flat_load_dwordx2 v[118:119], v[118:119]
	s_waitcnt vmcnt(0) lgkmcnt(0)
	v_mul_f64 v[118:119], s[10:11], v[118:119]
	v_cvt_f32_f64_e32 v118, v[118:119]
	s_branch .LBB110_154
.LBB110_153:
	v_mov_b32_e32 v118, 0
.LBB110_154:
	v_add_f64 v[119:120], v[46:47], v[110:111]
	v_add_f64 v[121:122], v[48:49], v[112:113]
	v_add_f64 v[123:124], v[42:43], v[106:107]
	v_add_f64 v[125:126], v[44:45], v[108:109]
	v_cvt_f32_f64_e32 v119, v[119:120]
	v_cvt_f32_f64_e32 v120, v[121:122]
	;; [unrolled: 1-line block ×4, first 2 shown]
	v_min3_f32 v119, v119, v120, v199
	v_min_f32_e32 v120, v121, v122
	v_min3_f32 v118, v118, v120, v119
	v_lshlrev_b64 v[120:121], 3, v[134:135]
	v_cvt_f64_f32_e32 v[118:119], v118
	v_add_co_u32 v120, vcc_lo, v114, v120
	v_add_co_ci_u32_e64 v121, null, v115, v121, vcc_lo
	flat_store_dwordx2 v[120:121], v[118:119]
	s_or_b32 exec_lo, exec_lo, s12
	s_and_b32 s15, s4, s8
	s_and_saveexec_b32 s12, s15
	s_cbranch_execz .LBB110_136
.LBB110_155:
	v_cmp_ne_u32_e32 vcc_lo, 1, v144
	s_cbranch_vccnz .LBB110_157
; %bb.156:
	v_lshlrev_b64 v[118:119], 3, v[136:137]
	v_add_co_u32 v118, vcc_lo, v116, v118
	v_add_co_ci_u32_e64 v119, null, v117, v119, vcc_lo
	flat_load_dwordx2 v[118:119], v[118:119]
	s_waitcnt vmcnt(0) lgkmcnt(0)
	v_mul_f64 v[118:119], s[10:11], v[118:119]
	v_cvt_f32_f64_e32 v118, v[118:119]
	s_branch .LBB110_158
.LBB110_157:
	v_mov_b32_e32 v118, 0
.LBB110_158:
	v_add_f64 v[119:120], v[38:39], v[110:111]
	v_add_f64 v[121:122], v[40:41], v[112:113]
	v_add_f64 v[123:124], v[34:35], v[106:107]
	v_add_f64 v[125:126], v[36:37], v[108:109]
	v_cvt_f32_f64_e32 v119, v[119:120]
	v_cvt_f32_f64_e32 v120, v[121:122]
	;; [unrolled: 1-line block ×4, first 2 shown]
	v_min3_f32 v119, v119, v120, v198
	v_min_f32_e32 v120, v121, v122
	v_min3_f32 v118, v118, v120, v119
	v_lshlrev_b64 v[120:121], 3, v[136:137]
	v_cvt_f64_f32_e32 v[118:119], v118
	v_add_co_u32 v120, vcc_lo, v114, v120
	v_add_co_ci_u32_e64 v121, null, v115, v121, vcc_lo
	flat_store_dwordx2 v[120:121], v[118:119]
	s_or_b32 exec_lo, exec_lo, s12
	s_and_b32 s15, s5, s8
	s_and_saveexec_b32 s12, s15
	s_cbranch_execz .LBB110_137
.LBB110_159:
	v_cmp_ne_u32_e32 vcc_lo, 1, v144
	s_cbranch_vccnz .LBB110_161
; %bb.160:
	v_lshlrev_b64 v[118:119], 3, v[138:139]
	v_add_co_u32 v118, vcc_lo, v116, v118
	v_add_co_ci_u32_e64 v119, null, v117, v119, vcc_lo
	flat_load_dwordx2 v[118:119], v[118:119]
	s_waitcnt vmcnt(0) lgkmcnt(0)
	v_mul_f64 v[118:119], s[10:11], v[118:119]
	v_cvt_f32_f64_e32 v118, v[118:119]
	s_branch .LBB110_162
.LBB110_161:
	v_mov_b32_e32 v118, 0
.LBB110_162:
	v_add_f64 v[119:120], v[30:31], v[110:111]
	v_add_f64 v[121:122], v[32:33], v[112:113]
	;; [unrolled: 1-line block ×4, first 2 shown]
	v_cvt_f32_f64_e32 v119, v[119:120]
	v_cvt_f32_f64_e32 v120, v[121:122]
	;; [unrolled: 1-line block ×4, first 2 shown]
	v_min3_f32 v119, v119, v120, v197
	v_min_f32_e32 v120, v121, v122
	v_min3_f32 v118, v118, v120, v119
	v_lshlrev_b64 v[120:121], 3, v[138:139]
	v_cvt_f64_f32_e32 v[118:119], v118
	v_add_co_u32 v120, vcc_lo, v114, v120
	v_add_co_ci_u32_e64 v121, null, v115, v121, vcc_lo
	flat_store_dwordx2 v[120:121], v[118:119]
	s_or_b32 exec_lo, exec_lo, s12
	s_and_b32 s15, s6, s8
	s_and_saveexec_b32 s12, s15
	s_cbranch_execz .LBB110_138
.LBB110_163:
	v_cmp_ne_u32_e32 vcc_lo, 1, v144
	s_cbranch_vccnz .LBB110_165
; %bb.164:
	v_lshlrev_b64 v[118:119], 3, v[140:141]
	v_add_co_u32 v118, vcc_lo, v116, v118
	v_add_co_ci_u32_e64 v119, null, v117, v119, vcc_lo
	flat_load_dwordx2 v[118:119], v[118:119]
	s_waitcnt vmcnt(0) lgkmcnt(0)
	v_mul_f64 v[118:119], s[10:11], v[118:119]
	v_cvt_f32_f64_e32 v118, v[118:119]
	s_branch .LBB110_166
.LBB110_165:
	v_mov_b32_e32 v118, 0
.LBB110_166:
	v_add_f64 v[119:120], v[22:23], v[110:111]
	v_add_f64 v[121:122], v[24:25], v[112:113]
	;; [unrolled: 1-line block ×4, first 2 shown]
	v_cvt_f32_f64_e32 v119, v[119:120]
	v_cvt_f32_f64_e32 v120, v[121:122]
	;; [unrolled: 1-line block ×4, first 2 shown]
	v_min3_f32 v119, v119, v120, v196
	v_min_f32_e32 v120, v121, v122
	v_min3_f32 v118, v118, v120, v119
	v_lshlrev_b64 v[120:121], 3, v[140:141]
	v_cvt_f64_f32_e32 v[118:119], v118
	v_add_co_u32 v120, vcc_lo, v114, v120
	v_add_co_ci_u32_e64 v121, null, v115, v121, vcc_lo
	flat_store_dwordx2 v[120:121], v[118:119]
	s_or_b32 exec_lo, exec_lo, s12
	s_and_b32 s12, s7, s8
	s_and_saveexec_b32 s8, s12
	s_cbranch_execz .LBB110_171
.LBB110_167:
	v_cmp_ne_u32_e32 vcc_lo, 1, v144
	s_cbranch_vccnz .LBB110_169
; %bb.168:
	v_lshlrev_b64 v[118:119], 3, v[142:143]
	v_add_co_u32 v116, vcc_lo, v116, v118
	v_add_co_ci_u32_e64 v117, null, v117, v119, vcc_lo
	flat_load_dwordx2 v[116:117], v[116:117]
	s_waitcnt vmcnt(0) lgkmcnt(0)
	v_mul_f64 v[116:117], s[10:11], v[116:117]
	v_cvt_f32_f64_e32 v116, v[116:117]
	s_branch .LBB110_170
.LBB110_169:
	v_mov_b32_e32 v116, 0
.LBB110_170:
	v_add_f64 v[110:111], v[6:7], v[110:111]
	v_add_f64 v[112:113], v[8:9], v[112:113]
	;; [unrolled: 1-line block ×4, first 2 shown]
	v_cvt_f32_f64_e32 v110, v[110:111]
	v_cvt_f32_f64_e32 v111, v[112:113]
	;; [unrolled: 1-line block ×4, first 2 shown]
	v_min3_f32 v108, v110, v111, v195
	v_min_f32_e32 v106, v106, v107
	v_min3_f32 v106, v116, v106, v108
	v_lshlrev_b64 v[108:109], 3, v[142:143]
	v_cvt_f64_f32_e32 v[106:107], v106
	v_add_co_u32 v108, vcc_lo, v114, v108
	v_add_co_ci_u32_e64 v109, null, v115, v109, vcc_lo
	flat_store_dwordx2 v[108:109], v[106:107]
.LBB110_171:
	s_or_b32 exec_lo, exec_lo, s8
	v_add_nc_u32_e32 v110, 24, v146
	v_mad_i64_i32 v[106:107], null, v110, s16, 0
	v_mad_i64_i32 v[108:109], null, v110, s14, 0
	v_cmp_gt_i32_e64 s8, s13, v110
	v_lshlrev_b64 v[106:107], 3, v[106:107]
	s_and_b32 s15, s0, s8
	v_lshlrev_b64 v[110:111], 3, v[108:109]
	v_add_co_u32 v108, vcc_lo, s18, v106
	v_add_co_ci_u32_e64 v109, null, s19, v107, vcc_lo
	v_add_co_u32 v106, vcc_lo, s17, v110
	v_add_co_ci_u32_e64 v107, null, s9, v111, vcc_lo
	s_and_saveexec_b32 s12, s15
	s_cbranch_execnz .LBB110_179
; %bb.172:
	s_or_b32 exec_lo, exec_lo, s12
	s_and_b32 s15, s1, s8
	s_and_saveexec_b32 s12, s15
	s_cbranch_execnz .LBB110_183
.LBB110_173:
	s_or_b32 exec_lo, exec_lo, s12
	s_and_b32 s15, s2, s8
	s_and_saveexec_b32 s12, s15
	s_cbranch_execnz .LBB110_187
.LBB110_174:
	s_or_b32 exec_lo, exec_lo, s12
	s_and_b32 s15, s3, s8
	s_and_saveexec_b32 s12, s15
	s_cbranch_execnz .LBB110_191
.LBB110_175:
	s_or_b32 exec_lo, exec_lo, s12
	s_and_b32 s15, s4, s8
	s_and_saveexec_b32 s12, s15
	s_cbranch_execnz .LBB110_195
.LBB110_176:
	s_or_b32 exec_lo, exec_lo, s12
	s_and_b32 s15, s5, s8
	s_and_saveexec_b32 s12, s15
	s_cbranch_execnz .LBB110_199
.LBB110_177:
	s_or_b32 exec_lo, exec_lo, s12
	s_and_b32 s15, s6, s8
	s_and_saveexec_b32 s12, s15
	s_cbranch_execnz .LBB110_203
.LBB110_178:
	s_or_b32 exec_lo, exec_lo, s12
	s_and_b32 s12, s7, s8
	s_and_saveexec_b32 s8, s12
	s_cbranch_execnz .LBB110_207
	s_branch .LBB110_211
.LBB110_179:
	v_cmp_ne_u32_e32 vcc_lo, 1, v144
	s_cbranch_vccnz .LBB110_181
; %bb.180:
	v_lshlrev_b64 v[110:111], 3, v[0:1]
	v_add_co_u32 v110, vcc_lo, v108, v110
	v_add_co_ci_u32_e64 v111, null, v109, v111, vcc_lo
	flat_load_dwordx2 v[110:111], v[110:111]
	s_waitcnt vmcnt(0) lgkmcnt(0)
	v_mul_f64 v[110:111], s[10:11], v[110:111]
	v_cvt_f32_f64_e32 v110, v[110:111]
	s_branch .LBB110_182
.LBB110_181:
	v_mov_b32_e32 v110, 0
.LBB110_182:
	v_add_f64 v[111:112], v[70:71], v[102:103]
	v_add_f64 v[113:114], v[72:73], v[104:105]
	;; [unrolled: 1-line block ×4, first 2 shown]
	v_cvt_f32_f64_e32 v111, v[111:112]
	v_cvt_f32_f64_e32 v112, v[113:114]
	;; [unrolled: 1-line block ×4, first 2 shown]
	v_min3_f32 v111, v111, v112, v194
	v_min_f32_e32 v112, v113, v114
	v_min3_f32 v110, v110, v112, v111
	v_lshlrev_b64 v[112:113], 3, v[0:1]
	v_cvt_f64_f32_e32 v[110:111], v110
	v_add_co_u32 v112, vcc_lo, v106, v112
	v_add_co_ci_u32_e64 v113, null, v107, v113, vcc_lo
	flat_store_dwordx2 v[112:113], v[110:111]
	s_or_b32 exec_lo, exec_lo, s12
	s_and_b32 s15, s1, s8
	s_and_saveexec_b32 s12, s15
	s_cbranch_execz .LBB110_173
.LBB110_183:
	v_cmp_ne_u32_e32 vcc_lo, 1, v144
	s_cbranch_vccnz .LBB110_185
; %bb.184:
	v_lshlrev_b64 v[110:111], 3, v[130:131]
	v_add_co_u32 v110, vcc_lo, v108, v110
	v_add_co_ci_u32_e64 v111, null, v109, v111, vcc_lo
	flat_load_dwordx2 v[110:111], v[110:111]
	s_waitcnt vmcnt(0) lgkmcnt(0)
	v_mul_f64 v[110:111], s[10:11], v[110:111]
	v_cvt_f32_f64_e32 v110, v[110:111]
	s_branch .LBB110_186
.LBB110_185:
	v_mov_b32_e32 v110, 0
.LBB110_186:
	v_add_f64 v[111:112], v[62:63], v[102:103]
	v_add_f64 v[113:114], v[64:65], v[104:105]
	;; [unrolled: 1-line block ×4, first 2 shown]
	v_cvt_f32_f64_e32 v111, v[111:112]
	v_cvt_f32_f64_e32 v112, v[113:114]
	;; [unrolled: 1-line block ×4, first 2 shown]
	v_min3_f32 v111, v111, v112, v193
	v_min_f32_e32 v112, v113, v114
	v_min3_f32 v110, v110, v112, v111
	v_lshlrev_b64 v[112:113], 3, v[130:131]
	v_cvt_f64_f32_e32 v[110:111], v110
	v_add_co_u32 v112, vcc_lo, v106, v112
	v_add_co_ci_u32_e64 v113, null, v107, v113, vcc_lo
	flat_store_dwordx2 v[112:113], v[110:111]
	s_or_b32 exec_lo, exec_lo, s12
	s_and_b32 s15, s2, s8
	s_and_saveexec_b32 s12, s15
	s_cbranch_execz .LBB110_174
.LBB110_187:
	v_cmp_ne_u32_e32 vcc_lo, 1, v144
	s_cbranch_vccnz .LBB110_189
; %bb.188:
	v_lshlrev_b64 v[110:111], 3, v[132:133]
	v_add_co_u32 v110, vcc_lo, v108, v110
	v_add_co_ci_u32_e64 v111, null, v109, v111, vcc_lo
	flat_load_dwordx2 v[110:111], v[110:111]
	s_waitcnt vmcnt(0) lgkmcnt(0)
	v_mul_f64 v[110:111], s[10:11], v[110:111]
	v_cvt_f32_f64_e32 v110, v[110:111]
	s_branch .LBB110_190
.LBB110_189:
	v_mov_b32_e32 v110, 0
.LBB110_190:
	v_add_f64 v[111:112], v[54:55], v[102:103]
	v_add_f64 v[113:114], v[56:57], v[104:105]
	;; [unrolled: 1-line block ×4, first 2 shown]
	v_cvt_f32_f64_e32 v111, v[111:112]
	v_cvt_f32_f64_e32 v112, v[113:114]
	;; [unrolled: 1-line block ×4, first 2 shown]
	v_min3_f32 v111, v111, v112, v192
	v_min_f32_e32 v112, v113, v114
	v_min3_f32 v110, v110, v112, v111
	v_lshlrev_b64 v[112:113], 3, v[132:133]
	v_cvt_f64_f32_e32 v[110:111], v110
	v_add_co_u32 v112, vcc_lo, v106, v112
	v_add_co_ci_u32_e64 v113, null, v107, v113, vcc_lo
	flat_store_dwordx2 v[112:113], v[110:111]
	s_or_b32 exec_lo, exec_lo, s12
	s_and_b32 s15, s3, s8
	s_and_saveexec_b32 s12, s15
	s_cbranch_execz .LBB110_175
.LBB110_191:
	v_cmp_ne_u32_e32 vcc_lo, 1, v144
	s_cbranch_vccnz .LBB110_193
; %bb.192:
	v_lshlrev_b64 v[110:111], 3, v[134:135]
	v_add_co_u32 v110, vcc_lo, v108, v110
	v_add_co_ci_u32_e64 v111, null, v109, v111, vcc_lo
	flat_load_dwordx2 v[110:111], v[110:111]
	s_waitcnt vmcnt(0) lgkmcnt(0)
	v_mul_f64 v[110:111], s[10:11], v[110:111]
	v_cvt_f32_f64_e32 v110, v[110:111]
	s_branch .LBB110_194
.LBB110_193:
	v_mov_b32_e32 v110, 0
.LBB110_194:
	v_add_f64 v[111:112], v[46:47], v[102:103]
	v_add_f64 v[113:114], v[48:49], v[104:105]
	;; [unrolled: 1-line block ×4, first 2 shown]
	v_cvt_f32_f64_e32 v111, v[111:112]
	v_cvt_f32_f64_e32 v112, v[113:114]
	v_cvt_f32_f64_e32 v113, v[115:116]
	v_cvt_f32_f64_e32 v114, v[117:118]
	v_min3_f32 v111, v111, v112, v191
	v_min_f32_e32 v112, v113, v114
	v_min3_f32 v110, v110, v112, v111
	v_lshlrev_b64 v[112:113], 3, v[134:135]
	v_cvt_f64_f32_e32 v[110:111], v110
	v_add_co_u32 v112, vcc_lo, v106, v112
	v_add_co_ci_u32_e64 v113, null, v107, v113, vcc_lo
	flat_store_dwordx2 v[112:113], v[110:111]
	s_or_b32 exec_lo, exec_lo, s12
	s_and_b32 s15, s4, s8
	s_and_saveexec_b32 s12, s15
	s_cbranch_execz .LBB110_176
.LBB110_195:
	v_cmp_ne_u32_e32 vcc_lo, 1, v144
	s_cbranch_vccnz .LBB110_197
; %bb.196:
	v_lshlrev_b64 v[110:111], 3, v[136:137]
	v_add_co_u32 v110, vcc_lo, v108, v110
	v_add_co_ci_u32_e64 v111, null, v109, v111, vcc_lo
	flat_load_dwordx2 v[110:111], v[110:111]
	s_waitcnt vmcnt(0) lgkmcnt(0)
	v_mul_f64 v[110:111], s[10:11], v[110:111]
	v_cvt_f32_f64_e32 v110, v[110:111]
	s_branch .LBB110_198
.LBB110_197:
	v_mov_b32_e32 v110, 0
.LBB110_198:
	v_add_f64 v[111:112], v[38:39], v[102:103]
	v_add_f64 v[113:114], v[40:41], v[104:105]
	;; [unrolled: 1-line block ×4, first 2 shown]
	v_cvt_f32_f64_e32 v111, v[111:112]
	v_cvt_f32_f64_e32 v112, v[113:114]
	;; [unrolled: 1-line block ×4, first 2 shown]
	v_min3_f32 v111, v111, v112, v190
	v_min_f32_e32 v112, v113, v114
	v_min3_f32 v110, v110, v112, v111
	v_lshlrev_b64 v[112:113], 3, v[136:137]
	v_cvt_f64_f32_e32 v[110:111], v110
	v_add_co_u32 v112, vcc_lo, v106, v112
	v_add_co_ci_u32_e64 v113, null, v107, v113, vcc_lo
	flat_store_dwordx2 v[112:113], v[110:111]
	s_or_b32 exec_lo, exec_lo, s12
	s_and_b32 s15, s5, s8
	s_and_saveexec_b32 s12, s15
	s_cbranch_execz .LBB110_177
.LBB110_199:
	v_cmp_ne_u32_e32 vcc_lo, 1, v144
	s_cbranch_vccnz .LBB110_201
; %bb.200:
	v_lshlrev_b64 v[110:111], 3, v[138:139]
	v_add_co_u32 v110, vcc_lo, v108, v110
	v_add_co_ci_u32_e64 v111, null, v109, v111, vcc_lo
	flat_load_dwordx2 v[110:111], v[110:111]
	s_waitcnt vmcnt(0) lgkmcnt(0)
	v_mul_f64 v[110:111], s[10:11], v[110:111]
	v_cvt_f32_f64_e32 v110, v[110:111]
	s_branch .LBB110_202
.LBB110_201:
	v_mov_b32_e32 v110, 0
.LBB110_202:
	v_add_f64 v[111:112], v[30:31], v[102:103]
	v_add_f64 v[113:114], v[32:33], v[104:105]
	;; [unrolled: 1-line block ×4, first 2 shown]
	v_cvt_f32_f64_e32 v111, v[111:112]
	v_cvt_f32_f64_e32 v112, v[113:114]
	;; [unrolled: 1-line block ×4, first 2 shown]
	v_min3_f32 v111, v111, v112, v189
	v_min_f32_e32 v112, v113, v114
	v_min3_f32 v110, v110, v112, v111
	v_lshlrev_b64 v[112:113], 3, v[138:139]
	v_cvt_f64_f32_e32 v[110:111], v110
	v_add_co_u32 v112, vcc_lo, v106, v112
	v_add_co_ci_u32_e64 v113, null, v107, v113, vcc_lo
	flat_store_dwordx2 v[112:113], v[110:111]
	s_or_b32 exec_lo, exec_lo, s12
	s_and_b32 s15, s6, s8
	s_and_saveexec_b32 s12, s15
	s_cbranch_execz .LBB110_178
.LBB110_203:
	v_cmp_ne_u32_e32 vcc_lo, 1, v144
	s_cbranch_vccnz .LBB110_205
; %bb.204:
	v_lshlrev_b64 v[110:111], 3, v[140:141]
	v_add_co_u32 v110, vcc_lo, v108, v110
	v_add_co_ci_u32_e64 v111, null, v109, v111, vcc_lo
	flat_load_dwordx2 v[110:111], v[110:111]
	s_waitcnt vmcnt(0) lgkmcnt(0)
	v_mul_f64 v[110:111], s[10:11], v[110:111]
	v_cvt_f32_f64_e32 v110, v[110:111]
	s_branch .LBB110_206
.LBB110_205:
	v_mov_b32_e32 v110, 0
.LBB110_206:
	v_add_f64 v[111:112], v[22:23], v[102:103]
	v_add_f64 v[113:114], v[24:25], v[104:105]
	;; [unrolled: 1-line block ×4, first 2 shown]
	v_cvt_f32_f64_e32 v111, v[111:112]
	v_cvt_f32_f64_e32 v112, v[113:114]
	v_cvt_f32_f64_e32 v113, v[115:116]
	v_cvt_f32_f64_e32 v114, v[117:118]
	v_min3_f32 v111, v111, v112, v188
	v_min_f32_e32 v112, v113, v114
	v_min3_f32 v110, v110, v112, v111
	v_lshlrev_b64 v[112:113], 3, v[140:141]
	v_cvt_f64_f32_e32 v[110:111], v110
	v_add_co_u32 v112, vcc_lo, v106, v112
	v_add_co_ci_u32_e64 v113, null, v107, v113, vcc_lo
	flat_store_dwordx2 v[112:113], v[110:111]
	s_or_b32 exec_lo, exec_lo, s12
	s_and_b32 s12, s7, s8
	s_and_saveexec_b32 s8, s12
	s_cbranch_execz .LBB110_211
.LBB110_207:
	v_cmp_ne_u32_e32 vcc_lo, 1, v144
	s_cbranch_vccnz .LBB110_209
; %bb.208:
	v_lshlrev_b64 v[110:111], 3, v[142:143]
	v_add_co_u32 v108, vcc_lo, v108, v110
	v_add_co_ci_u32_e64 v109, null, v109, v111, vcc_lo
	flat_load_dwordx2 v[108:109], v[108:109]
	s_waitcnt vmcnt(0) lgkmcnt(0)
	v_mul_f64 v[108:109], s[10:11], v[108:109]
	v_cvt_f32_f64_e32 v108, v[108:109]
	s_branch .LBB110_210
.LBB110_209:
	v_mov_b32_e32 v108, 0
.LBB110_210:
	v_add_f64 v[102:103], v[6:7], v[102:103]
	v_add_f64 v[104:105], v[8:9], v[104:105]
	;; [unrolled: 1-line block ×4, first 2 shown]
	v_cvt_f32_f64_e32 v102, v[102:103]
	v_cvt_f32_f64_e32 v103, v[104:105]
	;; [unrolled: 1-line block ×4, first 2 shown]
	v_min3_f32 v100, v102, v103, v187
	v_min_f32_e32 v98, v98, v99
	v_min3_f32 v98, v108, v98, v100
	v_lshlrev_b64 v[100:101], 3, v[142:143]
	v_cvt_f64_f32_e32 v[98:99], v98
	v_add_co_u32 v100, vcc_lo, v106, v100
	v_add_co_ci_u32_e64 v101, null, v107, v101, vcc_lo
	flat_store_dwordx2 v[100:101], v[98:99]
.LBB110_211:
	s_or_b32 exec_lo, exec_lo, s8
	v_add_nc_u32_e32 v102, 32, v146
	v_mad_i64_i32 v[98:99], null, v102, s16, 0
	v_mad_i64_i32 v[100:101], null, v102, s14, 0
	v_cmp_gt_i32_e64 s8, s13, v102
	v_lshlrev_b64 v[98:99], 3, v[98:99]
	s_and_b32 s15, s0, s8
	v_lshlrev_b64 v[102:103], 3, v[100:101]
	v_add_co_u32 v100, vcc_lo, s18, v98
	v_add_co_ci_u32_e64 v101, null, s19, v99, vcc_lo
	v_add_co_u32 v98, vcc_lo, s17, v102
	v_add_co_ci_u32_e64 v99, null, s9, v103, vcc_lo
	s_and_saveexec_b32 s12, s15
	s_cbranch_execnz .LBB110_219
; %bb.212:
	s_or_b32 exec_lo, exec_lo, s12
	s_and_b32 s15, s1, s8
	s_and_saveexec_b32 s12, s15
	s_cbranch_execnz .LBB110_223
.LBB110_213:
	s_or_b32 exec_lo, exec_lo, s12
	s_and_b32 s15, s2, s8
	s_and_saveexec_b32 s12, s15
	s_cbranch_execnz .LBB110_227
.LBB110_214:
	s_or_b32 exec_lo, exec_lo, s12
	s_and_b32 s15, s3, s8
	s_and_saveexec_b32 s12, s15
	s_cbranch_execnz .LBB110_231
.LBB110_215:
	s_or_b32 exec_lo, exec_lo, s12
	s_and_b32 s15, s4, s8
	s_and_saveexec_b32 s12, s15
	s_cbranch_execnz .LBB110_235
.LBB110_216:
	s_or_b32 exec_lo, exec_lo, s12
	s_and_b32 s15, s5, s8
	s_and_saveexec_b32 s12, s15
	s_cbranch_execnz .LBB110_239
.LBB110_217:
	s_or_b32 exec_lo, exec_lo, s12
	s_and_b32 s15, s6, s8
	s_and_saveexec_b32 s12, s15
	s_cbranch_execnz .LBB110_243
.LBB110_218:
	s_or_b32 exec_lo, exec_lo, s12
	s_and_b32 s12, s7, s8
	s_and_saveexec_b32 s8, s12
	s_cbranch_execnz .LBB110_247
	s_branch .LBB110_251
.LBB110_219:
	v_cmp_ne_u32_e32 vcc_lo, 1, v144
	s_cbranch_vccnz .LBB110_221
; %bb.220:
	v_lshlrev_b64 v[102:103], 3, v[0:1]
	v_add_co_u32 v102, vcc_lo, v100, v102
	v_add_co_ci_u32_e64 v103, null, v101, v103, vcc_lo
	flat_load_dwordx2 v[102:103], v[102:103]
	s_waitcnt vmcnt(0) lgkmcnt(0)
	v_mul_f64 v[102:103], s[10:11], v[102:103]
	v_cvt_f32_f64_e32 v102, v[102:103]
	s_branch .LBB110_222
.LBB110_221:
	v_mov_b32_e32 v102, 0
.LBB110_222:
	v_add_f64 v[103:104], v[70:71], v[94:95]
	v_add_f64 v[105:106], v[72:73], v[96:97]
	;; [unrolled: 1-line block ×4, first 2 shown]
	v_cvt_f32_f64_e32 v103, v[103:104]
	v_cvt_f32_f64_e32 v104, v[105:106]
	;; [unrolled: 1-line block ×4, first 2 shown]
	v_min3_f32 v103, v103, v104, v186
	v_min_f32_e32 v104, v105, v106
	v_min3_f32 v102, v102, v104, v103
	v_lshlrev_b64 v[104:105], 3, v[0:1]
	v_cvt_f64_f32_e32 v[102:103], v102
	v_add_co_u32 v104, vcc_lo, v98, v104
	v_add_co_ci_u32_e64 v105, null, v99, v105, vcc_lo
	flat_store_dwordx2 v[104:105], v[102:103]
	s_or_b32 exec_lo, exec_lo, s12
	s_and_b32 s15, s1, s8
	s_and_saveexec_b32 s12, s15
	s_cbranch_execz .LBB110_213
.LBB110_223:
	v_cmp_ne_u32_e32 vcc_lo, 1, v144
	s_cbranch_vccnz .LBB110_225
; %bb.224:
	v_lshlrev_b64 v[102:103], 3, v[130:131]
	v_add_co_u32 v102, vcc_lo, v100, v102
	v_add_co_ci_u32_e64 v103, null, v101, v103, vcc_lo
	flat_load_dwordx2 v[102:103], v[102:103]
	s_waitcnt vmcnt(0) lgkmcnt(0)
	v_mul_f64 v[102:103], s[10:11], v[102:103]
	v_cvt_f32_f64_e32 v102, v[102:103]
	s_branch .LBB110_226
.LBB110_225:
	v_mov_b32_e32 v102, 0
.LBB110_226:
	v_add_f64 v[103:104], v[62:63], v[94:95]
	v_add_f64 v[105:106], v[64:65], v[96:97]
	;; [unrolled: 1-line block ×4, first 2 shown]
	v_cvt_f32_f64_e32 v103, v[103:104]
	v_cvt_f32_f64_e32 v104, v[105:106]
	;; [unrolled: 1-line block ×4, first 2 shown]
	v_min3_f32 v103, v103, v104, v185
	v_min_f32_e32 v104, v105, v106
	v_min3_f32 v102, v102, v104, v103
	v_lshlrev_b64 v[104:105], 3, v[130:131]
	v_cvt_f64_f32_e32 v[102:103], v102
	v_add_co_u32 v104, vcc_lo, v98, v104
	v_add_co_ci_u32_e64 v105, null, v99, v105, vcc_lo
	flat_store_dwordx2 v[104:105], v[102:103]
	s_or_b32 exec_lo, exec_lo, s12
	s_and_b32 s15, s2, s8
	s_and_saveexec_b32 s12, s15
	s_cbranch_execz .LBB110_214
.LBB110_227:
	v_cmp_ne_u32_e32 vcc_lo, 1, v144
	s_cbranch_vccnz .LBB110_229
; %bb.228:
	v_lshlrev_b64 v[102:103], 3, v[132:133]
	v_add_co_u32 v102, vcc_lo, v100, v102
	v_add_co_ci_u32_e64 v103, null, v101, v103, vcc_lo
	flat_load_dwordx2 v[102:103], v[102:103]
	s_waitcnt vmcnt(0) lgkmcnt(0)
	v_mul_f64 v[102:103], s[10:11], v[102:103]
	v_cvt_f32_f64_e32 v102, v[102:103]
	s_branch .LBB110_230
.LBB110_229:
	v_mov_b32_e32 v102, 0
.LBB110_230:
	v_add_f64 v[103:104], v[54:55], v[94:95]
	v_add_f64 v[105:106], v[56:57], v[96:97]
	v_add_f64 v[107:108], v[50:51], v[90:91]
	v_add_f64 v[109:110], v[52:53], v[92:93]
	v_cvt_f32_f64_e32 v103, v[103:104]
	v_cvt_f32_f64_e32 v104, v[105:106]
	;; [unrolled: 1-line block ×4, first 2 shown]
	v_min3_f32 v103, v103, v104, v184
	v_min_f32_e32 v104, v105, v106
	v_min3_f32 v102, v102, v104, v103
	v_lshlrev_b64 v[104:105], 3, v[132:133]
	v_cvt_f64_f32_e32 v[102:103], v102
	v_add_co_u32 v104, vcc_lo, v98, v104
	v_add_co_ci_u32_e64 v105, null, v99, v105, vcc_lo
	flat_store_dwordx2 v[104:105], v[102:103]
	s_or_b32 exec_lo, exec_lo, s12
	s_and_b32 s15, s3, s8
	s_and_saveexec_b32 s12, s15
	s_cbranch_execz .LBB110_215
.LBB110_231:
	v_cmp_ne_u32_e32 vcc_lo, 1, v144
	s_cbranch_vccnz .LBB110_233
; %bb.232:
	v_lshlrev_b64 v[102:103], 3, v[134:135]
	v_add_co_u32 v102, vcc_lo, v100, v102
	v_add_co_ci_u32_e64 v103, null, v101, v103, vcc_lo
	flat_load_dwordx2 v[102:103], v[102:103]
	s_waitcnt vmcnt(0) lgkmcnt(0)
	v_mul_f64 v[102:103], s[10:11], v[102:103]
	v_cvt_f32_f64_e32 v102, v[102:103]
	s_branch .LBB110_234
.LBB110_233:
	v_mov_b32_e32 v102, 0
.LBB110_234:
	v_add_f64 v[103:104], v[46:47], v[94:95]
	v_add_f64 v[105:106], v[48:49], v[96:97]
	;; [unrolled: 1-line block ×4, first 2 shown]
	v_cvt_f32_f64_e32 v103, v[103:104]
	v_cvt_f32_f64_e32 v104, v[105:106]
	;; [unrolled: 1-line block ×4, first 2 shown]
	v_min3_f32 v103, v103, v104, v183
	v_min_f32_e32 v104, v105, v106
	v_min3_f32 v102, v102, v104, v103
	v_lshlrev_b64 v[104:105], 3, v[134:135]
	v_cvt_f64_f32_e32 v[102:103], v102
	v_add_co_u32 v104, vcc_lo, v98, v104
	v_add_co_ci_u32_e64 v105, null, v99, v105, vcc_lo
	flat_store_dwordx2 v[104:105], v[102:103]
	s_or_b32 exec_lo, exec_lo, s12
	s_and_b32 s15, s4, s8
	s_and_saveexec_b32 s12, s15
	s_cbranch_execz .LBB110_216
.LBB110_235:
	v_cmp_ne_u32_e32 vcc_lo, 1, v144
	s_cbranch_vccnz .LBB110_237
; %bb.236:
	v_lshlrev_b64 v[102:103], 3, v[136:137]
	v_add_co_u32 v102, vcc_lo, v100, v102
	v_add_co_ci_u32_e64 v103, null, v101, v103, vcc_lo
	flat_load_dwordx2 v[102:103], v[102:103]
	s_waitcnt vmcnt(0) lgkmcnt(0)
	v_mul_f64 v[102:103], s[10:11], v[102:103]
	v_cvt_f32_f64_e32 v102, v[102:103]
	s_branch .LBB110_238
.LBB110_237:
	v_mov_b32_e32 v102, 0
.LBB110_238:
	v_add_f64 v[103:104], v[38:39], v[94:95]
	v_add_f64 v[105:106], v[40:41], v[96:97]
	;; [unrolled: 1-line block ×4, first 2 shown]
	v_cvt_f32_f64_e32 v103, v[103:104]
	v_cvt_f32_f64_e32 v104, v[105:106]
	;; [unrolled: 1-line block ×4, first 2 shown]
	v_min3_f32 v103, v103, v104, v182
	v_min_f32_e32 v104, v105, v106
	v_min3_f32 v102, v102, v104, v103
	v_lshlrev_b64 v[104:105], 3, v[136:137]
	v_cvt_f64_f32_e32 v[102:103], v102
	v_add_co_u32 v104, vcc_lo, v98, v104
	v_add_co_ci_u32_e64 v105, null, v99, v105, vcc_lo
	flat_store_dwordx2 v[104:105], v[102:103]
	s_or_b32 exec_lo, exec_lo, s12
	s_and_b32 s15, s5, s8
	s_and_saveexec_b32 s12, s15
	s_cbranch_execz .LBB110_217
.LBB110_239:
	v_cmp_ne_u32_e32 vcc_lo, 1, v144
	s_cbranch_vccnz .LBB110_241
; %bb.240:
	v_lshlrev_b64 v[102:103], 3, v[138:139]
	v_add_co_u32 v102, vcc_lo, v100, v102
	v_add_co_ci_u32_e64 v103, null, v101, v103, vcc_lo
	flat_load_dwordx2 v[102:103], v[102:103]
	s_waitcnt vmcnt(0) lgkmcnt(0)
	v_mul_f64 v[102:103], s[10:11], v[102:103]
	v_cvt_f32_f64_e32 v102, v[102:103]
	s_branch .LBB110_242
.LBB110_241:
	v_mov_b32_e32 v102, 0
.LBB110_242:
	v_add_f64 v[103:104], v[30:31], v[94:95]
	v_add_f64 v[105:106], v[32:33], v[96:97]
	;; [unrolled: 1-line block ×4, first 2 shown]
	v_cvt_f32_f64_e32 v103, v[103:104]
	v_cvt_f32_f64_e32 v104, v[105:106]
	;; [unrolled: 1-line block ×4, first 2 shown]
	v_min3_f32 v103, v103, v104, v181
	v_min_f32_e32 v104, v105, v106
	v_min3_f32 v102, v102, v104, v103
	v_lshlrev_b64 v[104:105], 3, v[138:139]
	v_cvt_f64_f32_e32 v[102:103], v102
	v_add_co_u32 v104, vcc_lo, v98, v104
	v_add_co_ci_u32_e64 v105, null, v99, v105, vcc_lo
	flat_store_dwordx2 v[104:105], v[102:103]
	s_or_b32 exec_lo, exec_lo, s12
	s_and_b32 s15, s6, s8
	s_and_saveexec_b32 s12, s15
	s_cbranch_execz .LBB110_218
.LBB110_243:
	v_cmp_ne_u32_e32 vcc_lo, 1, v144
	s_cbranch_vccnz .LBB110_245
; %bb.244:
	v_lshlrev_b64 v[102:103], 3, v[140:141]
	v_add_co_u32 v102, vcc_lo, v100, v102
	v_add_co_ci_u32_e64 v103, null, v101, v103, vcc_lo
	flat_load_dwordx2 v[102:103], v[102:103]
	s_waitcnt vmcnt(0) lgkmcnt(0)
	v_mul_f64 v[102:103], s[10:11], v[102:103]
	v_cvt_f32_f64_e32 v102, v[102:103]
	s_branch .LBB110_246
.LBB110_245:
	v_mov_b32_e32 v102, 0
.LBB110_246:
	v_add_f64 v[103:104], v[22:23], v[94:95]
	v_add_f64 v[105:106], v[24:25], v[96:97]
	;; [unrolled: 1-line block ×4, first 2 shown]
	v_cvt_f32_f64_e32 v103, v[103:104]
	v_cvt_f32_f64_e32 v104, v[105:106]
	;; [unrolled: 1-line block ×4, first 2 shown]
	v_min3_f32 v103, v103, v104, v180
	v_min_f32_e32 v104, v105, v106
	v_min3_f32 v102, v102, v104, v103
	v_lshlrev_b64 v[104:105], 3, v[140:141]
	v_cvt_f64_f32_e32 v[102:103], v102
	v_add_co_u32 v104, vcc_lo, v98, v104
	v_add_co_ci_u32_e64 v105, null, v99, v105, vcc_lo
	flat_store_dwordx2 v[104:105], v[102:103]
	s_or_b32 exec_lo, exec_lo, s12
	s_and_b32 s12, s7, s8
	s_and_saveexec_b32 s8, s12
	s_cbranch_execz .LBB110_251
.LBB110_247:
	v_cmp_ne_u32_e32 vcc_lo, 1, v144
	s_cbranch_vccnz .LBB110_249
; %bb.248:
	v_lshlrev_b64 v[102:103], 3, v[142:143]
	v_add_co_u32 v100, vcc_lo, v100, v102
	v_add_co_ci_u32_e64 v101, null, v101, v103, vcc_lo
	flat_load_dwordx2 v[100:101], v[100:101]
	s_waitcnt vmcnt(0) lgkmcnt(0)
	v_mul_f64 v[100:101], s[10:11], v[100:101]
	v_cvt_f32_f64_e32 v100, v[100:101]
	s_branch .LBB110_250
.LBB110_249:
	v_mov_b32_e32 v100, 0
.LBB110_250:
	v_add_f64 v[94:95], v[6:7], v[94:95]
	v_add_f64 v[96:97], v[8:9], v[96:97]
	;; [unrolled: 1-line block ×4, first 2 shown]
	v_cvt_f32_f64_e32 v94, v[94:95]
	v_cvt_f32_f64_e32 v95, v[96:97]
	v_cvt_f32_f64_e32 v90, v[90:91]
	v_cvt_f32_f64_e32 v91, v[92:93]
	v_min3_f32 v92, v94, v95, v179
	v_min_f32_e32 v90, v90, v91
	v_min3_f32 v90, v100, v90, v92
	v_lshlrev_b64 v[92:93], 3, v[142:143]
	v_cvt_f64_f32_e32 v[90:91], v90
	v_add_co_u32 v92, vcc_lo, v98, v92
	v_add_co_ci_u32_e64 v93, null, v99, v93, vcc_lo
	flat_store_dwordx2 v[92:93], v[90:91]
.LBB110_251:
	s_or_b32 exec_lo, exec_lo, s8
	v_add_nc_u32_e32 v94, 40, v146
	v_mad_i64_i32 v[90:91], null, v94, s16, 0
	v_mad_i64_i32 v[92:93], null, v94, s14, 0
	v_cmp_gt_i32_e64 s8, s13, v94
	v_lshlrev_b64 v[90:91], 3, v[90:91]
	s_and_b32 s15, s0, s8
	v_lshlrev_b64 v[94:95], 3, v[92:93]
	v_add_co_u32 v92, vcc_lo, s18, v90
	v_add_co_ci_u32_e64 v93, null, s19, v91, vcc_lo
	v_add_co_u32 v90, vcc_lo, s17, v94
	v_add_co_ci_u32_e64 v91, null, s9, v95, vcc_lo
	s_and_saveexec_b32 s12, s15
	s_cbranch_execnz .LBB110_259
; %bb.252:
	s_or_b32 exec_lo, exec_lo, s12
	s_and_b32 s15, s1, s8
	s_and_saveexec_b32 s12, s15
	s_cbranch_execnz .LBB110_263
.LBB110_253:
	s_or_b32 exec_lo, exec_lo, s12
	s_and_b32 s15, s2, s8
	s_and_saveexec_b32 s12, s15
	s_cbranch_execnz .LBB110_267
.LBB110_254:
	s_or_b32 exec_lo, exec_lo, s12
	s_and_b32 s15, s3, s8
	s_and_saveexec_b32 s12, s15
	s_cbranch_execnz .LBB110_271
.LBB110_255:
	s_or_b32 exec_lo, exec_lo, s12
	s_and_b32 s15, s4, s8
	s_and_saveexec_b32 s12, s15
	s_cbranch_execnz .LBB110_275
.LBB110_256:
	s_or_b32 exec_lo, exec_lo, s12
	s_and_b32 s15, s5, s8
	s_and_saveexec_b32 s12, s15
	s_cbranch_execnz .LBB110_279
.LBB110_257:
	s_or_b32 exec_lo, exec_lo, s12
	s_and_b32 s15, s6, s8
	s_and_saveexec_b32 s12, s15
	s_cbranch_execnz .LBB110_283
.LBB110_258:
	s_or_b32 exec_lo, exec_lo, s12
	s_and_b32 s12, s7, s8
	s_and_saveexec_b32 s8, s12
	s_cbranch_execnz .LBB110_287
	s_branch .LBB110_291
.LBB110_259:
	v_cmp_ne_u32_e32 vcc_lo, 1, v144
	s_cbranch_vccnz .LBB110_261
; %bb.260:
	v_lshlrev_b64 v[94:95], 3, v[0:1]
	v_add_co_u32 v94, vcc_lo, v92, v94
	v_add_co_ci_u32_e64 v95, null, v93, v95, vcc_lo
	flat_load_dwordx2 v[94:95], v[94:95]
	s_waitcnt vmcnt(0) lgkmcnt(0)
	v_mul_f64 v[94:95], s[10:11], v[94:95]
	v_cvt_f32_f64_e32 v94, v[94:95]
	s_branch .LBB110_262
.LBB110_261:
	v_mov_b32_e32 v94, 0
.LBB110_262:
	v_add_f64 v[95:96], v[70:71], v[86:87]
	v_add_f64 v[97:98], v[72:73], v[88:89]
	;; [unrolled: 1-line block ×4, first 2 shown]
	v_cvt_f32_f64_e32 v95, v[95:96]
	v_cvt_f32_f64_e32 v96, v[97:98]
	;; [unrolled: 1-line block ×4, first 2 shown]
	v_min3_f32 v95, v95, v96, v178
	v_min_f32_e32 v96, v97, v98
	v_min3_f32 v94, v94, v96, v95
	v_lshlrev_b64 v[96:97], 3, v[0:1]
	v_cvt_f64_f32_e32 v[94:95], v94
	v_add_co_u32 v96, vcc_lo, v90, v96
	v_add_co_ci_u32_e64 v97, null, v91, v97, vcc_lo
	flat_store_dwordx2 v[96:97], v[94:95]
	s_or_b32 exec_lo, exec_lo, s12
	s_and_b32 s15, s1, s8
	s_and_saveexec_b32 s12, s15
	s_cbranch_execz .LBB110_253
.LBB110_263:
	v_cmp_ne_u32_e32 vcc_lo, 1, v144
	s_cbranch_vccnz .LBB110_265
; %bb.264:
	v_lshlrev_b64 v[94:95], 3, v[130:131]
	v_add_co_u32 v94, vcc_lo, v92, v94
	v_add_co_ci_u32_e64 v95, null, v93, v95, vcc_lo
	flat_load_dwordx2 v[94:95], v[94:95]
	s_waitcnt vmcnt(0) lgkmcnt(0)
	v_mul_f64 v[94:95], s[10:11], v[94:95]
	v_cvt_f32_f64_e32 v94, v[94:95]
	s_branch .LBB110_266
.LBB110_265:
	v_mov_b32_e32 v94, 0
.LBB110_266:
	v_add_f64 v[95:96], v[62:63], v[86:87]
	v_add_f64 v[97:98], v[64:65], v[88:89]
	;; [unrolled: 1-line block ×4, first 2 shown]
	v_cvt_f32_f64_e32 v95, v[95:96]
	v_cvt_f32_f64_e32 v96, v[97:98]
	;; [unrolled: 1-line block ×4, first 2 shown]
	v_min3_f32 v95, v95, v96, v177
	v_min_f32_e32 v96, v97, v98
	v_min3_f32 v94, v94, v96, v95
	v_lshlrev_b64 v[96:97], 3, v[130:131]
	v_cvt_f64_f32_e32 v[94:95], v94
	v_add_co_u32 v96, vcc_lo, v90, v96
	v_add_co_ci_u32_e64 v97, null, v91, v97, vcc_lo
	flat_store_dwordx2 v[96:97], v[94:95]
	s_or_b32 exec_lo, exec_lo, s12
	s_and_b32 s15, s2, s8
	s_and_saveexec_b32 s12, s15
	s_cbranch_execz .LBB110_254
.LBB110_267:
	v_cmp_ne_u32_e32 vcc_lo, 1, v144
	s_cbranch_vccnz .LBB110_269
; %bb.268:
	v_lshlrev_b64 v[94:95], 3, v[132:133]
	v_add_co_u32 v94, vcc_lo, v92, v94
	v_add_co_ci_u32_e64 v95, null, v93, v95, vcc_lo
	flat_load_dwordx2 v[94:95], v[94:95]
	s_waitcnt vmcnt(0) lgkmcnt(0)
	v_mul_f64 v[94:95], s[10:11], v[94:95]
	v_cvt_f32_f64_e32 v94, v[94:95]
	s_branch .LBB110_270
.LBB110_269:
	v_mov_b32_e32 v94, 0
.LBB110_270:
	v_add_f64 v[95:96], v[54:55], v[86:87]
	v_add_f64 v[97:98], v[56:57], v[88:89]
	;; [unrolled: 1-line block ×4, first 2 shown]
	v_cvt_f32_f64_e32 v95, v[95:96]
	v_cvt_f32_f64_e32 v96, v[97:98]
	;; [unrolled: 1-line block ×4, first 2 shown]
	v_min3_f32 v95, v95, v96, v176
	v_min_f32_e32 v96, v97, v98
	v_min3_f32 v94, v94, v96, v95
	v_lshlrev_b64 v[96:97], 3, v[132:133]
	v_cvt_f64_f32_e32 v[94:95], v94
	v_add_co_u32 v96, vcc_lo, v90, v96
	v_add_co_ci_u32_e64 v97, null, v91, v97, vcc_lo
	flat_store_dwordx2 v[96:97], v[94:95]
	s_or_b32 exec_lo, exec_lo, s12
	s_and_b32 s15, s3, s8
	s_and_saveexec_b32 s12, s15
	s_cbranch_execz .LBB110_255
.LBB110_271:
	v_cmp_ne_u32_e32 vcc_lo, 1, v144
	s_cbranch_vccnz .LBB110_273
; %bb.272:
	v_lshlrev_b64 v[94:95], 3, v[134:135]
	v_add_co_u32 v94, vcc_lo, v92, v94
	v_add_co_ci_u32_e64 v95, null, v93, v95, vcc_lo
	flat_load_dwordx2 v[94:95], v[94:95]
	s_waitcnt vmcnt(0) lgkmcnt(0)
	v_mul_f64 v[94:95], s[10:11], v[94:95]
	v_cvt_f32_f64_e32 v94, v[94:95]
	s_branch .LBB110_274
.LBB110_273:
	v_mov_b32_e32 v94, 0
.LBB110_274:
	v_add_f64 v[95:96], v[46:47], v[86:87]
	v_add_f64 v[97:98], v[48:49], v[88:89]
	;; [unrolled: 1-line block ×4, first 2 shown]
	v_cvt_f32_f64_e32 v95, v[95:96]
	v_cvt_f32_f64_e32 v96, v[97:98]
	;; [unrolled: 1-line block ×4, first 2 shown]
	v_min3_f32 v95, v95, v96, v169
	v_min_f32_e32 v96, v97, v98
	v_min3_f32 v94, v94, v96, v95
	v_lshlrev_b64 v[96:97], 3, v[134:135]
	v_cvt_f64_f32_e32 v[94:95], v94
	v_add_co_u32 v96, vcc_lo, v90, v96
	v_add_co_ci_u32_e64 v97, null, v91, v97, vcc_lo
	flat_store_dwordx2 v[96:97], v[94:95]
	s_or_b32 exec_lo, exec_lo, s12
	s_and_b32 s15, s4, s8
	s_and_saveexec_b32 s12, s15
	s_cbranch_execz .LBB110_256
.LBB110_275:
	v_cmp_ne_u32_e32 vcc_lo, 1, v144
	s_cbranch_vccnz .LBB110_277
; %bb.276:
	v_lshlrev_b64 v[94:95], 3, v[136:137]
	v_add_co_u32 v94, vcc_lo, v92, v94
	v_add_co_ci_u32_e64 v95, null, v93, v95, vcc_lo
	flat_load_dwordx2 v[94:95], v[94:95]
	s_waitcnt vmcnt(0) lgkmcnt(0)
	v_mul_f64 v[94:95], s[10:11], v[94:95]
	v_cvt_f32_f64_e32 v94, v[94:95]
	s_branch .LBB110_278
.LBB110_277:
	v_mov_b32_e32 v94, 0
.LBB110_278:
	v_add_f64 v[95:96], v[38:39], v[86:87]
	v_add_f64 v[97:98], v[40:41], v[88:89]
	;; [unrolled: 1-line block ×4, first 2 shown]
	v_cvt_f32_f64_e32 v95, v[95:96]
	v_cvt_f32_f64_e32 v96, v[97:98]
	;; [unrolled: 1-line block ×4, first 2 shown]
	v_min3_f32 v95, v95, v96, v168
	v_min_f32_e32 v96, v97, v98
	v_min3_f32 v94, v94, v96, v95
	v_lshlrev_b64 v[96:97], 3, v[136:137]
	v_cvt_f64_f32_e32 v[94:95], v94
	v_add_co_u32 v96, vcc_lo, v90, v96
	v_add_co_ci_u32_e64 v97, null, v91, v97, vcc_lo
	flat_store_dwordx2 v[96:97], v[94:95]
	s_or_b32 exec_lo, exec_lo, s12
	s_and_b32 s15, s5, s8
	s_and_saveexec_b32 s12, s15
	s_cbranch_execz .LBB110_257
.LBB110_279:
	v_cmp_ne_u32_e32 vcc_lo, 1, v144
	s_cbranch_vccnz .LBB110_281
; %bb.280:
	v_lshlrev_b64 v[94:95], 3, v[138:139]
	v_add_co_u32 v94, vcc_lo, v92, v94
	v_add_co_ci_u32_e64 v95, null, v93, v95, vcc_lo
	flat_load_dwordx2 v[94:95], v[94:95]
	s_waitcnt vmcnt(0) lgkmcnt(0)
	v_mul_f64 v[94:95], s[10:11], v[94:95]
	v_cvt_f32_f64_e32 v94, v[94:95]
	s_branch .LBB110_282
.LBB110_281:
	v_mov_b32_e32 v94, 0
.LBB110_282:
	v_add_f64 v[95:96], v[30:31], v[86:87]
	v_add_f64 v[97:98], v[32:33], v[88:89]
	;; [unrolled: 1-line block ×4, first 2 shown]
	v_cvt_f32_f64_e32 v95, v[95:96]
	v_cvt_f32_f64_e32 v96, v[97:98]
	;; [unrolled: 1-line block ×4, first 2 shown]
	v_min3_f32 v95, v95, v96, v167
	v_min_f32_e32 v96, v97, v98
	v_min3_f32 v94, v94, v96, v95
	v_lshlrev_b64 v[96:97], 3, v[138:139]
	v_cvt_f64_f32_e32 v[94:95], v94
	v_add_co_u32 v96, vcc_lo, v90, v96
	v_add_co_ci_u32_e64 v97, null, v91, v97, vcc_lo
	flat_store_dwordx2 v[96:97], v[94:95]
	s_or_b32 exec_lo, exec_lo, s12
	s_and_b32 s15, s6, s8
	s_and_saveexec_b32 s12, s15
	s_cbranch_execz .LBB110_258
.LBB110_283:
	v_cmp_ne_u32_e32 vcc_lo, 1, v144
	s_cbranch_vccnz .LBB110_285
; %bb.284:
	v_lshlrev_b64 v[94:95], 3, v[140:141]
	v_add_co_u32 v94, vcc_lo, v92, v94
	v_add_co_ci_u32_e64 v95, null, v93, v95, vcc_lo
	flat_load_dwordx2 v[94:95], v[94:95]
	s_waitcnt vmcnt(0) lgkmcnt(0)
	v_mul_f64 v[94:95], s[10:11], v[94:95]
	v_cvt_f32_f64_e32 v94, v[94:95]
	s_branch .LBB110_286
.LBB110_285:
	v_mov_b32_e32 v94, 0
.LBB110_286:
	v_add_f64 v[95:96], v[22:23], v[86:87]
	v_add_f64 v[97:98], v[24:25], v[88:89]
	;; [unrolled: 1-line block ×4, first 2 shown]
	v_cvt_f32_f64_e32 v95, v[95:96]
	v_cvt_f32_f64_e32 v96, v[97:98]
	;; [unrolled: 1-line block ×4, first 2 shown]
	v_min3_f32 v95, v95, v96, v166
	v_min_f32_e32 v96, v97, v98
	v_min3_f32 v94, v94, v96, v95
	v_lshlrev_b64 v[96:97], 3, v[140:141]
	v_cvt_f64_f32_e32 v[94:95], v94
	v_add_co_u32 v96, vcc_lo, v90, v96
	v_add_co_ci_u32_e64 v97, null, v91, v97, vcc_lo
	flat_store_dwordx2 v[96:97], v[94:95]
	s_or_b32 exec_lo, exec_lo, s12
	s_and_b32 s12, s7, s8
	s_and_saveexec_b32 s8, s12
	s_cbranch_execz .LBB110_291
.LBB110_287:
	v_cmp_ne_u32_e32 vcc_lo, 1, v144
	s_cbranch_vccnz .LBB110_289
; %bb.288:
	v_lshlrev_b64 v[94:95], 3, v[142:143]
	v_add_co_u32 v92, vcc_lo, v92, v94
	v_add_co_ci_u32_e64 v93, null, v93, v95, vcc_lo
	flat_load_dwordx2 v[92:93], v[92:93]
	s_waitcnt vmcnt(0) lgkmcnt(0)
	v_mul_f64 v[92:93], s[10:11], v[92:93]
	v_cvt_f32_f64_e32 v92, v[92:93]
	s_branch .LBB110_290
.LBB110_289:
	v_mov_b32_e32 v92, 0
.LBB110_290:
	v_add_f64 v[86:87], v[6:7], v[86:87]
	v_add_f64 v[88:89], v[8:9], v[88:89]
	;; [unrolled: 1-line block ×4, first 2 shown]
	v_cvt_f32_f64_e32 v86, v[86:87]
	v_cvt_f32_f64_e32 v87, v[88:89]
	;; [unrolled: 1-line block ×4, first 2 shown]
	v_min3_f32 v84, v86, v87, v165
	v_min_f32_e32 v82, v82, v83
	v_min3_f32 v82, v92, v82, v84
	v_lshlrev_b64 v[84:85], 3, v[142:143]
	v_cvt_f64_f32_e32 v[82:83], v82
	v_add_co_u32 v84, vcc_lo, v90, v84
	v_add_co_ci_u32_e64 v85, null, v91, v85, vcc_lo
	flat_store_dwordx2 v[84:85], v[82:83]
.LBB110_291:
	s_or_b32 exec_lo, exec_lo, s8
	v_add_nc_u32_e32 v86, 48, v146
	v_mad_i64_i32 v[82:83], null, v86, s16, 0
	v_mad_i64_i32 v[84:85], null, v86, s14, 0
	v_cmp_gt_i32_e64 s8, s13, v86
	v_lshlrev_b64 v[82:83], 3, v[82:83]
	s_and_b32 s15, s0, s8
	v_lshlrev_b64 v[86:87], 3, v[84:85]
	v_add_co_u32 v84, vcc_lo, s18, v82
	v_add_co_ci_u32_e64 v85, null, s19, v83, vcc_lo
	v_add_co_u32 v82, vcc_lo, s17, v86
	v_add_co_ci_u32_e64 v83, null, s9, v87, vcc_lo
	s_and_saveexec_b32 s12, s15
	s_cbranch_execnz .LBB110_299
; %bb.292:
	s_or_b32 exec_lo, exec_lo, s12
	s_and_b32 s15, s1, s8
	s_and_saveexec_b32 s12, s15
	s_cbranch_execnz .LBB110_303
.LBB110_293:
	s_or_b32 exec_lo, exec_lo, s12
	s_and_b32 s15, s2, s8
	s_and_saveexec_b32 s12, s15
	s_cbranch_execnz .LBB110_307
.LBB110_294:
	s_or_b32 exec_lo, exec_lo, s12
	s_and_b32 s15, s3, s8
	s_and_saveexec_b32 s12, s15
	s_cbranch_execnz .LBB110_311
.LBB110_295:
	s_or_b32 exec_lo, exec_lo, s12
	s_and_b32 s15, s4, s8
	s_and_saveexec_b32 s12, s15
	s_cbranch_execnz .LBB110_315
.LBB110_296:
	s_or_b32 exec_lo, exec_lo, s12
	s_and_b32 s15, s5, s8
	s_and_saveexec_b32 s12, s15
	s_cbranch_execnz .LBB110_319
.LBB110_297:
	s_or_b32 exec_lo, exec_lo, s12
	s_and_b32 s15, s6, s8
	s_and_saveexec_b32 s12, s15
	s_cbranch_execnz .LBB110_323
.LBB110_298:
	s_or_b32 exec_lo, exec_lo, s12
	s_and_b32 s12, s7, s8
	s_and_saveexec_b32 s8, s12
	s_cbranch_execnz .LBB110_327
	s_branch .LBB110_331
.LBB110_299:
	v_cmp_ne_u32_e32 vcc_lo, 1, v144
	s_cbranch_vccnz .LBB110_301
; %bb.300:
	v_lshlrev_b64 v[86:87], 3, v[0:1]
	v_add_co_u32 v86, vcc_lo, v84, v86
	v_add_co_ci_u32_e64 v87, null, v85, v87, vcc_lo
	flat_load_dwordx2 v[86:87], v[86:87]
	s_waitcnt vmcnt(0) lgkmcnt(0)
	v_mul_f64 v[86:87], s[10:11], v[86:87]
	v_cvt_f32_f64_e32 v86, v[86:87]
	s_branch .LBB110_302
.LBB110_301:
	v_mov_b32_e32 v86, 0
.LBB110_302:
	v_add_f64 v[87:88], v[70:71], v[78:79]
	v_add_f64 v[89:90], v[72:73], v[80:81]
	;; [unrolled: 1-line block ×4, first 2 shown]
	v_cvt_f32_f64_e32 v87, v[87:88]
	v_cvt_f32_f64_e32 v88, v[89:90]
	;; [unrolled: 1-line block ×4, first 2 shown]
	v_min3_f32 v87, v87, v88, v164
	v_min_f32_e32 v88, v89, v90
	v_min3_f32 v86, v86, v88, v87
	v_lshlrev_b64 v[88:89], 3, v[0:1]
	v_cvt_f64_f32_e32 v[86:87], v86
	v_add_co_u32 v88, vcc_lo, v82, v88
	v_add_co_ci_u32_e64 v89, null, v83, v89, vcc_lo
	flat_store_dwordx2 v[88:89], v[86:87]
	s_or_b32 exec_lo, exec_lo, s12
	s_and_b32 s15, s1, s8
	s_and_saveexec_b32 s12, s15
	s_cbranch_execz .LBB110_293
.LBB110_303:
	v_cmp_ne_u32_e32 vcc_lo, 1, v144
	s_cbranch_vccnz .LBB110_305
; %bb.304:
	v_lshlrev_b64 v[86:87], 3, v[130:131]
	v_add_co_u32 v86, vcc_lo, v84, v86
	v_add_co_ci_u32_e64 v87, null, v85, v87, vcc_lo
	flat_load_dwordx2 v[86:87], v[86:87]
	s_waitcnt vmcnt(0) lgkmcnt(0)
	v_mul_f64 v[86:87], s[10:11], v[86:87]
	v_cvt_f32_f64_e32 v86, v[86:87]
	s_branch .LBB110_306
.LBB110_305:
	v_mov_b32_e32 v86, 0
.LBB110_306:
	v_add_f64 v[87:88], v[62:63], v[78:79]
	v_add_f64 v[89:90], v[64:65], v[80:81]
	;; [unrolled: 1-line block ×4, first 2 shown]
	v_cvt_f32_f64_e32 v87, v[87:88]
	v_cvt_f32_f64_e32 v88, v[89:90]
	;; [unrolled: 1-line block ×4, first 2 shown]
	v_min3_f32 v87, v87, v88, v163
	v_min_f32_e32 v88, v89, v90
	v_min3_f32 v86, v86, v88, v87
	v_lshlrev_b64 v[88:89], 3, v[130:131]
	v_cvt_f64_f32_e32 v[86:87], v86
	v_add_co_u32 v88, vcc_lo, v82, v88
	v_add_co_ci_u32_e64 v89, null, v83, v89, vcc_lo
	flat_store_dwordx2 v[88:89], v[86:87]
	s_or_b32 exec_lo, exec_lo, s12
	s_and_b32 s15, s2, s8
	s_and_saveexec_b32 s12, s15
	s_cbranch_execz .LBB110_294
.LBB110_307:
	v_cmp_ne_u32_e32 vcc_lo, 1, v144
	s_cbranch_vccnz .LBB110_309
; %bb.308:
	v_lshlrev_b64 v[86:87], 3, v[132:133]
	v_add_co_u32 v86, vcc_lo, v84, v86
	v_add_co_ci_u32_e64 v87, null, v85, v87, vcc_lo
	flat_load_dwordx2 v[86:87], v[86:87]
	s_waitcnt vmcnt(0) lgkmcnt(0)
	v_mul_f64 v[86:87], s[10:11], v[86:87]
	v_cvt_f32_f64_e32 v86, v[86:87]
	s_branch .LBB110_310
.LBB110_309:
	v_mov_b32_e32 v86, 0
.LBB110_310:
	v_add_f64 v[87:88], v[54:55], v[78:79]
	v_add_f64 v[89:90], v[56:57], v[80:81]
	;; [unrolled: 1-line block ×4, first 2 shown]
	v_cvt_f32_f64_e32 v87, v[87:88]
	v_cvt_f32_f64_e32 v88, v[89:90]
	;; [unrolled: 1-line block ×4, first 2 shown]
	v_min3_f32 v87, v87, v88, v162
	v_min_f32_e32 v88, v89, v90
	v_min3_f32 v86, v86, v88, v87
	v_lshlrev_b64 v[88:89], 3, v[132:133]
	v_cvt_f64_f32_e32 v[86:87], v86
	v_add_co_u32 v88, vcc_lo, v82, v88
	v_add_co_ci_u32_e64 v89, null, v83, v89, vcc_lo
	flat_store_dwordx2 v[88:89], v[86:87]
	s_or_b32 exec_lo, exec_lo, s12
	s_and_b32 s15, s3, s8
	s_and_saveexec_b32 s12, s15
	s_cbranch_execz .LBB110_295
.LBB110_311:
	v_cmp_ne_u32_e32 vcc_lo, 1, v144
	s_cbranch_vccnz .LBB110_313
; %bb.312:
	v_lshlrev_b64 v[86:87], 3, v[134:135]
	v_add_co_u32 v86, vcc_lo, v84, v86
	v_add_co_ci_u32_e64 v87, null, v85, v87, vcc_lo
	flat_load_dwordx2 v[86:87], v[86:87]
	s_waitcnt vmcnt(0) lgkmcnt(0)
	v_mul_f64 v[86:87], s[10:11], v[86:87]
	v_cvt_f32_f64_e32 v86, v[86:87]
	s_branch .LBB110_314
.LBB110_313:
	v_mov_b32_e32 v86, 0
.LBB110_314:
	v_add_f64 v[87:88], v[46:47], v[78:79]
	v_add_f64 v[89:90], v[48:49], v[80:81]
	;; [unrolled: 1-line block ×4, first 2 shown]
	v_cvt_f32_f64_e32 v87, v[87:88]
	v_cvt_f32_f64_e32 v88, v[89:90]
	;; [unrolled: 1-line block ×4, first 2 shown]
	v_min3_f32 v87, v87, v88, v161
	v_min_f32_e32 v88, v89, v90
	v_min3_f32 v86, v86, v88, v87
	v_lshlrev_b64 v[88:89], 3, v[134:135]
	v_cvt_f64_f32_e32 v[86:87], v86
	v_add_co_u32 v88, vcc_lo, v82, v88
	v_add_co_ci_u32_e64 v89, null, v83, v89, vcc_lo
	flat_store_dwordx2 v[88:89], v[86:87]
	s_or_b32 exec_lo, exec_lo, s12
	s_and_b32 s15, s4, s8
	s_and_saveexec_b32 s12, s15
	s_cbranch_execz .LBB110_296
.LBB110_315:
	v_cmp_ne_u32_e32 vcc_lo, 1, v144
	s_cbranch_vccnz .LBB110_317
; %bb.316:
	v_lshlrev_b64 v[86:87], 3, v[136:137]
	v_add_co_u32 v86, vcc_lo, v84, v86
	v_add_co_ci_u32_e64 v87, null, v85, v87, vcc_lo
	flat_load_dwordx2 v[86:87], v[86:87]
	s_waitcnt vmcnt(0) lgkmcnt(0)
	v_mul_f64 v[86:87], s[10:11], v[86:87]
	v_cvt_f32_f64_e32 v86, v[86:87]
	s_branch .LBB110_318
.LBB110_317:
	v_mov_b32_e32 v86, 0
.LBB110_318:
	v_add_f64 v[87:88], v[38:39], v[78:79]
	v_add_f64 v[89:90], v[40:41], v[80:81]
	;; [unrolled: 1-line block ×4, first 2 shown]
	v_cvt_f32_f64_e32 v87, v[87:88]
	v_cvt_f32_f64_e32 v88, v[89:90]
	;; [unrolled: 1-line block ×4, first 2 shown]
	v_min3_f32 v87, v87, v88, v160
	v_min_f32_e32 v88, v89, v90
	v_min3_f32 v86, v86, v88, v87
	v_lshlrev_b64 v[88:89], 3, v[136:137]
	v_cvt_f64_f32_e32 v[86:87], v86
	v_add_co_u32 v88, vcc_lo, v82, v88
	v_add_co_ci_u32_e64 v89, null, v83, v89, vcc_lo
	flat_store_dwordx2 v[88:89], v[86:87]
	s_or_b32 exec_lo, exec_lo, s12
	s_and_b32 s15, s5, s8
	s_and_saveexec_b32 s12, s15
	s_cbranch_execz .LBB110_297
.LBB110_319:
	v_cmp_ne_u32_e32 vcc_lo, 1, v144
	s_cbranch_vccnz .LBB110_321
; %bb.320:
	v_lshlrev_b64 v[86:87], 3, v[138:139]
	v_add_co_u32 v86, vcc_lo, v84, v86
	v_add_co_ci_u32_e64 v87, null, v85, v87, vcc_lo
	flat_load_dwordx2 v[86:87], v[86:87]
	s_waitcnt vmcnt(0) lgkmcnt(0)
	v_mul_f64 v[86:87], s[10:11], v[86:87]
	v_cvt_f32_f64_e32 v86, v[86:87]
	s_branch .LBB110_322
.LBB110_321:
	v_mov_b32_e32 v86, 0
.LBB110_322:
	v_add_f64 v[87:88], v[30:31], v[78:79]
	v_add_f64 v[89:90], v[32:33], v[80:81]
	;; [unrolled: 1-line block ×4, first 2 shown]
	v_cvt_f32_f64_e32 v87, v[87:88]
	v_cvt_f32_f64_e32 v88, v[89:90]
	v_cvt_f32_f64_e32 v89, v[91:92]
	v_cvt_f32_f64_e32 v90, v[93:94]
	v_min3_f32 v87, v87, v88, v159
	v_min_f32_e32 v88, v89, v90
	v_min3_f32 v86, v86, v88, v87
	v_lshlrev_b64 v[88:89], 3, v[138:139]
	v_cvt_f64_f32_e32 v[86:87], v86
	v_add_co_u32 v88, vcc_lo, v82, v88
	v_add_co_ci_u32_e64 v89, null, v83, v89, vcc_lo
	flat_store_dwordx2 v[88:89], v[86:87]
	s_or_b32 exec_lo, exec_lo, s12
	s_and_b32 s15, s6, s8
	s_and_saveexec_b32 s12, s15
	s_cbranch_execz .LBB110_298
.LBB110_323:
	v_cmp_ne_u32_e32 vcc_lo, 1, v144
	s_cbranch_vccnz .LBB110_325
; %bb.324:
	v_lshlrev_b64 v[86:87], 3, v[140:141]
	v_add_co_u32 v86, vcc_lo, v84, v86
	v_add_co_ci_u32_e64 v87, null, v85, v87, vcc_lo
	flat_load_dwordx2 v[86:87], v[86:87]
	s_waitcnt vmcnt(0) lgkmcnt(0)
	v_mul_f64 v[86:87], s[10:11], v[86:87]
	v_cvt_f32_f64_e32 v86, v[86:87]
	s_branch .LBB110_326
.LBB110_325:
	v_mov_b32_e32 v86, 0
.LBB110_326:
	v_add_f64 v[87:88], v[22:23], v[78:79]
	v_add_f64 v[89:90], v[24:25], v[80:81]
	;; [unrolled: 1-line block ×4, first 2 shown]
	v_cvt_f32_f64_e32 v87, v[87:88]
	v_cvt_f32_f64_e32 v88, v[89:90]
	;; [unrolled: 1-line block ×4, first 2 shown]
	v_min3_f32 v87, v87, v88, v158
	v_min_f32_e32 v88, v89, v90
	v_min3_f32 v86, v86, v88, v87
	v_lshlrev_b64 v[88:89], 3, v[140:141]
	v_cvt_f64_f32_e32 v[86:87], v86
	v_add_co_u32 v88, vcc_lo, v82, v88
	v_add_co_ci_u32_e64 v89, null, v83, v89, vcc_lo
	flat_store_dwordx2 v[88:89], v[86:87]
	s_or_b32 exec_lo, exec_lo, s12
	s_and_b32 s12, s7, s8
	s_and_saveexec_b32 s8, s12
	s_cbranch_execz .LBB110_331
.LBB110_327:
	v_cmp_ne_u32_e32 vcc_lo, 1, v144
	s_cbranch_vccnz .LBB110_329
; %bb.328:
	v_lshlrev_b64 v[86:87], 3, v[142:143]
	v_add_co_u32 v84, vcc_lo, v84, v86
	v_add_co_ci_u32_e64 v85, null, v85, v87, vcc_lo
	flat_load_dwordx2 v[84:85], v[84:85]
	s_waitcnt vmcnt(0) lgkmcnt(0)
	v_mul_f64 v[84:85], s[10:11], v[84:85]
	v_cvt_f32_f64_e32 v84, v[84:85]
	s_branch .LBB110_330
.LBB110_329:
	v_mov_b32_e32 v84, 0
.LBB110_330:
	v_add_f64 v[78:79], v[6:7], v[78:79]
	v_add_f64 v[80:81], v[8:9], v[80:81]
	;; [unrolled: 1-line block ×4, first 2 shown]
	v_cvt_f32_f64_e32 v78, v[78:79]
	v_cvt_f32_f64_e32 v79, v[80:81]
	;; [unrolled: 1-line block ×4, first 2 shown]
	v_min3_f32 v76, v78, v79, v157
	v_min_f32_e32 v74, v74, v75
	v_min3_f32 v74, v84, v74, v76
	v_lshlrev_b64 v[76:77], 3, v[142:143]
	v_cvt_f64_f32_e32 v[74:75], v74
	v_add_co_u32 v76, vcc_lo, v82, v76
	v_add_co_ci_u32_e64 v77, null, v83, v77, vcc_lo
	flat_store_dwordx2 v[76:77], v[74:75]
.LBB110_331:
	s_or_b32 exec_lo, exec_lo, s8
	v_add_nc_u32_e32 v78, 56, v146
	v_mad_i64_i32 v[74:75], null, v78, s16, 0
	v_mad_i64_i32 v[76:77], null, v78, s14, 0
	v_cmp_gt_i32_e64 s8, s13, v78
	v_lshlrev_b64 v[74:75], 3, v[74:75]
	v_lshlrev_b64 v[78:79], 3, v[76:77]
	v_add_co_u32 v76, vcc_lo, s18, v74
	v_add_co_ci_u32_e64 v77, null, s19, v75, vcc_lo
	v_add_co_u32 v74, vcc_lo, s17, v78
	v_add_co_ci_u32_e64 v75, null, s9, v79, vcc_lo
	s_and_b32 s9, s0, s8
	s_and_saveexec_b32 s0, s9
	s_cbranch_execnz .LBB110_340
; %bb.332:
	s_or_b32 exec_lo, exec_lo, s0
	s_and_b32 s1, s1, s8
	s_and_saveexec_b32 s0, s1
	s_cbranch_execnz .LBB110_344
.LBB110_333:
	s_or_b32 exec_lo, exec_lo, s0
	s_and_b32 s1, s2, s8
	s_and_saveexec_b32 s0, s1
	s_cbranch_execnz .LBB110_348
.LBB110_334:
	s_or_b32 exec_lo, exec_lo, s0
	s_and_b32 s1, s3, s8
	s_and_saveexec_b32 s0, s1
	s_cbranch_execnz .LBB110_352
.LBB110_335:
	s_or_b32 exec_lo, exec_lo, s0
	s_and_b32 s1, s4, s8
	s_and_saveexec_b32 s0, s1
	s_cbranch_execnz .LBB110_356
.LBB110_336:
	s_or_b32 exec_lo, exec_lo, s0
	s_and_b32 s1, s5, s8
	s_and_saveexec_b32 s0, s1
	s_cbranch_execnz .LBB110_360
.LBB110_337:
	s_or_b32 exec_lo, exec_lo, s0
	s_and_b32 s1, s6, s8
	s_and_saveexec_b32 s0, s1
	s_cbranch_execnz .LBB110_364
.LBB110_338:
	s_or_b32 exec_lo, exec_lo, s0
	s_and_b32 s0, s7, s8
	s_and_saveexec_b32 s1, s0
	s_cbranch_execnz .LBB110_368
.LBB110_339:
	s_endpgm
.LBB110_340:
	v_cmp_ne_u32_e32 vcc_lo, 1, v144
	v_lshlrev_b64 v[0:1], 3, v[0:1]
	s_cbranch_vccnz .LBB110_342
; %bb.341:
	v_add_co_u32 v78, vcc_lo, v76, v0
	v_add_co_ci_u32_e64 v79, null, v77, v1, vcc_lo
	flat_load_dwordx2 v[78:79], v[78:79]
	s_waitcnt vmcnt(0) lgkmcnt(0)
	v_mul_f64 v[78:79], s[10:11], v[78:79]
	v_cvt_f32_f64_e32 v78, v[78:79]
	s_branch .LBB110_343
.LBB110_342:
	v_mov_b32_e32 v78, 0
.LBB110_343:
	v_add_f64 v[70:71], v[70:71], v[14:15]
	v_add_f64 v[72:73], v[72:73], v[16:17]
	;; [unrolled: 1-line block ×4, first 2 shown]
	v_add_co_u32 v0, vcc_lo, v74, v0
	v_add_co_ci_u32_e64 v1, null, v75, v1, vcc_lo
	v_cvt_f32_f64_e32 v70, v[70:71]
	v_cvt_f32_f64_e32 v71, v[72:73]
	;; [unrolled: 1-line block ×4, first 2 shown]
	v_min3_f32 v68, v70, v71, v156
	v_min_f32_e32 v66, v66, v67
	v_min3_f32 v66, v78, v66, v68
	v_cvt_f64_f32_e32 v[66:67], v66
	flat_store_dwordx2 v[0:1], v[66:67]
	s_or_b32 exec_lo, exec_lo, s0
	s_and_b32 s1, s1, s8
	s_and_saveexec_b32 s0, s1
	s_cbranch_execz .LBB110_333
.LBB110_344:
	v_cmp_ne_u32_e32 vcc_lo, 1, v144
	v_lshlrev_b64 v[0:1], 3, v[130:131]
	s_cbranch_vccnz .LBB110_346
; %bb.345:
	v_add_co_u32 v66, vcc_lo, v76, v0
	v_add_co_ci_u32_e64 v67, null, v77, v1, vcc_lo
	flat_load_dwordx2 v[66:67], v[66:67]
	s_waitcnt vmcnt(0) lgkmcnt(0)
	v_mul_f64 v[66:67], s[10:11], v[66:67]
	v_cvt_f32_f64_e32 v66, v[66:67]
	s_branch .LBB110_347
.LBB110_346:
	v_mov_b32_e32 v66, 0
.LBB110_347:
	v_add_f64 v[62:63], v[62:63], v[14:15]
	v_add_f64 v[64:65], v[64:65], v[16:17]
	;; [unrolled: 1-line block ×4, first 2 shown]
	v_add_co_u32 v0, vcc_lo, v74, v0
	v_add_co_ci_u32_e64 v1, null, v75, v1, vcc_lo
	v_cvt_f32_f64_e32 v62, v[62:63]
	v_cvt_f32_f64_e32 v63, v[64:65]
	;; [unrolled: 1-line block ×4, first 2 shown]
	v_min3_f32 v60, v62, v63, v155
	v_min_f32_e32 v58, v58, v59
	v_min3_f32 v58, v66, v58, v60
	v_cvt_f64_f32_e32 v[58:59], v58
	flat_store_dwordx2 v[0:1], v[58:59]
	s_or_b32 exec_lo, exec_lo, s0
	s_and_b32 s1, s2, s8
	s_and_saveexec_b32 s0, s1
	s_cbranch_execz .LBB110_334
.LBB110_348:
	v_cmp_ne_u32_e32 vcc_lo, 1, v144
	v_lshlrev_b64 v[0:1], 3, v[132:133]
	s_cbranch_vccnz .LBB110_350
; %bb.349:
	v_add_co_u32 v58, vcc_lo, v76, v0
	v_add_co_ci_u32_e64 v59, null, v77, v1, vcc_lo
	flat_load_dwordx2 v[58:59], v[58:59]
	s_waitcnt vmcnt(0) lgkmcnt(0)
	v_mul_f64 v[58:59], s[10:11], v[58:59]
	v_cvt_f32_f64_e32 v58, v[58:59]
	s_branch .LBB110_351
.LBB110_350:
	v_mov_b32_e32 v58, 0
.LBB110_351:
	v_add_f64 v[54:55], v[54:55], v[14:15]
	v_add_f64 v[56:57], v[56:57], v[16:17]
	;; [unrolled: 1-line block ×4, first 2 shown]
	v_add_co_u32 v0, vcc_lo, v74, v0
	v_add_co_ci_u32_e64 v1, null, v75, v1, vcc_lo
	v_cvt_f32_f64_e32 v54, v[54:55]
	v_cvt_f32_f64_e32 v55, v[56:57]
	;; [unrolled: 1-line block ×4, first 2 shown]
	v_min3_f32 v52, v54, v55, v154
	v_min_f32_e32 v50, v50, v51
	v_min3_f32 v50, v58, v50, v52
	v_cvt_f64_f32_e32 v[50:51], v50
	flat_store_dwordx2 v[0:1], v[50:51]
	s_or_b32 exec_lo, exec_lo, s0
	s_and_b32 s1, s3, s8
	s_and_saveexec_b32 s0, s1
	s_cbranch_execz .LBB110_335
.LBB110_352:
	v_cmp_ne_u32_e32 vcc_lo, 1, v144
	v_lshlrev_b64 v[0:1], 3, v[134:135]
	s_cbranch_vccnz .LBB110_354
; %bb.353:
	v_add_co_u32 v50, vcc_lo, v76, v0
	v_add_co_ci_u32_e64 v51, null, v77, v1, vcc_lo
	flat_load_dwordx2 v[50:51], v[50:51]
	s_waitcnt vmcnt(0) lgkmcnt(0)
	v_mul_f64 v[50:51], s[10:11], v[50:51]
	v_cvt_f32_f64_e32 v50, v[50:51]
	s_branch .LBB110_355
.LBB110_354:
	v_mov_b32_e32 v50, 0
.LBB110_355:
	v_add_f64 v[46:47], v[46:47], v[14:15]
	v_add_f64 v[48:49], v[48:49], v[16:17]
	v_add_f64 v[42:43], v[42:43], v[10:11]
	v_add_f64 v[44:45], v[44:45], v[12:13]
	v_add_co_u32 v0, vcc_lo, v74, v0
	v_add_co_ci_u32_e64 v1, null, v75, v1, vcc_lo
	v_cvt_f32_f64_e32 v46, v[46:47]
	v_cvt_f32_f64_e32 v47, v[48:49]
	;; [unrolled: 1-line block ×4, first 2 shown]
	v_min3_f32 v44, v46, v47, v153
	v_min_f32_e32 v42, v42, v43
	v_min3_f32 v42, v50, v42, v44
	v_cvt_f64_f32_e32 v[42:43], v42
	flat_store_dwordx2 v[0:1], v[42:43]
	s_or_b32 exec_lo, exec_lo, s0
	s_and_b32 s1, s4, s8
	s_and_saveexec_b32 s0, s1
	s_cbranch_execz .LBB110_336
.LBB110_356:
	v_cmp_ne_u32_e32 vcc_lo, 1, v144
	v_lshlrev_b64 v[0:1], 3, v[136:137]
	s_cbranch_vccnz .LBB110_358
; %bb.357:
	v_add_co_u32 v42, vcc_lo, v76, v0
	v_add_co_ci_u32_e64 v43, null, v77, v1, vcc_lo
	flat_load_dwordx2 v[42:43], v[42:43]
	s_waitcnt vmcnt(0) lgkmcnt(0)
	v_mul_f64 v[42:43], s[10:11], v[42:43]
	v_cvt_f32_f64_e32 v42, v[42:43]
	s_branch .LBB110_359
.LBB110_358:
	v_mov_b32_e32 v42, 0
.LBB110_359:
	v_add_f64 v[38:39], v[38:39], v[14:15]
	v_add_f64 v[40:41], v[40:41], v[16:17]
	;; [unrolled: 1-line block ×4, first 2 shown]
	v_add_co_u32 v0, vcc_lo, v74, v0
	v_add_co_ci_u32_e64 v1, null, v75, v1, vcc_lo
	v_cvt_f32_f64_e32 v38, v[38:39]
	v_cvt_f32_f64_e32 v39, v[40:41]
	;; [unrolled: 1-line block ×4, first 2 shown]
	v_min3_f32 v36, v38, v39, v152
	v_min_f32_e32 v34, v34, v35
	v_min3_f32 v34, v42, v34, v36
	v_cvt_f64_f32_e32 v[34:35], v34
	flat_store_dwordx2 v[0:1], v[34:35]
	s_or_b32 exec_lo, exec_lo, s0
	s_and_b32 s1, s5, s8
	s_and_saveexec_b32 s0, s1
	s_cbranch_execz .LBB110_337
.LBB110_360:
	v_cmp_ne_u32_e32 vcc_lo, 1, v144
	v_lshlrev_b64 v[0:1], 3, v[138:139]
	s_cbranch_vccnz .LBB110_362
; %bb.361:
	v_add_co_u32 v34, vcc_lo, v76, v0
	v_add_co_ci_u32_e64 v35, null, v77, v1, vcc_lo
	flat_load_dwordx2 v[34:35], v[34:35]
	s_waitcnt vmcnt(0) lgkmcnt(0)
	v_mul_f64 v[34:35], s[10:11], v[34:35]
	v_cvt_f32_f64_e32 v34, v[34:35]
	s_branch .LBB110_363
.LBB110_362:
	v_mov_b32_e32 v34, 0
.LBB110_363:
	v_add_f64 v[30:31], v[30:31], v[14:15]
	v_add_f64 v[32:33], v[32:33], v[16:17]
	v_add_f64 v[26:27], v[26:27], v[10:11]
	v_add_f64 v[28:29], v[28:29], v[12:13]
	v_add_co_u32 v0, vcc_lo, v74, v0
	v_add_co_ci_u32_e64 v1, null, v75, v1, vcc_lo
	v_cvt_f32_f64_e32 v30, v[30:31]
	v_cvt_f32_f64_e32 v31, v[32:33]
	;; [unrolled: 1-line block ×4, first 2 shown]
	v_min3_f32 v28, v30, v31, v151
	v_min_f32_e32 v26, v26, v27
	v_min3_f32 v26, v34, v26, v28
	v_cvt_f64_f32_e32 v[26:27], v26
	flat_store_dwordx2 v[0:1], v[26:27]
	s_or_b32 exec_lo, exec_lo, s0
	s_and_b32 s1, s6, s8
	s_and_saveexec_b32 s0, s1
	s_cbranch_execz .LBB110_338
.LBB110_364:
	v_cmp_ne_u32_e32 vcc_lo, 1, v144
	v_lshlrev_b64 v[0:1], 3, v[140:141]
	s_cbranch_vccnz .LBB110_366
; %bb.365:
	v_add_co_u32 v26, vcc_lo, v76, v0
	v_add_co_ci_u32_e64 v27, null, v77, v1, vcc_lo
	flat_load_dwordx2 v[26:27], v[26:27]
	s_waitcnt vmcnt(0) lgkmcnt(0)
	v_mul_f64 v[26:27], s[10:11], v[26:27]
	v_cvt_f32_f64_e32 v26, v[26:27]
	s_branch .LBB110_367
.LBB110_366:
	v_mov_b32_e32 v26, 0
.LBB110_367:
	v_add_f64 v[22:23], v[22:23], v[14:15]
	v_add_f64 v[24:25], v[24:25], v[16:17]
	;; [unrolled: 1-line block ×4, first 2 shown]
	v_add_co_u32 v0, vcc_lo, v74, v0
	v_add_co_ci_u32_e64 v1, null, v75, v1, vcc_lo
	v_cvt_f32_f64_e32 v22, v[22:23]
	v_cvt_f32_f64_e32 v23, v[24:25]
	v_cvt_f32_f64_e32 v18, v[18:19]
	v_cvt_f32_f64_e32 v19, v[20:21]
	v_min3_f32 v20, v22, v23, v150
	v_min_f32_e32 v18, v18, v19
	v_min3_f32 v18, v26, v18, v20
	v_cvt_f64_f32_e32 v[18:19], v18
	flat_store_dwordx2 v[0:1], v[18:19]
	s_or_b32 exec_lo, exec_lo, s0
	s_and_b32 s0, s7, s8
	s_and_saveexec_b32 s1, s0
	s_cbranch_execz .LBB110_339
.LBB110_368:
	v_cmp_ne_u32_e32 vcc_lo, 1, v144
	v_lshlrev_b64 v[0:1], 3, v[142:143]
	s_cbranch_vccnz .LBB110_370
; %bb.369:
	v_add_co_u32 v18, vcc_lo, v76, v0
	v_add_co_ci_u32_e64 v19, null, v77, v1, vcc_lo
	flat_load_dwordx2 v[18:19], v[18:19]
	s_waitcnt vmcnt(0) lgkmcnt(0)
	v_mul_f64 v[18:19], s[10:11], v[18:19]
	v_cvt_f32_f64_e32 v18, v[18:19]
	s_branch .LBB110_371
.LBB110_370:
	v_mov_b32_e32 v18, 0
.LBB110_371:
	v_add_f64 v[6:7], v[6:7], v[14:15]
	v_add_f64 v[8:9], v[8:9], v[16:17]
	;; [unrolled: 1-line block ×4, first 2 shown]
	v_add_co_u32 v0, vcc_lo, v74, v0
	v_add_co_ci_u32_e64 v1, null, v75, v1, vcc_lo
	v_cvt_f32_f64_e32 v6, v[6:7]
	v_cvt_f32_f64_e32 v7, v[8:9]
	;; [unrolled: 1-line block ×4, first 2 shown]
	v_min3_f32 v4, v6, v7, v149
	v_min_f32_e32 v2, v2, v3
	v_min3_f32 v2, v18, v2, v4
	v_cvt_f64_f32_e32 v[2:3], v2
	flat_store_dwordx2 v[0:1], v[2:3]
	s_endpgm
	.section	.rodata,"a",@progbits
	.p2align	6, 0x0
	.amdhsa_kernel _ZN12_GLOBAL__N_120geam_min_plus_kernelId15HIP_vector_typeIdLj2EEdLi32ELi8ELi256ELi64ELi4ELi64ELi4ELi4ELi64ELc78ELc78ELb0ELb1ELb1EdKPKdKPdEEviiiT16_PT17_ilSA_ilS8_SA_ilPT18_ili26rocblas_geam_ex_operation_
		.amdhsa_group_segment_fixed_size 20480
		.amdhsa_private_segment_fixed_size 0
		.amdhsa_kernarg_size 136
		.amdhsa_user_sgpr_count 6
		.amdhsa_user_sgpr_private_segment_buffer 1
		.amdhsa_user_sgpr_dispatch_ptr 0
		.amdhsa_user_sgpr_queue_ptr 0
		.amdhsa_user_sgpr_kernarg_segment_ptr 1
		.amdhsa_user_sgpr_dispatch_id 0
		.amdhsa_user_sgpr_flat_scratch_init 0
		.amdhsa_user_sgpr_private_segment_size 0
		.amdhsa_wavefront_size32 1
		.amdhsa_uses_dynamic_stack 0
		.amdhsa_system_sgpr_private_segment_wavefront_offset 0
		.amdhsa_system_sgpr_workgroup_id_x 1
		.amdhsa_system_sgpr_workgroup_id_y 0
		.amdhsa_system_sgpr_workgroup_id_z 1
		.amdhsa_system_sgpr_workgroup_info 0
		.amdhsa_system_vgpr_workitem_id 1
		.amdhsa_next_free_vgpr 223
		.amdhsa_next_free_sgpr 31
		.amdhsa_reserve_vcc 1
		.amdhsa_reserve_flat_scratch 0
		.amdhsa_float_round_mode_32 0
		.amdhsa_float_round_mode_16_64 0
		.amdhsa_float_denorm_mode_32 3
		.amdhsa_float_denorm_mode_16_64 3
		.amdhsa_dx10_clamp 1
		.amdhsa_ieee_mode 1
		.amdhsa_fp16_overflow 0
		.amdhsa_workgroup_processor_mode 1
		.amdhsa_memory_ordered 1
		.amdhsa_forward_progress 1
		.amdhsa_shared_vgpr_count 0
		.amdhsa_exception_fp_ieee_invalid_op 0
		.amdhsa_exception_fp_denorm_src 0
		.amdhsa_exception_fp_ieee_div_zero 0
		.amdhsa_exception_fp_ieee_overflow 0
		.amdhsa_exception_fp_ieee_underflow 0
		.amdhsa_exception_fp_ieee_inexact 0
		.amdhsa_exception_int_div_zero 0
	.end_amdhsa_kernel
	.section	.text._ZN12_GLOBAL__N_120geam_min_plus_kernelId15HIP_vector_typeIdLj2EEdLi32ELi8ELi256ELi64ELi4ELi64ELi4ELi4ELi64ELc78ELc78ELb0ELb1ELb1EdKPKdKPdEEviiiT16_PT17_ilSA_ilS8_SA_ilPT18_ili26rocblas_geam_ex_operation_,"axG",@progbits,_ZN12_GLOBAL__N_120geam_min_plus_kernelId15HIP_vector_typeIdLj2EEdLi32ELi8ELi256ELi64ELi4ELi64ELi4ELi4ELi64ELc78ELc78ELb0ELb1ELb1EdKPKdKPdEEviiiT16_PT17_ilSA_ilS8_SA_ilPT18_ili26rocblas_geam_ex_operation_,comdat
.Lfunc_end110:
	.size	_ZN12_GLOBAL__N_120geam_min_plus_kernelId15HIP_vector_typeIdLj2EEdLi32ELi8ELi256ELi64ELi4ELi64ELi4ELi4ELi64ELc78ELc78ELb0ELb1ELb1EdKPKdKPdEEviiiT16_PT17_ilSA_ilS8_SA_ilPT18_ili26rocblas_geam_ex_operation_, .Lfunc_end110-_ZN12_GLOBAL__N_120geam_min_plus_kernelId15HIP_vector_typeIdLj2EEdLi32ELi8ELi256ELi64ELi4ELi64ELi4ELi4ELi64ELc78ELc78ELb0ELb1ELb1EdKPKdKPdEEviiiT16_PT17_ilSA_ilS8_SA_ilPT18_ili26rocblas_geam_ex_operation_
                                        ; -- End function
	.set _ZN12_GLOBAL__N_120geam_min_plus_kernelId15HIP_vector_typeIdLj2EEdLi32ELi8ELi256ELi64ELi4ELi64ELi4ELi4ELi64ELc78ELc78ELb0ELb1ELb1EdKPKdKPdEEviiiT16_PT17_ilSA_ilS8_SA_ilPT18_ili26rocblas_geam_ex_operation_.num_vgpr, 223
	.set _ZN12_GLOBAL__N_120geam_min_plus_kernelId15HIP_vector_typeIdLj2EEdLi32ELi8ELi256ELi64ELi4ELi64ELi4ELi4ELi64ELc78ELc78ELb0ELb1ELb1EdKPKdKPdEEviiiT16_PT17_ilSA_ilS8_SA_ilPT18_ili26rocblas_geam_ex_operation_.num_agpr, 0
	.set _ZN12_GLOBAL__N_120geam_min_plus_kernelId15HIP_vector_typeIdLj2EEdLi32ELi8ELi256ELi64ELi4ELi64ELi4ELi4ELi64ELc78ELc78ELb0ELb1ELb1EdKPKdKPdEEviiiT16_PT17_ilSA_ilS8_SA_ilPT18_ili26rocblas_geam_ex_operation_.numbered_sgpr, 31
	.set _ZN12_GLOBAL__N_120geam_min_plus_kernelId15HIP_vector_typeIdLj2EEdLi32ELi8ELi256ELi64ELi4ELi64ELi4ELi4ELi64ELc78ELc78ELb0ELb1ELb1EdKPKdKPdEEviiiT16_PT17_ilSA_ilS8_SA_ilPT18_ili26rocblas_geam_ex_operation_.num_named_barrier, 0
	.set _ZN12_GLOBAL__N_120geam_min_plus_kernelId15HIP_vector_typeIdLj2EEdLi32ELi8ELi256ELi64ELi4ELi64ELi4ELi4ELi64ELc78ELc78ELb0ELb1ELb1EdKPKdKPdEEviiiT16_PT17_ilSA_ilS8_SA_ilPT18_ili26rocblas_geam_ex_operation_.private_seg_size, 0
	.set _ZN12_GLOBAL__N_120geam_min_plus_kernelId15HIP_vector_typeIdLj2EEdLi32ELi8ELi256ELi64ELi4ELi64ELi4ELi4ELi64ELc78ELc78ELb0ELb1ELb1EdKPKdKPdEEviiiT16_PT17_ilSA_ilS8_SA_ilPT18_ili26rocblas_geam_ex_operation_.uses_vcc, 1
	.set _ZN12_GLOBAL__N_120geam_min_plus_kernelId15HIP_vector_typeIdLj2EEdLi32ELi8ELi256ELi64ELi4ELi64ELi4ELi4ELi64ELc78ELc78ELb0ELb1ELb1EdKPKdKPdEEviiiT16_PT17_ilSA_ilS8_SA_ilPT18_ili26rocblas_geam_ex_operation_.uses_flat_scratch, 0
	.set _ZN12_GLOBAL__N_120geam_min_plus_kernelId15HIP_vector_typeIdLj2EEdLi32ELi8ELi256ELi64ELi4ELi64ELi4ELi4ELi64ELc78ELc78ELb0ELb1ELb1EdKPKdKPdEEviiiT16_PT17_ilSA_ilS8_SA_ilPT18_ili26rocblas_geam_ex_operation_.has_dyn_sized_stack, 0
	.set _ZN12_GLOBAL__N_120geam_min_plus_kernelId15HIP_vector_typeIdLj2EEdLi32ELi8ELi256ELi64ELi4ELi64ELi4ELi4ELi64ELc78ELc78ELb0ELb1ELb1EdKPKdKPdEEviiiT16_PT17_ilSA_ilS8_SA_ilPT18_ili26rocblas_geam_ex_operation_.has_recursion, 0
	.set _ZN12_GLOBAL__N_120geam_min_plus_kernelId15HIP_vector_typeIdLj2EEdLi32ELi8ELi256ELi64ELi4ELi64ELi4ELi4ELi64ELc78ELc78ELb0ELb1ELb1EdKPKdKPdEEviiiT16_PT17_ilSA_ilS8_SA_ilPT18_ili26rocblas_geam_ex_operation_.has_indirect_call, 0
	.section	.AMDGPU.csdata,"",@progbits
; Kernel info:
; codeLenInByte = 29740
; TotalNumSgprs: 33
; NumVgprs: 223
; ScratchSize: 0
; MemoryBound: 1
; FloatMode: 240
; IeeeMode: 1
; LDSByteSize: 20480 bytes/workgroup (compile time only)
; SGPRBlocks: 0
; VGPRBlocks: 27
; NumSGPRsForWavesPerEU: 33
; NumVGPRsForWavesPerEU: 223
; Occupancy: 4
; WaveLimiterHint : 1
; COMPUTE_PGM_RSRC2:SCRATCH_EN: 0
; COMPUTE_PGM_RSRC2:USER_SGPR: 6
; COMPUTE_PGM_RSRC2:TRAP_HANDLER: 0
; COMPUTE_PGM_RSRC2:TGID_X_EN: 1
; COMPUTE_PGM_RSRC2:TGID_Y_EN: 0
; COMPUTE_PGM_RSRC2:TGID_Z_EN: 1
; COMPUTE_PGM_RSRC2:TIDIG_COMP_CNT: 1
	.section	.text._ZN12_GLOBAL__N_120geam_min_plus_kernelId15HIP_vector_typeIdLj2EEdLi32ELi8ELi128ELi128ELi4ELi4ELi64ELi4ELi64ELc84ELc78ELb0ELb0ELb1EPKdKS4_KPdEEviiiT16_PT17_ilSA_ilS8_SA_ilPT18_ili26rocblas_geam_ex_operation_,"axG",@progbits,_ZN12_GLOBAL__N_120geam_min_plus_kernelId15HIP_vector_typeIdLj2EEdLi32ELi8ELi128ELi128ELi4ELi4ELi64ELi4ELi64ELc84ELc78ELb0ELb0ELb1EPKdKS4_KPdEEviiiT16_PT17_ilSA_ilS8_SA_ilPT18_ili26rocblas_geam_ex_operation_,comdat
	.globl	_ZN12_GLOBAL__N_120geam_min_plus_kernelId15HIP_vector_typeIdLj2EEdLi32ELi8ELi128ELi128ELi4ELi4ELi64ELi4ELi64ELc84ELc78ELb0ELb0ELb1EPKdKS4_KPdEEviiiT16_PT17_ilSA_ilS8_SA_ilPT18_ili26rocblas_geam_ex_operation_ ; -- Begin function _ZN12_GLOBAL__N_120geam_min_plus_kernelId15HIP_vector_typeIdLj2EEdLi32ELi8ELi128ELi128ELi4ELi4ELi64ELi4ELi64ELc84ELc78ELb0ELb0ELb1EPKdKS4_KPdEEviiiT16_PT17_ilSA_ilS8_SA_ilPT18_ili26rocblas_geam_ex_operation_
	.p2align	8
	.type	_ZN12_GLOBAL__N_120geam_min_plus_kernelId15HIP_vector_typeIdLj2EEdLi32ELi8ELi128ELi128ELi4ELi4ELi64ELi4ELi64ELc84ELc78ELb0ELb0ELb1EPKdKS4_KPdEEviiiT16_PT17_ilSA_ilS8_SA_ilPT18_ili26rocblas_geam_ex_operation_,@function
_ZN12_GLOBAL__N_120geam_min_plus_kernelId15HIP_vector_typeIdLj2EEdLi32ELi8ELi128ELi128ELi4ELi4ELi64ELi4ELi64ELc84ELc78ELb0ELb0ELb1EPKdKS4_KPdEEviiiT16_PT17_ilSA_ilS8_SA_ilPT18_ili26rocblas_geam_ex_operation_: ; @_ZN12_GLOBAL__N_120geam_min_plus_kernelId15HIP_vector_typeIdLj2EEdLi32ELi8ELi128ELi128ELi4ELi4ELi64ELi4ELi64ELc84ELc78ELb0ELb0ELb1EPKdKS4_KPdEEviiiT16_PT17_ilSA_ilS8_SA_ilPT18_ili26rocblas_geam_ex_operation_
; %bb.0:
	s_load_dwordx4 s[12:15], s[4:5], 0x10
	s_mov_b64 s[30:31], s[2:3]
	s_mov_b64 s[28:29], s[0:1]
	s_mov_b32 s0, s7
	s_mov_b32 s1, 0
	s_add_u32 s28, s28, s8
	s_addc_u32 s29, s29, 0
	s_lshl_b64 s[22:23], s[0:1], 3
	s_clause 0x1
	s_load_dwordx4 s[0:3], s[4:5], 0x28
	s_load_dwordx2 s[24:25], s[4:5], 0x50
	v_mov_b32_e32 v163, v1
	v_mov_b32_e32 v162, v0
	s_mov_b64 s[20:21], 0
	s_mov_b64 s[18:19], 0
	s_waitcnt lgkmcnt(0)
	s_add_u32 s8, s12, s22
	s_addc_u32 s9, s13, s23
	s_load_dwordx2 s[16:17], s[8:9], 0x0
	s_load_dwordx4 s[8:11], s[4:5], 0x40
	s_waitcnt lgkmcnt(0)
	v_cmp_eq_f64_e64 s12, s[16:17], 0
	v_cmp_neq_f64_e64 s7, s[16:17], 0
	s_add_u32 s10, s10, s22
	s_addc_u32 s11, s11, s23
	s_and_b32 vcc_lo, exec_lo, s12
	s_cbranch_vccnz .LBB111_2
; %bb.1:
	s_add_u32 s12, s14, s22
	s_addc_u32 s13, s15, s23
	s_lshl_b64 s[0:1], s[0:1], 3
	s_load_dwordx2 s[12:13], s[12:13], 0x0
	s_waitcnt lgkmcnt(0)
	s_add_u32 s18, s12, s0
	s_addc_u32 s19, s13, s1
.LBB111_2:
	s_load_dwordx2 s[12:13], s[10:11], 0x0
	v_cndmask_b32_e64 v0, 0, 1, s7
	s_andn2_b32 vcc_lo, exec_lo, s7
	v_cmp_ne_u32_e64 s1, 1, v0
	s_cbranch_vccnz .LBB111_4
; %bb.3:
	s_add_u32 s2, s2, s22
	s_addc_u32 s3, s3, s23
	s_lshl_b64 s[8:9], s[8:9], 3
	s_load_dwordx2 s[2:3], s[2:3], 0x0
	s_waitcnt lgkmcnt(0)
	s_add_u32 s20, s2, s8
	s_addc_u32 s21, s3, s9
.LBB111_4:
	s_waitcnt lgkmcnt(0)
	v_cmp_eq_f64_e64 s0, s[12:13], 0
	s_load_dwordx4 s[8:11], s[4:5], 0x60
	s_mov_b64 s[2:3], 0
	s_and_b32 s0, exec_lo, s0
	s_mov_b32 vcc_lo, s0
	s_cbranch_vccnz .LBB111_6
; %bb.5:
	s_add_u32 s2, s24, s22
	s_addc_u32 s3, s25, s23
	s_waitcnt lgkmcnt(0)
	s_lshl_b64 s[8:9], s[8:9], 3
	s_load_dwordx2 s[2:3], s[2:3], 0x0
	s_waitcnt lgkmcnt(0)
	s_add_u32 s2, s2, s8
	s_addc_u32 s3, s3, s9
.LBB111_6:
	s_clause 0x1
	s_load_dword s7, s[4:5], 0x0
	s_load_dword s14, s[4:5], 0x20
	s_waitcnt lgkmcnt(0)
	s_add_u32 s8, s10, s22
	s_addc_u32 s9, s11, s23
	v_and_b32_e32 v10, 3, v162
	v_mov_b32_e32 v4, 0
	v_mov_b32_e32 v2, 0
	;; [unrolled: 1-line block ×4, first 2 shown]
	v_lshlrev_b32_e32 v170, 3, v10
	s_add_i32 s7, s7, -1
	s_ashr_i32 s10, s7, 31
	s_lshr_b32 s10, s10, 25
	s_add_i32 s7, s7, s10
	s_ashr_i32 s7, s7, 7
	s_add_i32 s10, s7, 1
	s_not_b32 s7, s7
	v_cvt_f32_u32_e32 v0, s10
	v_rcp_iflag_f32_e32 v0, v0
	v_mul_f32_e32 v0, 0x4f7ffffe, v0
	v_cvt_u32_f32_e32 v0, v0
	v_readfirstlane_b32 s11, v0
	v_lshl_add_u32 v0, v163, 5, v162
	s_mul_i32 s7, s7, s11
	v_lshrrev_b32_e32 v11, 2, v0
	s_mul_hi_u32 s7, s11, s7
	s_add_i32 s11, s11, s7
	s_mul_hi_u32 s7, s6, s11
	s_mul_i32 s11, s7, s10
	s_add_i32 s15, s7, 1
	s_sub_i32 s11, s6, s11
	s_sub_i32 s22, s11, s10
	s_cmp_ge_u32 s11, s10
	s_cselect_b32 s7, s15, s7
	s_cselect_b32 s11, s22, s11
	s_add_i32 s15, s7, 1
	s_cmp_ge_u32 s11, s10
	s_cselect_b32 s7, s15, s7
	s_and_b32 vcc_lo, exec_lo, s1
	s_mul_i32 s10, s7, s10
	s_sub_i32 s6, s6, s10
	s_lshl_b32 s10, s6, 7
	v_add_co_u32 v12, s6, s18, v170
	v_add_nc_u32_e32 v90, s10, v11
	v_add_co_ci_u32_e64 v13, null, s19, 0, s6
	s_cbranch_vccnz .LBB111_8
; %bb.7:
	v_mad_i64_i32 v[2:3], null, v90, s14, 0
	v_lshlrev_b64 v[2:3], 3, v[2:3]
	v_add_co_u32 v2, vcc_lo, v12, v2
	v_add_co_ci_u32_e64 v3, null, v13, v3, vcc_lo
	flat_load_dwordx2 v[2:3], v[2:3]
	s_waitcnt vmcnt(0) lgkmcnt(0)
	v_mul_f64 v[2:3], s[16:17], v[2:3]
.LBB111_8:
	s_load_dword s15, s[4:5], 0x38
	s_lshl_b32 s11, s7, 7
	v_mov_b32_e32 v6, 0
	v_add_nc_u32_e32 v92, s11, v11
	v_mov_b32_e32 v8, 0
	v_add_nc_u32_e32 v91, 64, v90
	v_mov_b32_e32 v7, 0
	v_mov_b32_e32 v9, 0
	v_add_nc_u32_e32 v93, 64, v92
	s_and_b32 vcc_lo, exec_lo, s1
	s_cbranch_vccnz .LBB111_10
; %bb.9:
	v_mad_i64_i32 v[4:5], null, v91, s14, 0
	s_waitcnt lgkmcnt(0)
	v_mad_i64_i32 v[6:7], null, v92, s15, 0
	v_mad_i64_i32 v[8:9], null, v93, s15, 0
	v_add_co_u32 v0, s6, s20, v170
	v_lshlrev_b64 v[4:5], 3, v[4:5]
	v_add_co_ci_u32_e64 v1, null, s21, 0, s6
	v_lshlrev_b64 v[6:7], 3, v[6:7]
	v_lshlrev_b64 v[8:9], 3, v[8:9]
	v_add_co_u32 v4, vcc_lo, v12, v4
	v_add_co_ci_u32_e64 v5, null, v13, v5, vcc_lo
	v_add_co_u32 v6, vcc_lo, v0, v6
	v_add_co_ci_u32_e64 v7, null, v1, v7, vcc_lo
	;; [unrolled: 2-line block ×3, first 2 shown]
	flat_load_dwordx2 v[4:5], v[4:5]
	s_clause 0x1
	flat_load_dwordx2 v[6:7], v[6:7]
	flat_load_dwordx2 v[8:9], v[8:9]
	s_waitcnt vmcnt(2) lgkmcnt(2)
	v_mul_f64 v[4:5], s[16:17], v[4:5]
	s_waitcnt vmcnt(1) lgkmcnt(1)
	v_mul_f64 v[6:7], s[16:17], v[6:7]
	;; [unrolled: 2-line block ×3, first 2 shown]
.LBB111_10:
	v_mov_b32_e32 v88, 0
	v_mov_b32_e32 v86, 0
	;; [unrolled: 1-line block ×4, first 2 shown]
	s_and_b32 vcc_lo, exec_lo, s1
	s_cbranch_vccnz .LBB111_12
; %bb.11:
	v_mad_i64_i32 v[14:15], null, v90, s14, 0
	v_lshlrev_b64 v[14:15], 3, v[14:15]
	v_add_co_u32 v14, vcc_lo, v12, v14
	v_add_co_ci_u32_e64 v15, null, v13, v15, vcc_lo
	flat_load_dwordx2 v[14:15], v[14:15] offset:32
	s_waitcnt vmcnt(0) lgkmcnt(0)
	v_mul_f64 v[86:87], s[16:17], v[14:15]
.LBB111_12:
	v_mov_b32_e32 v82, 0
	v_mov_b32_e32 v84, 0
	;; [unrolled: 1-line block ×4, first 2 shown]
	s_and_b32 vcc_lo, exec_lo, s1
	s_cbranch_vccnz .LBB111_14
; %bb.13:
	v_mad_i64_i32 v[14:15], null, v91, s14, 0
	s_waitcnt lgkmcnt(0)
	v_mad_i64_i32 v[16:17], null, v92, s15, 0
	v_mad_i64_i32 v[18:19], null, v93, s15, 0
	v_add_co_u32 v0, s6, s20, v170
	v_lshlrev_b64 v[14:15], 3, v[14:15]
	v_add_co_ci_u32_e64 v1, null, s21, 0, s6
	v_lshlrev_b64 v[16:17], 3, v[16:17]
	v_add_co_u32 v12, vcc_lo, v12, v14
	v_add_co_ci_u32_e64 v13, null, v13, v15, vcc_lo
	v_lshlrev_b64 v[14:15], 3, v[18:19]
	v_add_co_u32 v16, vcc_lo, v0, v16
	v_add_co_ci_u32_e64 v17, null, v1, v17, vcc_lo
	v_add_co_u32 v14, vcc_lo, v0, v14
	v_add_co_ci_u32_e64 v15, null, v1, v15, vcc_lo
	flat_load_dwordx2 v[12:13], v[12:13] offset:32
	s_clause 0x1
	flat_load_dwordx2 v[16:17], v[16:17] offset:32
	flat_load_dwordx2 v[14:15], v[14:15] offset:32
	s_waitcnt vmcnt(2) lgkmcnt(2)
	v_mul_f64 v[88:89], s[16:17], v[12:13]
	s_waitcnt vmcnt(1) lgkmcnt(1)
	v_mul_f64 v[82:83], s[16:17], v[16:17]
	;; [unrolled: 2-line block ×3, first 2 shown]
.LBB111_14:
	v_lshlrev_b32_e32 v0, 5, v11
	v_lshlrev_b32_e32 v158, 5, v162
	v_lshlrev_b32_e32 v166, 5, v163
	s_load_dwordx2 s[6:7], s[8:9], 0x0
	s_load_dword s8, s[4:5], 0x8
	v_lshl_or_b32 v171, v10, 3, v0
	ds_write2st64_b64 v171, v[2:3], v[4:5] offset1:4
	ds_write2st64_b64 v171, v[6:7], v[8:9] offset0:16 offset1:20
	s_waitcnt lgkmcnt(0)
	s_barrier
	buffer_gl0_inv
	ds_read_b128 v[6:9], v158 offset:1024
	ds_read_b128 v[10:13], v158 offset:2048
	;; [unrolled: 1-line block ×18, first 2 shown]
	ds_read_b128 v[94:97], v158
	ds_read_b128 v[2:5], v158 offset:16
	ds_read_b128 v[98:101], v166 offset:8192
	;; [unrolled: 1-line block ×3, first 2 shown]
	s_cmp_lt_i32 s8, 9
	s_waitcnt lgkmcnt(1)
	v_add_f64 v[102:103], v[96:97], v[100:101]
	v_add_f64 v[104:105], v[94:95], v[98:99]
	s_waitcnt lgkmcnt(0)
	v_add_f64 v[160:161], v[2:3], v[18:19]
	v_cvt_f32_f64_e32 v1, v[102:103]
	v_cvt_f32_f64_e32 v0, v[104:105]
	v_add_f64 v[102:103], v[8:9], v[100:101]
	v_add_f64 v[104:105], v[6:7], v[98:99]
	v_min3_f32 v157, v0, v1, 0x7f800000
	v_cvt_f32_f64_e32 v1, v[102:103]
	v_cvt_f32_f64_e32 v0, v[104:105]
	v_add_f64 v[102:103], v[12:13], v[100:101]
	v_add_f64 v[104:105], v[10:11], v[98:99]
	v_add_f64 v[100:101], v[16:17], v[100:101]
	v_add_f64 v[98:99], v[14:15], v[98:99]
	v_min3_f32 v156, v0, v1, 0x7f800000
	v_cvt_f32_f64_e32 v1, v[102:103]
	v_cvt_f32_f64_e32 v0, v[104:105]
	v_min3_f32 v155, v0, v1, 0x7f800000
	v_cvt_f32_f64_e32 v0, v[98:99]
	v_cvt_f32_f64_e32 v1, v[100:101]
	v_add_f64 v[98:99], v[96:97], v[24:25]
	v_add_f64 v[100:101], v[94:95], v[22:23]
	v_min3_f32 v154, v0, v1, 0x7f800000
	v_cvt_f32_f64_e32 v1, v[98:99]
	v_cvt_f32_f64_e32 v0, v[100:101]
	v_add_f64 v[98:99], v[8:9], v[24:25]
	v_add_f64 v[100:101], v[6:7], v[22:23]
	;; [unrolled: 5-line block ×3, first 2 shown]
	v_add_f64 v[24:25], v[16:17], v[24:25]
	v_add_f64 v[22:23], v[14:15], v[22:23]
	v_min3_f32 v152, v0, v1, 0x7f800000
	v_cvt_f32_f64_e32 v1, v[98:99]
	v_cvt_f32_f64_e32 v0, v[100:101]
	v_min3_f32 v151, v0, v1, 0x7f800000
	v_cvt_f32_f64_e32 v0, v[22:23]
	v_cvt_f32_f64_e32 v1, v[24:25]
	v_add_f64 v[22:23], v[96:97], v[28:29]
	v_add_f64 v[24:25], v[94:95], v[26:27]
	v_min3_f32 v150, v0, v1, 0x7f800000
	v_cvt_f32_f64_e32 v1, v[22:23]
	v_cvt_f32_f64_e32 v0, v[24:25]
	v_add_f64 v[22:23], v[8:9], v[28:29]
	v_add_f64 v[24:25], v[6:7], v[26:27]
	;; [unrolled: 5-line block ×50, first 2 shown]
	v_add_f64 v[8:9], v[8:9], v[80:81]
	v_add_f64 v[6:7], v[6:7], v[78:79]
	v_min3_f32 v101, v0, v1, 0x7f800000
	v_cvt_f32_f64_e32 v1, v[22:23]
	v_cvt_f32_f64_e32 v0, v[24:25]
	v_add_f64 v[22:23], v[12:13], v[76:77]
	v_add_f64 v[24:25], v[10:11], v[74:75]
	v_min3_f32 v100, v0, v1, 0x7f800000
	v_cvt_f32_f64_e32 v1, v[22:23]
	v_cvt_f32_f64_e32 v0, v[24:25]
	v_add_f64 v[22:23], v[16:17], v[76:77]
	v_add_f64 v[24:25], v[14:15], v[74:75]
	v_min3_f32 v99, v0, v1, 0x7f800000
	v_cvt_f32_f64_e32 v1, v[22:23]
	v_cvt_f32_f64_e32 v0, v[24:25]
	v_add_f64 v[22:23], v[96:97], v[80:81]
	v_add_f64 v[24:25], v[94:95], v[78:79]
	v_min3_f32 v98, v0, v1, 0x7f800000
	v_cvt_f32_f64_e32 v1, v[22:23]
	v_cvt_f32_f64_e32 v0, v[24:25]
	v_min3_f32 v97, v0, v1, 0x7f800000
	v_cvt_f32_f64_e32 v0, v[6:7]
	v_cvt_f32_f64_e32 v1, v[8:9]
	v_add_f64 v[6:7], v[12:13], v[80:81]
	v_add_f64 v[8:9], v[10:11], v[78:79]
	v_min3_f32 v96, v0, v1, 0x7f800000
	v_cvt_f32_f64_e32 v1, v[6:7]
	v_cvt_f32_f64_e32 v0, v[8:9]
	v_add_f64 v[6:7], v[16:17], v[80:81]
	v_add_f64 v[8:9], v[14:15], v[78:79]
	ds_read_b128 v[14:17], v158 offset:1040
	ds_read_b128 v[10:13], v158 offset:2064
	buffer_store_dword v158, off, s[28:31], 0 offset:144 ; 4-byte Folded Spill
	v_min3_f32 v95, v0, v1, 0x7f800000
	v_cvt_f32_f64_e32 v1, v[6:7]
	v_cvt_f32_f64_e32 v0, v[8:9]
	ds_read_b128 v[6:9], v158 offset:3088
	ds_read_b128 v[78:81], v166 offset:8464
	;; [unrolled: 1-line block ×16, first 2 shown]
	v_add_f64 v[158:159], v[4:5], v[20:21]
	ds_write2st64_b64 v171, v[86:87], v[88:89] offset0:8 offset1:12
	ds_write2st64_b64 v171, v[82:83], v[84:85] offset0:24 offset1:28
	s_waitcnt lgkmcnt(0)
	s_waitcnt_vscnt null, 0x0
	s_barrier
	buffer_gl0_inv
	v_min3_f32 v94, v0, v1, 0x7f800000
	v_cvt_f32_f64_e32 v0, v[160:161]
	v_cvt_f32_f64_e32 v1, v[158:159]
	v_add_f64 v[159:160], v[14:15], v[18:19]
	v_min3_f32 v180, v0, v1, v157
	v_add_f64 v[157:158], v[16:17], v[20:21]
	v_cvt_f32_f64_e32 v0, v[159:160]
	v_cvt_f32_f64_e32 v1, v[157:158]
	v_add_f64 v[158:159], v[10:11], v[18:19]
	v_add_f64 v[18:19], v[6:7], v[18:19]
	v_min3_f32 v187, v0, v1, v156
	v_add_f64 v[156:157], v[12:13], v[20:21]
	v_cvt_f32_f64_e32 v0, v[158:159]
	v_add_f64 v[20:21], v[8:9], v[20:21]
	v_cvt_f32_f64_e32 v1, v[156:157]
	v_min3_f32 v190, v0, v1, v155
	v_cvt_f32_f64_e32 v0, v[18:19]
	v_cvt_f32_f64_e32 v1, v[20:21]
	v_add_f64 v[18:19], v[4:5], v[80:81]
	v_add_f64 v[20:21], v[2:3], v[78:79]
	v_min3_f32 v233, v0, v1, v154
	v_cvt_f32_f64_e32 v1, v[18:19]
	v_cvt_f32_f64_e32 v0, v[20:21]
	v_add_f64 v[18:19], v[16:17], v[80:81]
	v_add_f64 v[20:21], v[14:15], v[78:79]
	;; [unrolled: 5-line block ×53, first 2 shown]
	v_add_f64 v[4:5], v[4:5], v[24:25]
	v_add_f64 v[2:3], v[2:3], v[22:23]
	v_min3_f32 v206, v0, v1, v102
	v_cvt_f32_f64_e32 v1, v[18:19]
	v_cvt_f32_f64_e32 v0, v[20:21]
	v_add_f64 v[18:19], v[16:17], v[28:29]
	v_add_f64 v[20:21], v[14:15], v[26:27]
	v_min3_f32 v205, v0, v1, v101
	v_cvt_f32_f64_e32 v1, v[18:19]
	v_cvt_f32_f64_e32 v0, v[20:21]
	;; [unrolled: 5-line block ×4, first 2 shown]
	v_min3_f32 v202, v0, v1, v98
	v_cvt_f32_f64_e32 v0, v[2:3]
	v_cvt_f32_f64_e32 v1, v[4:5]
	v_add_f64 v[2:3], v[16:17], v[24:25]
	v_add_f64 v[4:5], v[14:15], v[22:23]
	v_min3_f32 v201, v0, v1, v97
	v_cvt_f32_f64_e32 v1, v[2:3]
	v_cvt_f32_f64_e32 v0, v[4:5]
	v_add_f64 v[2:3], v[12:13], v[24:25]
	v_add_f64 v[4:5], v[10:11], v[22:23]
	;; [unrolled: 5-line block ×3, first 2 shown]
	v_min3_f32 v189, v0, v1, v95
	v_cvt_f32_f64_e32 v1, v[2:3]
	v_cvt_f32_f64_e32 v0, v[4:5]
	v_min3_f32 v188, v0, v1, v94
	s_cbranch_scc1 .LBB111_27
; %bb.15:
	v_mad_i64_i32 v[2:3], null, s15, v93, 0
	v_mad_i64_i32 v[4:5], null, s15, v92, 0
	;; [unrolled: 1-line block ×4, first 2 shown]
	v_lshlrev_b64 v[2:3], 3, v[2:3]
	v_or_b32_e32 v0, 0x2000, v166
	v_lshlrev_b64 v[4:5], 3, v[4:5]
	buffer_store_dword v166, off, s[28:31], 0 offset:176 ; 4-byte Folded Spill
	buffer_store_dword v162, off, s[28:31], 0 offset:172 ; 4-byte Folded Spill
	s_add_i32 s8, s8, -8
	v_add_co_u32 v1, vcc_lo, s20, v2
	v_add_co_ci_u32_e64 v172, null, s21, v3, vcc_lo
	v_lshlrev_b64 v[2:3], 3, v[6:7]
	v_add_co_u32 v173, vcc_lo, s20, v4
	v_add_co_ci_u32_e64 v174, null, s21, v5, vcc_lo
	v_lshlrev_b64 v[4:5], 3, v[8:9]
	buffer_store_dword v0, off, s[28:31], 0 offset:156 ; 4-byte Folded Spill
	v_lshl_add_u32 v0, v162, 5, 0x1000
	v_add_co_u32 v175, vcc_lo, s18, v2
	v_add_co_ci_u32_e64 v176, null, s19, v3, vcc_lo
	v_add_co_u32 v177, vcc_lo, s18, v4
	buffer_store_dword v0, off, s[28:31], 0 offset:152 ; 4-byte Folded Spill
	buffer_store_dword v163, off, s[28:31], 0 offset:168 ; 4-byte Folded Spill
	v_lshl_add_u32 v0, v163, 5, 0x3000
	v_add_co_ci_u32_e64 v178, null, s19, v5, vcc_lo
	s_mov_b32 s9, 0
	buffer_store_dword v0, off, s[28:31], 0 offset:160 ; 4-byte Folded Spill
	buffer_store_dword v170, off, s[28:31], 0 offset:164 ; 4-byte Folded Spill
	;; [unrolled: 1-line block ×3, first 2 shown]
.LBB111_16:                             ; =>This Inner Loop Header: Depth=1
	v_mov_b32_e32 v164, 0
	v_mov_b32_e32 v162, 0
	;; [unrolled: 1-line block ×4, first 2 shown]
	s_and_b32 vcc_lo, exec_lo, s1
	s_cbranch_vccnz .LBB111_18
; %bb.17:                               ;   in Loop: Header=BB111_16 Depth=1
	s_waitcnt vmcnt(0)
	v_add_co_u32 v2, vcc_lo, v177, v170
	v_add_co_ci_u32_e64 v3, null, 0, v178, vcc_lo
	flat_load_dwordx2 v[2:3], v[2:3] offset:64
	s_waitcnt vmcnt(0) lgkmcnt(0)
	v_mul_f64 v[162:163], s[16:17], v[2:3]
.LBB111_18:                             ;   in Loop: Header=BB111_16 Depth=1
	v_mov_b32_e32 v166, 0
	v_mov_b32_e32 v168, 0
	;; [unrolled: 1-line block ×5, first 2 shown]
	s_and_b32 vcc_lo, exec_lo, s1
	s_cbranch_vccnz .LBB111_20
; %bb.19:                               ;   in Loop: Header=BB111_16 Depth=1
	s_waitcnt vmcnt(0)
	v_add_co_u32 v2, vcc_lo, v175, v170
	v_add_co_ci_u32_e64 v3, null, 0, v176, vcc_lo
	v_add_co_u32 v4, vcc_lo, v173, v170
	v_add_co_ci_u32_e64 v5, null, 0, v174, vcc_lo
	;; [unrolled: 2-line block ×3, first 2 shown]
	flat_load_dwordx2 v[2:3], v[2:3] offset:64
	flat_load_dwordx2 v[4:5], v[4:5] offset:64
	;; [unrolled: 1-line block ×3, first 2 shown]
	s_waitcnt vmcnt(2) lgkmcnt(2)
	v_mul_f64 v[164:165], s[16:17], v[2:3]
	s_waitcnt vmcnt(1) lgkmcnt(1)
	v_mul_f64 v[166:167], s[16:17], v[4:5]
	;; [unrolled: 2-line block ×3, first 2 shown]
.LBB111_20:                             ;   in Loop: Header=BB111_16 Depth=1
	buffer_store_dword v194, off, s[28:31], 0 offset:140 ; 4-byte Folded Spill
	buffer_store_dword v228, off, s[28:31], 0 offset:136 ; 4-byte Folded Spill
	buffer_load_dword v18, off, s[28:31], 0 offset:160 ; 4-byte Folded Reload
	v_mov_b32_e32 v234, v191
	s_and_b32 vcc_lo, exec_lo, s1
	s_waitcnt vmcnt(0)
	ds_read_b128 v[158:161], v18
	ds_read_b128 v[78:81], v18 offset:16
	buffer_load_dword v0, off, s[28:31], 0 offset:152 ; 4-byte Folded Reload
	s_waitcnt vmcnt(0)
	ds_read_b128 v[98:101], v0
	ds_read_b128 v[2:5], v0 offset:16
	ds_read_b128 v[94:97], v0 offset:1024
	;; [unrolled: 1-line block ×37, first 2 shown]
	ds_write2st64_b64 v171, v[162:163], v[164:165] offset1:4
	v_mov_b32_e32 v164, 0
	v_mov_b32_e32 v162, 0
	v_add_nc_u32_e32 v0, 0x2000, v171
	v_mov_b32_e32 v165, 0
	v_mov_b32_e32 v163, 0
	ds_write2st64_b64 v0, v[166:167], v[168:169] offset1:4
	s_waitcnt lgkmcnt(0)
	s_waitcnt_vscnt null, 0x0
	s_barrier
	buffer_gl0_inv
	s_cbranch_vccnz .LBB111_22
; %bb.21:                               ;   in Loop: Header=BB111_16 Depth=1
	v_add_co_u32 v162, vcc_lo, v177, v170
	v_add_co_ci_u32_e64 v163, null, 0, v178, vcc_lo
	flat_load_dwordx2 v[162:163], v[162:163] offset:96
	s_waitcnt vmcnt(0) lgkmcnt(0)
	v_mul_f64 v[162:163], s[16:17], v[162:163]
.LBB111_22:                             ;   in Loop: Header=BB111_16 Depth=1
	buffer_store_dword v162, off, s[28:31], 0 offset:92 ; 4-byte Folded Spill
	buffer_store_dword v163, off, s[28:31], 0 offset:96 ; 4-byte Folded Spill
	;; [unrolled: 1-line block ×5, first 2 shown]
	v_mov_b32_e32 v162, 0
	v_mov_b32_e32 v166, 0
	;; [unrolled: 1-line block ×7, first 2 shown]
	s_and_b32 vcc_lo, exec_lo, s1
	buffer_store_dword v214, off, s[28:31], 0 offset:128 ; 4-byte Folded Spill
	buffer_store_dword v213, off, s[28:31], 0 offset:116 ; 4-byte Folded Spill
	;; [unrolled: 1-line block ×17, first 2 shown]
	s_cbranch_vccnz .LBB111_24
; %bb.23:                               ;   in Loop: Header=BB111_16 Depth=1
	v_add_co_u32 v164, vcc_lo, v175, v170
	v_add_co_ci_u32_e64 v165, null, 0, v176, vcc_lo
	v_add_co_u32 v166, vcc_lo, v173, v170
	v_add_co_ci_u32_e64 v167, null, 0, v174, vcc_lo
	;; [unrolled: 2-line block ×3, first 2 shown]
	flat_load_dwordx2 v[164:165], v[164:165] offset:96
	flat_load_dwordx2 v[166:167], v[166:167] offset:96
	flat_load_dwordx2 v[168:169], v[168:169] offset:96
	s_waitcnt vmcnt(2) lgkmcnt(2)
	v_mul_f64 v[164:165], s[16:17], v[164:165]
	s_waitcnt vmcnt(1) lgkmcnt(1)
	v_mul_f64 v[162:163], s[16:17], v[166:167]
	;; [unrolled: 2-line block ×3, first 2 shown]
.LBB111_24:                             ;   in Loop: Header=BB111_16 Depth=1
	v_add_f64 v[249:250], v[100:101], v[160:161]
	v_add_f64 v[251:252], v[98:99], v[158:159]
	buffer_store_dword v164, off, s[28:31], 0 offset:120 ; 4-byte Folded Spill
	buffer_store_dword v165, off, s[28:31], 0 offset:124 ; 4-byte Folded Spill
	buffer_store_dword v166, off, s[28:31], 0 offset:108 ; 4-byte Folded Spill
	buffer_store_dword v167, off, s[28:31], 0 offset:112 ; 4-byte Folded Spill
	buffer_store_dword v162, off, s[28:31], 0 offset:100 ; 4-byte Folded Spill
	buffer_store_dword v163, off, s[28:31], 0 offset:104 ; 4-byte Folded Spill
	v_add_f64 v[253:254], v[96:97], v[160:161]
	v_add_f64 v[170:171], v[94:95], v[158:159]
	;; [unrolled: 1-line block ×3, first 2 shown]
	buffer_store_dword v1, off, s[28:31], 0 ; 4-byte Folded Spill
	v_add_f64 v[0:1], v[86:87], v[158:159]
	v_add_f64 v[206:207], v[98:99], v[146:147]
	;; [unrolled: 1-line block ×14, first 2 shown]
	buffer_store_dword v172, off, s[28:31], 0 offset:4 ; 4-byte Folded Spill
	buffer_store_dword v173, off, s[28:31], 0 offset:8 ; 4-byte Folded Spill
	v_cvt_f32_f64_e32 v147, v[249:250]
	v_cvt_f32_f64_e32 v146, v[251:252]
	v_add_f64 v[172:173], v[94:95], v[154:155]
	v_cvt_f32_f64_e32 v152, v[253:254]
	buffer_store_dword v174, off, s[28:31], 0 offset:12 ; 4-byte Folded Spill
	buffer_store_dword v175, off, s[28:31], 0 offset:16 ; 4-byte Folded Spill
	v_add_f64 v[174:175], v[88:89], v[156:157]
	buffer_store_dword v176, off, s[28:31], 0 offset:20 ; 4-byte Folded Spill
	v_cvt_f32_f64_e32 v0, v[0:1]
	v_cvt_f32_f64_e32 v1, v[162:163]
	v_add_f64 v[176:177], v[86:87], v[154:155]
	v_add_f64 v[156:157], v[84:85], v[156:157]
	;; [unrolled: 1-line block ×11, first 2 shown]
	s_add_i32 s9, s9, 8
	s_cmp_ge_i32 s9, s8
	v_min3_f32 v146, v146, v147, v228
	v_cvt_f32_f64_e32 v147, v[170:171]
	v_cvt_f32_f64_e32 v171, v[210:211]
	v_add_f64 v[210:211], v[98:99], v[130:131]
	v_cvt_f32_f64_e32 v157, v[156:157]
	v_cvt_f32_f64_e32 v162, v[154:155]
	;; [unrolled: 1-line block ×3, first 2 shown]
	v_add_f64 v[180:181], v[88:89], v[140:141]
	v_cvt_f32_f64_e32 v150, v[150:151]
	v_cvt_f32_f64_e32 v151, v[202:203]
	;; [unrolled: 1-line block ×3, first 2 shown]
	v_add_f64 v[202:203], v[94:95], v[134:135]
	v_add_f64 v[204:205], v[88:89], v[136:137]
	v_min3_f32 v147, v147, v152, v187
	v_min3_f32 v152, v0, v1, v190
	v_cvt_f32_f64_e32 v0, v[158:159]
	v_cvt_f32_f64_e32 v1, v[160:161]
	;; [unrolled: 1-line block ×13, first 2 shown]
	v_min3_f32 v157, v162, v157, v248
	v_add_f64 v[188:189], v[98:99], v[134:135]
	v_add_f64 v[206:207], v[86:87], v[134:135]
	;; [unrolled: 1-line block ×8, first 2 shown]
	buffer_load_dword v187, off, s[28:31], 0 offset:156 ; 4-byte Folded Reload
	v_min3_f32 v153, v0, v1, v233
	v_cvt_f32_f64_e32 v0, v[166:167]
	v_cvt_f32_f64_e32 v1, v[164:165]
	v_cvt_f32_f64_e32 v164, v[178:179]
	v_cvt_f32_f64_e32 v165, v[184:185]
	v_cvt_f32_f64_e32 v166, v[182:183]
	v_cvt_f32_f64_e32 v167, v[200:201]
	v_min3_f32 v155, v158, v159, v191
	v_min3_f32 v156, v160, v161, v234
	v_min3_f32 v161, v150, v151, v244
	v_min3_f32 v148, v169, v170, v243
	v_min3_f32 v149, v171, v172, v241
	v_min3_f32 v150, v173, v174, v242
	v_min3_f32 v151, v175, v176, v240
	v_add_f64 v[170:171], v[86:87], v[142:143]
	v_add_f64 v[172:173], v[100:101], v[140:141]
	;; [unrolled: 1-line block ×10, first 2 shown]
	v_min3_f32 v154, v0, v1, v186
	v_min3_f32 v158, v163, v164, v247
	v_add_f64 v[0:1], v[100:101], v[144:145]
	v_add_f64 v[162:163], v[98:99], v[142:143]
	v_min3_f32 v159, v165, v166, v245
	v_min3_f32 v160, v167, v168, v246
	v_add_f64 v[164:165], v[96:97], v[144:145]
	v_add_f64 v[166:167], v[94:95], v[142:143]
	;; [unrolled: 1-line block ×8, first 2 shown]
	v_cvt_f32_f64_e32 v140, v[140:141]
	v_cvt_f32_f64_e32 v141, v[188:189]
	;; [unrolled: 1-line block ×3, first 2 shown]
	v_add_f64 v[132:133], v[94:95], v[126:127]
	v_cvt_f32_f64_e32 v162, v[162:163]
	v_cvt_f32_f64_e32 v163, v[0:1]
	v_add_f64 v[0:1], v[98:99], v[126:127]
	v_cvt_f32_f64_e32 v164, v[164:165]
	v_cvt_f32_f64_e32 v166, v[166:167]
	;; [unrolled: 1-line block ×15, first 2 shown]
	v_add_f64 v[130:131], v[100:101], v[128:129]
	v_add_f64 v[134:135], v[96:97], v[128:129]
	;; [unrolled: 1-line block ×3, first 2 shown]
	v_cvt_f32_f64_e32 v165, v[170:171]
	v_cvt_f32_f64_e32 v169, v[176:177]
	;; [unrolled: 1-line block ×4, first 2 shown]
	v_add_f64 v[0:1], v[86:87], v[126:127]
	v_cvt_f32_f64_e32 v174, v[202:203]
	v_cvt_f32_f64_e32 v176, v[206:207]
	;; [unrolled: 1-line block ×5, first 2 shown]
	v_min3_f32 v133, v142, v143, v218
	v_add_f64 v[142:143], v[96:97], v[124:125]
	v_min3_f32 v137, v172, v140, v236
	v_min3_f32 v207, v141, v173, v235
	v_add_f64 v[140:141], v[94:95], v[122:123]
	v_cvt_f32_f64_e32 v170, v[182:183]
	v_cvt_f32_f64_e32 v182, v[214:215]
	v_min3_f32 v208, v184, v185, v219
	v_cvt_f32_f64_e32 v183, v[212:213]
	v_cvt_f32_f64_e32 v201, v[130:131]
	v_cvt_f32_f64_e32 v203, v[134:135]
	v_min3_f32 v130, v162, v163, v224
	v_min3_f32 v134, v144, v145, v239
	v_cvt_f32_f64_e32 v185, v[138:139]
	v_add_f64 v[138:139], v[100:101], v[124:125]
	v_add_f64 v[144:145], v[86:87], v[122:123]
	v_cvt_f32_f64_e32 v184, v[0:1]
	v_add_f64 v[0:1], v[82:83], v[126:127]
	v_add_f64 v[126:127], v[84:85], v[128:129]
	;; [unrolled: 1-line block ×6, first 2 shown]
	v_min3_f32 v212, v178, v179, v223
	v_min3_f32 v217, v188, v189, v229
	v_add_f64 v[178:179], v[100:101], v[116:117]
	v_cvt_f32_f64_e32 v177, v[204:205]
	v_cvt_f32_f64_e32 v180, v[210:211]
	v_min3_f32 v131, v166, v164, v221
	v_min3_f32 v132, v165, v167, v222
	;; [unrolled: 1-line block ×3, first 2 shown]
	v_add_f64 v[182:183], v[96:97], v[116:117]
	v_min3_f32 v135, v168, v169, v237
	v_min3_f32 v136, v170, v171, v238
	;; [unrolled: 1-line block ×3, first 2 shown]
	v_add_f64 v[164:165], v[98:99], v[118:119]
	v_cvt_f32_f64_e32 v191, v[138:139]
	v_add_f64 v[138:139], v[84:85], v[116:117]
	v_add_f64 v[166:167], v[100:101], v[120:121]
	;; [unrolled: 1-line block ×3, first 2 shown]
	v_cvt_f32_f64_e32 v188, v[126:127]
	v_add_f64 v[126:127], v[88:89], v[116:117]
	v_add_f64 v[170:171], v[96:97], v[120:121]
	v_cvt_f32_f64_e32 v122, v[122:123]
	v_cvt_f32_f64_e32 v123, v[124:125]
	v_add_f64 v[172:173], v[86:87], v[118:119]
	v_add_f64 v[174:175], v[88:89], v[120:121]
	;; [unrolled: 1-line block ×3, first 2 shown]
	v_min3_f32 v211, v176, v177, v232
	v_min3_f32 v209, v180, v181, v220
	v_add_f64 v[120:121], v[84:85], v[120:121]
	v_add_f64 v[176:177], v[98:99], v[114:115]
	;; [unrolled: 1-line block ×3, first 2 shown]
	v_min3_f32 v215, v202, v203, v198
	v_cvt_f32_f64_e32 v186, v[0:1]
	v_cvt_f32_f64_e32 v203, v[162:163]
	v_add_f64 v[0:1], v[86:87], v[114:115]
	v_add_f64 v[162:163], v[96:97], v[112:113]
	v_min3_f32 v216, v200, v201, v199
	v_cvt_f32_f64_e32 v189, v[128:129]
	v_cvt_f32_f64_e32 v200, v[140:141]
	;; [unrolled: 1-line block ×7, first 2 shown]
	v_min3_f32 v117, v122, v123, v225
	s_clause 0x1
	buffer_load_dword v122, off, s[28:31], 0 offset:140
	buffer_load_dword v123, off, s[28:31], 0 offset:136
	v_cvt_f32_f64_e32 v170, v[172:173]
	v_cvt_f32_f64_e32 v171, v[174:175]
	;; [unrolled: 1-line block ×9, first 2 shown]
	v_add_f64 v[128:129], v[82:83], v[114:115]
	v_add_f64 v[140:141], v[98:99], v[110:111]
	;; [unrolled: 1-line block ×6, first 2 shown]
	v_cvt_f32_f64_e32 v179, v[162:163]
	v_add_f64 v[162:163], v[100:101], v[104:105]
	v_min3_f32 v119, v168, v169, v194
	v_add_f64 v[168:169], v[86:87], v[102:103]
	v_min3_f32 v124, v184, v185, v196
	v_min3_f32 v125, v186, v188, v193
	;; [unrolled: 1-line block ×5, first 2 shown]
	v_add_f64 v[170:171], v[88:89], v[104:105]
	v_min3_f32 v121, v172, v121, v195
	v_cvt_f32_f64_e32 v172, v[0:1]
	v_add_f64 v[0:1], v[82:83], v[110:111]
	v_add_f64 v[110:111], v[84:85], v[112:113]
	;; [unrolled: 1-line block ×3, first 2 shown]
	v_min3_f32 v118, v204, v205, v255
	v_min3_f32 v115, v200, v201, v226
	v_cvt_f32_f64_e32 v177, v[142:143]
	v_cvt_f32_f64_e32 v178, v[144:145]
	;; [unrolled: 1-line block ×3, first 2 shown]
	v_add_f64 v[144:145], v[98:99], v[102:103]
	v_add_f64 v[164:165], v[94:95], v[102:103]
	;; [unrolled: 1-line block ×3, first 2 shown]
	v_cvt_f32_f64_e32 v181, v[166:167]
	v_add_f64 v[166:167], v[96:97], v[104:105]
	v_add_f64 v[98:99], v[98:99], v[90:91]
	;; [unrolled: 1-line block ×4, first 2 shown]
	v_cvt_f32_f64_e32 v182, v[0:1]
	v_cvt_f32_f64_e32 v110, v[110:111]
	;; [unrolled: 1-line block ×3, first 2 shown]
	v_add_f64 v[0:1], v[86:87], v[90:91]
	s_waitcnt vmcnt(1)
	v_min3_f32 v122, v173, v174, v122
	s_waitcnt vmcnt(0)
	v_min3_f32 v123, v175, v176, v123
	v_cvt_f32_f64_e32 v173, v[126:127]
	v_cvt_f32_f64_e32 v175, v[138:139]
	v_add_f64 v[126:127], v[100:101], v[108:109]
	v_add_f64 v[138:139], v[96:97], v[108:109]
	;; [unrolled: 1-line block ×3, first 2 shown]
	v_cvt_f32_f64_e32 v174, v[128:129]
	v_cvt_f32_f64_e32 v176, v[140:141]
	v_add_f64 v[128:129], v[94:95], v[106:107]
	v_add_f64 v[140:141], v[86:87], v[106:107]
	v_add_f64 v[106:107], v[82:83], v[106:107]
	v_add_f64 v[96:97], v[96:97], v[92:93]
	v_add_f64 v[94:95], v[94:95], v[90:91]
	v_add_f64 v[108:109], v[84:85], v[108:109]
	v_cvt_f32_f64_e32 v112, v[126:127]
	v_cvt_f32_f64_e32 v126, v[138:139]
	;; [unrolled: 1-line block ×4, first 2 shown]
	v_add_f64 v[100:101], v[82:83], v[90:91]
	buffer_load_dword v82, off, s[28:31], 0 offset:132 ; 4-byte Folded Reload
	v_cvt_f32_f64_e32 v139, v[164:165]
	v_cvt_f32_f64_e32 v113, v[128:129]
	;; [unrolled: 1-line block ×8, first 2 shown]
	v_add_f64 v[98:99], v[88:89], v[92:93]
	v_add_f64 v[102:103], v[84:85], v[92:93]
	v_cvt_f32_f64_e32 v163, v[94:95]
	v_cvt_f32_f64_e32 v127, v[140:141]
	;; [unrolled: 1-line block ×7, first 2 shown]
	v_add_f64 v[104:105], v[2:3], v[78:79]
	v_add_f64 v[106:107], v[4:5], v[80:81]
	v_cvt_f32_f64_e32 v166, v[100:101]
	v_add_f64 v[100:101], v[10:11], v[78:79]
	v_cvt_f32_f64_e32 v165, v[98:99]
	v_cvt_f32_f64_e32 v167, v[102:103]
	v_add_f64 v[98:99], v[8:9], v[80:81]
	v_add_f64 v[102:103], v[12:13], v[80:81]
	;; [unrolled: 1-line block ×3, first 2 shown]
	v_cvt_f32_f64_e32 v168, v[104:105]
	v_cvt_f32_f64_e32 v169, v[106:107]
	v_add_f64 v[104:105], v[2:3], v[74:75]
	v_add_f64 v[106:107], v[4:5], v[76:77]
	v_cvt_f32_f64_e32 v98, v[98:99]
	v_cvt_f32_f64_e32 v99, v[100:101]
	;; [unrolled: 1-line block ×4, first 2 shown]
	v_add_f64 v[80:81], v[14:15], v[66:67]
	v_cvt_f32_f64_e32 v103, v[104:105]
	v_cvt_f32_f64_e32 v104, v[106:107]
	s_waitcnt vmcnt(0)
	v_min3_f32 v96, v172, v173, v82
	buffer_load_dword v82, off, s[28:31], 0 offset:128 ; 4-byte Folded Reload
	s_waitcnt vmcnt(0)
	v_min3_f32 v97, v174, v175, v82
	buffer_load_dword v82, off, s[28:31], 0 offset:116 ; 4-byte Folded Reload
	;; [unrolled: 3-line block ×7, first 2 shown]
	v_add_f64 v[110:111], v[8:9], v[76:77]
	v_cvt_f32_f64_e32 v106, v[110:111]
	s_waitcnt vmcnt(0)
	v_min3_f32 v89, v113, v126, v82
	buffer_load_dword v82, off, s[28:31], 0 offset:68 ; 4-byte Folded Reload
	v_add_f64 v[112:113], v[10:11], v[74:75]
	v_cvt_f32_f64_e32 v107, v[112:113]
	s_waitcnt vmcnt(0)
	v_min3_f32 v90, v127, v128, v82
	buffer_load_dword v82, off, s[28:31], 0 offset:64 ; 4-byte Folded Reload
	v_add_f64 v[126:127], v[12:13], v[76:77]
	v_add_f64 v[76:77], v[16:17], v[76:77]
	v_cvt_f32_f64_e32 v110, v[76:77]
	v_add_f64 v[76:77], v[10:11], v[66:67]
	s_waitcnt vmcnt(0)
	v_min3_f32 v87, v129, v108, v82
	buffer_load_dword v82, off, s[28:31], 0 offset:60 ; 4-byte Folded Reload
	v_add_f64 v[128:129], v[2:3], v[70:71]
	v_cvt_f32_f64_e32 v111, v[128:129]
	s_waitcnt vmcnt(0)
	v_min3_f32 v88, v109, v138, v82
	buffer_load_dword v82, off, s[28:31], 0 offset:56 ; 4-byte Folded Reload
	v_add_f64 v[108:109], v[6:7], v[74:75]
	v_add_f64 v[74:75], v[14:15], v[74:75]
	v_cvt_f32_f64_e32 v105, v[108:109]
	v_cvt_f32_f64_e32 v108, v[126:127]
	;; [unrolled: 1-line block ×3, first 2 shown]
	v_add_f64 v[74:75], v[8:9], v[68:69]
	s_waitcnt vmcnt(0)
	v_min3_f32 v85, v139, v140, v82
	buffer_load_dword v82, off, s[28:31], 0 offset:52 ; 4-byte Folded Reload
	v_add_f64 v[138:139], v[4:5], v[72:73]
	v_cvt_f32_f64_e32 v112, v[138:139]
	v_min3_f32 v138, v168, v169, v146
	v_min3_f32 v146, v111, v112, v158
	s_waitcnt vmcnt(0)
	v_min3_f32 v86, v141, v142, v82
	buffer_load_dword v82, off, s[28:31], 0 offset:48 ; 4-byte Folded Reload
	v_add_f64 v[140:141], v[6:7], v[70:71]
	v_cvt_f32_f64_e32 v113, v[140:141]
	v_min3_f32 v140, v99, v100, v152
	s_waitcnt vmcnt(0)
	v_min3_f32 v83, v143, v144, v82
	buffer_load_dword v82, off, s[28:31], 0 offset:44 ; 4-byte Folded Reload
	v_add_f64 v[142:143], v[8:9], v[72:73]
	v_cvt_f32_f64_e32 v126, v[142:143]
	v_min3_f32 v142, v103, v104, v154
	v_min3_f32 v143, v105, v106, v155
	v_add_f64 v[104:105], v[12:13], v[60:61]
	v_cvt_f32_f64_e32 v155, v[104:105]
	v_add_f64 v[104:105], v[12:13], v[48:49]
	s_waitcnt vmcnt(0)
	v_min3_f32 v84, v145, v162, v82
	buffer_load_dword v82, off, s[28:31], 0 offset:40 ; 4-byte Folded Reload
	v_add_f64 v[144:145], v[10:11], v[70:71]
	v_add_f64 v[70:71], v[14:15], v[70:71]
	v_cvt_f32_f64_e32 v127, v[144:145]
	v_cvt_f32_f64_e32 v129, v[70:71]
	v_add_f64 v[70:71], v[4:5], v[68:69]
	v_min3_f32 v145, v109, v110, v157
	v_min3_f32 v144, v107, v108, v156
	v_add_f64 v[106:107], v[2:3], v[54:55]
	v_add_f64 v[108:109], v[4:5], v[56:57]
	v_cvt_f32_f64_e32 v111, v[70:71]
	v_add_f64 v[70:71], v[6:7], v[62:63]
	v_cvt_f32_f64_e32 v106, v[106:107]
	v_cvt_f32_f64_e32 v107, v[108:109]
	s_waitcnt vmcnt(0)
	v_min3_f32 v82, v163, v164, v82
	v_cvt_f32_f64_e32 v164, v[0:1]
	v_add_f64 v[0:1], v[6:7], v[78:79]
	v_add_f64 v[78:79], v[14:15], v[78:79]
	;; [unrolled: 1-line block ×4, first 2 shown]
	v_cvt_f32_f64_e32 v170, v[0:1]
	v_cvt_f32_f64_e32 v101, v[78:79]
	;; [unrolled: 1-line block ×4, first 2 shown]
	v_add_f64 v[0:1], v[2:3], v[66:67]
	v_add_f64 v[72:73], v[6:7], v[66:67]
	;; [unrolled: 1-line block ×4, first 2 shown]
	buffer_load_dword v66, off, s[28:31], 0 offset:36 ; 4-byte Folded Reload
	v_min3_f32 v139, v170, v98, v147
	v_min3_f32 v141, v101, v102, v153
	;; [unrolled: 1-line block ×5, first 2 shown]
	v_cvt_f32_f64_e32 v110, v[0:1]
	v_cvt_f32_f64_e32 v112, v[72:73]
	v_cvt_f32_f64_e32 v113, v[74:75]
	v_cvt_f32_f64_e32 v126, v[76:77]
	v_cvt_f32_f64_e32 v127, v[78:79]
	v_cvt_f32_f64_e32 v128, v[80:81]
	v_cvt_f32_f64_e32 v129, v[68:69]
	v_add_f64 v[0:1], v[2:3], v[62:63]
	v_add_f64 v[68:69], v[4:5], v[64:65]
	v_add_f64 v[72:73], v[8:9], v[64:65]
	v_add_f64 v[74:75], v[10:11], v[62:63]
	v_add_f64 v[76:77], v[12:13], v[64:65]
	v_add_f64 v[62:63], v[14:15], v[62:63]
	v_add_f64 v[64:65], v[16:17], v[64:65]
	v_add_f64 v[78:79], v[2:3], v[58:59]
	v_add_f64 v[80:81], v[4:5], v[60:61]
	v_add_f64 v[98:99], v[6:7], v[58:59]
	v_add_f64 v[100:101], v[8:9], v[60:61]
	v_add_f64 v[102:103], v[10:11], v[58:59]
	v_add_f64 v[58:59], v[14:15], v[58:59]
	v_add_f64 v[60:61], v[16:17], v[60:61]
	v_min3_f32 v184, v110, v111, v148
	v_min3_f32 v185, v112, v113, v149
	v_cvt_f32_f64_e32 v112, v[70:71]
	v_min3_f32 v186, v126, v127, v150
	v_add_f64 v[70:71], v[6:7], v[50:51]
	v_min3_f32 v189, v128, v129, v151
	v_cvt_f32_f64_e32 v110, v[0:1]
	v_cvt_f32_f64_e32 v111, v[68:69]
	v_cvt_f32_f64_e32 v113, v[72:73]
	v_cvt_f32_f64_e32 v126, v[74:75]
	v_cvt_f32_f64_e32 v127, v[76:77]
	v_cvt_f32_f64_e32 v128, v[62:63]
	v_cvt_f32_f64_e32 v129, v[64:65]
	v_cvt_f32_f64_e32 v150, v[78:79]
	v_cvt_f32_f64_e32 v151, v[80:81]
	v_cvt_f32_f64_e32 v152, v[98:99]
	v_cvt_f32_f64_e32 v153, v[100:101]
	v_cvt_f32_f64_e32 v154, v[102:103]
	v_cvt_f32_f64_e32 v156, v[58:59]
	v_cvt_f32_f64_e32 v157, v[60:61]
	v_add_f64 v[0:1], v[6:7], v[54:55]
	v_add_f64 v[58:59], v[8:9], v[56:57]
	;; [unrolled: 1-line block ×20, first 2 shown]
	v_min3_f32 v150, v150, v151, v134
	v_min3_f32 v151, v152, v153, v135
	v_cvt_f32_f64_e32 v108, v[0:1]
	v_cvt_f32_f64_e32 v58, v[58:59]
	;; [unrolled: 1-line block ×16, first 2 shown]
	v_add_f64 v[0:1], v[2:3], v[42:43]
	v_min3_f32 v153, v156, v157, v137
	v_cvt_f32_f64_e32 v71, v[46:47]
	v_cvt_f32_f64_e32 v48, v[48:49]
	v_add_f64 v[46:47], v[4:5], v[44:45]
	v_cvt_f32_f64_e32 v65, v[98:99]
	v_cvt_f32_f64_e32 v68, v[100:101]
	;; [unrolled: 1-line block ×4, first 2 shown]
	v_min3_f32 v156, v59, v60, v211
	v_min3_f32 v152, v154, v155, v136
	;; [unrolled: 1-line block ×3, first 2 shown]
	v_add_f64 v[54:55], v[4:5], v[40:41]
	v_min3_f32 v158, v56, v57, v209
	v_add_f64 v[56:57], v[6:7], v[38:39]
	v_min3_f32 v159, v61, v62, v206
	;; [unrolled: 2-line block ×5, first 2 shown]
	v_cvt_f32_f64_e32 v78, v[0:1]
	v_add_f64 v[0:1], v[6:7], v[42:43]
	v_add_f64 v[52:53], v[2:3], v[38:39]
	v_min3_f32 v177, v71, v48, v125
	v_cvt_f32_f64_e32 v79, v[46:47]
	v_add_f64 v[46:47], v[8:9], v[44:45]
	v_add_f64 v[48:49], v[10:11], v[42:43]
	v_add_f64 v[42:43], v[14:15], v[42:43]
	v_add_f64 v[44:45], v[16:17], v[44:45]
	v_min3_f32 v155, v108, v58, v210
	v_min3_f32 v175, v65, v68, v215
	;; [unrolled: 1-line block ×3, first 2 shown]
	v_add_f64 v[58:59], v[8:9], v[40:41]
	v_add_f64 v[38:39], v[14:15], v[38:39]
	;; [unrolled: 1-line block ×11, first 2 shown]
	v_cvt_f32_f64_e32 v80, v[0:1]
	v_cvt_f32_f64_e32 v52, v[52:53]
	;; [unrolled: 1-line block ×10, first 2 shown]
	v_add_f64 v[42:43], v[12:13], v[32:33]
	v_add_f64 v[44:45], v[2:3], v[26:27]
	v_cvt_f32_f64_e32 v55, v[58:59]
	v_cvt_f32_f64_e32 v58, v[38:39]
	;; [unrolled: 1-line block ×4, first 2 shown]
	v_add_f64 v[0:1], v[2:3], v[30:31]
	v_add_f64 v[38:39], v[8:9], v[32:33]
	;; [unrolled: 1-line block ×3, first 2 shown]
	v_cvt_f32_f64_e32 v81, v[46:47]
	v_cvt_f32_f64_e32 v68, v[34:35]
	;; [unrolled: 1-line block ×3, first 2 shown]
	v_add_f64 v[34:35], v[4:5], v[32:33]
	v_add_f64 v[36:37], v[6:7], v[30:31]
	v_add_f64 v[30:31], v[14:15], v[30:31]
	v_add_f64 v[32:33], v[16:17], v[32:33]
	v_add_f64 v[46:47], v[4:5], v[28:29]
	v_cvt_f32_f64_e32 v60, v[64:65]
	v_min3_f32 v182, v48, v49, v116
	v_min3_f32 v116, v52, v53, v118
	;; [unrolled: 1-line block ×4, first 2 shown]
	v_cvt_f32_f64_e32 v53, v[42:43]
	v_cvt_f32_f64_e32 v56, v[44:45]
	v_add_f64 v[42:43], v[8:9], v[24:25]
	v_add_f64 v[44:45], v[10:11], v[22:23]
	v_min3_f32 v117, v54, v55, v119
	v_cvt_f32_f64_e32 v62, v[70:71]
	v_cvt_f32_f64_e32 v48, v[0:1]
	v_cvt_f32_f64_e32 v51, v[38:39]
	v_add_f64 v[0:1], v[6:7], v[26:27]
	v_add_f64 v[38:39], v[4:5], v[24:25]
	v_cvt_f32_f64_e32 v52, v[40:41]
	v_add_f64 v[40:41], v[6:7], v[22:23]
	v_cvt_f32_f64_e32 v49, v[34:35]
	v_cvt_f32_f64_e32 v50, v[36:37]
	;; [unrolled: 1-line block ×4, first 2 shown]
	v_add_f64 v[30:31], v[8:9], v[28:29]
	v_add_f64 v[32:33], v[10:11], v[26:27]
	;; [unrolled: 1-line block ×6, first 2 shown]
	v_cvt_f32_f64_e32 v57, v[46:47]
	v_add_f64 v[46:47], v[12:13], v[24:25]
	v_cvt_f32_f64_e32 v42, v[42:43]
	v_cvt_f32_f64_e32 v43, v[44:45]
	s_clause 0x1
	buffer_load_dword v45, off, s[28:31], 0 offset:144
	buffer_load_dword v67, off, s[28:31], 0 offset:32
	v_add_f64 v[22:23], v[14:15], v[22:23]
	v_add_f64 v[24:25], v[16:17], v[24:25]
	v_add_f64 v[2:3], v[2:3], v[18:19]
	v_add_f64 v[4:5], v[4:5], v[20:21]
	v_add_f64 v[6:7], v[6:7], v[18:19]
	v_add_f64 v[8:9], v[8:9], v[20:21]
	v_cvt_f32_f64_e32 v63, v[72:73]
	v_cvt_f32_f64_e32 v64, v[74:75]
	;; [unrolled: 1-line block ×11, first 2 shown]
	v_add_f64 v[10:11], v[10:11], v[18:19]
	v_add_f64 v[12:13], v[12:13], v[20:21]
	;; [unrolled: 1-line block ×4, first 2 shown]
	v_min3_f32 v119, v58, v59, v121
	v_cvt_f32_f64_e32 v58, v[40:41]
	v_cvt_f32_f64_e32 v44, v[46:47]
	;; [unrolled: 1-line block ×8, first 2 shown]
	v_min3_f32 v191, v110, v111, v130
	v_min3_f32 v200, v112, v113, v131
	;; [unrolled: 1-line block ×6, first 2 shown]
	ds_read_b128 v[18:21], v187
	ds_read_b128 v[62:65], v187 offset:256
	v_min3_f32 v130, v30, v31, v90
	v_min3_f32 v131, v26, v27, v87
	;; [unrolled: 1-line block ×3, first 2 shown]
	v_cvt_f32_f64_e32 v6, v[10:11]
	v_cvt_f32_f64_e32 v7, v[12:13]
	;; [unrolled: 1-line block ×4, first 2 shown]
	v_min3_f32 v149, v128, v129, v133
	v_min3_f32 v154, v106, v107, v207
	;; [unrolled: 1-line block ×16, first 2 shown]
	s_waitcnt vmcnt(2)
	v_min3_f32 v66, v164, v165, v66
	v_min3_f32 v114, v6, v7, v66
	s_waitcnt vmcnt(1)
	ds_read_b128 v[38:41], v45
	ds_read_b128 v[34:37], v45 offset:1024
	ds_read_b128 v[30:33], v45 offset:2048
	;; [unrolled: 1-line block ×3, first 2 shown]
	s_waitcnt vmcnt(0)
	v_min3_f32 v67, v166, v167, v67
	ds_read_b128 v[58:61], v187 offset:512
	ds_read_b128 v[54:57], v187 offset:768
	;; [unrolled: 1-line block ×6, first 2 shown]
	v_min3_f32 v115, v8, v9, v67
	ds_read_b128 v[6:9], v45 offset:2064
	s_waitcnt lgkmcnt(10)
	v_add_f64 v[78:79], v[38:39], v[18:19]
	s_waitcnt lgkmcnt(9)
	v_add_f64 v[82:83], v[34:35], v[18:19]
	;; [unrolled: 2-line block ×3, first 2 shown]
	v_add_f64 v[86:87], v[30:31], v[18:19]
	s_waitcnt lgkmcnt(7)
	v_add_f64 v[84:85], v[28:29], v[20:21]
	v_add_f64 v[88:89], v[26:27], v[18:19]
	;; [unrolled: 1-line block ×10, first 2 shown]
	ds_read_b128 v[18:21], v187 offset:272
	ds_read_b128 v[46:49], v187 offset:1024
	;; [unrolled: 1-line block ×9, first 2 shown]
	v_add_f64 v[0:1], v[28:29], v[64:65]
	s_waitcnt lgkmcnt(14)
	v_add_f64 v[162:163], v[30:31], v[54:55]
	v_add_f64 v[164:165], v[28:29], v[56:57]
	;; [unrolled: 1-line block ×3, first 2 shown]
	v_cvt_f32_f64_e32 v188, v[78:79]
	v_cvt_f32_f64_e32 v204, v[82:83]
	;; [unrolled: 1-line block ×12, first 2 shown]
	v_add_f64 v[78:79], v[26:27], v[62:63]
	v_add_f64 v[80:81], v[40:41], v[60:61]
	;; [unrolled: 1-line block ×14, first 2 shown]
	s_waitcnt lgkmcnt(7)
	v_add_f64 v[168:169], v[38:39], v[46:47]
	v_add_f64 v[170:171], v[40:41], v[48:49]
	;; [unrolled: 1-line block ×4, first 2 shown]
	v_cvt_f32_f64_e32 v203, v[70:71]
	v_cvt_f32_f64_e32 v205, v[72:73]
	;; [unrolled: 1-line block ×24, first 2 shown]
	v_min3_f32 v106, v188, v203, v138
	v_min3_f32 v107, v204, v205, v139
	;; [unrolled: 1-line block ×12, first 2 shown]
	v_add_f64 v[0:1], v[32:33], v[48:49]
	v_min3_f32 v142, v60, v61, v184
	s_waitcnt lgkmcnt(6)
	v_add_f64 v[170:171], v[34:35], v[42:43]
	v_min3_f32 v143, v222, v223, v185
	v_min3_f32 v144, v162, v163, v186
	;; [unrolled: 1-line block ×3, first 2 shown]
	v_add_f64 v[162:163], v[26:27], v[46:47]
	v_min3_f32 v146, v165, v167, v191
	v_add_f64 v[164:165], v[40:41], v[44:45]
	v_min3_f32 v147, v168, v169, v200
	v_add_f64 v[166:167], v[38:39], v[42:43]
	v_add_f64 v[168:169], v[36:37], v[44:45]
	;; [unrolled: 1-line block ×6, first 2 shown]
	s_waitcnt lgkmcnt(5)
	v_add_f64 v[200:201], v[40:41], v[52:53]
	v_add_f64 v[202:203], v[38:39], v[50:51]
	;; [unrolled: 1-line block ×10, first 2 shown]
	s_waitcnt lgkmcnt(4)
	v_add_f64 v[216:217], v[38:39], v[66:67]
	v_add_f64 v[218:219], v[40:41], v[68:69]
	v_cvt_f32_f64_e32 v191, v[0:1]
	v_cvt_f32_f64_e32 v220, v[162:163]
	;; [unrolled: 1-line block ×18, first 2 shown]
	v_add_f64 v[0:1], v[36:37], v[68:69]
	v_add_f64 v[162:163], v[34:35], v[66:67]
	;; [unrolled: 1-line block ×6, first 2 shown]
	s_waitcnt lgkmcnt(3)
	v_add_f64 v[172:173], v[40:41], v[104:105]
	v_add_f64 v[178:179], v[38:39], v[102:103]
	;; [unrolled: 1-line block ×8, first 2 shown]
	s_waitcnt lgkmcnt(2)
	v_add_f64 v[204:205], v[38:39], v[74:75]
	v_add_f64 v[206:207], v[40:41], v[76:77]
	v_add_f64 v[208:209], v[34:35], v[74:75]
	v_add_f64 v[210:211], v[36:37], v[76:77]
	v_add_f64 v[212:213], v[30:31], v[74:75]
	v_add_f64 v[214:215], v[32:33], v[76:77]
	v_add_f64 v[74:75], v[26:27], v[74:75]
	v_add_f64 v[76:77], v[28:29], v[76:77]
	v_cvt_f32_f64_e32 v186, v[58:59]
	v_cvt_f32_f64_e32 v221, v[60:61]
	;; [unrolled: 1-line block ×26, first 2 shown]
	ds_read_b128 v[70:73], v187 offset:528
	ds_read_b128 v[62:65], v187 offset:784
	ds_read_b128 v[54:57], v187 offset:1040
	ds_read_b128 v[90:93], v187 offset:3072
	ds_read_b128 v[86:89], v187 offset:3328
	ds_read_b128 v[82:85], v187 offset:3584
	ds_read_b128 v[78:81], v187 offset:3840
	v_min3_f32 v178, v186, v191, v148
	v_min3_f32 v179, v220, v221, v149
	;; [unrolled: 1-line block ×22, first 2 shown]
	s_waitcnt lgkmcnt(8)
	v_add_f64 v[0:1], v[40:41], v[100:101]
	v_add_f64 v[162:163], v[38:39], v[98:99]
	;; [unrolled: 1-line block ×8, first 2 shown]
	s_waitcnt lgkmcnt(7)
	v_add_f64 v[180:181], v[40:41], v[96:97]
	v_add_f64 v[182:183], v[38:39], v[94:95]
	;; [unrolled: 1-line block ×8, first 2 shown]
	s_waitcnt lgkmcnt(3)
	v_add_f64 v[208:209], v[38:39], v[90:91]
	v_add_f64 v[210:211], v[40:41], v[92:93]
	;; [unrolled: 1-line block ×6, first 2 shown]
	v_cvt_f32_f64_e32 v191, v[0:1]
	v_cvt_f32_f64_e32 v186, v[162:163]
	;; [unrolled: 1-line block ×18, first 2 shown]
	v_add_f64 v[0:1], v[28:29], v[92:93]
	v_add_f64 v[162:163], v[26:27], v[90:91]
	s_waitcnt lgkmcnt(2)
	v_add_f64 v[164:165], v[40:41], v[88:89]
	v_add_f64 v[166:167], v[38:39], v[86:87]
	;; [unrolled: 1-line block ×8, first 2 shown]
	s_waitcnt lgkmcnt(1)
	v_add_f64 v[184:185], v[40:41], v[84:85]
	v_add_f64 v[188:189], v[38:39], v[82:83]
	v_add_f64 v[200:201], v[36:37], v[84:85]
	v_add_f64 v[202:203], v[34:35], v[82:83]
	v_add_f64 v[204:205], v[32:33], v[84:85]
	v_add_f64 v[206:207], v[30:31], v[82:83]
	v_add_f64 v[208:209], v[28:29], v[84:85]
	v_add_f64 v[210:211], v[26:27], v[82:83]
	s_waitcnt lgkmcnt(0)
	v_add_f64 v[38:39], v[38:39], v[78:79]
	v_add_f64 v[40:41], v[40:41], v[80:81]
	;; [unrolled: 1-line block ×4, first 2 shown]
	v_cvt_f32_f64_e32 v212, v[212:213]
	v_cvt_f32_f64_e32 v213, v[214:215]
	;; [unrolled: 1-line block ×26, first 2 shown]
	v_min3_f32 v176, v186, v191, v116
	v_min3_f32 v177, v220, v221, v117
	;; [unrolled: 1-line block ×22, first 2 shown]
	v_add_f64 v[0:1], v[30:31], v[78:79]
	v_add_f64 v[30:31], v[32:33], v[80:81]
	;; [unrolled: 1-line block ×22, first 2 shown]
	v_cvt_f32_f64_e32 v180, v[0:1]
	v_cvt_f32_f64_e32 v181, v[30:31]
	v_cvt_f32_f64_e32 v182, v[26:27]
	v_cvt_f32_f64_e32 v183, v[28:29]
	v_cvt_f32_f64_e32 v184, v[32:33]
	v_cvt_f32_f64_e32 v185, v[78:79]
	v_cvt_f32_f64_e32 v186, v[80:81]
	v_cvt_f32_f64_e32 v188, v[128:129]
	v_cvt_f32_f64_e32 v189, v[130:131]
	v_cvt_f32_f64_e32 v191, v[132:133]
	v_cvt_f32_f64_e32 v200, v[22:23]
	v_cvt_f32_f64_e32 v201, v[24:25]
	v_cvt_f32_f64_e32 v202, v[134:135]
	v_cvt_f32_f64_e32 v203, v[136:137]
	v_cvt_f32_f64_e32 v162, v[162:163]
	v_cvt_f32_f64_e32 v163, v[164:165]
	v_cvt_f32_f64_e32 v164, v[166:167]
	v_add_f64 v[0:1], v[10:11], v[70:71]
	v_cvt_f32_f64_e32 v166, v[18:19]
	v_cvt_f32_f64_e32 v167, v[20:21]
	v_add_f64 v[18:19], v[12:13], v[72:73]
	v_add_f64 v[20:21], v[6:7], v[70:71]
	;; [unrolled: 1-line block ×21, first 2 shown]
	v_cvt_f32_f64_e32 v0, v[0:1]
	v_cvt_f32_f64_e32 v1, v[18:19]
	;; [unrolled: 1-line block ×22, first 2 shown]
	ds_read_b128 v[46:49], v187 offset:1296
	ds_read_b128 v[42:45], v187 offset:1552
	v_cvt_f32_f64_e32 v165, v[168:169]
	v_min3_f32 v245, v0, v1, v139
	v_min3_f32 v246, v20, v21, v140
	;; [unrolled: 1-line block ×3, first 2 shown]
	ds_read_b128 v[50:53], v187 offset:1808
	ds_read_b128 v[66:69], v187 offset:2064
	v_min3_f32 v243, v24, v25, v142
	v_min3_f32 v241, v26, v27, v143
	ds_read_b128 v[58:61], v187 offset:2320
	ds_read_b128 v[74:77], v187 offset:2576
	v_min3_f32 v242, v28, v29, v144
	v_min3_f32 v240, v30, v31, v145
	;; [unrolled: 1-line block ×8, first 2 shown]
	s_waitcnt lgkmcnt(5)
	v_add_f64 v[0:1], v[14:15], v[46:47]
	v_min3_f32 v218, v54, v55, v179
	v_add_f64 v[20:21], v[16:17], v[48:49]
	v_add_f64 v[22:23], v[10:11], v[46:47]
	;; [unrolled: 1-line block ×7, first 2 shown]
	s_waitcnt lgkmcnt(4)
	v_add_f64 v[46:47], v[14:15], v[42:43]
	v_add_f64 v[48:49], v[16:17], v[44:45]
	;; [unrolled: 1-line block ×8, first 2 shown]
	v_min3_f32 v234, v202, v203, v110
	v_min3_f32 v249, v162, v163, v111
	;; [unrolled: 1-line block ×4, first 2 shown]
	ds_read_b128 v[98:101], v187 offset:2832
	ds_read_b128 v[94:97], v187 offset:3088
	v_cvt_f32_f64_e32 v110, v[0:1]
	v_cvt_f32_f64_e32 v111, v[20:21]
	;; [unrolled: 1-line block ×6, first 2 shown]
	s_waitcnt lgkmcnt(5)
	v_add_f64 v[0:1], v[2:3], v[50:51]
	v_add_f64 v[20:21], v[4:5], v[52:53]
	v_cvt_f32_f64_e32 v130, v[46:47]
	v_cvt_f32_f64_e32 v131, v[48:49]
	s_waitcnt lgkmcnt(4)
	v_add_f64 v[22:23], v[14:15], v[66:67]
	v_add_f64 v[24:25], v[16:17], v[68:69]
	;; [unrolled: 1-line block ×4, first 2 shown]
	v_cvt_f32_f64_e32 v136, v[42:43]
	v_cvt_f32_f64_e32 v137, v[44:45]
	v_add_f64 v[42:43], v[2:3], v[66:67]
	v_add_f64 v[44:45], v[4:5], v[68:69]
	s_waitcnt lgkmcnt(3)
	v_add_f64 v[46:47], v[14:15], v[58:59]
	v_add_f64 v[48:49], v[16:17], v[60:61]
	ds_read_b128 v[90:93], v187 offset:3344
	ds_read_b128 v[86:89], v187 offset:3600
	;; [unrolled: 1-line block ×3, first 2 shown]
	v_min3_f32 v180, v184, v185, v106
	v_min3_f32 v187, v186, v188, v107
	v_min3_f32 v233, v200, v201, v109
	v_add_f64 v[70:71], v[14:15], v[50:51]
	v_add_f64 v[72:73], v[16:17], v[52:53]
	v_add_f64 v[78:79], v[10:11], v[50:51]
	v_add_f64 v[80:81], v[12:13], v[52:53]
	v_add_f64 v[106:107], v[6:7], v[50:51]
	v_add_f64 v[108:109], v[8:9], v[52:53]
	v_cvt_f32_f64_e32 v128, v[30:31]
	v_cvt_f32_f64_e32 v129, v[32:33]
	v_add_f64 v[30:31], v[6:7], v[66:67]
	v_add_f64 v[32:33], v[8:9], v[68:69]
	v_add_f64 v[50:51], v[10:11], v[58:59]
	v_add_f64 v[52:53], v[12:13], v[60:61]
	s_waitcnt lgkmcnt(5)
	v_add_f64 v[66:67], v[10:11], v[74:75]
	v_add_f64 v[68:69], v[12:13], v[76:77]
	v_cvt_f32_f64_e32 v0, v[0:1]
	v_cvt_f32_f64_e32 v1, v[20:21]
	;; [unrolled: 1-line block ×15, first 2 shown]
	v_add_f64 v[54:55], v[6:7], v[58:59]
	v_add_f64 v[58:59], v[2:3], v[58:59]
	;; [unrolled: 1-line block ×4, first 2 shown]
	v_cvt_f32_f64_e32 v24, v[30:31]
	v_cvt_f32_f64_e32 v25, v[32:33]
	;; [unrolled: 1-line block ×6, first 2 shown]
	v_min3_f32 v229, v0, v1, v155
	v_min3_f32 v199, v20, v21, v156
	v_add_f64 v[0:1], v[6:7], v[74:75]
	v_add_f64 v[20:21], v[8:9], v[76:77]
	v_min3_f32 v193, v26, v27, v159
	s_waitcnt lgkmcnt(4)
	v_add_f64 v[26:27], v[14:15], v[98:99]
	v_min3_f32 v192, v28, v29, v160
	v_add_f64 v[28:29], v[16:17], v[100:101]
	s_waitcnt lgkmcnt(3)
	v_add_f64 v[50:51], v[14:15], v[94:95]
	v_add_f64 v[52:53], v[16:17], v[96:97]
	v_cvt_f32_f64_e32 v133, v[56:57]
	v_add_f64 v[56:57], v[8:9], v[60:61]
	v_add_f64 v[60:61], v[4:5], v[60:61]
	v_cvt_f32_f64_e32 v32, v[54:55]
	v_cvt_f32_f64_e32 v42, v[58:59]
	;; [unrolled: 1-line block ×4, first 2 shown]
	v_min3_f32 v220, v70, v71, v152
	v_min3_f32 v198, v22, v23, v157
	;; [unrolled: 1-line block ×3, first 2 shown]
	v_add_f64 v[22:23], v[2:3], v[74:75]
	v_min3_f32 v215, v46, v47, v177
	v_add_f64 v[24:25], v[4:5], v[76:77]
	v_add_f64 v[46:47], v[2:3], v[98:99]
	;; [unrolled: 1-line block ×7, first 2 shown]
	v_cvt_f32_f64_e32 v70, v[0:1]
	v_cvt_f32_f64_e32 v71, v[20:21]
	;; [unrolled: 1-line block ×6, first 2 shown]
	s_waitcnt lgkmcnt(2)
	v_add_f64 v[0:1], v[10:11], v[90:91]
	v_add_f64 v[20:21], v[12:13], v[92:93]
	;; [unrolled: 1-line block ×4, first 2 shown]
	s_waitcnt lgkmcnt(1)
	v_add_f64 v[50:51], v[2:3], v[86:87]
	v_add_f64 v[52:53], v[4:5], v[88:89]
	s_waitcnt lgkmcnt(0)
	v_add_f64 v[2:3], v[2:3], v[82:83]
	v_add_f64 v[4:5], v[4:5], v[84:85]
	v_cvt_f32_f64_e32 v33, v[56:57]
	v_cvt_f32_f64_e32 v43, v[60:61]
	;; [unrolled: 1-line block ×4, first 2 shown]
	s_clause 0x1
	buffer_load_dword v173, off, s[28:31], 0 offset:8
	buffer_load_dword v172, off, s[28:31], 0 offset:4
	v_min3_f32 v255, v44, v45, v176
	s_clause 0x1
	buffer_load_dword v176, off, s[28:31], 0 offset:20
	buffer_load_dword v171, off, s[28:31], 0 offset:148
	v_cvt_f32_f64_e32 v72, v[78:79]
	v_cvt_f32_f64_e32 v73, v[80:81]
	;; [unrolled: 1-line block ×4, first 2 shown]
	v_min3_f32 v226, v30, v31, v161
	v_add_f64 v[30:31], v[10:11], v[98:99]
	v_cvt_f32_f64_e32 v0, v[0:1]
	v_cvt_f32_f64_e32 v1, v[20:21]
	v_add_f64 v[44:45], v[8:9], v[100:101]
	v_add_f64 v[56:57], v[12:13], v[96:97]
	;; [unrolled: 1-line block ×4, first 2 shown]
	v_cvt_f32_f64_e32 v2, v[2:3]
	v_cvt_f32_f64_e32 v3, v[4:5]
	v_min3_f32 v227, v32, v33, v174
	buffer_load_dword v174, off, s[28:31], 0 offset:12 ; 4-byte Folded Reload
	v_min3_f32 v225, v42, v43, v175
	buffer_load_dword v175, off, s[28:31], 0 offset:16 ; 4-byte Folded Reload
	v_add_f64 v[32:33], v[12:13], v[100:101]
	v_add_f64 v[42:43], v[6:7], v[98:99]
	;; [unrolled: 1-line block ×3, first 2 shown]
	v_cvt_f32_f64_e32 v80, v[46:47]
	v_cvt_f32_f64_e32 v81, v[48:49]
	v_min3_f32 v230, v72, v73, v153
	v_cvt_f32_f64_e32 v72, v[22:23]
	v_min3_f32 v219, v78, v79, v154
	v_cvt_f32_f64_e32 v73, v[24:25]
	v_cvt_f32_f64_e32 v76, v[30:31]
	v_add_f64 v[22:23], v[6:7], v[90:91]
	v_min3_f32 v207, v0, v1, v119
	buffer_load_dword v1, off, s[28:31], 0  ; 4-byte Folded Reload
	v_cvt_f32_f64_e32 v79, v[44:45]
	v_add_f64 v[24:25], v[8:9], v[92:93]
	v_add_f64 v[30:31], v[14:15], v[86:87]
	;; [unrolled: 1-line block ×3, first 2 shown]
	v_min3_f32 v188, v2, v3, v19
	s_clause 0x3
	buffer_load_dword v2, off, s[28:31], 0 offset:92
	buffer_load_dword v3, off, s[28:31], 0 offset:96
	;; [unrolled: 1-line block ×4, first 2 shown]
	v_add_f64 v[46:47], v[6:7], v[86:87]
	v_add_f64 v[48:49], v[8:9], v[88:89]
	;; [unrolled: 1-line block ×3, first 2 shown]
	v_cvt_f32_f64_e32 v77, v[32:33]
	v_cvt_f32_f64_e32 v78, v[42:43]
	v_add_f64 v[32:33], v[16:17], v[88:89]
	v_add_f64 v[42:43], v[10:11], v[86:87]
	;; [unrolled: 1-line block ×7, first 2 shown]
	v_cvt_f32_f64_e32 v54, v[54:55]
	v_cvt_f32_f64_e32 v55, v[56:57]
	;; [unrolled: 1-line block ×26, first 2 shown]
	v_min3_f32 v247, v168, v169, v138
	v_min3_f32 v239, v110, v111, v102
	;; [unrolled: 1-line block ×29, first 2 shown]
	s_waitcnt vmcnt(7)
	v_add_nc_u32_e32 v0, 0x1000, v171
	s_waitcnt vmcnt(4)
	v_add_co_u32 v1, vcc_lo, v1, 64
	v_add_co_ci_u32_e64 v172, null, 0, v172, vcc_lo
	v_add_co_u32 v173, vcc_lo, v173, 64
	s_waitcnt vmcnt(0)
	ds_write2st64_b64 v0, v[2:3], v[4:5] offset1:4
	s_clause 0x5
	buffer_load_dword v2, off, s[28:31], 0 offset:100
	buffer_load_dword v3, off, s[28:31], 0 offset:104
	;; [unrolled: 1-line block ×6, first 2 shown]
	v_add_co_ci_u32_e64 v174, null, 0, v174, vcc_lo
	v_add_co_u32 v175, vcc_lo, v175, 64
	v_add_co_ci_u32_e64 v176, null, 0, v176, vcc_lo
	v_add_nc_u32_e32 v0, 0x3000, v171
	s_waitcnt vmcnt(2)
	ds_write2st64_b64 v0, v[2:3], v[4:5] offset1:4
	s_waitcnt vmcnt(1)
	v_add_co_u32 v177, vcc_lo, v177, 64
	s_waitcnt vmcnt(0)
	v_add_co_ci_u32_e64 v178, null, 0, v178, vcc_lo
	s_waitcnt lgkmcnt(0)
	s_waitcnt_vscnt null, 0x0
	s_barrier
	buffer_gl0_inv
	s_cbranch_scc1 .LBB111_26
; %bb.25:                               ;   in Loop: Header=BB111_16 Depth=1
	buffer_load_dword v170, off, s[28:31], 0 offset:164 ; 4-byte Folded Reload
	s_branch .LBB111_16
.LBB111_26:
	s_clause 0x2
	buffer_load_dword v163, off, s[28:31], 0 offset:168
	buffer_load_dword v162, off, s[28:31], 0 offset:172
	;; [unrolled: 1-line block ×3, first 2 shown]
.LBB111_27:
	buffer_load_dword v0, off, s[28:31], 0 offset:144 ; 4-byte Folded Reload
	s_waitcnt vmcnt(1)
	ds_read_b128 v[158:161], v166 offset:12288
	v_add_nc_u32_e32 v168, s11, v163
	v_add_nc_u32_e32 v162, s10, v162
	s_waitcnt vmcnt(0)
	ds_read_b128 v[38:41], v0 offset:4096
	ds_read_b128 v[34:37], v0 offset:4112
	;; [unrolled: 1-line block ×3, first 2 shown]
	s_clause 0x2
	s_load_dword s1, s[4:5], 0x58
	s_load_dword s8, s[4:5], 0x70
	s_load_dwordx2 s[4:5], s[4:5], 0x78
	ds_read_b128 v[22:25], v0 offset:5120
	ds_read_b128 v[30:33], v0 offset:5136
	;; [unrolled: 1-line block ×34, first 2 shown]
	v_ashrrev_i32_e32 v163, 31, v162
	v_add_nc_u32_e32 v0, 32, v162
	v_ashrrev_i32_e32 v1, 31, v0
	s_waitcnt lgkmcnt(0)
	v_add_f64 v[10:11], v[38:39], v[158:159]
	v_add_f64 v[12:13], v[40:41], v[160:161]
	;; [unrolled: 1-line block ×4, first 2 shown]
	v_mad_i64_i32 v[164:165], null, v168, s8, 0
	s_lshl_b64 s[4:5], s[4:5], 3
	s_add_u32 s4, s6, s4
	s_addc_u32 s5, s7, s5
	s_mov_b32 s6, -1
	v_lshlrev_b64 v[164:165], 3, v[164:165]
	v_cvt_f32_f64_e32 v169, v[10:11]
	v_cvt_f32_f64_e32 v170, v[12:13]
	;; [unrolled: 1-line block ×4, first 2 shown]
	ds_read_b128 v[10:13], v166 offset:16128
	ds_read_b128 v[14:17], v166 offset:16144
	v_mad_i64_i32 v[166:167], null, v168, s1, 0
	v_lshlrev_b64 v[166:167], 3, v[166:167]
	v_min3_f32 v169, v169, v170, v180
	v_min3_f32 v173, v171, v172, v169
	v_add_co_u32 v169, vcc_lo, s4, v164
	v_add_co_ci_u32_e64 v170, null, s5, v165, vcc_lo
	v_add_co_u32 v171, vcc_lo, s2, v166
	v_lshlrev_b64 v[164:165], 3, v[162:163]
	v_add_co_ci_u32_e64 v172, null, s3, v167, vcc_lo
	v_max_f32_e32 v166, v173, v173
	s_mov_b32 vcc_lo, s0
	s_cbranch_vccz .LBB111_29
; %bb.28:
	v_min_f32_e32 v163, 0, v166
	v_add_co_u32 v175, vcc_lo, v169, v164
	v_add_co_ci_u32_e64 v176, null, v170, v165, vcc_lo
	v_cvt_f64_f32_e32 v[173:174], v163
	s_mov_b32 s6, 0
	flat_store_dwordx2 v[175:176], v[173:174]
.LBB111_29:
	v_lshlrev_b64 v[0:1], 3, v[0:1]
	v_mov_b32_e32 v163, 0
	s_andn2_b32 vcc_lo, exec_lo, s6
	s_cbranch_vccnz .LBB111_31
; %bb.30:
	v_add_co_u32 v173, vcc_lo, v171, v164
	v_add_co_ci_u32_e64 v174, null, v172, v165, vcc_lo
	flat_load_dwordx2 v[173:174], v[173:174]
	s_waitcnt vmcnt(0) lgkmcnt(0)
	v_mul_f64 v[173:174], s[12:13], v[173:174]
	v_cvt_f32_f64_e32 v163, v[173:174]
	v_add_co_u32 v173, vcc_lo, v169, v164
	v_add_co_ci_u32_e64 v174, null, v170, v165, vcc_lo
	v_add_co_u32 v175, vcc_lo, v171, v0
	v_add_co_ci_u32_e64 v176, null, v172, v1, vcc_lo
	v_min_f32_e32 v163, v163, v166
	v_cvt_f64_f32_e32 v[166:167], v163
	flat_store_dwordx2 v[173:174], v[166:167]
	flat_load_dwordx2 v[166:167], v[175:176]
	s_waitcnt vmcnt(0) lgkmcnt(0)
	v_mul_f64 v[166:167], s[12:13], v[166:167]
	v_cvt_f32_f64_e32 v163, v[166:167]
.LBB111_31:
	v_add_f64 v[166:167], v[22:23], v[158:159]
	v_add_f64 v[173:174], v[24:25], v[160:161]
	;; [unrolled: 1-line block ×7, first 2 shown]
	s_mov_b32 s6, -1
	v_cvt_f32_f64_e32 v185, v[166:167]
	v_cvt_f32_f64_e32 v173, v[173:174]
	;; [unrolled: 1-line block ×4, first 2 shown]
	v_add_f64 v[166:167], v[20:21], v[156:157]
	v_cvt_f32_f64_e32 v176, v[181:182]
	v_cvt_f32_f64_e32 v177, v[179:180]
	;; [unrolled: 1-line block ×3, first 2 shown]
	v_min3_f32 v173, v185, v173, v187
	v_min_f32_e32 v174, v174, v175
	v_cvt_f32_f64_e32 v175, v[166:167]
	v_add_nc_u32_e32 v166, 64, v162
	v_add_nc_u32_e32 v162, 0x60, v162
	v_min3_f32 v163, v163, v174, v173
	v_ashrrev_i32_e32 v167, 31, v166
	v_cvt_f64_f32_e32 v[173:174], v163
	v_min3_f32 v163, v176, v177, v190
	v_lshlrev_b64 v[166:167], 3, v[166:167]
	v_min3_f32 v177, v178, v175, v163
	v_add_co_u32 v175, vcc_lo, v169, v0
	v_add_co_ci_u32_e64 v176, null, v170, v1, vcc_lo
	v_ashrrev_i32_e32 v163, 31, v162
	v_max_f32_e32 v187, v177, v177
	s_mov_b32 vcc_lo, s0
	flat_store_dwordx2 v[175:176], v[173:174]
	s_cbranch_vccz .LBB111_33
; %bb.32:
	v_min_f32_e32 v173, 0, v187
	v_add_co_u32 v175, vcc_lo, v169, v166
	v_add_co_ci_u32_e64 v176, null, v170, v167, vcc_lo
	v_cvt_f64_f32_e32 v[173:174], v173
	s_mov_b32 s6, 0
	flat_store_dwordx2 v[175:176], v[173:174]
.LBB111_33:
	v_lshlrev_b64 v[162:163], 3, v[162:163]
	v_mov_b32_e32 v173, 0
	s_andn2_b32 vcc_lo, exec_lo, s6
	s_cbranch_vccnz .LBB111_35
; %bb.34:
	v_add_co_u32 v173, vcc_lo, v171, v166
	v_add_co_ci_u32_e64 v174, null, v172, v167, vcc_lo
	v_add_co_u32 v175, vcc_lo, v169, v166
	v_add_co_ci_u32_e64 v176, null, v170, v167, vcc_lo
	flat_load_dwordx2 v[173:174], v[173:174]
	v_add_co_u32 v171, vcc_lo, v171, v162
	v_add_co_ci_u32_e64 v172, null, v172, v163, vcc_lo
	s_waitcnt vmcnt(0) lgkmcnt(0)
	v_mul_f64 v[173:174], s[12:13], v[173:174]
	v_cvt_f32_f64_e32 v173, v[173:174]
	v_min_f32_e32 v173, v173, v187
	v_cvt_f64_f32_e32 v[173:174], v173
	flat_store_dwordx2 v[175:176], v[173:174]
	flat_load_dwordx2 v[171:172], v[171:172]
	s_waitcnt vmcnt(0) lgkmcnt(0)
	v_mul_f64 v[171:172], s[12:13], v[171:172]
	v_cvt_f32_f64_e32 v173, v[171:172]
.LBB111_35:
	v_add_f64 v[158:159], v[2:3], v[158:159]
	v_add_f64 v[160:161], v[4:5], v[160:161]
	;; [unrolled: 1-line block ×6, first 2 shown]
	v_add_co_u32 v169, vcc_lo, v169, v162
	v_add_co_ci_u32_e64 v170, null, v170, v163, vcc_lo
	s_mov_b32 s6, -1
	v_cvt_f32_f64_e32 v158, v[158:159]
	v_cvt_f32_f64_e32 v159, v[160:161]
	;; [unrolled: 1-line block ×4, first 2 shown]
	v_add_f64 v[154:155], v[34:35], v[146:147]
	v_add_f64 v[156:157], v[36:37], v[148:149]
	v_cvt_f32_f64_e32 v174, v[174:175]
	v_cvt_f32_f64_e32 v171, v[171:172]
	v_add_nc_u32_e32 v172, 8, v168
	v_min3_f32 v158, v158, v159, v233
	v_min_f32_e32 v159, v160, v161
	v_cvt_f32_f64_e32 v175, v[154:155]
	v_cvt_f32_f64_e32 v176, v[156:157]
	v_mad_i64_i32 v[154:155], null, v172, s8, 0
	v_min3_f32 v156, v173, v159, v158
	v_min3_f32 v158, v174, v171, v234
	v_cvt_f64_f32_e32 v[160:161], v156
	v_mad_i64_i32 v[156:157], null, v172, s1, 0
	v_lshlrev_b64 v[154:155], 3, v[154:155]
	v_add_co_u32 v154, vcc_lo, s4, v154
	v_lshlrev_b64 v[156:157], 3, v[156:157]
	v_add_co_ci_u32_e64 v155, null, s5, v155, vcc_lo
	v_min3_f32 v158, v175, v176, v158
	v_add_co_u32 v156, vcc_lo, s2, v156
	v_add_co_ci_u32_e64 v157, null, s3, v157, vcc_lo
	v_max_f32_e32 v159, v158, v158
	s_mov_b32 vcc_lo, s0
	flat_store_dwordx2 v[169:170], v[160:161]
	s_cbranch_vccz .LBB111_37
; %bb.36:
	v_min_f32_e32 v158, 0, v159
	v_add_co_u32 v169, vcc_lo, v154, v164
	v_add_co_ci_u32_e64 v170, null, v155, v165, vcc_lo
	v_cvt_f64_f32_e32 v[160:161], v158
	s_mov_b32 s6, 0
	flat_store_dwordx2 v[169:170], v[160:161]
.LBB111_37:
	v_mov_b32_e32 v158, 0
	s_andn2_b32 vcc_lo, exec_lo, s6
	s_cbranch_vccnz .LBB111_39
; %bb.38:
	v_add_co_u32 v160, vcc_lo, v156, v164
	v_add_co_ci_u32_e64 v161, null, v157, v165, vcc_lo
	flat_load_dwordx2 v[160:161], v[160:161]
	s_waitcnt vmcnt(0) lgkmcnt(0)
	v_mul_f64 v[160:161], s[12:13], v[160:161]
	v_cvt_f32_f64_e32 v158, v[160:161]
	v_add_co_u32 v160, vcc_lo, v154, v164
	v_add_co_ci_u32_e64 v161, null, v155, v165, vcc_lo
	v_add_co_u32 v169, vcc_lo, v156, v0
	v_add_co_ci_u32_e64 v170, null, v157, v1, vcc_lo
	v_min_f32_e32 v158, v158, v159
	v_cvt_f64_f32_e32 v[158:159], v158
	flat_store_dwordx2 v[160:161], v[158:159]
	flat_load_dwordx2 v[158:159], v[169:170]
	s_waitcnt vmcnt(0) lgkmcnt(0)
	v_mul_f64 v[158:159], s[12:13], v[158:159]
	v_cvt_f32_f64_e32 v158, v[158:159]
.LBB111_39:
	v_add_f64 v[159:160], v[22:23], v[150:151]
	v_add_f64 v[169:170], v[24:25], v[152:153]
	;; [unrolled: 1-line block ×7, first 2 shown]
	s_mov_b32 s6, -1
	v_cvt_f32_f64_e32 v161, v[159:160]
	v_cvt_f32_f64_e32 v169, v[169:170]
	;; [unrolled: 1-line block ×4, first 2 shown]
	v_add_f64 v[159:160], v[20:21], v[148:149]
	v_cvt_f32_f64_e32 v172, v[177:178]
	v_cvt_f32_f64_e32 v173, v[175:176]
	;; [unrolled: 1-line block ×3, first 2 shown]
	v_min3_f32 v161, v161, v169, v249
	v_min_f32_e32 v169, v170, v171
	v_cvt_f32_f64_e32 v159, v[159:160]
	v_min3_f32 v158, v158, v169, v161
	v_add_co_u32 v169, vcc_lo, v154, v0
	v_add_co_ci_u32_e64 v170, null, v155, v1, vcc_lo
	v_cvt_f64_f32_e32 v[160:161], v158
	v_min3_f32 v158, v172, v173, v191
	s_mov_b32 vcc_lo, s0
	v_min3_f32 v158, v174, v159, v158
	v_max_f32_e32 v159, v158, v158
	flat_store_dwordx2 v[169:170], v[160:161]
	s_cbranch_vccz .LBB111_41
; %bb.40:
	v_min_f32_e32 v158, 0, v159
	v_add_co_u32 v169, vcc_lo, v154, v166
	v_add_co_ci_u32_e64 v170, null, v155, v167, vcc_lo
	v_cvt_f64_f32_e32 v[160:161], v158
	s_mov_b32 s6, 0
	flat_store_dwordx2 v[169:170], v[160:161]
.LBB111_41:
	v_mov_b32_e32 v158, 0
	s_andn2_b32 vcc_lo, exec_lo, s6
	s_cbranch_vccnz .LBB111_43
; %bb.42:
	v_add_co_u32 v160, vcc_lo, v156, v166
	v_add_co_ci_u32_e64 v161, null, v157, v167, vcc_lo
	flat_load_dwordx2 v[160:161], v[160:161]
	s_waitcnt vmcnt(0) lgkmcnt(0)
	v_mul_f64 v[160:161], s[12:13], v[160:161]
	v_cvt_f32_f64_e32 v158, v[160:161]
	v_add_co_u32 v160, vcc_lo, v154, v166
	v_add_co_ci_u32_e64 v161, null, v155, v167, vcc_lo
	v_add_co_u32 v156, vcc_lo, v156, v162
	v_add_co_ci_u32_e64 v157, null, v157, v163, vcc_lo
	v_min_f32_e32 v158, v158, v159
	v_cvt_f64_f32_e32 v[158:159], v158
	flat_store_dwordx2 v[160:161], v[158:159]
	flat_load_dwordx2 v[156:157], v[156:157]
	s_waitcnt vmcnt(0) lgkmcnt(0)
	v_mul_f64 v[156:157], s[12:13], v[156:157]
	v_cvt_f32_f64_e32 v158, v[156:157]
.LBB111_43:
	v_add_f64 v[150:151], v[2:3], v[150:151]
	v_add_f64 v[152:153], v[4:5], v[152:153]
	;; [unrolled: 1-line block ×6, first 2 shown]
	v_add_co_u32 v154, vcc_lo, v154, v162
	v_add_co_ci_u32_e64 v155, null, v155, v163, vcc_lo
	s_mov_b32 s6, -1
	v_cvt_f32_f64_e32 v150, v[150:151]
	v_cvt_f32_f64_e32 v151, v[152:153]
	;; [unrolled: 1-line block ×4, first 2 shown]
	v_add_f64 v[146:147], v[34:35], v[138:139]
	v_add_f64 v[148:149], v[36:37], v[140:141]
	v_cvt_f32_f64_e32 v159, v[159:160]
	v_cvt_f32_f64_e32 v156, v[156:157]
	v_add_nc_u32_e32 v157, 16, v168
	v_min3_f32 v150, v150, v151, v248
	v_min_f32_e32 v151, v152, v153
	v_cvt_f32_f64_e32 v160, v[146:147]
	v_cvt_f32_f64_e32 v161, v[148:149]
	v_mad_i64_i32 v[146:147], null, v157, s8, 0
	v_min3_f32 v148, v158, v151, v150
	v_min3_f32 v150, v159, v156, v247
	v_cvt_f64_f32_e32 v[152:153], v148
	v_mad_i64_i32 v[148:149], null, v157, s1, 0
	v_lshlrev_b64 v[146:147], 3, v[146:147]
	v_add_co_u32 v146, vcc_lo, s4, v146
	v_lshlrev_b64 v[148:149], 3, v[148:149]
	v_add_co_ci_u32_e64 v147, null, s5, v147, vcc_lo
	v_min3_f32 v150, v160, v161, v150
	v_add_co_u32 v148, vcc_lo, s2, v148
	v_add_co_ci_u32_e64 v149, null, s3, v149, vcc_lo
	v_max_f32_e32 v151, v150, v150
	s_mov_b32 vcc_lo, s0
	flat_store_dwordx2 v[154:155], v[152:153]
	s_cbranch_vccz .LBB111_45
; %bb.44:
	v_min_f32_e32 v150, 0, v151
	v_add_co_u32 v154, vcc_lo, v146, v164
	v_add_co_ci_u32_e64 v155, null, v147, v165, vcc_lo
	v_cvt_f64_f32_e32 v[152:153], v150
	s_mov_b32 s6, 0
	flat_store_dwordx2 v[154:155], v[152:153]
.LBB111_45:
	v_mov_b32_e32 v150, 0
	s_andn2_b32 vcc_lo, exec_lo, s6
	s_cbranch_vccnz .LBB111_47
; %bb.46:
	v_add_co_u32 v152, vcc_lo, v148, v164
	v_add_co_ci_u32_e64 v153, null, v149, v165, vcc_lo
	flat_load_dwordx2 v[152:153], v[152:153]
	s_waitcnt vmcnt(0) lgkmcnt(0)
	v_mul_f64 v[152:153], s[12:13], v[152:153]
	v_cvt_f32_f64_e32 v150, v[152:153]
	v_add_co_u32 v152, vcc_lo, v146, v164
	v_add_co_ci_u32_e64 v153, null, v147, v165, vcc_lo
	v_add_co_u32 v154, vcc_lo, v148, v0
	v_add_co_ci_u32_e64 v155, null, v149, v1, vcc_lo
	v_min_f32_e32 v150, v150, v151
	v_cvt_f64_f32_e32 v[150:151], v150
	flat_store_dwordx2 v[152:153], v[150:151]
	flat_load_dwordx2 v[150:151], v[154:155]
	s_waitcnt vmcnt(0) lgkmcnt(0)
	v_mul_f64 v[150:151], s[12:13], v[150:151]
	v_cvt_f32_f64_e32 v150, v[150:151]
.LBB111_47:
	v_add_f64 v[151:152], v[22:23], v[142:143]
	v_add_f64 v[153:154], v[24:25], v[144:145]
	v_add_f64 v[155:156], v[30:31], v[138:139]
	v_add_f64 v[157:158], v[32:33], v[140:141]
	v_add_f64 v[159:160], v[28:29], v[144:145]
	v_add_f64 v[169:170], v[26:27], v[142:143]
	v_add_f64 v[171:172], v[18:19], v[138:139]
	s_mov_b32 s6, -1
	v_cvt_f32_f64_e32 v161, v[151:152]
	v_cvt_f32_f64_e32 v153, v[153:154]
	;; [unrolled: 1-line block ×4, first 2 shown]
	v_add_f64 v[151:152], v[20:21], v[140:141]
	v_cvt_f32_f64_e32 v156, v[169:170]
	v_cvt_f32_f64_e32 v157, v[159:160]
	;; [unrolled: 1-line block ×3, first 2 shown]
	v_min3_f32 v153, v161, v153, v245
	v_min_f32_e32 v154, v154, v155
	v_cvt_f32_f64_e32 v151, v[151:152]
	v_min3_f32 v150, v150, v154, v153
	v_add_co_u32 v154, vcc_lo, v146, v0
	v_add_co_ci_u32_e64 v155, null, v147, v1, vcc_lo
	v_cvt_f64_f32_e32 v[152:153], v150
	v_min3_f32 v150, v156, v157, v246
	s_mov_b32 vcc_lo, s0
	v_min3_f32 v150, v158, v151, v150
	v_max_f32_e32 v151, v150, v150
	flat_store_dwordx2 v[154:155], v[152:153]
	s_cbranch_vccz .LBB111_49
; %bb.48:
	v_min_f32_e32 v150, 0, v151
	v_add_co_u32 v154, vcc_lo, v146, v166
	v_add_co_ci_u32_e64 v155, null, v147, v167, vcc_lo
	v_cvt_f64_f32_e32 v[152:153], v150
	s_mov_b32 s6, 0
	flat_store_dwordx2 v[154:155], v[152:153]
.LBB111_49:
	v_mov_b32_e32 v150, 0
	s_andn2_b32 vcc_lo, exec_lo, s6
	s_cbranch_vccnz .LBB111_51
; %bb.50:
	v_add_co_u32 v152, vcc_lo, v148, v166
	v_add_co_ci_u32_e64 v153, null, v149, v167, vcc_lo
	flat_load_dwordx2 v[152:153], v[152:153]
	s_waitcnt vmcnt(0) lgkmcnt(0)
	v_mul_f64 v[152:153], s[12:13], v[152:153]
	v_cvt_f32_f64_e32 v150, v[152:153]
	v_add_co_u32 v152, vcc_lo, v146, v166
	v_add_co_ci_u32_e64 v153, null, v147, v167, vcc_lo
	v_add_co_u32 v148, vcc_lo, v148, v162
	v_add_co_ci_u32_e64 v149, null, v149, v163, vcc_lo
	v_min_f32_e32 v150, v150, v151
	v_cvt_f64_f32_e32 v[150:151], v150
	flat_store_dwordx2 v[152:153], v[150:151]
	flat_load_dwordx2 v[148:149], v[148:149]
	s_waitcnt vmcnt(0) lgkmcnt(0)
	v_mul_f64 v[148:149], s[12:13], v[148:149]
	v_cvt_f32_f64_e32 v150, v[148:149]
.LBB111_51:
	v_add_f64 v[142:143], v[2:3], v[142:143]
	v_add_f64 v[144:145], v[4:5], v[144:145]
	;; [unrolled: 1-line block ×6, first 2 shown]
	v_add_co_u32 v146, vcc_lo, v146, v162
	v_add_co_ci_u32_e64 v147, null, v147, v163, vcc_lo
	s_mov_b32 s6, -1
	v_cvt_f32_f64_e32 v142, v[142:143]
	v_cvt_f32_f64_e32 v143, v[144:145]
	;; [unrolled: 1-line block ×4, first 2 shown]
	v_add_f64 v[138:139], v[34:35], v[130:131]
	v_add_f64 v[140:141], v[36:37], v[132:133]
	v_cvt_f32_f64_e32 v151, v[151:152]
	v_cvt_f32_f64_e32 v148, v[148:149]
	v_add_nc_u32_e32 v149, 24, v168
	v_min3_f32 v142, v142, v143, v244
	v_min_f32_e32 v143, v144, v145
	v_cvt_f32_f64_e32 v152, v[138:139]
	v_cvt_f32_f64_e32 v153, v[140:141]
	v_mad_i64_i32 v[138:139], null, v149, s8, 0
	v_min3_f32 v140, v150, v143, v142
	v_min3_f32 v142, v151, v148, v243
	v_cvt_f64_f32_e32 v[144:145], v140
	v_mad_i64_i32 v[140:141], null, v149, s1, 0
	v_lshlrev_b64 v[138:139], 3, v[138:139]
	v_add_co_u32 v138, vcc_lo, s4, v138
	v_lshlrev_b64 v[140:141], 3, v[140:141]
	v_add_co_ci_u32_e64 v139, null, s5, v139, vcc_lo
	v_min3_f32 v142, v152, v153, v142
	v_add_co_u32 v140, vcc_lo, s2, v140
	v_add_co_ci_u32_e64 v141, null, s3, v141, vcc_lo
	v_max_f32_e32 v143, v142, v142
	s_mov_b32 vcc_lo, s0
	flat_store_dwordx2 v[146:147], v[144:145]
	s_cbranch_vccz .LBB111_53
; %bb.52:
	v_min_f32_e32 v142, 0, v143
	v_add_co_u32 v146, vcc_lo, v138, v164
	v_add_co_ci_u32_e64 v147, null, v139, v165, vcc_lo
	v_cvt_f64_f32_e32 v[144:145], v142
	s_mov_b32 s6, 0
	flat_store_dwordx2 v[146:147], v[144:145]
.LBB111_53:
	v_mov_b32_e32 v142, 0
	s_andn2_b32 vcc_lo, exec_lo, s6
	s_cbranch_vccnz .LBB111_55
; %bb.54:
	v_add_co_u32 v144, vcc_lo, v140, v164
	v_add_co_ci_u32_e64 v145, null, v141, v165, vcc_lo
	flat_load_dwordx2 v[144:145], v[144:145]
	s_waitcnt vmcnt(0) lgkmcnt(0)
	v_mul_f64 v[144:145], s[12:13], v[144:145]
	v_cvt_f32_f64_e32 v142, v[144:145]
	v_add_co_u32 v144, vcc_lo, v138, v164
	v_add_co_ci_u32_e64 v145, null, v139, v165, vcc_lo
	v_add_co_u32 v146, vcc_lo, v140, v0
	v_add_co_ci_u32_e64 v147, null, v141, v1, vcc_lo
	v_min_f32_e32 v142, v142, v143
	v_cvt_f64_f32_e32 v[142:143], v142
	flat_store_dwordx2 v[144:145], v[142:143]
	flat_load_dwordx2 v[142:143], v[146:147]
	s_waitcnt vmcnt(0) lgkmcnt(0)
	v_mul_f64 v[142:143], s[12:13], v[142:143]
	v_cvt_f32_f64_e32 v142, v[142:143]
.LBB111_55:
	v_add_f64 v[143:144], v[22:23], v[134:135]
	v_add_f64 v[145:146], v[24:25], v[136:137]
	;; [unrolled: 1-line block ×7, first 2 shown]
	s_mov_b32 s6, -1
	v_cvt_f32_f64_e32 v157, v[143:144]
	v_cvt_f32_f64_e32 v145, v[145:146]
	;; [unrolled: 1-line block ×4, first 2 shown]
	v_add_f64 v[143:144], v[20:21], v[132:133]
	v_cvt_f32_f64_e32 v148, v[153:154]
	v_cvt_f32_f64_e32 v149, v[151:152]
	;; [unrolled: 1-line block ×3, first 2 shown]
	v_min3_f32 v145, v157, v145, v241
	v_min_f32_e32 v146, v146, v147
	v_cvt_f32_f64_e32 v143, v[143:144]
	v_min3_f32 v142, v142, v146, v145
	v_add_co_u32 v146, vcc_lo, v138, v0
	v_add_co_ci_u32_e64 v147, null, v139, v1, vcc_lo
	v_cvt_f64_f32_e32 v[144:145], v142
	v_min3_f32 v142, v148, v149, v242
	s_mov_b32 vcc_lo, s0
	v_min3_f32 v142, v150, v143, v142
	v_max_f32_e32 v143, v142, v142
	flat_store_dwordx2 v[146:147], v[144:145]
	s_cbranch_vccz .LBB111_57
; %bb.56:
	v_min_f32_e32 v142, 0, v143
	v_add_co_u32 v146, vcc_lo, v138, v166
	v_add_co_ci_u32_e64 v147, null, v139, v167, vcc_lo
	v_cvt_f64_f32_e32 v[144:145], v142
	s_mov_b32 s6, 0
	flat_store_dwordx2 v[146:147], v[144:145]
.LBB111_57:
	v_mov_b32_e32 v142, 0
	s_andn2_b32 vcc_lo, exec_lo, s6
	s_cbranch_vccnz .LBB111_59
; %bb.58:
	v_add_co_u32 v144, vcc_lo, v140, v166
	v_add_co_ci_u32_e64 v145, null, v141, v167, vcc_lo
	flat_load_dwordx2 v[144:145], v[144:145]
	s_waitcnt vmcnt(0) lgkmcnt(0)
	v_mul_f64 v[144:145], s[12:13], v[144:145]
	v_cvt_f32_f64_e32 v142, v[144:145]
	v_add_co_u32 v144, vcc_lo, v138, v166
	v_add_co_ci_u32_e64 v145, null, v139, v167, vcc_lo
	v_add_co_u32 v140, vcc_lo, v140, v162
	v_add_co_ci_u32_e64 v141, null, v141, v163, vcc_lo
	v_min_f32_e32 v142, v142, v143
	v_cvt_f64_f32_e32 v[142:143], v142
	flat_store_dwordx2 v[144:145], v[142:143]
	flat_load_dwordx2 v[140:141], v[140:141]
	s_waitcnt vmcnt(0) lgkmcnt(0)
	v_mul_f64 v[140:141], s[12:13], v[140:141]
	v_cvt_f32_f64_e32 v142, v[140:141]
.LBB111_59:
	v_add_f64 v[134:135], v[2:3], v[134:135]
	v_add_f64 v[136:137], v[4:5], v[136:137]
	;; [unrolled: 1-line block ×6, first 2 shown]
	v_add_co_u32 v138, vcc_lo, v138, v162
	v_add_co_ci_u32_e64 v139, null, v139, v163, vcc_lo
	s_mov_b32 s6, -1
	v_cvt_f32_f64_e32 v134, v[134:135]
	v_cvt_f32_f64_e32 v135, v[136:137]
	;; [unrolled: 1-line block ×4, first 2 shown]
	v_add_f64 v[130:131], v[34:35], v[122:123]
	v_add_f64 v[132:133], v[36:37], v[124:125]
	v_cvt_f32_f64_e32 v143, v[143:144]
	v_cvt_f32_f64_e32 v140, v[140:141]
	v_add_nc_u32_e32 v141, 32, v168
	v_min3_f32 v134, v134, v135, v240
	v_min_f32_e32 v135, v136, v137
	v_cvt_f32_f64_e32 v144, v[130:131]
	v_cvt_f32_f64_e32 v145, v[132:133]
	v_mad_i64_i32 v[130:131], null, v141, s8, 0
	v_min3_f32 v132, v142, v135, v134
	v_min3_f32 v134, v143, v140, v224
	v_cvt_f64_f32_e32 v[136:137], v132
	v_mad_i64_i32 v[132:133], null, v141, s1, 0
	v_lshlrev_b64 v[130:131], 3, v[130:131]
	v_add_co_u32 v130, vcc_lo, s4, v130
	v_lshlrev_b64 v[132:133], 3, v[132:133]
	v_add_co_ci_u32_e64 v131, null, s5, v131, vcc_lo
	v_min3_f32 v134, v144, v145, v134
	v_add_co_u32 v132, vcc_lo, s2, v132
	v_add_co_ci_u32_e64 v133, null, s3, v133, vcc_lo
	v_max_f32_e32 v135, v134, v134
	s_mov_b32 vcc_lo, s0
	flat_store_dwordx2 v[138:139], v[136:137]
	s_cbranch_vccz .LBB111_61
; %bb.60:
	v_min_f32_e32 v134, 0, v135
	v_add_co_u32 v138, vcc_lo, v130, v164
	v_add_co_ci_u32_e64 v139, null, v131, v165, vcc_lo
	v_cvt_f64_f32_e32 v[136:137], v134
	s_mov_b32 s6, 0
	flat_store_dwordx2 v[138:139], v[136:137]
.LBB111_61:
	v_mov_b32_e32 v134, 0
	s_andn2_b32 vcc_lo, exec_lo, s6
	s_cbranch_vccnz .LBB111_63
; %bb.62:
	v_add_co_u32 v136, vcc_lo, v132, v164
	v_add_co_ci_u32_e64 v137, null, v133, v165, vcc_lo
	flat_load_dwordx2 v[136:137], v[136:137]
	s_waitcnt vmcnt(0) lgkmcnt(0)
	v_mul_f64 v[136:137], s[12:13], v[136:137]
	v_cvt_f32_f64_e32 v134, v[136:137]
	v_add_co_u32 v136, vcc_lo, v130, v164
	v_add_co_ci_u32_e64 v137, null, v131, v165, vcc_lo
	v_add_co_u32 v138, vcc_lo, v132, v0
	v_add_co_ci_u32_e64 v139, null, v133, v1, vcc_lo
	v_min_f32_e32 v134, v134, v135
	v_cvt_f64_f32_e32 v[134:135], v134
	flat_store_dwordx2 v[136:137], v[134:135]
	flat_load_dwordx2 v[134:135], v[138:139]
	s_waitcnt vmcnt(0) lgkmcnt(0)
	v_mul_f64 v[134:135], s[12:13], v[134:135]
	v_cvt_f32_f64_e32 v134, v[134:135]
.LBB111_63:
	v_add_f64 v[135:136], v[22:23], v[126:127]
	v_add_f64 v[137:138], v[24:25], v[128:129]
	;; [unrolled: 1-line block ×7, first 2 shown]
	s_mov_b32 s6, -1
	v_cvt_f32_f64_e32 v149, v[135:136]
	v_cvt_f32_f64_e32 v137, v[137:138]
	;; [unrolled: 1-line block ×4, first 2 shown]
	v_add_f64 v[135:136], v[20:21], v[124:125]
	v_cvt_f32_f64_e32 v140, v[145:146]
	v_cvt_f32_f64_e32 v141, v[143:144]
	;; [unrolled: 1-line block ×3, first 2 shown]
	v_min3_f32 v137, v149, v137, v221
	v_min_f32_e32 v138, v138, v139
	v_cvt_f32_f64_e32 v135, v[135:136]
	v_min3_f32 v134, v134, v138, v137
	v_add_co_u32 v138, vcc_lo, v130, v0
	v_add_co_ci_u32_e64 v139, null, v131, v1, vcc_lo
	v_cvt_f64_f32_e32 v[136:137], v134
	v_min3_f32 v134, v140, v141, v222
	s_mov_b32 vcc_lo, s0
	v_min3_f32 v134, v142, v135, v134
	v_max_f32_e32 v135, v134, v134
	flat_store_dwordx2 v[138:139], v[136:137]
	s_cbranch_vccz .LBB111_65
; %bb.64:
	v_min_f32_e32 v134, 0, v135
	v_add_co_u32 v138, vcc_lo, v130, v166
	v_add_co_ci_u32_e64 v139, null, v131, v167, vcc_lo
	v_cvt_f64_f32_e32 v[136:137], v134
	s_mov_b32 s6, 0
	flat_store_dwordx2 v[138:139], v[136:137]
.LBB111_65:
	v_mov_b32_e32 v134, 0
	s_andn2_b32 vcc_lo, exec_lo, s6
	s_cbranch_vccnz .LBB111_67
; %bb.66:
	v_add_co_u32 v136, vcc_lo, v132, v166
	v_add_co_ci_u32_e64 v137, null, v133, v167, vcc_lo
	flat_load_dwordx2 v[136:137], v[136:137]
	s_waitcnt vmcnt(0) lgkmcnt(0)
	v_mul_f64 v[136:137], s[12:13], v[136:137]
	v_cvt_f32_f64_e32 v134, v[136:137]
	v_add_co_u32 v136, vcc_lo, v130, v166
	v_add_co_ci_u32_e64 v137, null, v131, v167, vcc_lo
	v_add_co_u32 v132, vcc_lo, v132, v162
	v_add_co_ci_u32_e64 v133, null, v133, v163, vcc_lo
	v_min_f32_e32 v134, v134, v135
	v_cvt_f64_f32_e32 v[134:135], v134
	flat_store_dwordx2 v[136:137], v[134:135]
	flat_load_dwordx2 v[132:133], v[132:133]
	s_waitcnt vmcnt(0) lgkmcnt(0)
	v_mul_f64 v[132:133], s[12:13], v[132:133]
	v_cvt_f32_f64_e32 v134, v[132:133]
.LBB111_67:
	v_add_f64 v[126:127], v[2:3], v[126:127]
	v_add_f64 v[128:129], v[4:5], v[128:129]
	;; [unrolled: 1-line block ×6, first 2 shown]
	v_add_co_u32 v130, vcc_lo, v130, v162
	v_add_co_ci_u32_e64 v131, null, v131, v163, vcc_lo
	s_mov_b32 s6, -1
	v_cvt_f32_f64_e32 v126, v[126:127]
	v_cvt_f32_f64_e32 v127, v[128:129]
	;; [unrolled: 1-line block ×4, first 2 shown]
	v_add_f64 v[122:123], v[34:35], v[114:115]
	v_add_f64 v[124:125], v[36:37], v[116:117]
	v_cvt_f32_f64_e32 v135, v[135:136]
	v_cvt_f32_f64_e32 v132, v[132:133]
	v_add_nc_u32_e32 v133, 40, v168
	v_min3_f32 v126, v126, v127, v218
	v_min_f32_e32 v127, v128, v129
	v_cvt_f32_f64_e32 v136, v[122:123]
	v_cvt_f32_f64_e32 v137, v[124:125]
	v_mad_i64_i32 v[122:123], null, v133, s8, 0
	v_min3_f32 v124, v134, v127, v126
	v_min3_f32 v126, v135, v132, v239
	v_cvt_f64_f32_e32 v[128:129], v124
	v_mad_i64_i32 v[124:125], null, v133, s1, 0
	v_lshlrev_b64 v[122:123], 3, v[122:123]
	v_add_co_u32 v122, vcc_lo, s4, v122
	v_lshlrev_b64 v[124:125], 3, v[124:125]
	v_add_co_ci_u32_e64 v123, null, s5, v123, vcc_lo
	v_min3_f32 v126, v136, v137, v126
	v_add_co_u32 v124, vcc_lo, s2, v124
	v_add_co_ci_u32_e64 v125, null, s3, v125, vcc_lo
	v_max_f32_e32 v127, v126, v126
	s_mov_b32 vcc_lo, s0
	flat_store_dwordx2 v[130:131], v[128:129]
	s_cbranch_vccz .LBB111_69
; %bb.68:
	v_min_f32_e32 v126, 0, v127
	v_add_co_u32 v130, vcc_lo, v122, v164
	v_add_co_ci_u32_e64 v131, null, v123, v165, vcc_lo
	v_cvt_f64_f32_e32 v[128:129], v126
	s_mov_b32 s6, 0
	flat_store_dwordx2 v[130:131], v[128:129]
.LBB111_69:
	v_mov_b32_e32 v126, 0
	s_andn2_b32 vcc_lo, exec_lo, s6
	s_cbranch_vccnz .LBB111_71
; %bb.70:
	v_add_co_u32 v128, vcc_lo, v124, v164
	v_add_co_ci_u32_e64 v129, null, v125, v165, vcc_lo
	flat_load_dwordx2 v[128:129], v[128:129]
	s_waitcnt vmcnt(0) lgkmcnt(0)
	v_mul_f64 v[128:129], s[12:13], v[128:129]
	v_cvt_f32_f64_e32 v126, v[128:129]
	v_add_co_u32 v128, vcc_lo, v122, v164
	v_add_co_ci_u32_e64 v129, null, v123, v165, vcc_lo
	v_add_co_u32 v130, vcc_lo, v124, v0
	v_add_co_ci_u32_e64 v131, null, v125, v1, vcc_lo
	v_min_f32_e32 v126, v126, v127
	v_cvt_f64_f32_e32 v[126:127], v126
	flat_store_dwordx2 v[128:129], v[126:127]
	flat_load_dwordx2 v[126:127], v[130:131]
	s_waitcnt vmcnt(0) lgkmcnt(0)
	v_mul_f64 v[126:127], s[12:13], v[126:127]
	v_cvt_f32_f64_e32 v126, v[126:127]
.LBB111_71:
	v_add_f64 v[127:128], v[22:23], v[118:119]
	v_add_f64 v[129:130], v[24:25], v[120:121]
	;; [unrolled: 1-line block ×7, first 2 shown]
	s_mov_b32 s6, -1
	v_cvt_f32_f64_e32 v141, v[127:128]
	v_cvt_f32_f64_e32 v129, v[129:130]
	;; [unrolled: 1-line block ×4, first 2 shown]
	v_add_f64 v[127:128], v[20:21], v[116:117]
	v_cvt_f32_f64_e32 v132, v[137:138]
	v_cvt_f32_f64_e32 v133, v[135:136]
	;; [unrolled: 1-line block ×3, first 2 shown]
	v_min3_f32 v129, v141, v129, v237
	v_min_f32_e32 v130, v130, v131
	v_cvt_f32_f64_e32 v127, v[127:128]
	v_min3_f32 v126, v126, v130, v129
	v_add_co_u32 v130, vcc_lo, v122, v0
	v_add_co_ci_u32_e64 v131, null, v123, v1, vcc_lo
	v_cvt_f64_f32_e32 v[128:129], v126
	v_min3_f32 v126, v132, v133, v238
	s_mov_b32 vcc_lo, s0
	v_min3_f32 v126, v134, v127, v126
	v_max_f32_e32 v127, v126, v126
	flat_store_dwordx2 v[130:131], v[128:129]
	s_cbranch_vccz .LBB111_73
; %bb.72:
	v_min_f32_e32 v126, 0, v127
	v_add_co_u32 v130, vcc_lo, v122, v166
	v_add_co_ci_u32_e64 v131, null, v123, v167, vcc_lo
	v_cvt_f64_f32_e32 v[128:129], v126
	s_mov_b32 s6, 0
	flat_store_dwordx2 v[130:131], v[128:129]
.LBB111_73:
	v_mov_b32_e32 v126, 0
	s_andn2_b32 vcc_lo, exec_lo, s6
	s_cbranch_vccnz .LBB111_75
; %bb.74:
	v_add_co_u32 v128, vcc_lo, v124, v166
	v_add_co_ci_u32_e64 v129, null, v125, v167, vcc_lo
	flat_load_dwordx2 v[128:129], v[128:129]
	s_waitcnt vmcnt(0) lgkmcnt(0)
	v_mul_f64 v[128:129], s[12:13], v[128:129]
	v_cvt_f32_f64_e32 v126, v[128:129]
	v_add_co_u32 v128, vcc_lo, v122, v166
	v_add_co_ci_u32_e64 v129, null, v123, v167, vcc_lo
	v_add_co_u32 v124, vcc_lo, v124, v162
	v_add_co_ci_u32_e64 v125, null, v125, v163, vcc_lo
	v_min_f32_e32 v126, v126, v127
	v_cvt_f64_f32_e32 v[126:127], v126
	flat_store_dwordx2 v[128:129], v[126:127]
	flat_load_dwordx2 v[124:125], v[124:125]
	s_waitcnt vmcnt(0) lgkmcnt(0)
	v_mul_f64 v[124:125], s[12:13], v[124:125]
	v_cvt_f32_f64_e32 v126, v[124:125]
.LBB111_75:
	v_add_f64 v[118:119], v[2:3], v[118:119]
	v_add_f64 v[120:121], v[4:5], v[120:121]
	;; [unrolled: 1-line block ×6, first 2 shown]
	v_add_co_u32 v122, vcc_lo, v122, v162
	v_add_co_ci_u32_e64 v123, null, v123, v163, vcc_lo
	s_mov_b32 s6, -1
	v_cvt_f32_f64_e32 v118, v[118:119]
	v_cvt_f32_f64_e32 v119, v[120:121]
	;; [unrolled: 1-line block ×4, first 2 shown]
	v_add_f64 v[114:115], v[34:35], v[106:107]
	v_add_f64 v[116:117], v[36:37], v[108:109]
	v_cvt_f32_f64_e32 v127, v[127:128]
	v_cvt_f32_f64_e32 v124, v[124:125]
	v_add_nc_u32_e32 v125, 48, v168
	v_min3_f32 v118, v118, v119, v236
	v_min_f32_e32 v119, v120, v121
	v_cvt_f32_f64_e32 v128, v[114:115]
	v_cvt_f32_f64_e32 v129, v[116:117]
	v_mad_i64_i32 v[114:115], null, v125, s8, 0
	v_min3_f32 v116, v126, v119, v118
	v_min3_f32 v118, v127, v124, v235
	v_cvt_f64_f32_e32 v[120:121], v116
	v_mad_i64_i32 v[116:117], null, v125, s1, 0
	v_lshlrev_b64 v[114:115], 3, v[114:115]
	v_add_co_u32 v114, vcc_lo, s4, v114
	v_lshlrev_b64 v[116:117], 3, v[116:117]
	v_add_co_ci_u32_e64 v115, null, s5, v115, vcc_lo
	v_min3_f32 v118, v128, v129, v118
	v_add_co_u32 v116, vcc_lo, s2, v116
	v_add_co_ci_u32_e64 v117, null, s3, v117, vcc_lo
	v_max_f32_e32 v119, v118, v118
	s_mov_b32 vcc_lo, s0
	flat_store_dwordx2 v[122:123], v[120:121]
	s_cbranch_vccz .LBB111_77
; %bb.76:
	v_min_f32_e32 v118, 0, v119
	v_add_co_u32 v122, vcc_lo, v114, v164
	v_add_co_ci_u32_e64 v123, null, v115, v165, vcc_lo
	v_cvt_f64_f32_e32 v[120:121], v118
	s_mov_b32 s6, 0
	flat_store_dwordx2 v[122:123], v[120:121]
.LBB111_77:
	v_mov_b32_e32 v118, 0
	s_andn2_b32 vcc_lo, exec_lo, s6
	s_cbranch_vccnz .LBB111_79
; %bb.78:
	v_add_co_u32 v120, vcc_lo, v116, v164
	v_add_co_ci_u32_e64 v121, null, v117, v165, vcc_lo
	flat_load_dwordx2 v[120:121], v[120:121]
	s_waitcnt vmcnt(0) lgkmcnt(0)
	v_mul_f64 v[120:121], s[12:13], v[120:121]
	v_cvt_f32_f64_e32 v118, v[120:121]
	v_add_co_u32 v120, vcc_lo, v114, v164
	v_add_co_ci_u32_e64 v121, null, v115, v165, vcc_lo
	v_add_co_u32 v122, vcc_lo, v116, v0
	v_add_co_ci_u32_e64 v123, null, v117, v1, vcc_lo
	v_min_f32_e32 v118, v118, v119
	v_cvt_f64_f32_e32 v[118:119], v118
	flat_store_dwordx2 v[120:121], v[118:119]
	flat_load_dwordx2 v[118:119], v[122:123]
	s_waitcnt vmcnt(0) lgkmcnt(0)
	v_mul_f64 v[118:119], s[12:13], v[118:119]
	v_cvt_f32_f64_e32 v118, v[118:119]
.LBB111_79:
	v_add_f64 v[119:120], v[22:23], v[110:111]
	v_add_f64 v[121:122], v[24:25], v[112:113]
	;; [unrolled: 1-line block ×7, first 2 shown]
	s_mov_b32 s6, -1
	v_cvt_f32_f64_e32 v133, v[119:120]
	v_cvt_f32_f64_e32 v121, v[121:122]
	;; [unrolled: 1-line block ×4, first 2 shown]
	v_add_f64 v[119:120], v[20:21], v[108:109]
	v_cvt_f32_f64_e32 v124, v[129:130]
	v_cvt_f32_f64_e32 v125, v[127:128]
	;; [unrolled: 1-line block ×3, first 2 shown]
	v_min3_f32 v121, v133, v121, v231
	v_min_f32_e32 v122, v122, v123
	v_cvt_f32_f64_e32 v119, v[119:120]
	v_min3_f32 v118, v118, v122, v121
	v_add_co_u32 v122, vcc_lo, v114, v0
	v_add_co_ci_u32_e64 v123, null, v115, v1, vcc_lo
	v_cvt_f64_f32_e32 v[120:121], v118
	v_min3_f32 v118, v124, v125, v232
	s_mov_b32 vcc_lo, s0
	v_min3_f32 v118, v126, v119, v118
	v_max_f32_e32 v119, v118, v118
	flat_store_dwordx2 v[122:123], v[120:121]
	s_cbranch_vccz .LBB111_81
; %bb.80:
	v_min_f32_e32 v118, 0, v119
	v_add_co_u32 v122, vcc_lo, v114, v166
	v_add_co_ci_u32_e64 v123, null, v115, v167, vcc_lo
	v_cvt_f64_f32_e32 v[120:121], v118
	s_mov_b32 s6, 0
	flat_store_dwordx2 v[122:123], v[120:121]
.LBB111_81:
	v_mov_b32_e32 v118, 0
	s_andn2_b32 vcc_lo, exec_lo, s6
	s_cbranch_vccnz .LBB111_83
; %bb.82:
	v_add_co_u32 v120, vcc_lo, v116, v166
	v_add_co_ci_u32_e64 v121, null, v117, v167, vcc_lo
	flat_load_dwordx2 v[120:121], v[120:121]
	s_waitcnt vmcnt(0) lgkmcnt(0)
	v_mul_f64 v[120:121], s[12:13], v[120:121]
	v_cvt_f32_f64_e32 v118, v[120:121]
	v_add_co_u32 v120, vcc_lo, v114, v166
	v_add_co_ci_u32_e64 v121, null, v115, v167, vcc_lo
	v_add_co_u32 v116, vcc_lo, v116, v162
	v_add_co_ci_u32_e64 v117, null, v117, v163, vcc_lo
	v_min_f32_e32 v118, v118, v119
	v_cvt_f64_f32_e32 v[118:119], v118
	flat_store_dwordx2 v[120:121], v[118:119]
	flat_load_dwordx2 v[116:117], v[116:117]
	s_waitcnt vmcnt(0) lgkmcnt(0)
	v_mul_f64 v[116:117], s[12:13], v[116:117]
	v_cvt_f32_f64_e32 v118, v[116:117]
.LBB111_83:
	v_add_f64 v[110:111], v[2:3], v[110:111]
	v_add_f64 v[112:113], v[4:5], v[112:113]
	;; [unrolled: 1-line block ×6, first 2 shown]
	v_add_co_u32 v114, vcc_lo, v114, v162
	v_add_co_ci_u32_e64 v115, null, v115, v163, vcc_lo
	s_mov_b32 s6, -1
	v_cvt_f32_f64_e32 v110, v[110:111]
	v_cvt_f32_f64_e32 v111, v[112:113]
	;; [unrolled: 1-line block ×4, first 2 shown]
	v_add_f64 v[106:107], v[34:35], v[98:99]
	v_add_f64 v[108:109], v[36:37], v[100:101]
	v_cvt_f32_f64_e32 v119, v[119:120]
	v_cvt_f32_f64_e32 v116, v[116:117]
	v_add_nc_u32_e32 v117, 56, v168
	v_min3_f32 v110, v110, v111, v223
	v_min_f32_e32 v111, v112, v113
	v_cvt_f32_f64_e32 v120, v[106:107]
	v_cvt_f32_f64_e32 v121, v[108:109]
	v_mad_i64_i32 v[106:107], null, v117, s8, 0
	v_min3_f32 v108, v118, v111, v110
	v_min3_f32 v110, v119, v116, v220
	v_cvt_f64_f32_e32 v[112:113], v108
	v_mad_i64_i32 v[108:109], null, v117, s1, 0
	v_lshlrev_b64 v[106:107], 3, v[106:107]
	v_add_co_u32 v106, vcc_lo, s4, v106
	v_lshlrev_b64 v[108:109], 3, v[108:109]
	v_add_co_ci_u32_e64 v107, null, s5, v107, vcc_lo
	v_min3_f32 v110, v120, v121, v110
	v_add_co_u32 v108, vcc_lo, s2, v108
	v_add_co_ci_u32_e64 v109, null, s3, v109, vcc_lo
	v_max_f32_e32 v111, v110, v110
	s_mov_b32 vcc_lo, s0
	flat_store_dwordx2 v[114:115], v[112:113]
	s_cbranch_vccz .LBB111_85
; %bb.84:
	v_min_f32_e32 v110, 0, v111
	v_add_co_u32 v114, vcc_lo, v106, v164
	v_add_co_ci_u32_e64 v115, null, v107, v165, vcc_lo
	v_cvt_f64_f32_e32 v[112:113], v110
	s_mov_b32 s6, 0
	flat_store_dwordx2 v[114:115], v[112:113]
.LBB111_85:
	v_mov_b32_e32 v110, 0
	s_andn2_b32 vcc_lo, exec_lo, s6
	s_cbranch_vccnz .LBB111_87
; %bb.86:
	v_add_co_u32 v112, vcc_lo, v108, v164
	v_add_co_ci_u32_e64 v113, null, v109, v165, vcc_lo
	flat_load_dwordx2 v[112:113], v[112:113]
	s_waitcnt vmcnt(0) lgkmcnt(0)
	v_mul_f64 v[112:113], s[12:13], v[112:113]
	v_cvt_f32_f64_e32 v110, v[112:113]
	v_add_co_u32 v112, vcc_lo, v106, v164
	v_add_co_ci_u32_e64 v113, null, v107, v165, vcc_lo
	v_add_co_u32 v114, vcc_lo, v108, v0
	v_add_co_ci_u32_e64 v115, null, v109, v1, vcc_lo
	v_min_f32_e32 v110, v110, v111
	v_cvt_f64_f32_e32 v[110:111], v110
	flat_store_dwordx2 v[112:113], v[110:111]
	flat_load_dwordx2 v[110:111], v[114:115]
	s_waitcnt vmcnt(0) lgkmcnt(0)
	v_mul_f64 v[110:111], s[12:13], v[110:111]
	v_cvt_f32_f64_e32 v110, v[110:111]
.LBB111_87:
	v_add_f64 v[111:112], v[22:23], v[102:103]
	v_add_f64 v[113:114], v[24:25], v[104:105]
	;; [unrolled: 1-line block ×7, first 2 shown]
	s_mov_b32 s6, -1
	v_cvt_f32_f64_e32 v125, v[111:112]
	v_cvt_f32_f64_e32 v113, v[113:114]
	;; [unrolled: 1-line block ×4, first 2 shown]
	v_add_f64 v[111:112], v[20:21], v[100:101]
	v_cvt_f32_f64_e32 v116, v[121:122]
	v_cvt_f32_f64_e32 v117, v[119:120]
	;; [unrolled: 1-line block ×3, first 2 shown]
	v_min3_f32 v113, v125, v113, v230
	v_min_f32_e32 v114, v114, v115
	v_cvt_f32_f64_e32 v111, v[111:112]
	v_min3_f32 v110, v110, v114, v113
	v_add_co_u32 v114, vcc_lo, v106, v0
	v_add_co_ci_u32_e64 v115, null, v107, v1, vcc_lo
	v_cvt_f64_f32_e32 v[112:113], v110
	v_min3_f32 v110, v116, v117, v219
	s_mov_b32 vcc_lo, s0
	v_min3_f32 v110, v118, v111, v110
	v_max_f32_e32 v111, v110, v110
	flat_store_dwordx2 v[114:115], v[112:113]
	s_cbranch_vccz .LBB111_89
; %bb.88:
	v_min_f32_e32 v110, 0, v111
	v_add_co_u32 v114, vcc_lo, v106, v166
	v_add_co_ci_u32_e64 v115, null, v107, v167, vcc_lo
	v_cvt_f64_f32_e32 v[112:113], v110
	s_mov_b32 s6, 0
	flat_store_dwordx2 v[114:115], v[112:113]
.LBB111_89:
	v_mov_b32_e32 v110, 0
	s_andn2_b32 vcc_lo, exec_lo, s6
	s_cbranch_vccnz .LBB111_91
; %bb.90:
	v_add_co_u32 v112, vcc_lo, v108, v166
	v_add_co_ci_u32_e64 v113, null, v109, v167, vcc_lo
	flat_load_dwordx2 v[112:113], v[112:113]
	s_waitcnt vmcnt(0) lgkmcnt(0)
	v_mul_f64 v[112:113], s[12:13], v[112:113]
	v_cvt_f32_f64_e32 v110, v[112:113]
	v_add_co_u32 v112, vcc_lo, v106, v166
	v_add_co_ci_u32_e64 v113, null, v107, v167, vcc_lo
	v_add_co_u32 v108, vcc_lo, v108, v162
	v_add_co_ci_u32_e64 v109, null, v109, v163, vcc_lo
	v_min_f32_e32 v110, v110, v111
	v_cvt_f64_f32_e32 v[110:111], v110
	flat_store_dwordx2 v[112:113], v[110:111]
	flat_load_dwordx2 v[108:109], v[108:109]
	s_waitcnt vmcnt(0) lgkmcnt(0)
	v_mul_f64 v[108:109], s[12:13], v[108:109]
	v_cvt_f32_f64_e32 v110, v[108:109]
.LBB111_91:
	v_add_f64 v[102:103], v[2:3], v[102:103]
	v_add_f64 v[104:105], v[4:5], v[104:105]
	;; [unrolled: 1-line block ×6, first 2 shown]
	v_add_co_u32 v106, vcc_lo, v106, v162
	v_add_co_ci_u32_e64 v107, null, v107, v163, vcc_lo
	s_mov_b32 s6, -1
	v_cvt_f32_f64_e32 v102, v[102:103]
	v_cvt_f32_f64_e32 v103, v[104:105]
	;; [unrolled: 1-line block ×4, first 2 shown]
	v_add_f64 v[98:99], v[34:35], v[90:91]
	v_add_f64 v[100:101], v[36:37], v[92:93]
	v_cvt_f32_f64_e32 v111, v[111:112]
	v_cvt_f32_f64_e32 v108, v[108:109]
	v_add_nc_u32_e32 v109, 64, v168
	v_min3_f32 v102, v102, v103, v229
	v_min_f32_e32 v103, v104, v105
	v_cvt_f32_f64_e32 v112, v[98:99]
	v_cvt_f32_f64_e32 v113, v[100:101]
	v_mad_i64_i32 v[98:99], null, v109, s8, 0
	v_min3_f32 v100, v110, v103, v102
	v_min3_f32 v102, v111, v108, v199
	v_cvt_f64_f32_e32 v[104:105], v100
	v_mad_i64_i32 v[100:101], null, v109, s1, 0
	v_lshlrev_b64 v[98:99], 3, v[98:99]
	v_add_co_u32 v98, vcc_lo, s4, v98
	v_lshlrev_b64 v[100:101], 3, v[100:101]
	v_add_co_ci_u32_e64 v99, null, s5, v99, vcc_lo
	v_min3_f32 v102, v112, v113, v102
	v_add_co_u32 v100, vcc_lo, s2, v100
	v_add_co_ci_u32_e64 v101, null, s3, v101, vcc_lo
	v_max_f32_e32 v103, v102, v102
	s_mov_b32 vcc_lo, s0
	flat_store_dwordx2 v[106:107], v[104:105]
	s_cbranch_vccz .LBB111_93
; %bb.92:
	v_min_f32_e32 v102, 0, v103
	v_add_co_u32 v106, vcc_lo, v98, v164
	v_add_co_ci_u32_e64 v107, null, v99, v165, vcc_lo
	v_cvt_f64_f32_e32 v[104:105], v102
	s_mov_b32 s6, 0
	flat_store_dwordx2 v[106:107], v[104:105]
.LBB111_93:
	v_mov_b32_e32 v102, 0
	s_andn2_b32 vcc_lo, exec_lo, s6
	s_cbranch_vccnz .LBB111_95
; %bb.94:
	v_add_co_u32 v104, vcc_lo, v100, v164
	v_add_co_ci_u32_e64 v105, null, v101, v165, vcc_lo
	flat_load_dwordx2 v[104:105], v[104:105]
	s_waitcnt vmcnt(0) lgkmcnt(0)
	v_mul_f64 v[104:105], s[12:13], v[104:105]
	v_cvt_f32_f64_e32 v102, v[104:105]
	v_add_co_u32 v104, vcc_lo, v98, v164
	v_add_co_ci_u32_e64 v105, null, v99, v165, vcc_lo
	v_add_co_u32 v106, vcc_lo, v100, v0
	v_add_co_ci_u32_e64 v107, null, v101, v1, vcc_lo
	v_min_f32_e32 v102, v102, v103
	v_cvt_f64_f32_e32 v[102:103], v102
	flat_store_dwordx2 v[104:105], v[102:103]
	flat_load_dwordx2 v[102:103], v[106:107]
	s_waitcnt vmcnt(0) lgkmcnt(0)
	v_mul_f64 v[102:103], s[12:13], v[102:103]
	v_cvt_f32_f64_e32 v102, v[102:103]
.LBB111_95:
	v_add_f64 v[103:104], v[22:23], v[94:95]
	v_add_f64 v[105:106], v[24:25], v[96:97]
	;; [unrolled: 1-line block ×7, first 2 shown]
	s_mov_b32 s6, -1
	v_cvt_f32_f64_e32 v117, v[103:104]
	v_cvt_f32_f64_e32 v105, v[105:106]
	;; [unrolled: 1-line block ×4, first 2 shown]
	v_add_f64 v[103:104], v[20:21], v[92:93]
	v_cvt_f32_f64_e32 v108, v[113:114]
	v_cvt_f32_f64_e32 v109, v[111:112]
	;; [unrolled: 1-line block ×3, first 2 shown]
	v_min3_f32 v105, v117, v105, v198
	v_min_f32_e32 v106, v106, v107
	v_cvt_f32_f64_e32 v103, v[103:104]
	v_min3_f32 v102, v102, v106, v105
	v_add_co_u32 v106, vcc_lo, v98, v0
	v_add_co_ci_u32_e64 v107, null, v99, v1, vcc_lo
	v_cvt_f64_f32_e32 v[104:105], v102
	v_min3_f32 v102, v108, v109, v196
	s_mov_b32 vcc_lo, s0
	v_min3_f32 v102, v110, v103, v102
	v_max_f32_e32 v103, v102, v102
	flat_store_dwordx2 v[106:107], v[104:105]
	s_cbranch_vccz .LBB111_97
; %bb.96:
	v_min_f32_e32 v102, 0, v103
	v_add_co_u32 v106, vcc_lo, v98, v166
	v_add_co_ci_u32_e64 v107, null, v99, v167, vcc_lo
	v_cvt_f64_f32_e32 v[104:105], v102
	s_mov_b32 s6, 0
	flat_store_dwordx2 v[106:107], v[104:105]
.LBB111_97:
	v_mov_b32_e32 v102, 0
	s_andn2_b32 vcc_lo, exec_lo, s6
	s_cbranch_vccnz .LBB111_99
; %bb.98:
	v_add_co_u32 v104, vcc_lo, v100, v166
	v_add_co_ci_u32_e64 v105, null, v101, v167, vcc_lo
	flat_load_dwordx2 v[104:105], v[104:105]
	s_waitcnt vmcnt(0) lgkmcnt(0)
	v_mul_f64 v[104:105], s[12:13], v[104:105]
	v_cvt_f32_f64_e32 v102, v[104:105]
	v_add_co_u32 v104, vcc_lo, v98, v166
	v_add_co_ci_u32_e64 v105, null, v99, v167, vcc_lo
	v_add_co_u32 v100, vcc_lo, v100, v162
	v_add_co_ci_u32_e64 v101, null, v101, v163, vcc_lo
	v_min_f32_e32 v102, v102, v103
	v_cvt_f64_f32_e32 v[102:103], v102
	flat_store_dwordx2 v[104:105], v[102:103]
	flat_load_dwordx2 v[100:101], v[100:101]
	s_waitcnt vmcnt(0) lgkmcnt(0)
	v_mul_f64 v[100:101], s[12:13], v[100:101]
	v_cvt_f32_f64_e32 v102, v[100:101]
.LBB111_99:
	v_add_f64 v[94:95], v[2:3], v[94:95]
	v_add_f64 v[96:97], v[4:5], v[96:97]
	;; [unrolled: 1-line block ×6, first 2 shown]
	v_add_co_u32 v98, vcc_lo, v98, v162
	v_add_co_ci_u32_e64 v99, null, v99, v163, vcc_lo
	s_mov_b32 s6, -1
	v_cvt_f32_f64_e32 v94, v[94:95]
	v_cvt_f32_f64_e32 v95, v[96:97]
	;; [unrolled: 1-line block ×4, first 2 shown]
	v_add_f64 v[90:91], v[34:35], v[82:83]
	v_add_f64 v[92:93], v[36:37], v[84:85]
	v_cvt_f32_f64_e32 v103, v[103:104]
	v_cvt_f32_f64_e32 v100, v[100:101]
	v_add_nc_u32_e32 v101, 0x48, v168
	v_min3_f32 v94, v94, v95, v193
	v_min_f32_e32 v95, v96, v97
	v_cvt_f32_f64_e32 v104, v[90:91]
	v_cvt_f32_f64_e32 v105, v[92:93]
	v_mad_i64_i32 v[90:91], null, v101, s8, 0
	v_min3_f32 v92, v102, v95, v94
	v_min3_f32 v94, v103, v100, v192
	v_cvt_f64_f32_e32 v[96:97], v92
	v_mad_i64_i32 v[92:93], null, v101, s1, 0
	v_lshlrev_b64 v[90:91], 3, v[90:91]
	v_add_co_u32 v90, vcc_lo, s4, v90
	v_lshlrev_b64 v[92:93], 3, v[92:93]
	v_add_co_ci_u32_e64 v91, null, s5, v91, vcc_lo
	v_min3_f32 v94, v104, v105, v94
	v_add_co_u32 v92, vcc_lo, s2, v92
	v_add_co_ci_u32_e64 v93, null, s3, v93, vcc_lo
	v_max_f32_e32 v95, v94, v94
	s_mov_b32 vcc_lo, s0
	flat_store_dwordx2 v[98:99], v[96:97]
	s_cbranch_vccz .LBB111_101
; %bb.100:
	v_min_f32_e32 v94, 0, v95
	v_add_co_u32 v98, vcc_lo, v90, v164
	v_add_co_ci_u32_e64 v99, null, v91, v165, vcc_lo
	v_cvt_f64_f32_e32 v[96:97], v94
	s_mov_b32 s6, 0
	flat_store_dwordx2 v[98:99], v[96:97]
.LBB111_101:
	v_mov_b32_e32 v94, 0
	s_andn2_b32 vcc_lo, exec_lo, s6
	s_cbranch_vccnz .LBB111_103
; %bb.102:
	v_add_co_u32 v96, vcc_lo, v92, v164
	v_add_co_ci_u32_e64 v97, null, v93, v165, vcc_lo
	flat_load_dwordx2 v[96:97], v[96:97]
	s_waitcnt vmcnt(0) lgkmcnt(0)
	v_mul_f64 v[96:97], s[12:13], v[96:97]
	v_cvt_f32_f64_e32 v94, v[96:97]
	v_add_co_u32 v96, vcc_lo, v90, v164
	v_add_co_ci_u32_e64 v97, null, v91, v165, vcc_lo
	v_add_co_u32 v98, vcc_lo, v92, v0
	v_add_co_ci_u32_e64 v99, null, v93, v1, vcc_lo
	v_min_f32_e32 v94, v94, v95
	v_cvt_f64_f32_e32 v[94:95], v94
	flat_store_dwordx2 v[96:97], v[94:95]
	flat_load_dwordx2 v[94:95], v[98:99]
	s_waitcnt vmcnt(0) lgkmcnt(0)
	v_mul_f64 v[94:95], s[12:13], v[94:95]
	v_cvt_f32_f64_e32 v94, v[94:95]
.LBB111_103:
	v_add_f64 v[95:96], v[22:23], v[86:87]
	v_add_f64 v[97:98], v[24:25], v[88:89]
	;; [unrolled: 1-line block ×7, first 2 shown]
	s_mov_b32 s6, -1
	v_cvt_f32_f64_e32 v109, v[95:96]
	v_cvt_f32_f64_e32 v97, v[97:98]
	;; [unrolled: 1-line block ×4, first 2 shown]
	v_add_f64 v[95:96], v[20:21], v[84:85]
	v_cvt_f32_f64_e32 v100, v[105:106]
	v_cvt_f32_f64_e32 v101, v[103:104]
	v_cvt_f32_f64_e32 v102, v[107:108]
	v_min3_f32 v97, v109, v97, v226
	v_min_f32_e32 v98, v98, v99
	v_cvt_f32_f64_e32 v95, v[95:96]
	v_min3_f32 v94, v94, v98, v97
	v_add_co_u32 v98, vcc_lo, v90, v0
	v_add_co_ci_u32_e64 v99, null, v91, v1, vcc_lo
	v_cvt_f64_f32_e32 v[96:97], v94
	v_min3_f32 v94, v100, v101, v227
	s_mov_b32 vcc_lo, s0
	v_min3_f32 v94, v102, v95, v94
	v_max_f32_e32 v95, v94, v94
	flat_store_dwordx2 v[98:99], v[96:97]
	s_cbranch_vccz .LBB111_105
; %bb.104:
	v_min_f32_e32 v94, 0, v95
	v_add_co_u32 v98, vcc_lo, v90, v166
	v_add_co_ci_u32_e64 v99, null, v91, v167, vcc_lo
	v_cvt_f64_f32_e32 v[96:97], v94
	s_mov_b32 s6, 0
	flat_store_dwordx2 v[98:99], v[96:97]
.LBB111_105:
	v_mov_b32_e32 v94, 0
	s_andn2_b32 vcc_lo, exec_lo, s6
	s_cbranch_vccnz .LBB111_107
; %bb.106:
	v_add_co_u32 v96, vcc_lo, v92, v166
	v_add_co_ci_u32_e64 v97, null, v93, v167, vcc_lo
	flat_load_dwordx2 v[96:97], v[96:97]
	s_waitcnt vmcnt(0) lgkmcnt(0)
	v_mul_f64 v[96:97], s[12:13], v[96:97]
	v_cvt_f32_f64_e32 v94, v[96:97]
	v_add_co_u32 v96, vcc_lo, v90, v166
	v_add_co_ci_u32_e64 v97, null, v91, v167, vcc_lo
	v_add_co_u32 v92, vcc_lo, v92, v162
	v_add_co_ci_u32_e64 v93, null, v93, v163, vcc_lo
	v_min_f32_e32 v94, v94, v95
	v_cvt_f64_f32_e32 v[94:95], v94
	flat_store_dwordx2 v[96:97], v[94:95]
	flat_load_dwordx2 v[92:93], v[92:93]
	s_waitcnt vmcnt(0) lgkmcnt(0)
	v_mul_f64 v[92:93], s[12:13], v[92:93]
	v_cvt_f32_f64_e32 v94, v[92:93]
.LBB111_107:
	v_add_f64 v[86:87], v[2:3], v[86:87]
	v_add_f64 v[88:89], v[4:5], v[88:89]
	;; [unrolled: 1-line block ×6, first 2 shown]
	v_add_co_u32 v90, vcc_lo, v90, v162
	v_add_co_ci_u32_e64 v91, null, v91, v163, vcc_lo
	s_mov_b32 s6, -1
	v_cvt_f32_f64_e32 v86, v[86:87]
	v_cvt_f32_f64_e32 v87, v[88:89]
	;; [unrolled: 1-line block ×4, first 2 shown]
	v_add_f64 v[82:83], v[34:35], v[74:75]
	v_add_f64 v[84:85], v[36:37], v[76:77]
	v_cvt_f32_f64_e32 v95, v[95:96]
	v_cvt_f32_f64_e32 v92, v[92:93]
	v_add_nc_u32_e32 v93, 0x50, v168
	v_min3_f32 v86, v86, v87, v225
	v_min_f32_e32 v87, v88, v89
	v_cvt_f32_f64_e32 v96, v[82:83]
	v_cvt_f32_f64_e32 v97, v[84:85]
	v_mad_i64_i32 v[82:83], null, v93, s8, 0
	v_min3_f32 v84, v94, v87, v86
	v_min3_f32 v86, v95, v92, v255
	v_cvt_f64_f32_e32 v[88:89], v84
	v_mad_i64_i32 v[84:85], null, v93, s1, 0
	v_lshlrev_b64 v[82:83], 3, v[82:83]
	v_add_co_u32 v82, vcc_lo, s4, v82
	v_lshlrev_b64 v[84:85], 3, v[84:85]
	v_add_co_ci_u32_e64 v83, null, s5, v83, vcc_lo
	v_min3_f32 v86, v96, v97, v86
	v_add_co_u32 v84, vcc_lo, s2, v84
	v_add_co_ci_u32_e64 v85, null, s3, v85, vcc_lo
	v_max_f32_e32 v87, v86, v86
	s_mov_b32 vcc_lo, s0
	flat_store_dwordx2 v[90:91], v[88:89]
	s_cbranch_vccz .LBB111_109
; %bb.108:
	v_min_f32_e32 v86, 0, v87
	v_add_co_u32 v90, vcc_lo, v82, v164
	v_add_co_ci_u32_e64 v91, null, v83, v165, vcc_lo
	v_cvt_f64_f32_e32 v[88:89], v86
	s_mov_b32 s6, 0
	flat_store_dwordx2 v[90:91], v[88:89]
.LBB111_109:
	v_mov_b32_e32 v86, 0
	s_andn2_b32 vcc_lo, exec_lo, s6
	s_cbranch_vccnz .LBB111_111
; %bb.110:
	v_add_co_u32 v88, vcc_lo, v84, v164
	v_add_co_ci_u32_e64 v89, null, v85, v165, vcc_lo
	flat_load_dwordx2 v[88:89], v[88:89]
	s_waitcnt vmcnt(0) lgkmcnt(0)
	v_mul_f64 v[88:89], s[12:13], v[88:89]
	v_cvt_f32_f64_e32 v86, v[88:89]
	v_add_co_u32 v88, vcc_lo, v82, v164
	v_add_co_ci_u32_e64 v89, null, v83, v165, vcc_lo
	v_add_co_u32 v90, vcc_lo, v84, v0
	v_add_co_ci_u32_e64 v91, null, v85, v1, vcc_lo
	v_min_f32_e32 v86, v86, v87
	v_cvt_f64_f32_e32 v[86:87], v86
	flat_store_dwordx2 v[88:89], v[86:87]
	flat_load_dwordx2 v[86:87], v[90:91]
	s_waitcnt vmcnt(0) lgkmcnt(0)
	v_mul_f64 v[86:87], s[12:13], v[86:87]
	v_cvt_f32_f64_e32 v86, v[86:87]
.LBB111_111:
	v_add_f64 v[87:88], v[22:23], v[78:79]
	v_add_f64 v[89:90], v[24:25], v[80:81]
	;; [unrolled: 1-line block ×7, first 2 shown]
	s_mov_b32 s6, -1
	v_cvt_f32_f64_e32 v101, v[87:88]
	v_cvt_f32_f64_e32 v89, v[89:90]
	;; [unrolled: 1-line block ×4, first 2 shown]
	v_add_f64 v[87:88], v[20:21], v[76:77]
	v_cvt_f32_f64_e32 v92, v[97:98]
	v_cvt_f32_f64_e32 v93, v[95:96]
	;; [unrolled: 1-line block ×3, first 2 shown]
	v_min3_f32 v89, v101, v89, v215
	v_min_f32_e32 v90, v90, v91
	v_cvt_f32_f64_e32 v87, v[87:88]
	v_min3_f32 v86, v86, v90, v89
	v_add_co_u32 v90, vcc_lo, v82, v0
	v_add_co_ci_u32_e64 v91, null, v83, v1, vcc_lo
	v_cvt_f64_f32_e32 v[88:89], v86
	v_min3_f32 v86, v92, v93, v197
	s_mov_b32 vcc_lo, s0
	v_min3_f32 v86, v94, v87, v86
	v_max_f32_e32 v87, v86, v86
	flat_store_dwordx2 v[90:91], v[88:89]
	s_cbranch_vccz .LBB111_113
; %bb.112:
	v_min_f32_e32 v86, 0, v87
	v_add_co_u32 v90, vcc_lo, v82, v166
	v_add_co_ci_u32_e64 v91, null, v83, v167, vcc_lo
	v_cvt_f64_f32_e32 v[88:89], v86
	s_mov_b32 s6, 0
	flat_store_dwordx2 v[90:91], v[88:89]
.LBB111_113:
	v_mov_b32_e32 v86, 0
	s_andn2_b32 vcc_lo, exec_lo, s6
	s_cbranch_vccnz .LBB111_115
; %bb.114:
	v_add_co_u32 v88, vcc_lo, v84, v166
	v_add_co_ci_u32_e64 v89, null, v85, v167, vcc_lo
	flat_load_dwordx2 v[88:89], v[88:89]
	s_waitcnt vmcnt(0) lgkmcnt(0)
	v_mul_f64 v[88:89], s[12:13], v[88:89]
	v_cvt_f32_f64_e32 v86, v[88:89]
	v_add_co_u32 v88, vcc_lo, v82, v166
	v_add_co_ci_u32_e64 v89, null, v83, v167, vcc_lo
	v_add_co_u32 v84, vcc_lo, v84, v162
	v_add_co_ci_u32_e64 v85, null, v85, v163, vcc_lo
	v_min_f32_e32 v86, v86, v87
	v_cvt_f64_f32_e32 v[86:87], v86
	flat_store_dwordx2 v[88:89], v[86:87]
	flat_load_dwordx2 v[84:85], v[84:85]
	s_waitcnt vmcnt(0) lgkmcnt(0)
	v_mul_f64 v[84:85], s[12:13], v[84:85]
	v_cvt_f32_f64_e32 v86, v[84:85]
.LBB111_115:
	v_add_f64 v[78:79], v[2:3], v[78:79]
	v_add_f64 v[80:81], v[4:5], v[80:81]
	;; [unrolled: 1-line block ×6, first 2 shown]
	v_add_co_u32 v82, vcc_lo, v82, v162
	v_add_co_ci_u32_e64 v83, null, v83, v163, vcc_lo
	s_mov_b32 s6, -1
	v_cvt_f32_f64_e32 v78, v[78:79]
	v_cvt_f32_f64_e32 v79, v[80:81]
	;; [unrolled: 1-line block ×4, first 2 shown]
	v_add_f64 v[74:75], v[34:35], v[66:67]
	v_add_f64 v[76:77], v[36:37], v[68:69]
	v_cvt_f32_f64_e32 v87, v[87:88]
	v_cvt_f32_f64_e32 v84, v[84:85]
	v_add_nc_u32_e32 v85, 0x58, v168
	v_min3_f32 v78, v78, v79, v195
	v_min_f32_e32 v79, v80, v81
	v_cvt_f32_f64_e32 v88, v[74:75]
	v_cvt_f32_f64_e32 v89, v[76:77]
	v_mad_i64_i32 v[74:75], null, v85, s8, 0
	v_min3_f32 v76, v86, v79, v78
	v_min3_f32 v78, v87, v84, v194
	v_cvt_f64_f32_e32 v[80:81], v76
	v_mad_i64_i32 v[76:77], null, v85, s1, 0
	v_lshlrev_b64 v[74:75], 3, v[74:75]
	v_add_co_u32 v74, vcc_lo, s4, v74
	v_lshlrev_b64 v[76:77], 3, v[76:77]
	v_add_co_ci_u32_e64 v75, null, s5, v75, vcc_lo
	v_min3_f32 v78, v88, v89, v78
	v_add_co_u32 v76, vcc_lo, s2, v76
	v_add_co_ci_u32_e64 v77, null, s3, v77, vcc_lo
	v_max_f32_e32 v79, v78, v78
	s_mov_b32 vcc_lo, s0
	flat_store_dwordx2 v[82:83], v[80:81]
	s_cbranch_vccz .LBB111_117
; %bb.116:
	v_min_f32_e32 v78, 0, v79
	v_add_co_u32 v82, vcc_lo, v74, v164
	v_add_co_ci_u32_e64 v83, null, v75, v165, vcc_lo
	v_cvt_f64_f32_e32 v[80:81], v78
	s_mov_b32 s6, 0
	flat_store_dwordx2 v[82:83], v[80:81]
.LBB111_117:
	v_mov_b32_e32 v78, 0
	s_andn2_b32 vcc_lo, exec_lo, s6
	s_cbranch_vccnz .LBB111_119
; %bb.118:
	v_add_co_u32 v80, vcc_lo, v76, v164
	v_add_co_ci_u32_e64 v81, null, v77, v165, vcc_lo
	flat_load_dwordx2 v[80:81], v[80:81]
	s_waitcnt vmcnt(0) lgkmcnt(0)
	v_mul_f64 v[80:81], s[12:13], v[80:81]
	v_cvt_f32_f64_e32 v78, v[80:81]
	v_add_co_u32 v80, vcc_lo, v74, v164
	v_add_co_ci_u32_e64 v81, null, v75, v165, vcc_lo
	v_add_co_u32 v82, vcc_lo, v76, v0
	v_add_co_ci_u32_e64 v83, null, v77, v1, vcc_lo
	v_min_f32_e32 v78, v78, v79
	v_cvt_f64_f32_e32 v[78:79], v78
	flat_store_dwordx2 v[80:81], v[78:79]
	flat_load_dwordx2 v[78:79], v[82:83]
	s_waitcnt vmcnt(0) lgkmcnt(0)
	v_mul_f64 v[78:79], s[12:13], v[78:79]
	v_cvt_f32_f64_e32 v78, v[78:79]
.LBB111_119:
	v_add_f64 v[79:80], v[22:23], v[70:71]
	v_add_f64 v[81:82], v[24:25], v[72:73]
	;; [unrolled: 1-line block ×7, first 2 shown]
	s_mov_b32 s6, -1
	v_cvt_f32_f64_e32 v93, v[79:80]
	v_cvt_f32_f64_e32 v81, v[81:82]
	v_cvt_f32_f64_e32 v82, v[83:84]
	v_cvt_f32_f64_e32 v83, v[85:86]
	v_add_f64 v[79:80], v[20:21], v[68:69]
	v_cvt_f32_f64_e32 v84, v[89:90]
	v_cvt_f32_f64_e32 v85, v[87:88]
	;; [unrolled: 1-line block ×3, first 2 shown]
	v_min3_f32 v81, v93, v81, v228
	v_min_f32_e32 v82, v82, v83
	v_cvt_f32_f64_e32 v79, v[79:80]
	v_min3_f32 v78, v78, v82, v81
	v_add_co_u32 v82, vcc_lo, v74, v0
	v_add_co_ci_u32_e64 v83, null, v75, v1, vcc_lo
	v_cvt_f64_f32_e32 v[80:81], v78
	v_min3_f32 v78, v84, v85, v216
	s_mov_b32 vcc_lo, s0
	v_min3_f32 v78, v86, v79, v78
	v_max_f32_e32 v79, v78, v78
	flat_store_dwordx2 v[82:83], v[80:81]
	s_cbranch_vccz .LBB111_121
; %bb.120:
	v_min_f32_e32 v78, 0, v79
	v_add_co_u32 v82, vcc_lo, v74, v166
	v_add_co_ci_u32_e64 v83, null, v75, v167, vcc_lo
	v_cvt_f64_f32_e32 v[80:81], v78
	s_mov_b32 s6, 0
	flat_store_dwordx2 v[82:83], v[80:81]
.LBB111_121:
	v_mov_b32_e32 v78, 0
	s_andn2_b32 vcc_lo, exec_lo, s6
	s_cbranch_vccnz .LBB111_123
; %bb.122:
	v_add_co_u32 v80, vcc_lo, v76, v166
	v_add_co_ci_u32_e64 v81, null, v77, v167, vcc_lo
	flat_load_dwordx2 v[80:81], v[80:81]
	s_waitcnt vmcnt(0) lgkmcnt(0)
	v_mul_f64 v[80:81], s[12:13], v[80:81]
	v_cvt_f32_f64_e32 v78, v[80:81]
	v_add_co_u32 v80, vcc_lo, v74, v166
	v_add_co_ci_u32_e64 v81, null, v75, v167, vcc_lo
	v_add_co_u32 v76, vcc_lo, v76, v162
	v_add_co_ci_u32_e64 v77, null, v77, v163, vcc_lo
	v_min_f32_e32 v78, v78, v79
	v_cvt_f64_f32_e32 v[78:79], v78
	flat_store_dwordx2 v[80:81], v[78:79]
	flat_load_dwordx2 v[76:77], v[76:77]
	s_waitcnt vmcnt(0) lgkmcnt(0)
	v_mul_f64 v[76:77], s[12:13], v[76:77]
	v_cvt_f32_f64_e32 v78, v[76:77]
.LBB111_123:
	v_add_f64 v[70:71], v[2:3], v[70:71]
	v_add_f64 v[72:73], v[4:5], v[72:73]
	;; [unrolled: 1-line block ×6, first 2 shown]
	v_add_co_u32 v74, vcc_lo, v74, v162
	v_add_co_ci_u32_e64 v75, null, v75, v163, vcc_lo
	s_mov_b32 s6, -1
	v_cvt_f32_f64_e32 v70, v[70:71]
	v_cvt_f32_f64_e32 v71, v[72:73]
	;; [unrolled: 1-line block ×4, first 2 shown]
	v_add_f64 v[66:67], v[34:35], v[58:59]
	v_add_f64 v[68:69], v[36:37], v[60:61]
	v_cvt_f32_f64_e32 v79, v[79:80]
	v_cvt_f32_f64_e32 v76, v[76:77]
	v_add_nc_u32_e32 v77, 0x60, v168
	v_min3_f32 v70, v70, v71, v214
	v_min_f32_e32 v71, v72, v73
	v_cvt_f32_f64_e32 v80, v[66:67]
	v_cvt_f32_f64_e32 v81, v[68:69]
	v_mad_i64_i32 v[66:67], null, v77, s8, 0
	v_min3_f32 v68, v78, v71, v70
	v_min3_f32 v70, v79, v76, v213
	v_cvt_f64_f32_e32 v[72:73], v68
	v_mad_i64_i32 v[68:69], null, v77, s1, 0
	v_lshlrev_b64 v[66:67], 3, v[66:67]
	v_add_co_u32 v66, vcc_lo, s4, v66
	v_lshlrev_b64 v[68:69], 3, v[68:69]
	v_add_co_ci_u32_e64 v67, null, s5, v67, vcc_lo
	v_min3_f32 v70, v80, v81, v70
	v_add_co_u32 v68, vcc_lo, s2, v68
	v_add_co_ci_u32_e64 v69, null, s3, v69, vcc_lo
	v_max_f32_e32 v71, v70, v70
	s_mov_b32 vcc_lo, s0
	flat_store_dwordx2 v[74:75], v[72:73]
	s_cbranch_vccz .LBB111_125
; %bb.124:
	v_min_f32_e32 v70, 0, v71
	v_add_co_u32 v74, vcc_lo, v66, v164
	v_add_co_ci_u32_e64 v75, null, v67, v165, vcc_lo
	v_cvt_f64_f32_e32 v[72:73], v70
	s_mov_b32 s6, 0
	flat_store_dwordx2 v[74:75], v[72:73]
.LBB111_125:
	v_mov_b32_e32 v70, 0
	s_andn2_b32 vcc_lo, exec_lo, s6
	s_cbranch_vccnz .LBB111_127
; %bb.126:
	v_add_co_u32 v72, vcc_lo, v68, v164
	v_add_co_ci_u32_e64 v73, null, v69, v165, vcc_lo
	flat_load_dwordx2 v[72:73], v[72:73]
	s_waitcnt vmcnt(0) lgkmcnt(0)
	v_mul_f64 v[72:73], s[12:13], v[72:73]
	v_cvt_f32_f64_e32 v70, v[72:73]
	v_add_co_u32 v72, vcc_lo, v66, v164
	v_add_co_ci_u32_e64 v73, null, v67, v165, vcc_lo
	v_add_co_u32 v74, vcc_lo, v68, v0
	v_add_co_ci_u32_e64 v75, null, v69, v1, vcc_lo
	v_min_f32_e32 v70, v70, v71
	v_cvt_f64_f32_e32 v[70:71], v70
	flat_store_dwordx2 v[72:73], v[70:71]
	flat_load_dwordx2 v[70:71], v[74:75]
	s_waitcnt vmcnt(0) lgkmcnt(0)
	v_mul_f64 v[70:71], s[12:13], v[70:71]
	v_cvt_f32_f64_e32 v70, v[70:71]
.LBB111_127:
	v_add_f64 v[71:72], v[22:23], v[62:63]
	v_add_f64 v[73:74], v[24:25], v[64:65]
	;; [unrolled: 1-line block ×7, first 2 shown]
	s_mov_b32 s6, -1
	v_cvt_f32_f64_e32 v85, v[71:72]
	v_cvt_f32_f64_e32 v73, v[73:74]
	;; [unrolled: 1-line block ×4, first 2 shown]
	v_add_f64 v[71:72], v[20:21], v[60:61]
	v_cvt_f32_f64_e32 v76, v[81:82]
	v_cvt_f32_f64_e32 v77, v[79:80]
	;; [unrolled: 1-line block ×3, first 2 shown]
	v_min3_f32 v73, v85, v73, v211
	v_min_f32_e32 v74, v74, v75
	v_cvt_f32_f64_e32 v71, v[71:72]
	v_min3_f32 v70, v70, v74, v73
	v_add_co_u32 v74, vcc_lo, v66, v0
	v_add_co_ci_u32_e64 v75, null, v67, v1, vcc_lo
	v_cvt_f64_f32_e32 v[72:73], v70
	v_min3_f32 v70, v76, v77, v212
	s_mov_b32 vcc_lo, s0
	v_min3_f32 v70, v78, v71, v70
	v_max_f32_e32 v71, v70, v70
	flat_store_dwordx2 v[74:75], v[72:73]
	s_cbranch_vccz .LBB111_129
; %bb.128:
	v_min_f32_e32 v70, 0, v71
	v_add_co_u32 v74, vcc_lo, v66, v166
	v_add_co_ci_u32_e64 v75, null, v67, v167, vcc_lo
	v_cvt_f64_f32_e32 v[72:73], v70
	s_mov_b32 s6, 0
	flat_store_dwordx2 v[74:75], v[72:73]
.LBB111_129:
	v_mov_b32_e32 v70, 0
	s_andn2_b32 vcc_lo, exec_lo, s6
	s_cbranch_vccnz .LBB111_131
; %bb.130:
	v_add_co_u32 v72, vcc_lo, v68, v166
	v_add_co_ci_u32_e64 v73, null, v69, v167, vcc_lo
	flat_load_dwordx2 v[72:73], v[72:73]
	s_waitcnt vmcnt(0) lgkmcnt(0)
	v_mul_f64 v[72:73], s[12:13], v[72:73]
	v_cvt_f32_f64_e32 v70, v[72:73]
	v_add_co_u32 v72, vcc_lo, v66, v166
	v_add_co_ci_u32_e64 v73, null, v67, v167, vcc_lo
	v_add_co_u32 v68, vcc_lo, v68, v162
	v_add_co_ci_u32_e64 v69, null, v69, v163, vcc_lo
	v_min_f32_e32 v70, v70, v71
	v_cvt_f64_f32_e32 v[70:71], v70
	flat_store_dwordx2 v[72:73], v[70:71]
	flat_load_dwordx2 v[68:69], v[68:69]
	s_waitcnt vmcnt(0) lgkmcnt(0)
	v_mul_f64 v[68:69], s[12:13], v[68:69]
	v_cvt_f32_f64_e32 v70, v[68:69]
.LBB111_131:
	v_add_f64 v[62:63], v[2:3], v[62:63]
	v_add_f64 v[64:65], v[4:5], v[64:65]
	;; [unrolled: 1-line block ×6, first 2 shown]
	v_add_co_u32 v66, vcc_lo, v66, v162
	v_add_co_ci_u32_e64 v67, null, v67, v163, vcc_lo
	s_mov_b32 s6, -1
	v_cvt_f32_f64_e32 v62, v[62:63]
	v_cvt_f32_f64_e32 v63, v[64:65]
	;; [unrolled: 1-line block ×4, first 2 shown]
	v_add_f64 v[58:59], v[34:35], v[50:51]
	v_add_f64 v[60:61], v[36:37], v[52:53]
	v_cvt_f32_f64_e32 v71, v[71:72]
	v_cvt_f32_f64_e32 v68, v[68:69]
	v_add_nc_u32_e32 v69, 0x68, v168
	v_min3_f32 v62, v62, v63, v210
	v_min_f32_e32 v63, v64, v65
	v_cvt_f32_f64_e32 v72, v[58:59]
	v_cvt_f32_f64_e32 v73, v[60:61]
	v_mad_i64_i32 v[58:59], null, v69, s8, 0
	v_min3_f32 v60, v70, v63, v62
	v_min3_f32 v62, v71, v68, v209
	v_cvt_f64_f32_e32 v[64:65], v60
	v_mad_i64_i32 v[60:61], null, v69, s1, 0
	v_lshlrev_b64 v[58:59], 3, v[58:59]
	v_add_co_u32 v58, vcc_lo, s4, v58
	v_lshlrev_b64 v[60:61], 3, v[60:61]
	v_add_co_ci_u32_e64 v59, null, s5, v59, vcc_lo
	v_min3_f32 v62, v72, v73, v62
	v_add_co_u32 v60, vcc_lo, s2, v60
	v_add_co_ci_u32_e64 v61, null, s3, v61, vcc_lo
	v_max_f32_e32 v63, v62, v62
	s_mov_b32 vcc_lo, s0
	flat_store_dwordx2 v[66:67], v[64:65]
	s_cbranch_vccz .LBB111_133
; %bb.132:
	v_min_f32_e32 v62, 0, v63
	v_add_co_u32 v66, vcc_lo, v58, v164
	v_add_co_ci_u32_e64 v67, null, v59, v165, vcc_lo
	v_cvt_f64_f32_e32 v[64:65], v62
	s_mov_b32 s6, 0
	flat_store_dwordx2 v[66:67], v[64:65]
.LBB111_133:
	v_mov_b32_e32 v62, 0
	s_andn2_b32 vcc_lo, exec_lo, s6
	s_cbranch_vccnz .LBB111_135
; %bb.134:
	v_add_co_u32 v64, vcc_lo, v60, v164
	v_add_co_ci_u32_e64 v65, null, v61, v165, vcc_lo
	flat_load_dwordx2 v[64:65], v[64:65]
	s_waitcnt vmcnt(0) lgkmcnt(0)
	v_mul_f64 v[64:65], s[12:13], v[64:65]
	v_cvt_f32_f64_e32 v62, v[64:65]
	v_add_co_u32 v64, vcc_lo, v58, v164
	v_add_co_ci_u32_e64 v65, null, v59, v165, vcc_lo
	v_add_co_u32 v66, vcc_lo, v60, v0
	v_add_co_ci_u32_e64 v67, null, v61, v1, vcc_lo
	v_min_f32_e32 v62, v62, v63
	v_cvt_f64_f32_e32 v[62:63], v62
	flat_store_dwordx2 v[64:65], v[62:63]
	flat_load_dwordx2 v[62:63], v[66:67]
	s_waitcnt vmcnt(0) lgkmcnt(0)
	v_mul_f64 v[62:63], s[12:13], v[62:63]
	v_cvt_f32_f64_e32 v62, v[62:63]
.LBB111_135:
	v_add_f64 v[63:64], v[22:23], v[54:55]
	v_add_f64 v[65:66], v[24:25], v[56:57]
	v_add_f64 v[67:68], v[30:31], v[50:51]
	v_add_f64 v[69:70], v[32:33], v[52:53]
	v_add_f64 v[71:72], v[28:29], v[56:57]
	v_add_f64 v[73:74], v[26:27], v[54:55]
	v_add_f64 v[75:76], v[18:19], v[50:51]
	s_mov_b32 s6, -1
	v_cvt_f32_f64_e32 v77, v[63:64]
	v_cvt_f32_f64_e32 v65, v[65:66]
	;; [unrolled: 1-line block ×4, first 2 shown]
	v_add_f64 v[63:64], v[20:21], v[52:53]
	v_cvt_f32_f64_e32 v68, v[73:74]
	v_cvt_f32_f64_e32 v69, v[71:72]
	;; [unrolled: 1-line block ×3, first 2 shown]
	v_min3_f32 v65, v77, v65, v207
	v_min_f32_e32 v66, v66, v67
	v_cvt_f32_f64_e32 v63, v[63:64]
	v_min3_f32 v62, v62, v66, v65
	v_add_co_u32 v66, vcc_lo, v58, v0
	v_add_co_ci_u32_e64 v67, null, v59, v1, vcc_lo
	v_cvt_f64_f32_e32 v[64:65], v62
	v_min3_f32 v62, v68, v69, v208
	s_mov_b32 vcc_lo, s0
	v_min3_f32 v62, v70, v63, v62
	v_max_f32_e32 v63, v62, v62
	flat_store_dwordx2 v[66:67], v[64:65]
	s_cbranch_vccz .LBB111_137
; %bb.136:
	v_min_f32_e32 v62, 0, v63
	v_add_co_u32 v66, vcc_lo, v58, v166
	v_add_co_ci_u32_e64 v67, null, v59, v167, vcc_lo
	v_cvt_f64_f32_e32 v[64:65], v62
	s_mov_b32 s6, 0
	flat_store_dwordx2 v[66:67], v[64:65]
.LBB111_137:
	v_mov_b32_e32 v62, 0
	s_andn2_b32 vcc_lo, exec_lo, s6
	s_cbranch_vccnz .LBB111_139
; %bb.138:
	v_add_co_u32 v64, vcc_lo, v60, v166
	v_add_co_ci_u32_e64 v65, null, v61, v167, vcc_lo
	flat_load_dwordx2 v[64:65], v[64:65]
	s_waitcnt vmcnt(0) lgkmcnt(0)
	v_mul_f64 v[64:65], s[12:13], v[64:65]
	v_cvt_f32_f64_e32 v62, v[64:65]
	v_add_co_u32 v64, vcc_lo, v58, v166
	v_add_co_ci_u32_e64 v65, null, v59, v167, vcc_lo
	v_add_co_u32 v60, vcc_lo, v60, v162
	v_add_co_ci_u32_e64 v61, null, v61, v163, vcc_lo
	v_min_f32_e32 v62, v62, v63
	v_cvt_f64_f32_e32 v[62:63], v62
	flat_store_dwordx2 v[64:65], v[62:63]
	flat_load_dwordx2 v[60:61], v[60:61]
	s_waitcnt vmcnt(0) lgkmcnt(0)
	v_mul_f64 v[60:61], s[12:13], v[60:61]
	v_cvt_f32_f64_e32 v62, v[60:61]
.LBB111_139:
	v_add_f64 v[54:55], v[2:3], v[54:55]
	v_add_f64 v[56:57], v[4:5], v[56:57]
	;; [unrolled: 1-line block ×6, first 2 shown]
	v_add_co_u32 v58, vcc_lo, v58, v162
	v_add_co_ci_u32_e64 v59, null, v59, v163, vcc_lo
	s_mov_b32 s6, -1
	v_cvt_f32_f64_e32 v54, v[54:55]
	v_cvt_f32_f64_e32 v55, v[56:57]
	;; [unrolled: 1-line block ×4, first 2 shown]
	v_add_f64 v[50:51], v[34:35], v[42:43]
	v_add_f64 v[52:53], v[36:37], v[44:45]
	v_cvt_f32_f64_e32 v63, v[63:64]
	v_cvt_f32_f64_e32 v60, v[60:61]
	v_add_nc_u32_e32 v61, 0x70, v168
	v_min3_f32 v54, v54, v55, v206
	v_min_f32_e32 v55, v56, v57
	v_cvt_f32_f64_e32 v64, v[50:51]
	v_cvt_f32_f64_e32 v65, v[52:53]
	v_mad_i64_i32 v[50:51], null, v61, s8, 0
	v_min3_f32 v52, v62, v55, v54
	v_min3_f32 v54, v63, v60, v205
	v_cvt_f64_f32_e32 v[56:57], v52
	v_mad_i64_i32 v[52:53], null, v61, s1, 0
	v_lshlrev_b64 v[50:51], 3, v[50:51]
	v_add_co_u32 v50, vcc_lo, s4, v50
	v_lshlrev_b64 v[52:53], 3, v[52:53]
	v_add_co_ci_u32_e64 v51, null, s5, v51, vcc_lo
	v_min3_f32 v54, v64, v65, v54
	v_add_co_u32 v52, vcc_lo, s2, v52
	v_add_co_ci_u32_e64 v53, null, s3, v53, vcc_lo
	v_max_f32_e32 v55, v54, v54
	s_mov_b32 vcc_lo, s0
	flat_store_dwordx2 v[58:59], v[56:57]
	s_cbranch_vccz .LBB111_141
; %bb.140:
	v_min_f32_e32 v54, 0, v55
	v_add_co_u32 v58, vcc_lo, v50, v164
	v_add_co_ci_u32_e64 v59, null, v51, v165, vcc_lo
	v_cvt_f64_f32_e32 v[56:57], v54
	s_mov_b32 s6, 0
	flat_store_dwordx2 v[58:59], v[56:57]
.LBB111_141:
	v_mov_b32_e32 v54, 0
	s_andn2_b32 vcc_lo, exec_lo, s6
	s_cbranch_vccnz .LBB111_143
; %bb.142:
	v_add_co_u32 v56, vcc_lo, v52, v164
	v_add_co_ci_u32_e64 v57, null, v53, v165, vcc_lo
	flat_load_dwordx2 v[56:57], v[56:57]
	s_waitcnt vmcnt(0) lgkmcnt(0)
	v_mul_f64 v[56:57], s[12:13], v[56:57]
	v_cvt_f32_f64_e32 v54, v[56:57]
	v_add_co_u32 v56, vcc_lo, v50, v164
	v_add_co_ci_u32_e64 v57, null, v51, v165, vcc_lo
	v_add_co_u32 v58, vcc_lo, v52, v0
	v_add_co_ci_u32_e64 v59, null, v53, v1, vcc_lo
	v_min_f32_e32 v54, v54, v55
	v_cvt_f64_f32_e32 v[54:55], v54
	flat_store_dwordx2 v[56:57], v[54:55]
	flat_load_dwordx2 v[54:55], v[58:59]
	s_waitcnt vmcnt(0) lgkmcnt(0)
	v_mul_f64 v[54:55], s[12:13], v[54:55]
	v_cvt_f32_f64_e32 v54, v[54:55]
.LBB111_143:
	v_add_f64 v[55:56], v[22:23], v[46:47]
	v_add_f64 v[57:58], v[24:25], v[48:49]
	;; [unrolled: 1-line block ×7, first 2 shown]
	s_mov_b32 s6, -1
	v_cvt_f32_f64_e32 v69, v[55:56]
	v_cvt_f32_f64_e32 v57, v[57:58]
	;; [unrolled: 1-line block ×4, first 2 shown]
	v_add_f64 v[55:56], v[20:21], v[44:45]
	v_cvt_f32_f64_e32 v60, v[65:66]
	v_cvt_f32_f64_e32 v61, v[63:64]
	;; [unrolled: 1-line block ×3, first 2 shown]
	v_min3_f32 v57, v69, v57, v203
	v_min_f32_e32 v58, v58, v59
	v_cvt_f32_f64_e32 v55, v[55:56]
	v_min3_f32 v54, v54, v58, v57
	v_add_co_u32 v58, vcc_lo, v50, v0
	v_add_co_ci_u32_e64 v59, null, v51, v1, vcc_lo
	v_cvt_f64_f32_e32 v[56:57], v54
	v_min3_f32 v54, v60, v61, v204
	s_mov_b32 vcc_lo, s0
	v_min3_f32 v54, v62, v55, v54
	v_max_f32_e32 v55, v54, v54
	flat_store_dwordx2 v[58:59], v[56:57]
	s_cbranch_vccz .LBB111_145
; %bb.144:
	v_min_f32_e32 v54, 0, v55
	v_add_co_u32 v58, vcc_lo, v50, v166
	v_add_co_ci_u32_e64 v59, null, v51, v167, vcc_lo
	v_cvt_f64_f32_e32 v[56:57], v54
	s_mov_b32 s6, 0
	flat_store_dwordx2 v[58:59], v[56:57]
.LBB111_145:
	v_mov_b32_e32 v54, 0
	s_andn2_b32 vcc_lo, exec_lo, s6
	s_cbranch_vccnz .LBB111_147
; %bb.146:
	v_add_co_u32 v56, vcc_lo, v52, v166
	v_add_co_ci_u32_e64 v57, null, v53, v167, vcc_lo
	flat_load_dwordx2 v[56:57], v[56:57]
	s_waitcnt vmcnt(0) lgkmcnt(0)
	v_mul_f64 v[56:57], s[12:13], v[56:57]
	v_cvt_f32_f64_e32 v54, v[56:57]
	v_add_co_u32 v56, vcc_lo, v50, v166
	v_add_co_ci_u32_e64 v57, null, v51, v167, vcc_lo
	v_add_co_u32 v52, vcc_lo, v52, v162
	v_add_co_ci_u32_e64 v53, null, v53, v163, vcc_lo
	v_min_f32_e32 v54, v54, v55
	v_cvt_f64_f32_e32 v[54:55], v54
	flat_store_dwordx2 v[56:57], v[54:55]
	flat_load_dwordx2 v[52:53], v[52:53]
	s_waitcnt vmcnt(0) lgkmcnt(0)
	v_mul_f64 v[52:53], s[12:13], v[52:53]
	v_cvt_f32_f64_e32 v54, v[52:53]
.LBB111_147:
	v_add_f64 v[46:47], v[2:3], v[46:47]
	v_add_f64 v[48:49], v[4:5], v[48:49]
	;; [unrolled: 1-line block ×4, first 2 shown]
	s_waitcnt lgkmcnt(30)
	v_add_f64 v[40:41], v[40:41], v[12:13]
	v_add_f64 v[38:39], v[38:39], v[10:11]
	s_waitcnt lgkmcnt(29)
	v_add_f64 v[34:35], v[34:35], v[14:15]
	v_add_f64 v[36:37], v[36:37], v[16:17]
	v_cvt_f32_f64_e32 v46, v[46:47]
	v_cvt_f32_f64_e32 v47, v[48:49]
	;; [unrolled: 1-line block ×8, first 2 shown]
	v_min3_f32 v40, v46, v47, v202
	v_min_f32_e32 v41, v42, v43
	v_add_nc_u32_e32 v42, 0x78, v168
	v_min3_f32 v38, v38, v39, v201
	v_min3_f32 v36, v54, v41, v40
	v_mad_i64_i32 v[34:35], null, v42, s8, 0
	v_min3_f32 v38, v44, v45, v38
	v_cvt_f64_f32_e32 v[40:41], v36
	v_mad_i64_i32 v[36:37], null, v42, s1, 0
	v_add_co_u32 v42, vcc_lo, v50, v162
	v_lshlrev_b64 v[34:35], 3, v[34:35]
	v_add_co_ci_u32_e64 v43, null, v51, v163, vcc_lo
	v_max_f32_e32 v39, v38, v38
	v_lshlrev_b64 v[36:37], 3, v[36:37]
	s_mov_b32 s1, -1
	v_add_co_u32 v34, vcc_lo, s4, v34
	v_add_co_ci_u32_e64 v35, null, s5, v35, vcc_lo
	v_add_co_u32 v36, vcc_lo, s2, v36
	v_add_co_ci_u32_e64 v37, null, s3, v37, vcc_lo
	s_mov_b32 vcc_lo, s0
	flat_store_dwordx2 v[42:43], v[40:41]
	s_cbranch_vccz .LBB111_149
; %bb.148:
	v_min_f32_e32 v38, 0, v39
	v_add_co_u32 v42, vcc_lo, v34, v164
	v_add_co_ci_u32_e64 v43, null, v35, v165, vcc_lo
	v_cvt_f64_f32_e32 v[40:41], v38
	s_mov_b32 s1, 0
	flat_store_dwordx2 v[42:43], v[40:41]
.LBB111_149:
	v_mov_b32_e32 v38, 0
	s_andn2_b32 vcc_lo, exec_lo, s1
	s_cbranch_vccnz .LBB111_151
; %bb.150:
	v_add_co_u32 v40, vcc_lo, v36, v164
	v_add_co_ci_u32_e64 v41, null, v37, v165, vcc_lo
	flat_load_dwordx2 v[40:41], v[40:41]
	s_waitcnt vmcnt(0) lgkmcnt(0)
	v_mul_f64 v[40:41], s[12:13], v[40:41]
	v_cvt_f32_f64_e32 v38, v[40:41]
	v_add_co_u32 v40, vcc_lo, v34, v164
	v_add_co_ci_u32_e64 v41, null, v35, v165, vcc_lo
	v_add_co_u32 v42, vcc_lo, v36, v0
	v_add_co_ci_u32_e64 v43, null, v37, v1, vcc_lo
	v_min_f32_e32 v38, v38, v39
	v_cvt_f64_f32_e32 v[38:39], v38
	flat_store_dwordx2 v[40:41], v[38:39]
	flat_load_dwordx2 v[38:39], v[42:43]
	s_waitcnt vmcnt(0) lgkmcnt(0)
	v_mul_f64 v[38:39], s[12:13], v[38:39]
	v_cvt_f32_f64_e32 v38, v[38:39]
.LBB111_151:
	v_add_f64 v[22:23], v[22:23], v[10:11]
	v_add_f64 v[24:25], v[24:25], v[12:13]
	;; [unrolled: 1-line block ×8, first 2 shown]
	s_mov_b32 s1, -1
	v_cvt_f32_f64_e32 v22, v[22:23]
	v_cvt_f32_f64_e32 v23, v[24:25]
	;; [unrolled: 1-line block ×8, first 2 shown]
	v_min3_f32 v18, v22, v23, v200
	v_min_f32_e32 v19, v24, v25
	v_min3_f32 v21, v26, v27, v189
	v_min3_f32 v18, v38, v19, v18
	;; [unrolled: 1-line block ×3, first 2 shown]
	v_add_co_u32 v20, vcc_lo, v34, v0
	v_cvt_f64_f32_e32 v[18:19], v18
	v_add_co_ci_u32_e64 v21, null, v35, v1, vcc_lo
	v_max_f32_e32 v1, v22, v22
	s_mov_b32 vcc_lo, s0
	flat_store_dwordx2 v[20:21], v[18:19]
	s_cbranch_vccz .LBB111_153
; %bb.152:
	v_min_f32_e32 v0, 0, v1
	v_add_co_u32 v20, vcc_lo, v34, v166
	v_add_co_ci_u32_e64 v21, null, v35, v167, vcc_lo
	v_cvt_f64_f32_e32 v[18:19], v0
	s_mov_b32 s1, 0
	flat_store_dwordx2 v[20:21], v[18:19]
.LBB111_153:
	v_mov_b32_e32 v0, 0
	s_andn2_b32 vcc_lo, exec_lo, s1
	s_cbranch_vccnz .LBB111_155
; %bb.154:
	v_add_co_u32 v18, vcc_lo, v36, v166
	v_add_co_ci_u32_e64 v19, null, v37, v167, vcc_lo
	flat_load_dwordx2 v[18:19], v[18:19]
	s_waitcnt vmcnt(0) lgkmcnt(0)
	v_mul_f64 v[18:19], s[12:13], v[18:19]
	v_cvt_f32_f64_e32 v0, v[18:19]
	v_add_co_u32 v18, vcc_lo, v34, v166
	v_add_co_ci_u32_e64 v19, null, v35, v167, vcc_lo
	v_add_co_u32 v20, vcc_lo, v36, v162
	v_add_co_ci_u32_e64 v21, null, v37, v163, vcc_lo
	v_min_f32_e32 v0, v0, v1
	v_cvt_f64_f32_e32 v[0:1], v0
	flat_store_dwordx2 v[18:19], v[0:1]
	flat_load_dwordx2 v[0:1], v[20:21]
	s_waitcnt vmcnt(0) lgkmcnt(0)
	v_mul_f64 v[0:1], s[12:13], v[0:1]
	v_cvt_f32_f64_e32 v0, v[0:1]
.LBB111_155:
	v_add_f64 v[6:7], v[6:7], v[14:15]
	v_add_f64 v[8:9], v[8:9], v[16:17]
	;; [unrolled: 1-line block ×4, first 2 shown]
	v_cvt_f32_f64_e32 v5, v[6:7]
	v_cvt_f32_f64_e32 v6, v[8:9]
	;; [unrolled: 1-line block ×4, first 2 shown]
	v_min_f32_e32 v3, v5, v6
	v_min3_f32 v1, v1, v2, v188
	v_add_co_u32 v2, vcc_lo, v34, v162
	v_min3_f32 v0, v0, v3, v1
	v_add_co_ci_u32_e64 v3, null, v35, v163, vcc_lo
	v_cvt_f64_f32_e32 v[0:1], v0
	flat_store_dwordx2 v[2:3], v[0:1]
	s_endpgm
	.section	.rodata,"a",@progbits
	.p2align	6, 0x0
	.amdhsa_kernel _ZN12_GLOBAL__N_120geam_min_plus_kernelId15HIP_vector_typeIdLj2EEdLi32ELi8ELi128ELi128ELi4ELi4ELi64ELi4ELi64ELc84ELc78ELb0ELb0ELb1EPKdKS4_KPdEEviiiT16_PT17_ilSA_ilS8_SA_ilPT18_ili26rocblas_geam_ex_operation_
		.amdhsa_group_segment_fixed_size 16384
		.amdhsa_private_segment_fixed_size 184
		.amdhsa_kernarg_size 136
		.amdhsa_user_sgpr_count 6
		.amdhsa_user_sgpr_private_segment_buffer 1
		.amdhsa_user_sgpr_dispatch_ptr 0
		.amdhsa_user_sgpr_queue_ptr 0
		.amdhsa_user_sgpr_kernarg_segment_ptr 1
		.amdhsa_user_sgpr_dispatch_id 0
		.amdhsa_user_sgpr_flat_scratch_init 0
		.amdhsa_user_sgpr_private_segment_size 0
		.amdhsa_wavefront_size32 1
		.amdhsa_uses_dynamic_stack 0
		.amdhsa_system_sgpr_private_segment_wavefront_offset 1
		.amdhsa_system_sgpr_workgroup_id_x 1
		.amdhsa_system_sgpr_workgroup_id_y 0
		.amdhsa_system_sgpr_workgroup_id_z 1
		.amdhsa_system_sgpr_workgroup_info 0
		.amdhsa_system_vgpr_workitem_id 1
		.amdhsa_next_free_vgpr 256
		.amdhsa_next_free_sgpr 32
		.amdhsa_reserve_vcc 1
		.amdhsa_reserve_flat_scratch 1
		.amdhsa_float_round_mode_32 0
		.amdhsa_float_round_mode_16_64 0
		.amdhsa_float_denorm_mode_32 3
		.amdhsa_float_denorm_mode_16_64 3
		.amdhsa_dx10_clamp 1
		.amdhsa_ieee_mode 1
		.amdhsa_fp16_overflow 0
		.amdhsa_workgroup_processor_mode 1
		.amdhsa_memory_ordered 1
		.amdhsa_forward_progress 1
		.amdhsa_shared_vgpr_count 0
		.amdhsa_exception_fp_ieee_invalid_op 0
		.amdhsa_exception_fp_denorm_src 0
		.amdhsa_exception_fp_ieee_div_zero 0
		.amdhsa_exception_fp_ieee_overflow 0
		.amdhsa_exception_fp_ieee_underflow 0
		.amdhsa_exception_fp_ieee_inexact 0
		.amdhsa_exception_int_div_zero 0
	.end_amdhsa_kernel
	.section	.text._ZN12_GLOBAL__N_120geam_min_plus_kernelId15HIP_vector_typeIdLj2EEdLi32ELi8ELi128ELi128ELi4ELi4ELi64ELi4ELi64ELc84ELc78ELb0ELb0ELb1EPKdKS4_KPdEEviiiT16_PT17_ilSA_ilS8_SA_ilPT18_ili26rocblas_geam_ex_operation_,"axG",@progbits,_ZN12_GLOBAL__N_120geam_min_plus_kernelId15HIP_vector_typeIdLj2EEdLi32ELi8ELi128ELi128ELi4ELi4ELi64ELi4ELi64ELc84ELc78ELb0ELb0ELb1EPKdKS4_KPdEEviiiT16_PT17_ilSA_ilS8_SA_ilPT18_ili26rocblas_geam_ex_operation_,comdat
.Lfunc_end111:
	.size	_ZN12_GLOBAL__N_120geam_min_plus_kernelId15HIP_vector_typeIdLj2EEdLi32ELi8ELi128ELi128ELi4ELi4ELi64ELi4ELi64ELc84ELc78ELb0ELb0ELb1EPKdKS4_KPdEEviiiT16_PT17_ilSA_ilS8_SA_ilPT18_ili26rocblas_geam_ex_operation_, .Lfunc_end111-_ZN12_GLOBAL__N_120geam_min_plus_kernelId15HIP_vector_typeIdLj2EEdLi32ELi8ELi128ELi128ELi4ELi4ELi64ELi4ELi64ELc84ELc78ELb0ELb0ELb1EPKdKS4_KPdEEviiiT16_PT17_ilSA_ilS8_SA_ilPT18_ili26rocblas_geam_ex_operation_
                                        ; -- End function
	.set _ZN12_GLOBAL__N_120geam_min_plus_kernelId15HIP_vector_typeIdLj2EEdLi32ELi8ELi128ELi128ELi4ELi4ELi64ELi4ELi64ELc84ELc78ELb0ELb0ELb1EPKdKS4_KPdEEviiiT16_PT17_ilSA_ilS8_SA_ilPT18_ili26rocblas_geam_ex_operation_.num_vgpr, 256
	.set _ZN12_GLOBAL__N_120geam_min_plus_kernelId15HIP_vector_typeIdLj2EEdLi32ELi8ELi128ELi128ELi4ELi4ELi64ELi4ELi64ELc84ELc78ELb0ELb0ELb1EPKdKS4_KPdEEviiiT16_PT17_ilSA_ilS8_SA_ilPT18_ili26rocblas_geam_ex_operation_.num_agpr, 0
	.set _ZN12_GLOBAL__N_120geam_min_plus_kernelId15HIP_vector_typeIdLj2EEdLi32ELi8ELi128ELi128ELi4ELi4ELi64ELi4ELi64ELc84ELc78ELb0ELb0ELb1EPKdKS4_KPdEEviiiT16_PT17_ilSA_ilS8_SA_ilPT18_ili26rocblas_geam_ex_operation_.numbered_sgpr, 32
	.set _ZN12_GLOBAL__N_120geam_min_plus_kernelId15HIP_vector_typeIdLj2EEdLi32ELi8ELi128ELi128ELi4ELi4ELi64ELi4ELi64ELc84ELc78ELb0ELb0ELb1EPKdKS4_KPdEEviiiT16_PT17_ilSA_ilS8_SA_ilPT18_ili26rocblas_geam_ex_operation_.num_named_barrier, 0
	.set _ZN12_GLOBAL__N_120geam_min_plus_kernelId15HIP_vector_typeIdLj2EEdLi32ELi8ELi128ELi128ELi4ELi4ELi64ELi4ELi64ELc84ELc78ELb0ELb0ELb1EPKdKS4_KPdEEviiiT16_PT17_ilSA_ilS8_SA_ilPT18_ili26rocblas_geam_ex_operation_.private_seg_size, 184
	.set _ZN12_GLOBAL__N_120geam_min_plus_kernelId15HIP_vector_typeIdLj2EEdLi32ELi8ELi128ELi128ELi4ELi4ELi64ELi4ELi64ELc84ELc78ELb0ELb0ELb1EPKdKS4_KPdEEviiiT16_PT17_ilSA_ilS8_SA_ilPT18_ili26rocblas_geam_ex_operation_.uses_vcc, 1
	.set _ZN12_GLOBAL__N_120geam_min_plus_kernelId15HIP_vector_typeIdLj2EEdLi32ELi8ELi128ELi128ELi4ELi4ELi64ELi4ELi64ELc84ELc78ELb0ELb0ELb1EPKdKS4_KPdEEviiiT16_PT17_ilSA_ilS8_SA_ilPT18_ili26rocblas_geam_ex_operation_.uses_flat_scratch, 1
	.set _ZN12_GLOBAL__N_120geam_min_plus_kernelId15HIP_vector_typeIdLj2EEdLi32ELi8ELi128ELi128ELi4ELi4ELi64ELi4ELi64ELc84ELc78ELb0ELb0ELb1EPKdKS4_KPdEEviiiT16_PT17_ilSA_ilS8_SA_ilPT18_ili26rocblas_geam_ex_operation_.has_dyn_sized_stack, 0
	.set _ZN12_GLOBAL__N_120geam_min_plus_kernelId15HIP_vector_typeIdLj2EEdLi32ELi8ELi128ELi128ELi4ELi4ELi64ELi4ELi64ELc84ELc78ELb0ELb0ELb1EPKdKS4_KPdEEviiiT16_PT17_ilSA_ilS8_SA_ilPT18_ili26rocblas_geam_ex_operation_.has_recursion, 0
	.set _ZN12_GLOBAL__N_120geam_min_plus_kernelId15HIP_vector_typeIdLj2EEdLi32ELi8ELi128ELi128ELi4ELi4ELi64ELi4ELi64ELc84ELc78ELb0ELb0ELb1EPKdKS4_KPdEEviiiT16_PT17_ilSA_ilS8_SA_ilPT18_ili26rocblas_geam_ex_operation_.has_indirect_call, 0
	.section	.AMDGPU.csdata,"",@progbits
; Kernel info:
; codeLenInByte = 28764
; TotalNumSgprs: 34
; NumVgprs: 256
; ScratchSize: 184
; MemoryBound: 0
; FloatMode: 240
; IeeeMode: 1
; LDSByteSize: 16384 bytes/workgroup (compile time only)
; SGPRBlocks: 0
; VGPRBlocks: 31
; NumSGPRsForWavesPerEU: 34
; NumVGPRsForWavesPerEU: 256
; Occupancy: 4
; WaveLimiterHint : 1
; COMPUTE_PGM_RSRC2:SCRATCH_EN: 1
; COMPUTE_PGM_RSRC2:USER_SGPR: 6
; COMPUTE_PGM_RSRC2:TRAP_HANDLER: 0
; COMPUTE_PGM_RSRC2:TGID_X_EN: 1
; COMPUTE_PGM_RSRC2:TGID_Y_EN: 0
; COMPUTE_PGM_RSRC2:TGID_Z_EN: 1
; COMPUTE_PGM_RSRC2:TIDIG_COMP_CNT: 1
	.section	.text._ZN12_GLOBAL__N_120geam_min_plus_kernelId15HIP_vector_typeIdLj2EEdLi32ELi8ELi128ELi128ELi4ELi4ELi64ELi4ELi64ELc84ELc78ELb1ELb0ELb1EdKPKdKPdEEviiiT16_PT17_ilSA_ilS8_SA_ilPT18_ili26rocblas_geam_ex_operation_,"axG",@progbits,_ZN12_GLOBAL__N_120geam_min_plus_kernelId15HIP_vector_typeIdLj2EEdLi32ELi8ELi128ELi128ELi4ELi4ELi64ELi4ELi64ELc84ELc78ELb1ELb0ELb1EdKPKdKPdEEviiiT16_PT17_ilSA_ilS8_SA_ilPT18_ili26rocblas_geam_ex_operation_,comdat
	.globl	_ZN12_GLOBAL__N_120geam_min_plus_kernelId15HIP_vector_typeIdLj2EEdLi32ELi8ELi128ELi128ELi4ELi4ELi64ELi4ELi64ELc84ELc78ELb1ELb0ELb1EdKPKdKPdEEviiiT16_PT17_ilSA_ilS8_SA_ilPT18_ili26rocblas_geam_ex_operation_ ; -- Begin function _ZN12_GLOBAL__N_120geam_min_plus_kernelId15HIP_vector_typeIdLj2EEdLi32ELi8ELi128ELi128ELi4ELi4ELi64ELi4ELi64ELc84ELc78ELb1ELb0ELb1EdKPKdKPdEEviiiT16_PT17_ilSA_ilS8_SA_ilPT18_ili26rocblas_geam_ex_operation_
	.p2align	8
	.type	_ZN12_GLOBAL__N_120geam_min_plus_kernelId15HIP_vector_typeIdLj2EEdLi32ELi8ELi128ELi128ELi4ELi4ELi64ELi4ELi64ELc84ELc78ELb1ELb0ELb1EdKPKdKPdEEviiiT16_PT17_ilSA_ilS8_SA_ilPT18_ili26rocblas_geam_ex_operation_,@function
_ZN12_GLOBAL__N_120geam_min_plus_kernelId15HIP_vector_typeIdLj2EEdLi32ELi8ELi128ELi128ELi4ELi4ELi64ELi4ELi64ELc84ELc78ELb1ELb0ELb1EdKPKdKPdEEviiiT16_PT17_ilSA_ilS8_SA_ilPT18_ili26rocblas_geam_ex_operation_: ; @_ZN12_GLOBAL__N_120geam_min_plus_kernelId15HIP_vector_typeIdLj2EEdLi32ELi8ELi128ELi128ELi4ELi4ELi64ELi4ELi64ELc84ELc78ELb1ELb0ELb1EdKPKdKPdEEviiiT16_PT17_ilSA_ilS8_SA_ilPT18_ili26rocblas_geam_ex_operation_
; %bb.0:
	s_clause 0x1
	s_load_dwordx4 s[0:3], s[4:5], 0x10
	s_load_dwordx4 s[8:11], s[4:5], 0x28
	s_mov_b32 s18, s7
	s_mov_b64 s[14:15], 0
	s_waitcnt lgkmcnt(0)
	v_cmp_eq_f64_e64 s7, s[0:1], 0
	s_and_b32 vcc_lo, exec_lo, s7
	s_cbranch_vccnz .LBB112_2
; %bb.1:
	s_mov_b32 s19, 0
	s_lshl_b64 s[0:1], s[18:19], 3
	s_add_u32 s0, s2, s0
	s_addc_u32 s1, s3, s1
	s_lshl_b64 s[2:3], s[8:9], 3
	s_load_dwordx2 s[0:1], s[0:1], 0x0
	s_waitcnt lgkmcnt(0)
	s_add_u32 s14, s0, s2
	s_addc_u32 s15, s1, s3
.LBB112_2:
	s_clause 0x1
	s_load_dwordx4 s[0:3], s[4:5], 0x40
	s_load_dwordx2 s[20:21], s[4:5], 0x50
	s_andn2_b32 vcc_lo, exec_lo, s7
	s_mov_b32 s19, 0
	s_cbranch_vccnz .LBB112_4
; %bb.3:
	s_mov_b32 s7, s19
	s_mov_b64 s[12:13], 0
	s_andn2_b32 vcc_lo, exec_lo, s7
	s_mov_b64 s[16:17], 0
	s_cbranch_vccz .LBB112_5
	s_branch .LBB112_6
.LBB112_4:
	s_mov_b64 s[12:13], 0
	s_mov_b64 s[16:17], 0
.LBB112_5:
	s_lshl_b64 s[8:9], s[18:19], 3
	s_add_u32 s8, s10, s8
	s_addc_u32 s9, s11, s9
	s_waitcnt lgkmcnt(0)
	s_lshl_b64 s[0:1], s[0:1], 3
	s_load_dwordx2 s[8:9], s[8:9], 0x0
	s_waitcnt lgkmcnt(0)
	s_add_u32 s16, s8, s0
	s_addc_u32 s17, s9, s1
.LBB112_6:
	s_waitcnt lgkmcnt(0)
	v_cmp_eq_f64_e64 s0, s[2:3], 0
	s_load_dwordx4 s[8:11], s[4:5], 0x60
	s_and_b32 s0, exec_lo, s0
	s_mov_b32 vcc_lo, s0
	s_cbranch_vccnz .LBB112_8
; %bb.7:
	s_lshl_b64 s[12:13], s[18:19], 3
	s_add_u32 s12, s20, s12
	s_addc_u32 s13, s21, s13
	s_waitcnt lgkmcnt(0)
	s_lshl_b64 s[8:9], s[8:9], 3
	s_load_dwordx2 s[12:13], s[12:13], 0x0
	s_waitcnt lgkmcnt(0)
	s_add_u32 s12, s12, s8
	s_addc_u32 s13, s13, s9
.LBB112_8:
	s_clause 0x3
	s_load_dword s1, s[4:5], 0x0
	s_load_dword s7, s[4:5], 0x8
	;; [unrolled: 1-line block ×4, first 2 shown]
	s_waitcnt lgkmcnt(0)
	s_lshl_b64 s[8:9], s[18:19], 3
	v_lshlrev_b32_e32 v163, 5, v1
	s_add_u32 s8, s10, s8
	s_addc_u32 s9, s11, s9
	v_and_b32_e32 v3, 3, v0
	s_load_dwordx2 s[8:9], s[8:9], 0x0
	v_lshlrev_b32_e32 v98, 5, v0
	v_lshlrev_b32_e32 v99, 3, v3
	s_add_i32 s1, s1, -1
	s_ashr_i32 s10, s1, 31
	s_lshr_b32 s10, s10, 25
	s_add_i32 s1, s1, s10
	s_ashr_i32 s1, s1, 7
	s_add_i32 s10, s1, 1
	s_not_b32 s1, s1
	v_cvt_f32_u32_e32 v2, s10
	v_rcp_iflag_f32_e32 v2, v2
	v_mul_f32_e32 v2, 0x4f7ffffe, v2
	v_cvt_u32_f32_e32 v2, v2
	v_readfirstlane_b32 s11, v2
	v_add_nc_u32_e32 v2, v163, v0
	s_mul_i32 s1, s1, s11
	v_lshrrev_b32_e32 v18, 2, v2
	s_mul_hi_u32 s1, s11, s1
	s_add_i32 s11, s11, s1
	v_lshl_or_b32 v100, v18, 5, v99
	s_mul_hi_u32 s1, s6, s11
	s_mul_i32 s11, s1, s10
	s_add_i32 s18, s1, 1
	s_sub_i32 s11, s6, s11
	s_sub_i32 s19, s11, s10
	s_cmp_ge_u32 s11, s10
	s_cselect_b32 s1, s18, s1
	s_cselect_b32 s11, s19, s11
	s_add_i32 s18, s1, 1
	s_cmp_ge_u32 s11, s10
	s_cselect_b32 s11, s18, s1
	s_mul_i32 s1, s11, s10
	v_add_co_u32 v8, s10, s14, v99
	s_sub_i32 s1, s6, s1
	s_lshl_b32 s6, s11, 7
	s_lshl_b32 s1, s1, 7
	v_add_nc_u32_e32 v14, s6, v18
	v_add_nc_u32_e32 v6, s1, v18
	v_add_co_ci_u32_e64 v9, null, s15, 0, s10
	v_add_co_u32 v16, s10, s16, v99
	v_mad_i64_i32 v[2:3], null, v6, s21, 0
	v_add_nc_u32_e32 v6, 64, v6
	v_mad_i64_i32 v[10:11], null, v14, s20, 0
	v_add_nc_u32_e32 v14, 64, v14
	v_add_co_ci_u32_e64 v17, null, s17, 0, s10
	v_mad_i64_i32 v[6:7], null, v6, s21, 0
	v_mad_i64_i32 v[14:15], null, v14, s20, 0
	v_lshlrev_b64 v[82:83], 3, v[2:3]
	v_lshlrev_b64 v[86:87], 3, v[10:11]
	s_cmp_lt_i32 s7, 9
	v_lshlrev_b64 v[84:85], 3, v[6:7]
	v_add_co_u32 v2, vcc_lo, v8, v82
	v_lshlrev_b64 v[88:89], 3, v[14:15]
	v_add_co_ci_u32_e64 v3, null, v9, v83, vcc_lo
	v_add_co_u32 v6, vcc_lo, v8, v84
	v_add_co_ci_u32_e64 v7, null, v9, v85, vcc_lo
	v_add_co_u32 v10, vcc_lo, v16, v86
	;; [unrolled: 2-line block ×3, first 2 shown]
	v_add_co_ci_u32_e64 v15, null, v17, v89, vcc_lo
	s_clause 0x1
	flat_load_dwordx2 v[4:5], v[2:3]
	flat_load_dwordx2 v[8:9], v[6:7]
	s_clause 0x1
	flat_load_dwordx2 v[12:13], v[10:11]
	flat_load_dwordx2 v[16:17], v[14:15]
	s_clause 0x1
	flat_load_dwordx2 v[94:95], v[2:3] offset:32
	flat_load_dwordx2 v[96:97], v[6:7] offset:32
	s_clause 0x1
	flat_load_dwordx2 v[90:91], v[10:11] offset:32
	flat_load_dwordx2 v[92:93], v[14:15] offset:32
	s_waitcnt vmcnt(6) lgkmcnt(0)
	ds_write2st64_b64 v100, v[4:5], v[8:9] offset1:4
	s_waitcnt vmcnt(4)
	ds_write2st64_b64 v100, v[12:13], v[16:17] offset0:16 offset1:20
	s_waitcnt vmcnt(0) lgkmcnt(0)
	s_barrier
	buffer_gl0_inv
	ds_read_b128 v[6:9], v98 offset:1024
	ds_read_b128 v[10:13], v98 offset:2048
	;; [unrolled: 1-line block ×18, first 2 shown]
	ds_read_b128 v[101:104], v98
	ds_read_b128 v[2:5], v98 offset:16
	ds_read_b128 v[105:108], v163 offset:8192
	;; [unrolled: 1-line block ×3, first 2 shown]
	s_waitcnt lgkmcnt(1)
	v_add_f64 v[109:110], v[103:104], v[107:108]
	v_add_f64 v[111:112], v[101:102], v[105:106]
	s_waitcnt lgkmcnt(0)
	v_add_f64 v[166:167], v[4:5], v[20:21]
	v_add_f64 v[168:169], v[2:3], v[18:19]
	v_cvt_f32_f64_e32 v109, v[109:110]
	v_cvt_f32_f64_e32 v111, v[111:112]
	;; [unrolled: 1-line block ×4, first 2 shown]
	v_min3_f32 v164, v111, v109, 0x7f800000
	v_add_f64 v[109:110], v[8:9], v[107:108]
	v_add_f64 v[111:112], v[6:7], v[105:106]
	v_min3_f32 v164, v168, v166, v164
	v_cvt_f32_f64_e32 v109, v[109:110]
	v_cvt_f32_f64_e32 v111, v[111:112]
	v_min3_f32 v165, v111, v109, 0x7f800000
	v_add_f64 v[109:110], v[12:13], v[107:108]
	v_add_f64 v[111:112], v[10:11], v[105:106]
	;; [unrolled: 1-line block ×4, first 2 shown]
	v_cvt_f32_f64_e32 v109, v[109:110]
	v_cvt_f32_f64_e32 v111, v[111:112]
	;; [unrolled: 1-line block ×4, first 2 shown]
	v_add_f64 v[107:108], v[101:102], v[22:23]
	v_min3_f32 v162, v111, v109, 0x7f800000
	v_min3_f32 v161, v105, v106, 0x7f800000
	v_add_f64 v[105:106], v[103:104], v[24:25]
	v_cvt_f32_f64_e32 v107, v[107:108]
	v_cvt_f32_f64_e32 v105, v[105:106]
	v_min3_f32 v160, v107, v105, 0x7f800000
	v_add_f64 v[105:106], v[8:9], v[24:25]
	v_add_f64 v[107:108], v[6:7], v[22:23]
	v_cvt_f32_f64_e32 v105, v[105:106]
	v_cvt_f32_f64_e32 v107, v[107:108]
	v_min3_f32 v159, v107, v105, 0x7f800000
	v_add_f64 v[105:106], v[12:13], v[24:25]
	v_add_f64 v[107:108], v[10:11], v[22:23]
	;; [unrolled: 1-line block ×4, first 2 shown]
	v_cvt_f32_f64_e32 v105, v[105:106]
	v_cvt_f32_f64_e32 v107, v[107:108]
	;; [unrolled: 1-line block ×4, first 2 shown]
	v_add_f64 v[24:25], v[101:102], v[26:27]
	v_min3_f32 v158, v107, v105, 0x7f800000
	v_min3_f32 v157, v22, v23, 0x7f800000
	v_add_f64 v[22:23], v[103:104], v[28:29]
	v_cvt_f32_f64_e32 v24, v[24:25]
	v_cvt_f32_f64_e32 v22, v[22:23]
	v_min3_f32 v156, v24, v22, 0x7f800000
	v_add_f64 v[22:23], v[8:9], v[28:29]
	v_add_f64 v[24:25], v[6:7], v[26:27]
	v_cvt_f32_f64_e32 v22, v[22:23]
	v_cvt_f32_f64_e32 v24, v[24:25]
	v_min3_f32 v155, v24, v22, 0x7f800000
	v_add_f64 v[22:23], v[12:13], v[28:29]
	;; [unrolled: 5-line block ×49, first 2 shown]
	v_add_f64 v[24:25], v[6:7], v[74:75]
	v_add_f64 v[8:9], v[8:9], v[80:81]
	;; [unrolled: 1-line block ×3, first 2 shown]
	v_cvt_f32_f64_e32 v22, v[22:23]
	v_cvt_f32_f64_e32 v24, v[24:25]
	;; [unrolled: 1-line block ×4, first 2 shown]
	v_add_f64 v[8:9], v[10:11], v[78:79]
	v_min3_f32 v107, v24, v22, 0x7f800000
	v_add_f64 v[22:23], v[12:13], v[76:77]
	v_add_f64 v[24:25], v[10:11], v[74:75]
	v_cvt_f32_f64_e32 v8, v[8:9]
	v_cvt_f32_f64_e32 v22, v[22:23]
	v_cvt_f32_f64_e32 v24, v[24:25]
	v_min3_f32 v106, v24, v22, 0x7f800000
	v_add_f64 v[22:23], v[16:17], v[76:77]
	v_add_f64 v[24:25], v[14:15], v[74:75]
	v_cvt_f32_f64_e32 v22, v[22:23]
	v_cvt_f32_f64_e32 v24, v[24:25]
	v_min3_f32 v105, v24, v22, 0x7f800000
	v_add_f64 v[22:23], v[103:104], v[80:81]
	v_min3_f32 v103, v6, v7, 0x7f800000
	v_add_f64 v[6:7], v[12:13], v[80:81]
	v_add_f64 v[24:25], v[101:102], v[78:79]
	v_cvt_f32_f64_e32 v22, v[22:23]
	v_cvt_f32_f64_e32 v6, v[6:7]
	;; [unrolled: 1-line block ×3, first 2 shown]
	v_min3_f32 v102, v8, v6, 0x7f800000
	v_add_f64 v[6:7], v[16:17], v[80:81]
	v_add_f64 v[8:9], v[14:15], v[78:79]
	v_min3_f32 v104, v24, v22, 0x7f800000
	v_cvt_f32_f64_e32 v6, v[6:7]
	v_cvt_f32_f64_e32 v8, v[8:9]
	v_min3_f32 v101, v8, v6, 0x7f800000
	ds_read_b128 v[14:17], v98 offset:1040
	ds_read_b128 v[10:13], v98 offset:2064
	;; [unrolled: 1-line block ×18, first 2 shown]
	ds_write2st64_b64 v100, v[94:95], v[96:97] offset0:8 offset1:12
	ds_write2st64_b64 v100, v[90:91], v[92:93] offset0:24 offset1:28
	s_waitcnt lgkmcnt(0)
	v_add_f64 v[166:167], v[16:17], v[20:21]
	v_add_f64 v[168:169], v[14:15], v[18:19]
	s_barrier
	buffer_gl0_inv
	v_cvt_f32_f64_e32 v166, v[166:167]
	v_cvt_f32_f64_e32 v168, v[168:169]
	v_add_f64 v[169:170], v[10:11], v[18:19]
	v_add_f64 v[18:19], v[6:7], v[18:19]
	v_min3_f32 v166, v168, v166, v165
	v_add_f64 v[167:168], v[12:13], v[20:21]
	v_add_f64 v[20:21], v[8:9], v[20:21]
	v_cvt_f32_f64_e32 v18, v[18:19]
	v_cvt_f32_f64_e32 v165, v[169:170]
	;; [unrolled: 1-line block ×4, first 2 shown]
	v_add_f64 v[20:21], v[2:3], v[78:79]
	v_min3_f32 v167, v165, v167, v162
	v_min3_f32 v227, v18, v19, v161
	v_add_f64 v[18:19], v[4:5], v[80:81]
	v_cvt_f32_f64_e32 v20, v[20:21]
	v_cvt_f32_f64_e32 v18, v[18:19]
	v_min3_f32 v228, v20, v18, v160
	v_add_f64 v[18:19], v[16:17], v[80:81]
	v_add_f64 v[20:21], v[14:15], v[78:79]
	v_cvt_f32_f64_e32 v18, v[18:19]
	v_cvt_f32_f64_e32 v20, v[20:21]
	v_min3_f32 v225, v20, v18, v159
	v_add_f64 v[18:19], v[12:13], v[80:81]
	;; [unrolled: 5-line block ×52, first 2 shown]
	v_add_f64 v[20:21], v[2:3], v[26:27]
	v_add_f64 v[4:5], v[4:5], v[24:25]
	;; [unrolled: 1-line block ×3, first 2 shown]
	v_cvt_f32_f64_e32 v18, v[18:19]
	v_cvt_f32_f64_e32 v20, v[20:21]
	;; [unrolled: 1-line block ×4, first 2 shown]
	v_add_f64 v[4:5], v[14:15], v[22:23]
	v_min3_f32 v176, v20, v18, v108
	v_add_f64 v[18:19], v[16:17], v[28:29]
	v_add_f64 v[20:21], v[14:15], v[26:27]
	v_min3_f32 v172, v2, v3, v104
	v_add_f64 v[2:3], v[16:17], v[24:25]
	v_cvt_f32_f64_e32 v4, v[4:5]
	v_cvt_f32_f64_e32 v18, v[18:19]
	;; [unrolled: 1-line block ×4, first 2 shown]
	v_min3_f32 v173, v20, v18, v107
	v_add_f64 v[18:19], v[12:13], v[28:29]
	v_add_f64 v[20:21], v[10:11], v[26:27]
	v_min3_f32 v169, v4, v2, v103
	v_add_f64 v[2:3], v[12:13], v[24:25]
	v_add_f64 v[4:5], v[10:11], v[22:23]
	v_cvt_f32_f64_e32 v18, v[18:19]
	v_cvt_f32_f64_e32 v20, v[20:21]
	;; [unrolled: 1-line block ×4, first 2 shown]
	v_min3_f32 v174, v20, v18, v106
	v_add_f64 v[18:19], v[8:9], v[28:29]
	v_add_f64 v[20:21], v[6:7], v[26:27]
	v_min3_f32 v170, v4, v2, v102
	v_add_f64 v[2:3], v[8:9], v[24:25]
	v_add_f64 v[4:5], v[6:7], v[22:23]
	v_cvt_f32_f64_e32 v18, v[18:19]
	v_cvt_f32_f64_e32 v20, v[20:21]
	;; [unrolled: 1-line block ×4, first 2 shown]
	v_min3_f32 v171, v20, v18, v105
	v_min3_f32 v168, v4, v2, v101
	s_cbranch_scc1 .LBB112_11
; %bb.9:
	v_add_co_u32 v107, vcc_lo, s16, v88
	v_add_co_ci_u32_e64 v108, null, s17, v89, vcc_lo
	v_add_co_u32 v109, vcc_lo, s16, v86
	v_add_co_ci_u32_e64 v110, null, s17, v87, vcc_lo
	;; [unrolled: 2-line block ×3, first 2 shown]
	v_add_co_u32 v113, vcc_lo, s14, v82
	v_add_nc_u32_e32 v101, 0x2000, v100
	v_or_b32_e32 v102, 0x2000, v163
	v_add_nc_u32_e32 v103, 0x1000, v100
	v_add_nc_u32_e32 v104, 0x3000, v100
	v_lshl_add_u32 v105, v0, 5, 0x1000
	v_lshl_add_u32 v106, v1, 5, 0x3000
	v_add_co_ci_u32_e64 v114, null, s15, v83, vcc_lo
	s_add_i32 s7, s7, -8
	s_mov_b32 s10, 0
.LBB112_10:                             ; =>This Inner Loop Header: Depth=1
	v_add_co_u32 v82, vcc_lo, v113, v99
	v_add_co_ci_u32_e64 v83, null, 0, v114, vcc_lo
	v_add_co_u32 v86, vcc_lo, v111, v99
	v_add_co_ci_u32_e64 v87, null, 0, v112, vcc_lo
	;; [unrolled: 2-line block ×4, first 2 shown]
	flat_load_dwordx2 v[84:85], v[82:83] offset:64
	flat_load_dwordx2 v[94:95], v[86:87] offset:64
	;; [unrolled: 1-line block ×4, first 2 shown]
	ds_read_b128 v[14:17], v105 offset:1024
	ds_read_b128 v[18:21], v105 offset:2048
	;; [unrolled: 1-line block ×18, first 2 shown]
	ds_read_b128 v[115:118], v106
	ds_read_b128 v[6:9], v106 offset:16
	ds_read_b128 v[233:236], v105
	ds_read_b128 v[2:5], v105 offset:16
	v_add_co_u32 v107, vcc_lo, v107, 64
	v_add_co_ci_u32_e64 v108, null, 0, v108, vcc_lo
	v_add_co_u32 v109, vcc_lo, v109, 64
	v_add_co_ci_u32_e64 v110, null, 0, v110, vcc_lo
	;; [unrolled: 2-line block ×4, first 2 shown]
	s_add_i32 s10, s10, 8
	s_waitcnt lgkmcnt(1)
	v_add_f64 v[119:120], v[235:236], v[117:118]
	v_add_f64 v[121:122], v[233:234], v[115:116]
	s_cmp_ge_i32 s10, s7
	v_cvt_f32_f64_e32 v119, v[119:120]
	v_cvt_f32_f64_e32 v121, v[121:122]
	v_min3_f32 v232, v121, v119, v164
	v_add_f64 v[119:120], v[16:17], v[117:118]
	v_add_f64 v[121:122], v[14:15], v[115:116]
	v_cvt_f32_f64_e32 v119, v[119:120]
	v_cvt_f32_f64_e32 v121, v[121:122]
	v_min3_f32 v231, v121, v119, v166
	v_add_f64 v[119:120], v[20:21], v[117:118]
	v_add_f64 v[121:122], v[18:19], v[115:116]
	;; [unrolled: 1-line block ×4, first 2 shown]
	v_cvt_f32_f64_e32 v119, v[119:120]
	v_cvt_f32_f64_e32 v121, v[121:122]
	;; [unrolled: 1-line block ×4, first 2 shown]
	v_add_f64 v[117:118], v[233:234], v[22:23]
	v_min3_f32 v230, v121, v119, v167
	v_min3_f32 v229, v115, v116, v227
	v_add_f64 v[115:116], v[235:236], v[24:25]
	v_cvt_f32_f64_e32 v117, v[117:118]
	v_cvt_f32_f64_e32 v115, v[115:116]
	v_min3_f32 v228, v117, v115, v228
	v_add_f64 v[115:116], v[16:17], v[24:25]
	v_add_f64 v[117:118], v[14:15], v[22:23]
	v_cvt_f32_f64_e32 v115, v[115:116]
	v_cvt_f32_f64_e32 v117, v[117:118]
	v_min3_f32 v227, v117, v115, v225
	v_add_f64 v[115:116], v[20:21], v[24:25]
	v_add_f64 v[117:118], v[18:19], v[22:23]
	;; [unrolled: 1-line block ×4, first 2 shown]
	v_cvt_f32_f64_e32 v115, v[115:116]
	v_cvt_f32_f64_e32 v117, v[117:118]
	;; [unrolled: 1-line block ×4, first 2 shown]
	v_add_f64 v[24:25], v[233:234], v[26:27]
	v_min3_f32 v226, v117, v115, v226
	v_min3_f32 v225, v22, v23, v223
	v_add_f64 v[22:23], v[235:236], v[28:29]
	v_cvt_f32_f64_e32 v24, v[24:25]
	v_cvt_f32_f64_e32 v22, v[22:23]
	v_min3_f32 v224, v24, v22, v224
	v_add_f64 v[22:23], v[16:17], v[28:29]
	v_add_f64 v[24:25], v[14:15], v[26:27]
	v_cvt_f32_f64_e32 v22, v[22:23]
	v_cvt_f32_f64_e32 v24, v[24:25]
	v_min3_f32 v223, v24, v22, v221
	v_add_f64 v[22:23], v[20:21], v[28:29]
	;; [unrolled: 5-line block ×49, first 2 shown]
	v_add_f64 v[24:25], v[14:15], v[74:75]
	v_add_f64 v[16:17], v[16:17], v[80:81]
	;; [unrolled: 1-line block ×3, first 2 shown]
	v_cvt_f32_f64_e32 v22, v[22:23]
	v_cvt_f32_f64_e32 v24, v[24:25]
	v_cvt_f32_f64_e32 v14, v[14:15]
	v_cvt_f32_f64_e32 v15, v[16:17]
	v_add_f64 v[16:17], v[18:19], v[78:79]
	v_min3_f32 v121, v24, v22, v173
	v_add_f64 v[22:23], v[20:21], v[76:77]
	v_add_f64 v[24:25], v[18:19], v[74:75]
	v_min3_f32 v117, v14, v15, v169
	v_add_f64 v[14:15], v[20:21], v[80:81]
	v_cvt_f32_f64_e32 v16, v[16:17]
	v_cvt_f32_f64_e32 v22, v[22:23]
	;; [unrolled: 1-line block ×4, first 2 shown]
	v_min3_f32 v120, v24, v22, v174
	v_add_f64 v[22:23], v[12:13], v[76:77]
	v_add_f64 v[24:25], v[10:11], v[74:75]
	;; [unrolled: 1-line block ×4, first 2 shown]
	v_min3_f32 v116, v16, v14, v170
	v_cvt_f32_f64_e32 v22, v[22:23]
	v_cvt_f32_f64_e32 v24, v[24:25]
	;; [unrolled: 1-line block ×4, first 2 shown]
	v_min3_f32 v119, v24, v22, v171
	v_add_f64 v[22:23], v[235:236], v[80:81]
	v_add_f64 v[24:25], v[233:234], v[78:79]
	v_min3_f32 v115, v10, v11, v168
	s_waitcnt lgkmcnt(0)
	v_add_f64 v[168:169], v[4:5], v[8:9]
	v_add_f64 v[170:171], v[2:3], v[6:7]
	v_cvt_f32_f64_e32 v22, v[22:23]
	v_cvt_f32_f64_e32 v24, v[24:25]
	;; [unrolled: 1-line block ×4, first 2 shown]
	v_min3_f32 v118, v24, v22, v172
	ds_read_b128 v[18:21], v105 offset:1040
	ds_read_b128 v[14:17], v105 offset:2064
	;; [unrolled: 1-line block ×18, first 2 shown]
	s_waitcnt vmcnt(2)
	ds_write2st64_b64 v100, v[84:85], v[94:95] offset1:4
	s_waitcnt vmcnt(0)
	ds_write2st64_b64 v101, v[88:89], v[96:97] offset1:4
	v_min3_f32 v168, v170, v168, v232
	s_waitcnt lgkmcnt(19)
	v_add_f64 v[169:170], v[20:21], v[8:9]
	v_add_f64 v[171:172], v[18:19], v[6:7]
	s_waitcnt lgkmcnt(0)
	s_barrier
	buffer_gl0_inv
	flat_load_dwordx2 v[84:85], v[82:83] offset:96
	flat_load_dwordx2 v[88:89], v[86:87] offset:96
	;; [unrolled: 1-line block ×4, first 2 shown]
	v_cvt_f32_f64_e32 v169, v[169:170]
	v_cvt_f32_f64_e32 v171, v[171:172]
	v_add_f64 v[172:173], v[14:15], v[6:7]
	v_add_f64 v[6:7], v[10:11], v[6:7]
	v_min3_f32 v169, v171, v169, v231
	v_add_f64 v[170:171], v[16:17], v[8:9]
	v_add_f64 v[8:9], v[12:13], v[8:9]
	v_cvt_f32_f64_e32 v172, v[172:173]
	v_cvt_f32_f64_e32 v6, v[6:7]
	v_add_f64 v[173:174], v[14:15], v[78:79]
	v_cvt_f32_f64_e32 v170, v[170:171]
	v_cvt_f32_f64_e32 v7, v[8:9]
	v_min3_f32 v170, v172, v170, v230
	v_min3_f32 v6, v6, v7, v229
	v_add_f64 v[7:8], v[4:5], v[80:81]
	v_add_f64 v[171:172], v[2:3], v[78:79]
	v_cvt_f32_f64_e32 v7, v[7:8]
	v_cvt_f32_f64_e32 v9, v[171:172]
	v_add_f64 v[171:172], v[18:19], v[78:79]
	v_add_f64 v[78:79], v[10:11], v[78:79]
	v_min3_f32 v7, v9, v7, v228
	v_add_f64 v[8:9], v[20:21], v[80:81]
	v_cvt_f32_f64_e32 v171, v[171:172]
	v_cvt_f32_f64_e32 v78, v[78:79]
	;; [unrolled: 1-line block ×4, first 2 shown]
	v_add_f64 v[173:174], v[14:15], v[74:75]
	v_min3_f32 v8, v171, v8, v227
	v_add_f64 v[171:172], v[16:17], v[80:81]
	v_add_f64 v[80:81], v[12:13], v[80:81]
	v_cvt_f32_f64_e32 v171, v[171:172]
	v_cvt_f32_f64_e32 v79, v[80:81]
	v_min3_f32 v9, v9, v171, v226
	v_min3_f32 v78, v78, v79, v225
	v_add_f64 v[79:80], v[4:5], v[76:77]
	v_add_f64 v[171:172], v[2:3], v[74:75]
	v_cvt_f32_f64_e32 v79, v[79:80]
	v_cvt_f32_f64_e32 v81, v[171:172]
	v_add_f64 v[171:172], v[18:19], v[74:75]
	v_add_f64 v[74:75], v[10:11], v[74:75]
	v_min3_f32 v79, v81, v79, v224
	v_add_f64 v[80:81], v[20:21], v[76:77]
	v_cvt_f32_f64_e32 v171, v[171:172]
	v_cvt_f32_f64_e32 v74, v[74:75]
	;; [unrolled: 1-line block ×4, first 2 shown]
	v_min3_f32 v80, v171, v80, v223
	v_add_f64 v[171:172], v[16:17], v[76:77]
	v_add_f64 v[76:77], v[12:13], v[76:77]
	v_cvt_f32_f64_e32 v171, v[171:172]
	v_cvt_f32_f64_e32 v75, v[76:77]
	v_min3_f32 v81, v81, v171, v221
	v_min3_f32 v74, v74, v75, v219
	v_add_f64 v[75:76], v[4:5], v[72:73]
	v_add_f64 v[171:172], v[2:3], v[70:71]
	v_cvt_f32_f64_e32 v75, v[75:76]
	v_cvt_f32_f64_e32 v77, v[171:172]
	v_add_f64 v[171:172], v[18:19], v[70:71]
	v_min3_f32 v75, v77, v75, v167
	v_add_f64 v[76:77], v[20:21], v[72:73]
	v_cvt_f32_f64_e32 v167, v[171:172]
	v_add_f64 v[171:172], v[14:15], v[70:71]
	v_add_f64 v[70:71], v[10:11], v[70:71]
	v_cvt_f32_f64_e32 v76, v[76:77]
	v_cvt_f32_f64_e32 v77, v[171:172]
	;; [unrolled: 1-line block ×3, first 2 shown]
	v_min3_f32 v76, v167, v76, v166
	v_add_f64 v[166:167], v[16:17], v[72:73]
	v_add_f64 v[72:73], v[12:13], v[72:73]
	v_cvt_f32_f64_e32 v166, v[166:167]
	v_cvt_f32_f64_e32 v71, v[72:73]
	v_min3_f32 v77, v77, v166, v165
	v_min3_f32 v70, v70, v71, v164
	v_add_f64 v[71:72], v[4:5], v[68:69]
	v_add_f64 v[164:165], v[2:3], v[66:67]
	v_cvt_f32_f64_e32 v71, v[71:72]
	v_cvt_f32_f64_e32 v73, v[164:165]
	v_add_f64 v[164:165], v[18:19], v[66:67]
	v_min3_f32 v71, v73, v71, v162
	v_add_f64 v[72:73], v[20:21], v[68:69]
	v_cvt_f32_f64_e32 v162, v[164:165]
	v_add_f64 v[164:165], v[14:15], v[66:67]
	v_add_f64 v[66:67], v[10:11], v[66:67]
	v_cvt_f32_f64_e32 v72, v[72:73]
	v_cvt_f32_f64_e32 v73, v[164:165]
	;; [unrolled: 1-line block ×3, first 2 shown]
	v_min3_f32 v72, v162, v72, v161
	v_add_f64 v[161:162], v[16:17], v[68:69]
	v_add_f64 v[68:69], v[12:13], v[68:69]
	v_cvt_f32_f64_e32 v161, v[161:162]
	v_cvt_f32_f64_e32 v67, v[68:69]
	v_min3_f32 v73, v73, v161, v160
	v_min3_f32 v66, v66, v67, v159
	v_add_f64 v[67:68], v[4:5], v[64:65]
	v_add_f64 v[159:160], v[2:3], v[62:63]
	v_cvt_f32_f64_e32 v67, v[67:68]
	v_cvt_f32_f64_e32 v69, v[159:160]
	v_min3_f32 v67, v69, v67, v158
	v_add_f64 v[68:69], v[20:21], v[64:65]
	v_add_f64 v[158:159], v[18:19], v[62:63]
	v_cvt_f32_f64_e32 v68, v[68:69]
	v_cvt_f32_f64_e32 v158, v[158:159]
	v_add_f64 v[159:160], v[14:15], v[62:63]
	v_add_f64 v[62:63], v[10:11], v[62:63]
	v_min3_f32 v68, v158, v68, v157
	v_add_f64 v[157:158], v[16:17], v[64:65]
	v_add_f64 v[64:65], v[12:13], v[64:65]
	v_cvt_f32_f64_e32 v69, v[159:160]
	v_cvt_f32_f64_e32 v62, v[62:63]
	v_cvt_f32_f64_e32 v157, v[157:158]
	v_cvt_f32_f64_e32 v63, v[64:65]
	v_min3_f32 v69, v69, v157, v156
	v_min3_f32 v62, v62, v63, v155
	v_add_f64 v[63:64], v[4:5], v[60:61]
	v_add_f64 v[155:156], v[2:3], v[58:59]
	v_cvt_f32_f64_e32 v63, v[63:64]
	v_cvt_f32_f64_e32 v65, v[155:156]
	v_min3_f32 v63, v65, v63, v154
	v_add_f64 v[64:65], v[20:21], v[60:61]
	v_add_f64 v[154:155], v[18:19], v[58:59]
	v_cvt_f32_f64_e32 v64, v[64:65]
	v_cvt_f32_f64_e32 v154, v[154:155]
	v_add_f64 v[155:156], v[14:15], v[58:59]
	v_add_f64 v[58:59], v[10:11], v[58:59]
	v_min3_f32 v64, v154, v64, v153
	v_add_f64 v[153:154], v[16:17], v[60:61]
	v_add_f64 v[60:61], v[12:13], v[60:61]
	v_cvt_f32_f64_e32 v65, v[155:156]
	v_cvt_f32_f64_e32 v58, v[58:59]
	;; [unrolled: 20-line block ×9, first 2 shown]
	v_cvt_f32_f64_e32 v125, v[125:126]
	v_cvt_f32_f64_e32 v31, v[32:33]
	v_min3_f32 v37, v37, v125, v124
	v_min3_f32 v30, v30, v31, v123
	v_add_f64 v[31:32], v[4:5], v[28:29]
	v_add_f64 v[123:124], v[2:3], v[26:27]
	;; [unrolled: 1-line block ×4, first 2 shown]
	v_cvt_f32_f64_e32 v31, v[31:32]
	v_cvt_f32_f64_e32 v33, v[123:124]
	;; [unrolled: 1-line block ×4, first 2 shown]
	v_add_f64 v[4:5], v[18:19], v[22:23]
	v_min3_f32 v31, v33, v31, v122
	v_add_f64 v[32:33], v[20:21], v[28:29]
	v_add_f64 v[122:123], v[18:19], v[26:27]
	v_cvt_f32_f64_e32 v4, v[4:5]
	v_cvt_f32_f64_e32 v32, v[32:33]
	;; [unrolled: 1-line block ×3, first 2 shown]
	v_add_f64 v[123:124], v[14:15], v[26:27]
	v_add_f64 v[26:27], v[10:11], v[26:27]
	v_min3_f32 v32, v122, v32, v121
	v_add_f64 v[121:122], v[16:17], v[28:29]
	v_add_f64 v[28:29], v[12:13], v[28:29]
	v_cvt_f32_f64_e32 v26, v[26:27]
	v_cvt_f32_f64_e32 v33, v[123:124]
	;; [unrolled: 1-line block ×4, first 2 shown]
	v_min3_f32 v33, v33, v121, v120
	v_min3_f32 v26, v26, v27, v119
	v_min3_f32 v27, v2, v3, v118
	v_add_f64 v[2:3], v[20:21], v[24:25]
	v_cvt_f32_f64_e32 v2, v[2:3]
	v_min3_f32 v18, v4, v2, v117
	v_add_f64 v[2:3], v[16:17], v[24:25]
	v_add_f64 v[4:5], v[14:15], v[22:23]
	v_cvt_f32_f64_e32 v2, v[2:3]
	v_cvt_f32_f64_e32 v4, v[4:5]
	v_min3_f32 v14, v4, v2, v116
	v_add_f64 v[2:3], v[12:13], v[24:25]
	v_add_f64 v[4:5], v[10:11], v[22:23]
	v_cvt_f32_f64_e32 v2, v[2:3]
	v_cvt_f32_f64_e32 v4, v[4:5]
	v_min3_f32 v10, v4, v2, v115
	ds_read_b128 v[172:175], v98 offset:1024
	ds_read_b128 v[176:179], v98 offset:2048
	;; [unrolled: 1-line block ×18, first 2 shown]
	ds_read_b128 v[216:219], v98
	ds_read_b128 v[2:5], v98 offset:16
	ds_read_b128 v[135:138], v102
	ds_read_b128 v[22:25], v102 offset:16
	s_waitcnt lgkmcnt(1)
	v_add_f64 v[11:12], v[218:219], v[137:138]
	v_add_f64 v[15:16], v[216:217], v[135:136]
	v_cvt_f32_f64_e32 v11, v[11:12]
	v_cvt_f32_f64_e32 v13, v[15:16]
	v_add_f64 v[15:16], v[172:173], v[135:136]
	v_min3_f32 v164, v13, v11, v168
	v_add_f64 v[11:12], v[174:175], v[137:138]
	v_cvt_f32_f64_e32 v13, v[15:16]
	v_add_f64 v[15:16], v[176:177], v[135:136]
	v_cvt_f32_f64_e32 v11, v[11:12]
	v_min3_f32 v166, v13, v11, v169
	v_add_f64 v[11:12], v[178:179], v[137:138]
	v_cvt_f32_f64_e32 v13, v[15:16]
	v_add_f64 v[15:16], v[180:181], v[135:136]
	v_cvt_f32_f64_e32 v11, v[11:12]
	v_min3_f32 v167, v13, v11, v170
	v_add_f64 v[11:12], v[182:183], v[137:138]
	v_cvt_f32_f64_e32 v13, v[15:16]
	v_add_f64 v[15:16], v[216:217], v[90:91]
	v_cvt_f32_f64_e32 v11, v[11:12]
	v_min3_f32 v171, v13, v11, v6
	v_add_f64 v[11:12], v[218:219], v[92:93]
	v_cvt_f32_f64_e32 v6, v[15:16]
	v_cvt_f32_f64_e32 v11, v[11:12]
	v_min3_f32 v170, v6, v11, v7
	v_add_f64 v[6:7], v[174:175], v[92:93]
	v_add_f64 v[11:12], v[172:173], v[90:91]
	v_cvt_f32_f64_e32 v6, v[6:7]
	v_cvt_f32_f64_e32 v11, v[11:12]
	v_min3_f32 v169, v11, v6, v8
	v_add_f64 v[6:7], v[178:179], v[92:93]
	;; [unrolled: 5-line block ×57, first 2 shown]
	v_add_f64 v[8:9], v[172:173], v[212:213]
	s_waitcnt lgkmcnt(0)
	v_add_f64 v[172:173], v[4:5], v[24:25]
	v_add_f64 v[174:175], v[2:3], v[22:23]
	v_cvt_f32_f64_e32 v6, v[6:7]
	v_cvt_f32_f64_e32 v8, v[8:9]
	;; [unrolled: 1-line block ×4, first 2 shown]
	v_min3_f32 v92, v8, v6, v18
	v_add_f64 v[6:7], v[178:179], v[214:215]
	v_add_f64 v[8:9], v[176:177], v[212:213]
	v_min3_f32 v164, v174, v172, v164
	v_cvt_f32_f64_e32 v6, v[6:7]
	v_cvt_f32_f64_e32 v8, v[8:9]
	v_min3_f32 v91, v8, v6, v14
	v_add_f64 v[6:7], v[182:183], v[214:215]
	v_add_f64 v[8:9], v[180:181], v[212:213]
	v_cvt_f32_f64_e32 v6, v[6:7]
	v_cvt_f32_f64_e32 v8, v[8:9]
	v_min3_f32 v90, v8, v6, v10
	ds_read_b128 v[14:17], v98 offset:1040
	ds_read_b128 v[10:13], v98 offset:2064
	;; [unrolled: 1-line block ×18, first 2 shown]
	s_waitcnt vmcnt(2)
	ds_write2st64_b64 v103, v[84:85], v[88:89] offset1:4
	s_waitcnt vmcnt(0)
	ds_write2st64_b64 v104, v[82:83], v[86:87] offset1:4
	s_waitcnt lgkmcnt(0)
	v_add_f64 v[172:173], v[16:17], v[24:25]
	v_add_f64 v[174:175], v[14:15], v[22:23]
	s_barrier
	buffer_gl0_inv
	v_cvt_f32_f64_e32 v172, v[172:173]
	v_cvt_f32_f64_e32 v174, v[174:175]
	v_min3_f32 v166, v174, v172, v166
	v_add_f64 v[172:173], v[12:13], v[24:25]
	v_add_f64 v[174:175], v[10:11], v[22:23]
	;; [unrolled: 1-line block ×4, first 2 shown]
	v_cvt_f32_f64_e32 v172, v[172:173]
	v_cvt_f32_f64_e32 v174, v[174:175]
	;; [unrolled: 1-line block ×4, first 2 shown]
	v_add_f64 v[24:25], v[2:3], v[78:79]
	v_min3_f32 v167, v174, v172, v167
	v_min3_f32 v227, v22, v23, v171
	v_add_f64 v[22:23], v[4:5], v[80:81]
	v_cvt_f32_f64_e32 v24, v[24:25]
	v_cvt_f32_f64_e32 v22, v[22:23]
	v_min3_f32 v228, v24, v22, v170
	v_add_f64 v[22:23], v[16:17], v[80:81]
	v_add_f64 v[24:25], v[14:15], v[78:79]
	v_cvt_f32_f64_e32 v22, v[22:23]
	v_cvt_f32_f64_e32 v24, v[24:25]
	v_min3_f32 v225, v24, v22, v169
	v_add_f64 v[22:23], v[12:13], v[80:81]
	;; [unrolled: 5-line block ×52, first 2 shown]
	v_add_f64 v[24:25], v[2:3], v[26:27]
	v_add_f64 v[4:5], v[4:5], v[20:21]
	;; [unrolled: 1-line block ×3, first 2 shown]
	v_cvt_f32_f64_e32 v22, v[22:23]
	v_cvt_f32_f64_e32 v24, v[24:25]
	;; [unrolled: 1-line block ×4, first 2 shown]
	v_add_f64 v[4:5], v[14:15], v[18:19]
	v_min3_f32 v176, v24, v22, v97
	v_add_f64 v[22:23], v[16:17], v[28:29]
	v_add_f64 v[24:25], v[14:15], v[26:27]
	v_min3_f32 v172, v2, v3, v93
	v_add_f64 v[2:3], v[16:17], v[20:21]
	v_cvt_f32_f64_e32 v4, v[4:5]
	v_cvt_f32_f64_e32 v22, v[22:23]
	;; [unrolled: 1-line block ×4, first 2 shown]
	v_min3_f32 v173, v24, v22, v96
	v_add_f64 v[22:23], v[12:13], v[28:29]
	v_add_f64 v[24:25], v[10:11], v[26:27]
	v_min3_f32 v169, v4, v2, v92
	v_add_f64 v[2:3], v[12:13], v[20:21]
	v_add_f64 v[4:5], v[10:11], v[18:19]
	v_cvt_f32_f64_e32 v22, v[22:23]
	v_cvt_f32_f64_e32 v24, v[24:25]
	v_cvt_f32_f64_e32 v2, v[2:3]
	v_cvt_f32_f64_e32 v4, v[4:5]
	v_min3_f32 v174, v24, v22, v95
	v_add_f64 v[22:23], v[8:9], v[28:29]
	v_add_f64 v[24:25], v[6:7], v[26:27]
	v_min3_f32 v170, v4, v2, v91
	v_add_f64 v[2:3], v[8:9], v[20:21]
	v_add_f64 v[4:5], v[6:7], v[18:19]
	v_cvt_f32_f64_e32 v22, v[22:23]
	v_cvt_f32_f64_e32 v24, v[24:25]
	;; [unrolled: 1-line block ×4, first 2 shown]
	v_min3_f32 v171, v24, v22, v94
	v_min3_f32 v168, v4, v2, v90
	s_cbranch_scc0 .LBB112_10
.LBB112_11:
	ds_read_b128 v[158:161], v163 offset:12288
	ds_read_b128 v[38:41], v98 offset:4096
	;; [unrolled: 1-line block ×4, first 2 shown]
	s_clause 0x2
	s_load_dword s7, s[4:5], 0x58
	s_load_dword s10, s[4:5], 0x70
	s_load_dwordx2 s[4:5], s[4:5], 0x78
	ds_read_b128 v[22:25], v98 offset:5120
	ds_read_b128 v[30:33], v98 offset:5136
	;; [unrolled: 1-line block ×29, first 2 shown]
	v_add_nc_u32_e32 v229, s6, v1
	ds_read_b128 v[58:61], v163 offset:15376
	ds_read_b128 v[54:57], v163 offset:15616
	;; [unrolled: 1-line block ×3, first 2 shown]
	v_add_nc_u32_e32 v162, s1, v0
	v_add_nc_u32_e32 v0, 32, v162
	s_waitcnt lgkmcnt(0)
	v_add_f64 v[10:11], v[38:39], v[158:159]
	v_add_f64 v[12:13], v[40:41], v[160:161]
	;; [unrolled: 1-line block ×4, first 2 shown]
	v_mad_i64_i32 v[230:231], null, v229, s10, 0
	v_mad_i64_i32 v[232:233], null, v229, s7, 0
	s_lshl_b64 s[4:5], s[4:5], 3
	v_ashrrev_i32_e32 v1, 31, v0
	s_add_u32 s1, s8, s4
	s_addc_u32 s4, s9, s5
	v_lshlrev_b64 v[230:231], 3, v[230:231]
	s_mov_b32 s5, -1
	v_add_co_u32 v230, vcc_lo, s1, v230
	v_add_co_ci_u32_e64 v231, null, s4, v231, vcc_lo
	v_cvt_f32_f64_e32 v165, v[10:11]
	v_cvt_f32_f64_e32 v234, v[12:13]
	;; [unrolled: 1-line block ×4, first 2 shown]
	ds_read_b128 v[46:49], v163 offset:15872
	ds_read_b128 v[42:45], v163 offset:15888
	;; [unrolled: 1-line block ×4, first 2 shown]
	v_ashrrev_i32_e32 v163, 31, v162
	v_min3_f32 v234, v165, v234, v164
	v_lshlrev_b64 v[164:165], 3, v[232:233]
	v_min3_f32 v234, v235, v236, v234
	v_add_co_u32 v232, vcc_lo, s12, v164
	v_add_co_ci_u32_e64 v233, null, s13, v165, vcc_lo
	v_lshlrev_b64 v[164:165], 3, v[162:163]
	v_max_f32_e32 v234, v234, v234
	s_mov_b32 vcc_lo, s0
	s_cbranch_vccz .LBB112_13
; %bb.12:
	v_min_f32_e32 v163, 0, v234
	v_add_co_u32 v237, vcc_lo, v230, v164
	v_add_co_ci_u32_e64 v238, null, v231, v165, vcc_lo
	v_cvt_f64_f32_e32 v[235:236], v163
	s_mov_b32 s5, 0
	flat_store_dwordx2 v[237:238], v[235:236]
.LBB112_13:
	v_lshlrev_b64 v[0:1], 3, v[0:1]
	v_mov_b32_e32 v163, 0
	s_andn2_b32 vcc_lo, exec_lo, s5
	s_cbranch_vccnz .LBB112_15
; %bb.14:
	v_add_co_u32 v235, vcc_lo, v232, v164
	v_add_co_ci_u32_e64 v236, null, v233, v165, vcc_lo
	flat_load_dwordx2 v[235:236], v[235:236]
	s_waitcnt vmcnt(0) lgkmcnt(0)
	v_mul_f64 v[235:236], s[2:3], v[235:236]
	v_cvt_f32_f64_e32 v163, v[235:236]
	v_add_co_u32 v236, vcc_lo, v230, v164
	v_add_co_ci_u32_e64 v237, null, v231, v165, vcc_lo
	v_add_co_u32 v238, vcc_lo, v232, v0
	v_add_co_ci_u32_e64 v239, null, v233, v1, vcc_lo
	v_min_f32_e32 v163, v163, v234
	v_cvt_f64_f32_e32 v[234:235], v163
	flat_store_dwordx2 v[236:237], v[234:235]
	flat_load_dwordx2 v[234:235], v[238:239]
	s_waitcnt vmcnt(0) lgkmcnt(0)
	v_mul_f64 v[234:235], s[2:3], v[234:235]
	v_cvt_f32_f64_e32 v163, v[234:235]
.LBB112_15:
	v_add_f64 v[234:235], v[22:23], v[158:159]
	v_add_f64 v[236:237], v[24:25], v[160:161]
	;; [unrolled: 1-line block ×7, first 2 shown]
	s_mov_b32 s5, -1
	v_cvt_f32_f64_e32 v248, v[234:235]
	v_cvt_f32_f64_e32 v236, v[236:237]
	;; [unrolled: 1-line block ×4, first 2 shown]
	v_add_f64 v[234:235], v[20:21], v[156:157]
	v_cvt_f32_f64_e32 v239, v[244:245]
	v_cvt_f32_f64_e32 v240, v[242:243]
	;; [unrolled: 1-line block ×3, first 2 shown]
	v_min3_f32 v166, v248, v236, v166
	v_min_f32_e32 v236, v237, v238
	v_cvt_f32_f64_e32 v234, v[234:235]
	v_add_co_u32 v238, vcc_lo, v230, v0
	v_min3_f32 v163, v163, v236, v166
	v_add_nc_u32_e32 v166, 64, v162
	v_add_nc_u32_e32 v162, 0x60, v162
	v_cvt_f64_f32_e32 v[236:237], v163
	v_min3_f32 v163, v239, v240, v167
	v_ashrrev_i32_e32 v167, 31, v166
	v_add_co_ci_u32_e64 v239, null, v231, v1, vcc_lo
	s_mov_b32 vcc_lo, s0
	v_lshlrev_b64 v[166:167], 3, v[166:167]
	v_min3_f32 v234, v241, v234, v163
	v_ashrrev_i32_e32 v163, 31, v162
	v_max_f32_e32 v235, v234, v234
	flat_store_dwordx2 v[238:239], v[236:237]
	s_cbranch_vccz .LBB112_17
; %bb.16:
	v_min_f32_e32 v234, 0, v235
	v_add_co_u32 v238, vcc_lo, v230, v166
	v_add_co_ci_u32_e64 v239, null, v231, v167, vcc_lo
	v_cvt_f64_f32_e32 v[236:237], v234
	s_mov_b32 s5, 0
	flat_store_dwordx2 v[238:239], v[236:237]
.LBB112_17:
	v_lshlrev_b64 v[162:163], 3, v[162:163]
	v_mov_b32_e32 v234, 0
	s_andn2_b32 vcc_lo, exec_lo, s5
	s_cbranch_vccnz .LBB112_19
; %bb.18:
	v_add_co_u32 v236, vcc_lo, v232, v166
	v_add_co_ci_u32_e64 v237, null, v233, v167, vcc_lo
	flat_load_dwordx2 v[236:237], v[236:237]
	s_waitcnt vmcnt(0) lgkmcnt(0)
	v_mul_f64 v[236:237], s[2:3], v[236:237]
	v_cvt_f32_f64_e32 v234, v[236:237]
	v_add_co_u32 v236, vcc_lo, v230, v166
	v_add_co_ci_u32_e64 v237, null, v231, v167, vcc_lo
	v_add_co_u32 v232, vcc_lo, v232, v162
	v_add_co_ci_u32_e64 v233, null, v233, v163, vcc_lo
	v_min_f32_e32 v234, v234, v235
	v_cvt_f64_f32_e32 v[234:235], v234
	flat_store_dwordx2 v[236:237], v[234:235]
	flat_load_dwordx2 v[232:233], v[232:233]
	s_waitcnt vmcnt(0) lgkmcnt(0)
	v_mul_f64 v[232:233], s[2:3], v[232:233]
	v_cvt_f32_f64_e32 v234, v[232:233]
.LBB112_19:
	v_add_f64 v[158:159], v[2:3], v[158:159]
	v_add_f64 v[160:161], v[4:5], v[160:161]
	;; [unrolled: 1-line block ×6, first 2 shown]
	v_add_co_u32 v230, vcc_lo, v230, v162
	v_add_co_ci_u32_e64 v231, null, v231, v163, vcc_lo
	s_mov_b32 s5, -1
	v_cvt_f32_f64_e32 v158, v[158:159]
	v_cvt_f32_f64_e32 v159, v[160:161]
	;; [unrolled: 1-line block ×4, first 2 shown]
	v_add_f64 v[154:155], v[34:35], v[146:147]
	v_add_f64 v[156:157], v[36:37], v[148:149]
	v_cvt_f32_f64_e32 v235, v[235:236]
	v_cvt_f32_f64_e32 v232, v[232:233]
	v_min3_f32 v158, v158, v159, v227
	v_add_nc_u32_e32 v227, 8, v229
	v_min_f32_e32 v159, v160, v161
	v_cvt_f32_f64_e32 v233, v[154:155]
	v_cvt_f32_f64_e32 v236, v[156:157]
	v_mad_i64_i32 v[154:155], null, v227, s10, 0
	v_min3_f32 v156, v234, v159, v158
	v_min3_f32 v158, v235, v232, v228
	v_cvt_f64_f32_e32 v[160:161], v156
	v_mad_i64_i32 v[156:157], null, v227, s7, 0
	v_lshlrev_b64 v[154:155], 3, v[154:155]
	v_lshlrev_b64 v[156:157], 3, v[156:157]
	v_add_co_u32 v154, vcc_lo, s1, v154
	v_add_co_ci_u32_e64 v155, null, s4, v155, vcc_lo
	v_min3_f32 v158, v233, v236, v158
	v_add_co_u32 v156, vcc_lo, s12, v156
	v_add_co_ci_u32_e64 v157, null, s13, v157, vcc_lo
	v_max_f32_e32 v159, v158, v158
	s_mov_b32 vcc_lo, s0
	flat_store_dwordx2 v[230:231], v[160:161]
	s_cbranch_vccz .LBB112_21
; %bb.20:
	v_min_f32_e32 v158, 0, v159
	v_add_co_u32 v227, vcc_lo, v154, v164
	v_add_co_ci_u32_e64 v228, null, v155, v165, vcc_lo
	v_cvt_f64_f32_e32 v[160:161], v158
	s_mov_b32 s5, 0
	flat_store_dwordx2 v[227:228], v[160:161]
.LBB112_21:
	v_mov_b32_e32 v158, 0
	s_andn2_b32 vcc_lo, exec_lo, s5
	s_cbranch_vccnz .LBB112_23
; %bb.22:
	v_add_co_u32 v160, vcc_lo, v156, v164
	v_add_co_ci_u32_e64 v161, null, v157, v165, vcc_lo
	flat_load_dwordx2 v[160:161], v[160:161]
	s_waitcnt vmcnt(0) lgkmcnt(0)
	v_mul_f64 v[160:161], s[2:3], v[160:161]
	v_cvt_f32_f64_e32 v158, v[160:161]
	v_add_co_u32 v160, vcc_lo, v154, v164
	v_add_co_ci_u32_e64 v161, null, v155, v165, vcc_lo
	v_add_co_u32 v227, vcc_lo, v156, v0
	v_add_co_ci_u32_e64 v228, null, v157, v1, vcc_lo
	v_min_f32_e32 v158, v158, v159
	v_cvt_f64_f32_e32 v[158:159], v158
	flat_store_dwordx2 v[160:161], v[158:159]
	flat_load_dwordx2 v[158:159], v[227:228]
	s_waitcnt vmcnt(0) lgkmcnt(0)
	v_mul_f64 v[158:159], s[2:3], v[158:159]
	v_cvt_f32_f64_e32 v158, v[158:159]
.LBB112_23:
	v_add_f64 v[159:160], v[22:23], v[150:151]
	v_add_f64 v[227:228], v[24:25], v[152:153]
	;; [unrolled: 1-line block ×7, first 2 shown]
	s_mov_b32 s5, -1
	v_cvt_f32_f64_e32 v161, v[159:160]
	v_cvt_f32_f64_e32 v227, v[227:228]
	;; [unrolled: 1-line block ×4, first 2 shown]
	v_add_f64 v[159:160], v[20:21], v[148:149]
	v_cvt_f32_f64_e32 v231, v[236:237]
	v_cvt_f32_f64_e32 v232, v[234:235]
	;; [unrolled: 1-line block ×3, first 2 shown]
	v_min3_f32 v161, v161, v227, v225
	v_min_f32_e32 v225, v228, v230
	v_cvt_f32_f64_e32 v159, v[159:160]
	v_min3_f32 v158, v158, v225, v161
	v_add_co_u32 v225, vcc_lo, v154, v0
	v_cvt_f64_f32_e32 v[160:161], v158
	v_min3_f32 v158, v231, v232, v226
	v_add_co_ci_u32_e64 v226, null, v155, v1, vcc_lo
	s_mov_b32 vcc_lo, s0
	v_min3_f32 v158, v233, v159, v158
	v_max_f32_e32 v159, v158, v158
	flat_store_dwordx2 v[225:226], v[160:161]
	s_cbranch_vccz .LBB112_25
; %bb.24:
	v_min_f32_e32 v158, 0, v159
	v_add_co_u32 v225, vcc_lo, v154, v166
	v_add_co_ci_u32_e64 v226, null, v155, v167, vcc_lo
	v_cvt_f64_f32_e32 v[160:161], v158
	s_mov_b32 s5, 0
	flat_store_dwordx2 v[225:226], v[160:161]
.LBB112_25:
	v_mov_b32_e32 v158, 0
	s_andn2_b32 vcc_lo, exec_lo, s5
	s_cbranch_vccnz .LBB112_27
; %bb.26:
	v_add_co_u32 v160, vcc_lo, v156, v166
	v_add_co_ci_u32_e64 v161, null, v157, v167, vcc_lo
	flat_load_dwordx2 v[160:161], v[160:161]
	s_waitcnt vmcnt(0) lgkmcnt(0)
	v_mul_f64 v[160:161], s[2:3], v[160:161]
	v_cvt_f32_f64_e32 v158, v[160:161]
	v_add_co_u32 v160, vcc_lo, v154, v166
	v_add_co_ci_u32_e64 v161, null, v155, v167, vcc_lo
	v_add_co_u32 v156, vcc_lo, v156, v162
	v_add_co_ci_u32_e64 v157, null, v157, v163, vcc_lo
	v_min_f32_e32 v158, v158, v159
	v_cvt_f64_f32_e32 v[158:159], v158
	flat_store_dwordx2 v[160:161], v[158:159]
	flat_load_dwordx2 v[156:157], v[156:157]
	s_waitcnt vmcnt(0) lgkmcnt(0)
	v_mul_f64 v[156:157], s[2:3], v[156:157]
	v_cvt_f32_f64_e32 v158, v[156:157]
.LBB112_27:
	v_add_f64 v[150:151], v[2:3], v[150:151]
	v_add_f64 v[152:153], v[4:5], v[152:153]
	;; [unrolled: 1-line block ×6, first 2 shown]
	v_add_co_u32 v154, vcc_lo, v154, v162
	v_add_co_ci_u32_e64 v155, null, v155, v163, vcc_lo
	s_mov_b32 s5, -1
	v_cvt_f32_f64_e32 v150, v[150:151]
	v_cvt_f32_f64_e32 v151, v[152:153]
	v_cvt_f32_f64_e32 v152, v[146:147]
	v_cvt_f32_f64_e32 v153, v[148:149]
	v_add_f64 v[146:147], v[34:35], v[138:139]
	v_add_f64 v[148:149], v[36:37], v[140:141]
	v_cvt_f32_f64_e32 v159, v[159:160]
	v_cvt_f32_f64_e32 v156, v[156:157]
	v_add_nc_u32_e32 v157, 16, v229
	v_min3_f32 v150, v150, v151, v223
	v_min_f32_e32 v151, v152, v153
	v_cvt_f32_f64_e32 v160, v[146:147]
	v_cvt_f32_f64_e32 v161, v[148:149]
	v_mad_i64_i32 v[146:147], null, v157, s10, 0
	v_min3_f32 v148, v158, v151, v150
	v_min3_f32 v150, v159, v156, v224
	v_cvt_f64_f32_e32 v[152:153], v148
	v_mad_i64_i32 v[148:149], null, v157, s7, 0
	v_lshlrev_b64 v[146:147], 3, v[146:147]
	v_add_co_u32 v146, vcc_lo, s1, v146
	v_lshlrev_b64 v[148:149], 3, v[148:149]
	v_add_co_ci_u32_e64 v147, null, s4, v147, vcc_lo
	v_min3_f32 v150, v160, v161, v150
	v_add_co_u32 v148, vcc_lo, s12, v148
	v_add_co_ci_u32_e64 v149, null, s13, v149, vcc_lo
	v_max_f32_e32 v151, v150, v150
	s_mov_b32 vcc_lo, s0
	flat_store_dwordx2 v[154:155], v[152:153]
	s_cbranch_vccz .LBB112_29
; %bb.28:
	v_min_f32_e32 v150, 0, v151
	v_add_co_u32 v154, vcc_lo, v146, v164
	v_add_co_ci_u32_e64 v155, null, v147, v165, vcc_lo
	v_cvt_f64_f32_e32 v[152:153], v150
	s_mov_b32 s5, 0
	flat_store_dwordx2 v[154:155], v[152:153]
.LBB112_29:
	v_mov_b32_e32 v150, 0
	s_andn2_b32 vcc_lo, exec_lo, s5
	s_cbranch_vccnz .LBB112_31
; %bb.30:
	v_add_co_u32 v152, vcc_lo, v148, v164
	v_add_co_ci_u32_e64 v153, null, v149, v165, vcc_lo
	flat_load_dwordx2 v[152:153], v[152:153]
	s_waitcnt vmcnt(0) lgkmcnt(0)
	v_mul_f64 v[152:153], s[2:3], v[152:153]
	v_cvt_f32_f64_e32 v150, v[152:153]
	v_add_co_u32 v152, vcc_lo, v146, v164
	v_add_co_ci_u32_e64 v153, null, v147, v165, vcc_lo
	v_add_co_u32 v154, vcc_lo, v148, v0
	v_add_co_ci_u32_e64 v155, null, v149, v1, vcc_lo
	v_min_f32_e32 v150, v150, v151
	v_cvt_f64_f32_e32 v[150:151], v150
	flat_store_dwordx2 v[152:153], v[150:151]
	flat_load_dwordx2 v[150:151], v[154:155]
	s_waitcnt vmcnt(0) lgkmcnt(0)
	v_mul_f64 v[150:151], s[2:3], v[150:151]
	v_cvt_f32_f64_e32 v150, v[150:151]
.LBB112_31:
	v_add_f64 v[151:152], v[22:23], v[142:143]
	v_add_f64 v[153:154], v[24:25], v[144:145]
	;; [unrolled: 1-line block ×7, first 2 shown]
	s_mov_b32 s5, -1
	v_cvt_f32_f64_e32 v161, v[151:152]
	v_cvt_f32_f64_e32 v153, v[153:154]
	;; [unrolled: 1-line block ×4, first 2 shown]
	v_add_f64 v[151:152], v[20:21], v[140:141]
	v_cvt_f32_f64_e32 v156, v[223:224]
	v_cvt_f32_f64_e32 v157, v[159:160]
	;; [unrolled: 1-line block ×3, first 2 shown]
	v_min3_f32 v153, v161, v153, v221
	v_min_f32_e32 v154, v154, v155
	v_cvt_f32_f64_e32 v151, v[151:152]
	v_min3_f32 v150, v150, v154, v153
	v_add_co_u32 v154, vcc_lo, v146, v0
	v_add_co_ci_u32_e64 v155, null, v147, v1, vcc_lo
	v_cvt_f64_f32_e32 v[152:153], v150
	v_min3_f32 v150, v156, v157, v222
	s_mov_b32 vcc_lo, s0
	v_min3_f32 v150, v158, v151, v150
	v_max_f32_e32 v151, v150, v150
	flat_store_dwordx2 v[154:155], v[152:153]
	s_cbranch_vccz .LBB112_33
; %bb.32:
	v_min_f32_e32 v150, 0, v151
	v_add_co_u32 v154, vcc_lo, v146, v166
	v_add_co_ci_u32_e64 v155, null, v147, v167, vcc_lo
	v_cvt_f64_f32_e32 v[152:153], v150
	s_mov_b32 s5, 0
	flat_store_dwordx2 v[154:155], v[152:153]
.LBB112_33:
	v_mov_b32_e32 v150, 0
	s_andn2_b32 vcc_lo, exec_lo, s5
	s_cbranch_vccnz .LBB112_35
; %bb.34:
	v_add_co_u32 v152, vcc_lo, v148, v166
	v_add_co_ci_u32_e64 v153, null, v149, v167, vcc_lo
	flat_load_dwordx2 v[152:153], v[152:153]
	s_waitcnt vmcnt(0) lgkmcnt(0)
	v_mul_f64 v[152:153], s[2:3], v[152:153]
	v_cvt_f32_f64_e32 v150, v[152:153]
	v_add_co_u32 v152, vcc_lo, v146, v166
	v_add_co_ci_u32_e64 v153, null, v147, v167, vcc_lo
	v_add_co_u32 v148, vcc_lo, v148, v162
	v_add_co_ci_u32_e64 v149, null, v149, v163, vcc_lo
	v_min_f32_e32 v150, v150, v151
	v_cvt_f64_f32_e32 v[150:151], v150
	flat_store_dwordx2 v[152:153], v[150:151]
	flat_load_dwordx2 v[148:149], v[148:149]
	s_waitcnt vmcnt(0) lgkmcnt(0)
	v_mul_f64 v[148:149], s[2:3], v[148:149]
	v_cvt_f32_f64_e32 v150, v[148:149]
.LBB112_35:
	v_add_f64 v[142:143], v[2:3], v[142:143]
	v_add_f64 v[144:145], v[4:5], v[144:145]
	;; [unrolled: 1-line block ×6, first 2 shown]
	v_add_co_u32 v146, vcc_lo, v146, v162
	v_add_co_ci_u32_e64 v147, null, v147, v163, vcc_lo
	s_mov_b32 s5, -1
	v_cvt_f32_f64_e32 v142, v[142:143]
	v_cvt_f32_f64_e32 v143, v[144:145]
	;; [unrolled: 1-line block ×4, first 2 shown]
	v_add_f64 v[138:139], v[34:35], v[130:131]
	v_add_f64 v[140:141], v[36:37], v[132:133]
	v_cvt_f32_f64_e32 v151, v[151:152]
	v_cvt_f32_f64_e32 v148, v[148:149]
	v_add_nc_u32_e32 v149, 24, v229
	v_min3_f32 v142, v142, v143, v219
	v_min_f32_e32 v143, v144, v145
	v_cvt_f32_f64_e32 v152, v[138:139]
	v_cvt_f32_f64_e32 v153, v[140:141]
	v_mad_i64_i32 v[138:139], null, v149, s10, 0
	v_min3_f32 v140, v150, v143, v142
	v_min3_f32 v142, v151, v148, v220
	v_cvt_f64_f32_e32 v[144:145], v140
	v_mad_i64_i32 v[140:141], null, v149, s7, 0
	v_lshlrev_b64 v[138:139], 3, v[138:139]
	v_add_co_u32 v138, vcc_lo, s1, v138
	v_lshlrev_b64 v[140:141], 3, v[140:141]
	v_add_co_ci_u32_e64 v139, null, s4, v139, vcc_lo
	v_min3_f32 v142, v152, v153, v142
	v_add_co_u32 v140, vcc_lo, s12, v140
	v_add_co_ci_u32_e64 v141, null, s13, v141, vcc_lo
	v_max_f32_e32 v143, v142, v142
	s_mov_b32 vcc_lo, s0
	flat_store_dwordx2 v[146:147], v[144:145]
	s_cbranch_vccz .LBB112_37
; %bb.36:
	v_min_f32_e32 v142, 0, v143
	v_add_co_u32 v146, vcc_lo, v138, v164
	v_add_co_ci_u32_e64 v147, null, v139, v165, vcc_lo
	v_cvt_f64_f32_e32 v[144:145], v142
	s_mov_b32 s5, 0
	flat_store_dwordx2 v[146:147], v[144:145]
.LBB112_37:
	v_mov_b32_e32 v142, 0
	s_andn2_b32 vcc_lo, exec_lo, s5
	s_cbranch_vccnz .LBB112_39
; %bb.38:
	v_add_co_u32 v144, vcc_lo, v140, v164
	v_add_co_ci_u32_e64 v145, null, v141, v165, vcc_lo
	flat_load_dwordx2 v[144:145], v[144:145]
	s_waitcnt vmcnt(0) lgkmcnt(0)
	v_mul_f64 v[144:145], s[2:3], v[144:145]
	v_cvt_f32_f64_e32 v142, v[144:145]
	v_add_co_u32 v144, vcc_lo, v138, v164
	v_add_co_ci_u32_e64 v145, null, v139, v165, vcc_lo
	v_add_co_u32 v146, vcc_lo, v140, v0
	v_add_co_ci_u32_e64 v147, null, v141, v1, vcc_lo
	v_min_f32_e32 v142, v142, v143
	v_cvt_f64_f32_e32 v[142:143], v142
	flat_store_dwordx2 v[144:145], v[142:143]
	flat_load_dwordx2 v[142:143], v[146:147]
	s_waitcnt vmcnt(0) lgkmcnt(0)
	v_mul_f64 v[142:143], s[2:3], v[142:143]
	v_cvt_f32_f64_e32 v142, v[142:143]
.LBB112_39:
	v_add_f64 v[143:144], v[22:23], v[134:135]
	v_add_f64 v[145:146], v[24:25], v[136:137]
	;; [unrolled: 1-line block ×7, first 2 shown]
	s_mov_b32 s5, -1
	v_cvt_f32_f64_e32 v157, v[143:144]
	v_cvt_f32_f64_e32 v145, v[145:146]
	;; [unrolled: 1-line block ×4, first 2 shown]
	v_add_f64 v[143:144], v[20:21], v[132:133]
	v_cvt_f32_f64_e32 v148, v[153:154]
	v_cvt_f32_f64_e32 v149, v[151:152]
	;; [unrolled: 1-line block ×3, first 2 shown]
	v_min3_f32 v145, v157, v145, v217
	v_min_f32_e32 v146, v146, v147
	v_cvt_f32_f64_e32 v143, v[143:144]
	v_min3_f32 v142, v142, v146, v145
	v_add_co_u32 v146, vcc_lo, v138, v0
	v_add_co_ci_u32_e64 v147, null, v139, v1, vcc_lo
	v_cvt_f64_f32_e32 v[144:145], v142
	v_min3_f32 v142, v148, v149, v218
	s_mov_b32 vcc_lo, s0
	v_min3_f32 v142, v150, v143, v142
	v_max_f32_e32 v143, v142, v142
	flat_store_dwordx2 v[146:147], v[144:145]
	s_cbranch_vccz .LBB112_41
; %bb.40:
	v_min_f32_e32 v142, 0, v143
	v_add_co_u32 v146, vcc_lo, v138, v166
	v_add_co_ci_u32_e64 v147, null, v139, v167, vcc_lo
	v_cvt_f64_f32_e32 v[144:145], v142
	s_mov_b32 s5, 0
	flat_store_dwordx2 v[146:147], v[144:145]
.LBB112_41:
	v_mov_b32_e32 v142, 0
	s_andn2_b32 vcc_lo, exec_lo, s5
	s_cbranch_vccnz .LBB112_43
; %bb.42:
	v_add_co_u32 v144, vcc_lo, v140, v166
	v_add_co_ci_u32_e64 v145, null, v141, v167, vcc_lo
	flat_load_dwordx2 v[144:145], v[144:145]
	s_waitcnt vmcnt(0) lgkmcnt(0)
	v_mul_f64 v[144:145], s[2:3], v[144:145]
	v_cvt_f32_f64_e32 v142, v[144:145]
	v_add_co_u32 v144, vcc_lo, v138, v166
	v_add_co_ci_u32_e64 v145, null, v139, v167, vcc_lo
	v_add_co_u32 v140, vcc_lo, v140, v162
	v_add_co_ci_u32_e64 v141, null, v141, v163, vcc_lo
	v_min_f32_e32 v142, v142, v143
	v_cvt_f64_f32_e32 v[142:143], v142
	flat_store_dwordx2 v[144:145], v[142:143]
	flat_load_dwordx2 v[140:141], v[140:141]
	s_waitcnt vmcnt(0) lgkmcnt(0)
	v_mul_f64 v[140:141], s[2:3], v[140:141]
	v_cvt_f32_f64_e32 v142, v[140:141]
.LBB112_43:
	v_add_f64 v[134:135], v[2:3], v[134:135]
	v_add_f64 v[136:137], v[4:5], v[136:137]
	;; [unrolled: 1-line block ×6, first 2 shown]
	v_add_co_u32 v138, vcc_lo, v138, v162
	v_add_co_ci_u32_e64 v139, null, v139, v163, vcc_lo
	s_mov_b32 s5, -1
	v_cvt_f32_f64_e32 v134, v[134:135]
	v_cvt_f32_f64_e32 v135, v[136:137]
	;; [unrolled: 1-line block ×4, first 2 shown]
	v_add_f64 v[130:131], v[34:35], v[122:123]
	v_add_f64 v[132:133], v[36:37], v[124:125]
	v_cvt_f32_f64_e32 v143, v[143:144]
	v_cvt_f32_f64_e32 v140, v[140:141]
	v_add_nc_u32_e32 v141, 32, v229
	v_min3_f32 v134, v134, v135, v215
	v_min_f32_e32 v135, v136, v137
	v_cvt_f32_f64_e32 v144, v[130:131]
	v_cvt_f32_f64_e32 v145, v[132:133]
	v_mad_i64_i32 v[130:131], null, v141, s10, 0
	v_min3_f32 v132, v142, v135, v134
	v_min3_f32 v134, v143, v140, v216
	v_cvt_f64_f32_e32 v[136:137], v132
	v_mad_i64_i32 v[132:133], null, v141, s7, 0
	v_lshlrev_b64 v[130:131], 3, v[130:131]
	v_add_co_u32 v130, vcc_lo, s1, v130
	v_lshlrev_b64 v[132:133], 3, v[132:133]
	v_add_co_ci_u32_e64 v131, null, s4, v131, vcc_lo
	v_min3_f32 v134, v144, v145, v134
	v_add_co_u32 v132, vcc_lo, s12, v132
	v_add_co_ci_u32_e64 v133, null, s13, v133, vcc_lo
	v_max_f32_e32 v135, v134, v134
	s_mov_b32 vcc_lo, s0
	flat_store_dwordx2 v[138:139], v[136:137]
	s_cbranch_vccz .LBB112_45
; %bb.44:
	v_min_f32_e32 v134, 0, v135
	v_add_co_u32 v138, vcc_lo, v130, v164
	v_add_co_ci_u32_e64 v139, null, v131, v165, vcc_lo
	v_cvt_f64_f32_e32 v[136:137], v134
	s_mov_b32 s5, 0
	flat_store_dwordx2 v[138:139], v[136:137]
.LBB112_45:
	v_mov_b32_e32 v134, 0
	s_andn2_b32 vcc_lo, exec_lo, s5
	s_cbranch_vccnz .LBB112_47
; %bb.46:
	v_add_co_u32 v136, vcc_lo, v132, v164
	v_add_co_ci_u32_e64 v137, null, v133, v165, vcc_lo
	flat_load_dwordx2 v[136:137], v[136:137]
	s_waitcnt vmcnt(0) lgkmcnt(0)
	v_mul_f64 v[136:137], s[2:3], v[136:137]
	v_cvt_f32_f64_e32 v134, v[136:137]
	v_add_co_u32 v136, vcc_lo, v130, v164
	v_add_co_ci_u32_e64 v137, null, v131, v165, vcc_lo
	v_add_co_u32 v138, vcc_lo, v132, v0
	v_add_co_ci_u32_e64 v139, null, v133, v1, vcc_lo
	v_min_f32_e32 v134, v134, v135
	v_cvt_f64_f32_e32 v[134:135], v134
	flat_store_dwordx2 v[136:137], v[134:135]
	flat_load_dwordx2 v[134:135], v[138:139]
	s_waitcnt vmcnt(0) lgkmcnt(0)
	v_mul_f64 v[134:135], s[2:3], v[134:135]
	v_cvt_f32_f64_e32 v134, v[134:135]
.LBB112_47:
	v_add_f64 v[135:136], v[22:23], v[126:127]
	v_add_f64 v[137:138], v[24:25], v[128:129]
	;; [unrolled: 1-line block ×7, first 2 shown]
	s_mov_b32 s5, -1
	v_cvt_f32_f64_e32 v149, v[135:136]
	v_cvt_f32_f64_e32 v137, v[137:138]
	v_cvt_f32_f64_e32 v138, v[139:140]
	v_cvt_f32_f64_e32 v139, v[141:142]
	v_add_f64 v[135:136], v[20:21], v[124:125]
	v_cvt_f32_f64_e32 v140, v[145:146]
	v_cvt_f32_f64_e32 v141, v[143:144]
	;; [unrolled: 1-line block ×3, first 2 shown]
	v_min3_f32 v137, v149, v137, v213
	v_min_f32_e32 v138, v138, v139
	v_cvt_f32_f64_e32 v135, v[135:136]
	v_min3_f32 v134, v134, v138, v137
	v_add_co_u32 v138, vcc_lo, v130, v0
	v_add_co_ci_u32_e64 v139, null, v131, v1, vcc_lo
	v_cvt_f64_f32_e32 v[136:137], v134
	v_min3_f32 v134, v140, v141, v214
	s_mov_b32 vcc_lo, s0
	v_min3_f32 v134, v142, v135, v134
	v_max_f32_e32 v135, v134, v134
	flat_store_dwordx2 v[138:139], v[136:137]
	s_cbranch_vccz .LBB112_49
; %bb.48:
	v_min_f32_e32 v134, 0, v135
	v_add_co_u32 v138, vcc_lo, v130, v166
	v_add_co_ci_u32_e64 v139, null, v131, v167, vcc_lo
	v_cvt_f64_f32_e32 v[136:137], v134
	s_mov_b32 s5, 0
	flat_store_dwordx2 v[138:139], v[136:137]
.LBB112_49:
	v_mov_b32_e32 v134, 0
	s_andn2_b32 vcc_lo, exec_lo, s5
	s_cbranch_vccnz .LBB112_51
; %bb.50:
	v_add_co_u32 v136, vcc_lo, v132, v166
	v_add_co_ci_u32_e64 v137, null, v133, v167, vcc_lo
	flat_load_dwordx2 v[136:137], v[136:137]
	s_waitcnt vmcnt(0) lgkmcnt(0)
	v_mul_f64 v[136:137], s[2:3], v[136:137]
	v_cvt_f32_f64_e32 v134, v[136:137]
	v_add_co_u32 v136, vcc_lo, v130, v166
	v_add_co_ci_u32_e64 v137, null, v131, v167, vcc_lo
	v_add_co_u32 v132, vcc_lo, v132, v162
	v_add_co_ci_u32_e64 v133, null, v133, v163, vcc_lo
	v_min_f32_e32 v134, v134, v135
	v_cvt_f64_f32_e32 v[134:135], v134
	flat_store_dwordx2 v[136:137], v[134:135]
	flat_load_dwordx2 v[132:133], v[132:133]
	s_waitcnt vmcnt(0) lgkmcnt(0)
	v_mul_f64 v[132:133], s[2:3], v[132:133]
	v_cvt_f32_f64_e32 v134, v[132:133]
.LBB112_51:
	v_add_f64 v[126:127], v[2:3], v[126:127]
	v_add_f64 v[128:129], v[4:5], v[128:129]
	;; [unrolled: 1-line block ×6, first 2 shown]
	v_add_co_u32 v130, vcc_lo, v130, v162
	v_add_co_ci_u32_e64 v131, null, v131, v163, vcc_lo
	s_mov_b32 s5, -1
	v_cvt_f32_f64_e32 v126, v[126:127]
	v_cvt_f32_f64_e32 v127, v[128:129]
	;; [unrolled: 1-line block ×4, first 2 shown]
	v_add_f64 v[122:123], v[34:35], v[114:115]
	v_add_f64 v[124:125], v[36:37], v[116:117]
	v_cvt_f32_f64_e32 v135, v[135:136]
	v_cvt_f32_f64_e32 v132, v[132:133]
	v_add_nc_u32_e32 v133, 40, v229
	v_min3_f32 v126, v126, v127, v211
	v_min_f32_e32 v127, v128, v129
	v_cvt_f32_f64_e32 v136, v[122:123]
	v_cvt_f32_f64_e32 v137, v[124:125]
	v_mad_i64_i32 v[122:123], null, v133, s10, 0
	v_min3_f32 v124, v134, v127, v126
	v_min3_f32 v126, v135, v132, v212
	v_cvt_f64_f32_e32 v[128:129], v124
	v_mad_i64_i32 v[124:125], null, v133, s7, 0
	v_lshlrev_b64 v[122:123], 3, v[122:123]
	v_add_co_u32 v122, vcc_lo, s1, v122
	v_lshlrev_b64 v[124:125], 3, v[124:125]
	v_add_co_ci_u32_e64 v123, null, s4, v123, vcc_lo
	v_min3_f32 v126, v136, v137, v126
	v_add_co_u32 v124, vcc_lo, s12, v124
	v_add_co_ci_u32_e64 v125, null, s13, v125, vcc_lo
	v_max_f32_e32 v127, v126, v126
	s_mov_b32 vcc_lo, s0
	flat_store_dwordx2 v[130:131], v[128:129]
	s_cbranch_vccz .LBB112_53
; %bb.52:
	v_min_f32_e32 v126, 0, v127
	v_add_co_u32 v130, vcc_lo, v122, v164
	v_add_co_ci_u32_e64 v131, null, v123, v165, vcc_lo
	v_cvt_f64_f32_e32 v[128:129], v126
	s_mov_b32 s5, 0
	flat_store_dwordx2 v[130:131], v[128:129]
.LBB112_53:
	v_mov_b32_e32 v126, 0
	s_andn2_b32 vcc_lo, exec_lo, s5
	s_cbranch_vccnz .LBB112_55
; %bb.54:
	v_add_co_u32 v128, vcc_lo, v124, v164
	v_add_co_ci_u32_e64 v129, null, v125, v165, vcc_lo
	flat_load_dwordx2 v[128:129], v[128:129]
	s_waitcnt vmcnt(0) lgkmcnt(0)
	v_mul_f64 v[128:129], s[2:3], v[128:129]
	v_cvt_f32_f64_e32 v126, v[128:129]
	v_add_co_u32 v128, vcc_lo, v122, v164
	v_add_co_ci_u32_e64 v129, null, v123, v165, vcc_lo
	v_add_co_u32 v130, vcc_lo, v124, v0
	v_add_co_ci_u32_e64 v131, null, v125, v1, vcc_lo
	v_min_f32_e32 v126, v126, v127
	v_cvt_f64_f32_e32 v[126:127], v126
	flat_store_dwordx2 v[128:129], v[126:127]
	flat_load_dwordx2 v[126:127], v[130:131]
	s_waitcnt vmcnt(0) lgkmcnt(0)
	v_mul_f64 v[126:127], s[2:3], v[126:127]
	v_cvt_f32_f64_e32 v126, v[126:127]
.LBB112_55:
	v_add_f64 v[127:128], v[22:23], v[118:119]
	v_add_f64 v[129:130], v[24:25], v[120:121]
	;; [unrolled: 1-line block ×7, first 2 shown]
	s_mov_b32 s5, -1
	v_cvt_f32_f64_e32 v141, v[127:128]
	v_cvt_f32_f64_e32 v129, v[129:130]
	;; [unrolled: 1-line block ×4, first 2 shown]
	v_add_f64 v[127:128], v[20:21], v[116:117]
	v_cvt_f32_f64_e32 v132, v[137:138]
	v_cvt_f32_f64_e32 v133, v[135:136]
	;; [unrolled: 1-line block ×3, first 2 shown]
	v_min3_f32 v129, v141, v129, v209
	v_min_f32_e32 v130, v130, v131
	v_cvt_f32_f64_e32 v127, v[127:128]
	v_min3_f32 v126, v126, v130, v129
	v_add_co_u32 v130, vcc_lo, v122, v0
	v_add_co_ci_u32_e64 v131, null, v123, v1, vcc_lo
	v_cvt_f64_f32_e32 v[128:129], v126
	v_min3_f32 v126, v132, v133, v210
	s_mov_b32 vcc_lo, s0
	v_min3_f32 v126, v134, v127, v126
	v_max_f32_e32 v127, v126, v126
	flat_store_dwordx2 v[130:131], v[128:129]
	s_cbranch_vccz .LBB112_57
; %bb.56:
	v_min_f32_e32 v126, 0, v127
	v_add_co_u32 v130, vcc_lo, v122, v166
	v_add_co_ci_u32_e64 v131, null, v123, v167, vcc_lo
	v_cvt_f64_f32_e32 v[128:129], v126
	s_mov_b32 s5, 0
	flat_store_dwordx2 v[130:131], v[128:129]
.LBB112_57:
	v_mov_b32_e32 v126, 0
	s_andn2_b32 vcc_lo, exec_lo, s5
	s_cbranch_vccnz .LBB112_59
; %bb.58:
	v_add_co_u32 v128, vcc_lo, v124, v166
	v_add_co_ci_u32_e64 v129, null, v125, v167, vcc_lo
	flat_load_dwordx2 v[128:129], v[128:129]
	s_waitcnt vmcnt(0) lgkmcnt(0)
	v_mul_f64 v[128:129], s[2:3], v[128:129]
	v_cvt_f32_f64_e32 v126, v[128:129]
	v_add_co_u32 v128, vcc_lo, v122, v166
	v_add_co_ci_u32_e64 v129, null, v123, v167, vcc_lo
	v_add_co_u32 v124, vcc_lo, v124, v162
	v_add_co_ci_u32_e64 v125, null, v125, v163, vcc_lo
	v_min_f32_e32 v126, v126, v127
	v_cvt_f64_f32_e32 v[126:127], v126
	flat_store_dwordx2 v[128:129], v[126:127]
	flat_load_dwordx2 v[124:125], v[124:125]
	s_waitcnt vmcnt(0) lgkmcnt(0)
	v_mul_f64 v[124:125], s[2:3], v[124:125]
	v_cvt_f32_f64_e32 v126, v[124:125]
.LBB112_59:
	v_add_f64 v[118:119], v[2:3], v[118:119]
	v_add_f64 v[120:121], v[4:5], v[120:121]
	;; [unrolled: 1-line block ×6, first 2 shown]
	v_add_co_u32 v122, vcc_lo, v122, v162
	v_add_co_ci_u32_e64 v123, null, v123, v163, vcc_lo
	s_mov_b32 s5, -1
	v_cvt_f32_f64_e32 v118, v[118:119]
	v_cvt_f32_f64_e32 v119, v[120:121]
	;; [unrolled: 1-line block ×4, first 2 shown]
	v_add_f64 v[114:115], v[34:35], v[106:107]
	v_add_f64 v[116:117], v[36:37], v[108:109]
	v_cvt_f32_f64_e32 v127, v[127:128]
	v_cvt_f32_f64_e32 v124, v[124:125]
	v_add_nc_u32_e32 v125, 48, v229
	v_min3_f32 v118, v118, v119, v207
	v_min_f32_e32 v119, v120, v121
	v_cvt_f32_f64_e32 v128, v[114:115]
	v_cvt_f32_f64_e32 v129, v[116:117]
	v_mad_i64_i32 v[114:115], null, v125, s10, 0
	v_min3_f32 v116, v126, v119, v118
	v_min3_f32 v118, v127, v124, v208
	v_cvt_f64_f32_e32 v[120:121], v116
	v_mad_i64_i32 v[116:117], null, v125, s7, 0
	v_lshlrev_b64 v[114:115], 3, v[114:115]
	v_add_co_u32 v114, vcc_lo, s1, v114
	v_lshlrev_b64 v[116:117], 3, v[116:117]
	v_add_co_ci_u32_e64 v115, null, s4, v115, vcc_lo
	v_min3_f32 v118, v128, v129, v118
	v_add_co_u32 v116, vcc_lo, s12, v116
	v_add_co_ci_u32_e64 v117, null, s13, v117, vcc_lo
	v_max_f32_e32 v119, v118, v118
	s_mov_b32 vcc_lo, s0
	flat_store_dwordx2 v[122:123], v[120:121]
	s_cbranch_vccz .LBB112_61
; %bb.60:
	v_min_f32_e32 v118, 0, v119
	v_add_co_u32 v122, vcc_lo, v114, v164
	v_add_co_ci_u32_e64 v123, null, v115, v165, vcc_lo
	v_cvt_f64_f32_e32 v[120:121], v118
	s_mov_b32 s5, 0
	flat_store_dwordx2 v[122:123], v[120:121]
.LBB112_61:
	v_mov_b32_e32 v118, 0
	s_andn2_b32 vcc_lo, exec_lo, s5
	s_cbranch_vccnz .LBB112_63
; %bb.62:
	v_add_co_u32 v120, vcc_lo, v116, v164
	v_add_co_ci_u32_e64 v121, null, v117, v165, vcc_lo
	flat_load_dwordx2 v[120:121], v[120:121]
	s_waitcnt vmcnt(0) lgkmcnt(0)
	v_mul_f64 v[120:121], s[2:3], v[120:121]
	v_cvt_f32_f64_e32 v118, v[120:121]
	v_add_co_u32 v120, vcc_lo, v114, v164
	v_add_co_ci_u32_e64 v121, null, v115, v165, vcc_lo
	v_add_co_u32 v122, vcc_lo, v116, v0
	v_add_co_ci_u32_e64 v123, null, v117, v1, vcc_lo
	v_min_f32_e32 v118, v118, v119
	v_cvt_f64_f32_e32 v[118:119], v118
	flat_store_dwordx2 v[120:121], v[118:119]
	flat_load_dwordx2 v[118:119], v[122:123]
	s_waitcnt vmcnt(0) lgkmcnt(0)
	v_mul_f64 v[118:119], s[2:3], v[118:119]
	v_cvt_f32_f64_e32 v118, v[118:119]
.LBB112_63:
	v_add_f64 v[119:120], v[22:23], v[110:111]
	v_add_f64 v[121:122], v[24:25], v[112:113]
	;; [unrolled: 1-line block ×7, first 2 shown]
	s_mov_b32 s5, -1
	v_cvt_f32_f64_e32 v133, v[119:120]
	v_cvt_f32_f64_e32 v121, v[121:122]
	;; [unrolled: 1-line block ×4, first 2 shown]
	v_add_f64 v[119:120], v[20:21], v[108:109]
	v_cvt_f32_f64_e32 v124, v[129:130]
	v_cvt_f32_f64_e32 v125, v[127:128]
	v_cvt_f32_f64_e32 v126, v[131:132]
	v_min3_f32 v121, v133, v121, v205
	v_min_f32_e32 v122, v122, v123
	v_cvt_f32_f64_e32 v119, v[119:120]
	v_min3_f32 v118, v118, v122, v121
	v_add_co_u32 v122, vcc_lo, v114, v0
	v_add_co_ci_u32_e64 v123, null, v115, v1, vcc_lo
	v_cvt_f64_f32_e32 v[120:121], v118
	v_min3_f32 v118, v124, v125, v206
	s_mov_b32 vcc_lo, s0
	v_min3_f32 v118, v126, v119, v118
	v_max_f32_e32 v119, v118, v118
	flat_store_dwordx2 v[122:123], v[120:121]
	s_cbranch_vccz .LBB112_65
; %bb.64:
	v_min_f32_e32 v118, 0, v119
	v_add_co_u32 v122, vcc_lo, v114, v166
	v_add_co_ci_u32_e64 v123, null, v115, v167, vcc_lo
	v_cvt_f64_f32_e32 v[120:121], v118
	s_mov_b32 s5, 0
	flat_store_dwordx2 v[122:123], v[120:121]
.LBB112_65:
	v_mov_b32_e32 v118, 0
	s_andn2_b32 vcc_lo, exec_lo, s5
	s_cbranch_vccnz .LBB112_67
; %bb.66:
	v_add_co_u32 v120, vcc_lo, v116, v166
	v_add_co_ci_u32_e64 v121, null, v117, v167, vcc_lo
	flat_load_dwordx2 v[120:121], v[120:121]
	s_waitcnt vmcnt(0) lgkmcnt(0)
	v_mul_f64 v[120:121], s[2:3], v[120:121]
	v_cvt_f32_f64_e32 v118, v[120:121]
	v_add_co_u32 v120, vcc_lo, v114, v166
	v_add_co_ci_u32_e64 v121, null, v115, v167, vcc_lo
	v_add_co_u32 v116, vcc_lo, v116, v162
	v_add_co_ci_u32_e64 v117, null, v117, v163, vcc_lo
	v_min_f32_e32 v118, v118, v119
	v_cvt_f64_f32_e32 v[118:119], v118
	flat_store_dwordx2 v[120:121], v[118:119]
	flat_load_dwordx2 v[116:117], v[116:117]
	s_waitcnt vmcnt(0) lgkmcnt(0)
	v_mul_f64 v[116:117], s[2:3], v[116:117]
	v_cvt_f32_f64_e32 v118, v[116:117]
.LBB112_67:
	v_add_f64 v[110:111], v[2:3], v[110:111]
	v_add_f64 v[112:113], v[4:5], v[112:113]
	;; [unrolled: 1-line block ×6, first 2 shown]
	v_add_co_u32 v114, vcc_lo, v114, v162
	v_add_co_ci_u32_e64 v115, null, v115, v163, vcc_lo
	s_mov_b32 s5, -1
	v_cvt_f32_f64_e32 v110, v[110:111]
	v_cvt_f32_f64_e32 v111, v[112:113]
	;; [unrolled: 1-line block ×4, first 2 shown]
	v_add_f64 v[106:107], v[34:35], v[98:99]
	v_add_f64 v[108:109], v[36:37], v[100:101]
	v_cvt_f32_f64_e32 v119, v[119:120]
	v_cvt_f32_f64_e32 v116, v[116:117]
	v_add_nc_u32_e32 v117, 56, v229
	v_min3_f32 v110, v110, v111, v203
	v_min_f32_e32 v111, v112, v113
	v_cvt_f32_f64_e32 v120, v[106:107]
	v_cvt_f32_f64_e32 v121, v[108:109]
	v_mad_i64_i32 v[106:107], null, v117, s10, 0
	v_min3_f32 v108, v118, v111, v110
	v_min3_f32 v110, v119, v116, v204
	v_cvt_f64_f32_e32 v[112:113], v108
	v_mad_i64_i32 v[108:109], null, v117, s7, 0
	v_lshlrev_b64 v[106:107], 3, v[106:107]
	v_add_co_u32 v106, vcc_lo, s1, v106
	v_lshlrev_b64 v[108:109], 3, v[108:109]
	v_add_co_ci_u32_e64 v107, null, s4, v107, vcc_lo
	v_min3_f32 v110, v120, v121, v110
	v_add_co_u32 v108, vcc_lo, s12, v108
	v_add_co_ci_u32_e64 v109, null, s13, v109, vcc_lo
	v_max_f32_e32 v111, v110, v110
	s_mov_b32 vcc_lo, s0
	flat_store_dwordx2 v[114:115], v[112:113]
	s_cbranch_vccz .LBB112_69
; %bb.68:
	v_min_f32_e32 v110, 0, v111
	v_add_co_u32 v114, vcc_lo, v106, v164
	v_add_co_ci_u32_e64 v115, null, v107, v165, vcc_lo
	v_cvt_f64_f32_e32 v[112:113], v110
	s_mov_b32 s5, 0
	flat_store_dwordx2 v[114:115], v[112:113]
.LBB112_69:
	v_mov_b32_e32 v110, 0
	s_andn2_b32 vcc_lo, exec_lo, s5
	s_cbranch_vccnz .LBB112_71
; %bb.70:
	v_add_co_u32 v112, vcc_lo, v108, v164
	v_add_co_ci_u32_e64 v113, null, v109, v165, vcc_lo
	flat_load_dwordx2 v[112:113], v[112:113]
	s_waitcnt vmcnt(0) lgkmcnt(0)
	v_mul_f64 v[112:113], s[2:3], v[112:113]
	v_cvt_f32_f64_e32 v110, v[112:113]
	v_add_co_u32 v112, vcc_lo, v106, v164
	v_add_co_ci_u32_e64 v113, null, v107, v165, vcc_lo
	v_add_co_u32 v114, vcc_lo, v108, v0
	v_add_co_ci_u32_e64 v115, null, v109, v1, vcc_lo
	v_min_f32_e32 v110, v110, v111
	v_cvt_f64_f32_e32 v[110:111], v110
	flat_store_dwordx2 v[112:113], v[110:111]
	flat_load_dwordx2 v[110:111], v[114:115]
	s_waitcnt vmcnt(0) lgkmcnt(0)
	v_mul_f64 v[110:111], s[2:3], v[110:111]
	v_cvt_f32_f64_e32 v110, v[110:111]
.LBB112_71:
	v_add_f64 v[111:112], v[22:23], v[102:103]
	v_add_f64 v[113:114], v[24:25], v[104:105]
	;; [unrolled: 1-line block ×7, first 2 shown]
	s_mov_b32 s5, -1
	v_cvt_f32_f64_e32 v125, v[111:112]
	v_cvt_f32_f64_e32 v113, v[113:114]
	;; [unrolled: 1-line block ×4, first 2 shown]
	v_add_f64 v[111:112], v[20:21], v[100:101]
	v_cvt_f32_f64_e32 v116, v[121:122]
	v_cvt_f32_f64_e32 v117, v[119:120]
	;; [unrolled: 1-line block ×3, first 2 shown]
	v_min3_f32 v113, v125, v113, v201
	v_min_f32_e32 v114, v114, v115
	v_cvt_f32_f64_e32 v111, v[111:112]
	v_min3_f32 v110, v110, v114, v113
	v_add_co_u32 v114, vcc_lo, v106, v0
	v_add_co_ci_u32_e64 v115, null, v107, v1, vcc_lo
	v_cvt_f64_f32_e32 v[112:113], v110
	v_min3_f32 v110, v116, v117, v202
	s_mov_b32 vcc_lo, s0
	v_min3_f32 v110, v118, v111, v110
	v_max_f32_e32 v111, v110, v110
	flat_store_dwordx2 v[114:115], v[112:113]
	s_cbranch_vccz .LBB112_73
; %bb.72:
	v_min_f32_e32 v110, 0, v111
	v_add_co_u32 v114, vcc_lo, v106, v166
	v_add_co_ci_u32_e64 v115, null, v107, v167, vcc_lo
	v_cvt_f64_f32_e32 v[112:113], v110
	s_mov_b32 s5, 0
	flat_store_dwordx2 v[114:115], v[112:113]
.LBB112_73:
	v_mov_b32_e32 v110, 0
	s_andn2_b32 vcc_lo, exec_lo, s5
	s_cbranch_vccnz .LBB112_75
; %bb.74:
	v_add_co_u32 v112, vcc_lo, v108, v166
	v_add_co_ci_u32_e64 v113, null, v109, v167, vcc_lo
	flat_load_dwordx2 v[112:113], v[112:113]
	s_waitcnt vmcnt(0) lgkmcnt(0)
	v_mul_f64 v[112:113], s[2:3], v[112:113]
	v_cvt_f32_f64_e32 v110, v[112:113]
	v_add_co_u32 v112, vcc_lo, v106, v166
	v_add_co_ci_u32_e64 v113, null, v107, v167, vcc_lo
	v_add_co_u32 v108, vcc_lo, v108, v162
	v_add_co_ci_u32_e64 v109, null, v109, v163, vcc_lo
	v_min_f32_e32 v110, v110, v111
	v_cvt_f64_f32_e32 v[110:111], v110
	flat_store_dwordx2 v[112:113], v[110:111]
	flat_load_dwordx2 v[108:109], v[108:109]
	s_waitcnt vmcnt(0) lgkmcnt(0)
	v_mul_f64 v[108:109], s[2:3], v[108:109]
	v_cvt_f32_f64_e32 v110, v[108:109]
.LBB112_75:
	v_add_f64 v[102:103], v[2:3], v[102:103]
	v_add_f64 v[104:105], v[4:5], v[104:105]
	;; [unrolled: 1-line block ×6, first 2 shown]
	v_add_co_u32 v106, vcc_lo, v106, v162
	v_add_co_ci_u32_e64 v107, null, v107, v163, vcc_lo
	s_mov_b32 s5, -1
	v_cvt_f32_f64_e32 v102, v[102:103]
	v_cvt_f32_f64_e32 v103, v[104:105]
	;; [unrolled: 1-line block ×4, first 2 shown]
	v_add_f64 v[98:99], v[34:35], v[90:91]
	v_add_f64 v[100:101], v[36:37], v[92:93]
	v_cvt_f32_f64_e32 v111, v[111:112]
	v_cvt_f32_f64_e32 v108, v[108:109]
	v_add_nc_u32_e32 v109, 64, v229
	v_min3_f32 v102, v102, v103, v199
	v_min_f32_e32 v103, v104, v105
	v_cvt_f32_f64_e32 v112, v[98:99]
	v_cvt_f32_f64_e32 v113, v[100:101]
	v_mad_i64_i32 v[98:99], null, v109, s10, 0
	v_min3_f32 v100, v110, v103, v102
	v_min3_f32 v102, v111, v108, v200
	v_cvt_f64_f32_e32 v[104:105], v100
	v_mad_i64_i32 v[100:101], null, v109, s7, 0
	v_lshlrev_b64 v[98:99], 3, v[98:99]
	v_add_co_u32 v98, vcc_lo, s1, v98
	v_lshlrev_b64 v[100:101], 3, v[100:101]
	v_add_co_ci_u32_e64 v99, null, s4, v99, vcc_lo
	v_min3_f32 v102, v112, v113, v102
	v_add_co_u32 v100, vcc_lo, s12, v100
	v_add_co_ci_u32_e64 v101, null, s13, v101, vcc_lo
	v_max_f32_e32 v103, v102, v102
	s_mov_b32 vcc_lo, s0
	flat_store_dwordx2 v[106:107], v[104:105]
	s_cbranch_vccz .LBB112_77
; %bb.76:
	v_min_f32_e32 v102, 0, v103
	v_add_co_u32 v106, vcc_lo, v98, v164
	v_add_co_ci_u32_e64 v107, null, v99, v165, vcc_lo
	v_cvt_f64_f32_e32 v[104:105], v102
	s_mov_b32 s5, 0
	flat_store_dwordx2 v[106:107], v[104:105]
.LBB112_77:
	v_mov_b32_e32 v102, 0
	s_andn2_b32 vcc_lo, exec_lo, s5
	s_cbranch_vccnz .LBB112_79
; %bb.78:
	v_add_co_u32 v104, vcc_lo, v100, v164
	v_add_co_ci_u32_e64 v105, null, v101, v165, vcc_lo
	flat_load_dwordx2 v[104:105], v[104:105]
	s_waitcnt vmcnt(0) lgkmcnt(0)
	v_mul_f64 v[104:105], s[2:3], v[104:105]
	v_cvt_f32_f64_e32 v102, v[104:105]
	v_add_co_u32 v104, vcc_lo, v98, v164
	v_add_co_ci_u32_e64 v105, null, v99, v165, vcc_lo
	v_add_co_u32 v106, vcc_lo, v100, v0
	v_add_co_ci_u32_e64 v107, null, v101, v1, vcc_lo
	v_min_f32_e32 v102, v102, v103
	v_cvt_f64_f32_e32 v[102:103], v102
	flat_store_dwordx2 v[104:105], v[102:103]
	flat_load_dwordx2 v[102:103], v[106:107]
	s_waitcnt vmcnt(0) lgkmcnt(0)
	v_mul_f64 v[102:103], s[2:3], v[102:103]
	v_cvt_f32_f64_e32 v102, v[102:103]
.LBB112_79:
	v_add_f64 v[103:104], v[22:23], v[94:95]
	v_add_f64 v[105:106], v[24:25], v[96:97]
	;; [unrolled: 1-line block ×7, first 2 shown]
	s_mov_b32 s5, -1
	v_cvt_f32_f64_e32 v117, v[103:104]
	v_cvt_f32_f64_e32 v105, v[105:106]
	;; [unrolled: 1-line block ×4, first 2 shown]
	v_add_f64 v[103:104], v[20:21], v[92:93]
	v_cvt_f32_f64_e32 v108, v[113:114]
	v_cvt_f32_f64_e32 v109, v[111:112]
	;; [unrolled: 1-line block ×3, first 2 shown]
	v_min3_f32 v105, v117, v105, v197
	v_min_f32_e32 v106, v106, v107
	v_cvt_f32_f64_e32 v103, v[103:104]
	v_min3_f32 v102, v102, v106, v105
	v_add_co_u32 v106, vcc_lo, v98, v0
	v_add_co_ci_u32_e64 v107, null, v99, v1, vcc_lo
	v_cvt_f64_f32_e32 v[104:105], v102
	v_min3_f32 v102, v108, v109, v198
	s_mov_b32 vcc_lo, s0
	v_min3_f32 v102, v110, v103, v102
	v_max_f32_e32 v103, v102, v102
	flat_store_dwordx2 v[106:107], v[104:105]
	s_cbranch_vccz .LBB112_81
; %bb.80:
	v_min_f32_e32 v102, 0, v103
	v_add_co_u32 v106, vcc_lo, v98, v166
	v_add_co_ci_u32_e64 v107, null, v99, v167, vcc_lo
	v_cvt_f64_f32_e32 v[104:105], v102
	s_mov_b32 s5, 0
	flat_store_dwordx2 v[106:107], v[104:105]
.LBB112_81:
	v_mov_b32_e32 v102, 0
	s_andn2_b32 vcc_lo, exec_lo, s5
	s_cbranch_vccnz .LBB112_83
; %bb.82:
	v_add_co_u32 v104, vcc_lo, v100, v166
	v_add_co_ci_u32_e64 v105, null, v101, v167, vcc_lo
	flat_load_dwordx2 v[104:105], v[104:105]
	s_waitcnt vmcnt(0) lgkmcnt(0)
	v_mul_f64 v[104:105], s[2:3], v[104:105]
	v_cvt_f32_f64_e32 v102, v[104:105]
	v_add_co_u32 v104, vcc_lo, v98, v166
	v_add_co_ci_u32_e64 v105, null, v99, v167, vcc_lo
	v_add_co_u32 v100, vcc_lo, v100, v162
	v_add_co_ci_u32_e64 v101, null, v101, v163, vcc_lo
	v_min_f32_e32 v102, v102, v103
	v_cvt_f64_f32_e32 v[102:103], v102
	flat_store_dwordx2 v[104:105], v[102:103]
	flat_load_dwordx2 v[100:101], v[100:101]
	s_waitcnt vmcnt(0) lgkmcnt(0)
	v_mul_f64 v[100:101], s[2:3], v[100:101]
	v_cvt_f32_f64_e32 v102, v[100:101]
.LBB112_83:
	v_add_f64 v[94:95], v[2:3], v[94:95]
	v_add_f64 v[96:97], v[4:5], v[96:97]
	;; [unrolled: 1-line block ×6, first 2 shown]
	v_add_co_u32 v98, vcc_lo, v98, v162
	v_add_co_ci_u32_e64 v99, null, v99, v163, vcc_lo
	s_mov_b32 s5, -1
	v_cvt_f32_f64_e32 v94, v[94:95]
	v_cvt_f32_f64_e32 v95, v[96:97]
	;; [unrolled: 1-line block ×4, first 2 shown]
	v_add_f64 v[90:91], v[34:35], v[82:83]
	v_add_f64 v[92:93], v[36:37], v[84:85]
	v_cvt_f32_f64_e32 v103, v[103:104]
	v_cvt_f32_f64_e32 v100, v[100:101]
	v_add_nc_u32_e32 v101, 0x48, v229
	v_min3_f32 v94, v94, v95, v195
	v_min_f32_e32 v95, v96, v97
	v_cvt_f32_f64_e32 v104, v[90:91]
	v_cvt_f32_f64_e32 v105, v[92:93]
	v_mad_i64_i32 v[90:91], null, v101, s10, 0
	v_min3_f32 v92, v102, v95, v94
	v_min3_f32 v94, v103, v100, v196
	v_cvt_f64_f32_e32 v[96:97], v92
	v_mad_i64_i32 v[92:93], null, v101, s7, 0
	v_lshlrev_b64 v[90:91], 3, v[90:91]
	v_add_co_u32 v90, vcc_lo, s1, v90
	v_lshlrev_b64 v[92:93], 3, v[92:93]
	v_add_co_ci_u32_e64 v91, null, s4, v91, vcc_lo
	v_min3_f32 v94, v104, v105, v94
	v_add_co_u32 v92, vcc_lo, s12, v92
	v_add_co_ci_u32_e64 v93, null, s13, v93, vcc_lo
	v_max_f32_e32 v95, v94, v94
	s_mov_b32 vcc_lo, s0
	flat_store_dwordx2 v[98:99], v[96:97]
	s_cbranch_vccz .LBB112_85
; %bb.84:
	v_min_f32_e32 v94, 0, v95
	v_add_co_u32 v98, vcc_lo, v90, v164
	v_add_co_ci_u32_e64 v99, null, v91, v165, vcc_lo
	v_cvt_f64_f32_e32 v[96:97], v94
	s_mov_b32 s5, 0
	flat_store_dwordx2 v[98:99], v[96:97]
.LBB112_85:
	v_mov_b32_e32 v94, 0
	s_andn2_b32 vcc_lo, exec_lo, s5
	s_cbranch_vccnz .LBB112_87
; %bb.86:
	v_add_co_u32 v96, vcc_lo, v92, v164
	v_add_co_ci_u32_e64 v97, null, v93, v165, vcc_lo
	flat_load_dwordx2 v[96:97], v[96:97]
	s_waitcnt vmcnt(0) lgkmcnt(0)
	v_mul_f64 v[96:97], s[2:3], v[96:97]
	v_cvt_f32_f64_e32 v94, v[96:97]
	v_add_co_u32 v96, vcc_lo, v90, v164
	v_add_co_ci_u32_e64 v97, null, v91, v165, vcc_lo
	v_add_co_u32 v98, vcc_lo, v92, v0
	v_add_co_ci_u32_e64 v99, null, v93, v1, vcc_lo
	v_min_f32_e32 v94, v94, v95
	v_cvt_f64_f32_e32 v[94:95], v94
	flat_store_dwordx2 v[96:97], v[94:95]
	flat_load_dwordx2 v[94:95], v[98:99]
	s_waitcnt vmcnt(0) lgkmcnt(0)
	v_mul_f64 v[94:95], s[2:3], v[94:95]
	v_cvt_f32_f64_e32 v94, v[94:95]
.LBB112_87:
	v_add_f64 v[95:96], v[22:23], v[86:87]
	v_add_f64 v[97:98], v[24:25], v[88:89]
	;; [unrolled: 1-line block ×7, first 2 shown]
	s_mov_b32 s5, -1
	v_cvt_f32_f64_e32 v109, v[95:96]
	v_cvt_f32_f64_e32 v97, v[97:98]
	;; [unrolled: 1-line block ×4, first 2 shown]
	v_add_f64 v[95:96], v[20:21], v[84:85]
	v_cvt_f32_f64_e32 v100, v[105:106]
	v_cvt_f32_f64_e32 v101, v[103:104]
	;; [unrolled: 1-line block ×3, first 2 shown]
	v_min3_f32 v97, v109, v97, v193
	v_min_f32_e32 v98, v98, v99
	v_cvt_f32_f64_e32 v95, v[95:96]
	v_min3_f32 v94, v94, v98, v97
	v_add_co_u32 v98, vcc_lo, v90, v0
	v_add_co_ci_u32_e64 v99, null, v91, v1, vcc_lo
	v_cvt_f64_f32_e32 v[96:97], v94
	v_min3_f32 v94, v100, v101, v194
	s_mov_b32 vcc_lo, s0
	v_min3_f32 v94, v102, v95, v94
	v_max_f32_e32 v95, v94, v94
	flat_store_dwordx2 v[98:99], v[96:97]
	s_cbranch_vccz .LBB112_89
; %bb.88:
	v_min_f32_e32 v94, 0, v95
	v_add_co_u32 v98, vcc_lo, v90, v166
	v_add_co_ci_u32_e64 v99, null, v91, v167, vcc_lo
	v_cvt_f64_f32_e32 v[96:97], v94
	s_mov_b32 s5, 0
	flat_store_dwordx2 v[98:99], v[96:97]
.LBB112_89:
	v_mov_b32_e32 v94, 0
	s_andn2_b32 vcc_lo, exec_lo, s5
	s_cbranch_vccnz .LBB112_91
; %bb.90:
	v_add_co_u32 v96, vcc_lo, v92, v166
	v_add_co_ci_u32_e64 v97, null, v93, v167, vcc_lo
	flat_load_dwordx2 v[96:97], v[96:97]
	s_waitcnt vmcnt(0) lgkmcnt(0)
	v_mul_f64 v[96:97], s[2:3], v[96:97]
	v_cvt_f32_f64_e32 v94, v[96:97]
	v_add_co_u32 v96, vcc_lo, v90, v166
	v_add_co_ci_u32_e64 v97, null, v91, v167, vcc_lo
	v_add_co_u32 v92, vcc_lo, v92, v162
	v_add_co_ci_u32_e64 v93, null, v93, v163, vcc_lo
	v_min_f32_e32 v94, v94, v95
	v_cvt_f64_f32_e32 v[94:95], v94
	flat_store_dwordx2 v[96:97], v[94:95]
	flat_load_dwordx2 v[92:93], v[92:93]
	s_waitcnt vmcnt(0) lgkmcnt(0)
	v_mul_f64 v[92:93], s[2:3], v[92:93]
	v_cvt_f32_f64_e32 v94, v[92:93]
.LBB112_91:
	v_add_f64 v[86:87], v[2:3], v[86:87]
	v_add_f64 v[88:89], v[4:5], v[88:89]
	;; [unrolled: 1-line block ×6, first 2 shown]
	v_add_co_u32 v90, vcc_lo, v90, v162
	v_add_co_ci_u32_e64 v91, null, v91, v163, vcc_lo
	s_mov_b32 s5, -1
	v_cvt_f32_f64_e32 v86, v[86:87]
	v_cvt_f32_f64_e32 v87, v[88:89]
	;; [unrolled: 1-line block ×4, first 2 shown]
	v_add_f64 v[82:83], v[34:35], v[74:75]
	v_add_f64 v[84:85], v[36:37], v[76:77]
	v_cvt_f32_f64_e32 v95, v[95:96]
	v_cvt_f32_f64_e32 v92, v[92:93]
	v_add_nc_u32_e32 v93, 0x50, v229
	v_min3_f32 v86, v86, v87, v191
	v_min_f32_e32 v87, v88, v89
	v_cvt_f32_f64_e32 v96, v[82:83]
	v_cvt_f32_f64_e32 v97, v[84:85]
	v_mad_i64_i32 v[82:83], null, v93, s10, 0
	v_min3_f32 v84, v94, v87, v86
	v_min3_f32 v86, v95, v92, v192
	v_cvt_f64_f32_e32 v[88:89], v84
	v_mad_i64_i32 v[84:85], null, v93, s7, 0
	v_lshlrev_b64 v[82:83], 3, v[82:83]
	v_add_co_u32 v82, vcc_lo, s1, v82
	v_lshlrev_b64 v[84:85], 3, v[84:85]
	v_add_co_ci_u32_e64 v83, null, s4, v83, vcc_lo
	v_min3_f32 v86, v96, v97, v86
	v_add_co_u32 v84, vcc_lo, s12, v84
	v_add_co_ci_u32_e64 v85, null, s13, v85, vcc_lo
	v_max_f32_e32 v87, v86, v86
	s_mov_b32 vcc_lo, s0
	flat_store_dwordx2 v[90:91], v[88:89]
	s_cbranch_vccz .LBB112_93
; %bb.92:
	v_min_f32_e32 v86, 0, v87
	v_add_co_u32 v90, vcc_lo, v82, v164
	v_add_co_ci_u32_e64 v91, null, v83, v165, vcc_lo
	v_cvt_f64_f32_e32 v[88:89], v86
	s_mov_b32 s5, 0
	flat_store_dwordx2 v[90:91], v[88:89]
.LBB112_93:
	v_mov_b32_e32 v86, 0
	s_andn2_b32 vcc_lo, exec_lo, s5
	s_cbranch_vccnz .LBB112_95
; %bb.94:
	v_add_co_u32 v88, vcc_lo, v84, v164
	v_add_co_ci_u32_e64 v89, null, v85, v165, vcc_lo
	flat_load_dwordx2 v[88:89], v[88:89]
	s_waitcnt vmcnt(0) lgkmcnt(0)
	v_mul_f64 v[88:89], s[2:3], v[88:89]
	v_cvt_f32_f64_e32 v86, v[88:89]
	v_add_co_u32 v88, vcc_lo, v82, v164
	v_add_co_ci_u32_e64 v89, null, v83, v165, vcc_lo
	v_add_co_u32 v90, vcc_lo, v84, v0
	v_add_co_ci_u32_e64 v91, null, v85, v1, vcc_lo
	v_min_f32_e32 v86, v86, v87
	v_cvt_f64_f32_e32 v[86:87], v86
	flat_store_dwordx2 v[88:89], v[86:87]
	flat_load_dwordx2 v[86:87], v[90:91]
	s_waitcnt vmcnt(0) lgkmcnt(0)
	v_mul_f64 v[86:87], s[2:3], v[86:87]
	v_cvt_f32_f64_e32 v86, v[86:87]
.LBB112_95:
	v_add_f64 v[87:88], v[22:23], v[78:79]
	v_add_f64 v[89:90], v[24:25], v[80:81]
	;; [unrolled: 1-line block ×7, first 2 shown]
	s_mov_b32 s5, -1
	v_cvt_f32_f64_e32 v101, v[87:88]
	v_cvt_f32_f64_e32 v89, v[89:90]
	;; [unrolled: 1-line block ×4, first 2 shown]
	v_add_f64 v[87:88], v[20:21], v[76:77]
	v_cvt_f32_f64_e32 v92, v[97:98]
	v_cvt_f32_f64_e32 v93, v[95:96]
	;; [unrolled: 1-line block ×3, first 2 shown]
	v_min3_f32 v89, v101, v89, v189
	v_min_f32_e32 v90, v90, v91
	v_cvt_f32_f64_e32 v87, v[87:88]
	v_min3_f32 v86, v86, v90, v89
	v_add_co_u32 v90, vcc_lo, v82, v0
	v_add_co_ci_u32_e64 v91, null, v83, v1, vcc_lo
	v_cvt_f64_f32_e32 v[88:89], v86
	v_min3_f32 v86, v92, v93, v190
	s_mov_b32 vcc_lo, s0
	v_min3_f32 v86, v94, v87, v86
	v_max_f32_e32 v87, v86, v86
	flat_store_dwordx2 v[90:91], v[88:89]
	s_cbranch_vccz .LBB112_97
; %bb.96:
	v_min_f32_e32 v86, 0, v87
	v_add_co_u32 v90, vcc_lo, v82, v166
	v_add_co_ci_u32_e64 v91, null, v83, v167, vcc_lo
	v_cvt_f64_f32_e32 v[88:89], v86
	s_mov_b32 s5, 0
	flat_store_dwordx2 v[90:91], v[88:89]
.LBB112_97:
	v_mov_b32_e32 v86, 0
	s_andn2_b32 vcc_lo, exec_lo, s5
	s_cbranch_vccnz .LBB112_99
; %bb.98:
	v_add_co_u32 v88, vcc_lo, v84, v166
	v_add_co_ci_u32_e64 v89, null, v85, v167, vcc_lo
	flat_load_dwordx2 v[88:89], v[88:89]
	s_waitcnt vmcnt(0) lgkmcnt(0)
	v_mul_f64 v[88:89], s[2:3], v[88:89]
	v_cvt_f32_f64_e32 v86, v[88:89]
	v_add_co_u32 v88, vcc_lo, v82, v166
	v_add_co_ci_u32_e64 v89, null, v83, v167, vcc_lo
	v_add_co_u32 v84, vcc_lo, v84, v162
	v_add_co_ci_u32_e64 v85, null, v85, v163, vcc_lo
	v_min_f32_e32 v86, v86, v87
	v_cvt_f64_f32_e32 v[86:87], v86
	flat_store_dwordx2 v[88:89], v[86:87]
	flat_load_dwordx2 v[84:85], v[84:85]
	s_waitcnt vmcnt(0) lgkmcnt(0)
	v_mul_f64 v[84:85], s[2:3], v[84:85]
	v_cvt_f32_f64_e32 v86, v[84:85]
.LBB112_99:
	v_add_f64 v[78:79], v[2:3], v[78:79]
	v_add_f64 v[80:81], v[4:5], v[80:81]
	;; [unrolled: 1-line block ×6, first 2 shown]
	v_add_co_u32 v82, vcc_lo, v82, v162
	v_add_co_ci_u32_e64 v83, null, v83, v163, vcc_lo
	s_mov_b32 s5, -1
	v_cvt_f32_f64_e32 v78, v[78:79]
	v_cvt_f32_f64_e32 v79, v[80:81]
	;; [unrolled: 1-line block ×4, first 2 shown]
	v_add_f64 v[74:75], v[34:35], v[66:67]
	v_add_f64 v[76:77], v[36:37], v[68:69]
	v_cvt_f32_f64_e32 v87, v[87:88]
	v_cvt_f32_f64_e32 v84, v[84:85]
	v_add_nc_u32_e32 v85, 0x58, v229
	v_min3_f32 v78, v78, v79, v187
	v_min_f32_e32 v79, v80, v81
	v_cvt_f32_f64_e32 v88, v[74:75]
	v_cvt_f32_f64_e32 v89, v[76:77]
	v_mad_i64_i32 v[74:75], null, v85, s10, 0
	v_min3_f32 v76, v86, v79, v78
	v_min3_f32 v78, v87, v84, v188
	v_cvt_f64_f32_e32 v[80:81], v76
	v_mad_i64_i32 v[76:77], null, v85, s7, 0
	v_lshlrev_b64 v[74:75], 3, v[74:75]
	v_add_co_u32 v74, vcc_lo, s1, v74
	v_lshlrev_b64 v[76:77], 3, v[76:77]
	v_add_co_ci_u32_e64 v75, null, s4, v75, vcc_lo
	v_min3_f32 v78, v88, v89, v78
	v_add_co_u32 v76, vcc_lo, s12, v76
	v_add_co_ci_u32_e64 v77, null, s13, v77, vcc_lo
	v_max_f32_e32 v79, v78, v78
	s_mov_b32 vcc_lo, s0
	flat_store_dwordx2 v[82:83], v[80:81]
	s_cbranch_vccz .LBB112_101
; %bb.100:
	v_min_f32_e32 v78, 0, v79
	v_add_co_u32 v82, vcc_lo, v74, v164
	v_add_co_ci_u32_e64 v83, null, v75, v165, vcc_lo
	v_cvt_f64_f32_e32 v[80:81], v78
	s_mov_b32 s5, 0
	flat_store_dwordx2 v[82:83], v[80:81]
.LBB112_101:
	v_mov_b32_e32 v78, 0
	s_andn2_b32 vcc_lo, exec_lo, s5
	s_cbranch_vccnz .LBB112_103
; %bb.102:
	v_add_co_u32 v80, vcc_lo, v76, v164
	v_add_co_ci_u32_e64 v81, null, v77, v165, vcc_lo
	flat_load_dwordx2 v[80:81], v[80:81]
	s_waitcnt vmcnt(0) lgkmcnt(0)
	v_mul_f64 v[80:81], s[2:3], v[80:81]
	v_cvt_f32_f64_e32 v78, v[80:81]
	v_add_co_u32 v80, vcc_lo, v74, v164
	v_add_co_ci_u32_e64 v81, null, v75, v165, vcc_lo
	v_add_co_u32 v82, vcc_lo, v76, v0
	v_add_co_ci_u32_e64 v83, null, v77, v1, vcc_lo
	v_min_f32_e32 v78, v78, v79
	v_cvt_f64_f32_e32 v[78:79], v78
	flat_store_dwordx2 v[80:81], v[78:79]
	flat_load_dwordx2 v[78:79], v[82:83]
	s_waitcnt vmcnt(0) lgkmcnt(0)
	v_mul_f64 v[78:79], s[2:3], v[78:79]
	v_cvt_f32_f64_e32 v78, v[78:79]
.LBB112_103:
	v_add_f64 v[79:80], v[22:23], v[70:71]
	v_add_f64 v[81:82], v[24:25], v[72:73]
	;; [unrolled: 1-line block ×7, first 2 shown]
	s_mov_b32 s5, -1
	v_cvt_f32_f64_e32 v93, v[79:80]
	v_cvt_f32_f64_e32 v81, v[81:82]
	;; [unrolled: 1-line block ×4, first 2 shown]
	v_add_f64 v[79:80], v[20:21], v[68:69]
	v_cvt_f32_f64_e32 v84, v[89:90]
	v_cvt_f32_f64_e32 v85, v[87:88]
	;; [unrolled: 1-line block ×3, first 2 shown]
	v_min3_f32 v81, v93, v81, v185
	v_min_f32_e32 v82, v82, v83
	v_cvt_f32_f64_e32 v79, v[79:80]
	v_min3_f32 v78, v78, v82, v81
	v_add_co_u32 v82, vcc_lo, v74, v0
	v_add_co_ci_u32_e64 v83, null, v75, v1, vcc_lo
	v_cvt_f64_f32_e32 v[80:81], v78
	v_min3_f32 v78, v84, v85, v186
	s_mov_b32 vcc_lo, s0
	v_min3_f32 v78, v86, v79, v78
	v_max_f32_e32 v79, v78, v78
	flat_store_dwordx2 v[82:83], v[80:81]
	s_cbranch_vccz .LBB112_105
; %bb.104:
	v_min_f32_e32 v78, 0, v79
	v_add_co_u32 v82, vcc_lo, v74, v166
	v_add_co_ci_u32_e64 v83, null, v75, v167, vcc_lo
	v_cvt_f64_f32_e32 v[80:81], v78
	s_mov_b32 s5, 0
	flat_store_dwordx2 v[82:83], v[80:81]
.LBB112_105:
	v_mov_b32_e32 v78, 0
	s_andn2_b32 vcc_lo, exec_lo, s5
	s_cbranch_vccnz .LBB112_107
; %bb.106:
	v_add_co_u32 v80, vcc_lo, v76, v166
	v_add_co_ci_u32_e64 v81, null, v77, v167, vcc_lo
	flat_load_dwordx2 v[80:81], v[80:81]
	s_waitcnt vmcnt(0) lgkmcnt(0)
	v_mul_f64 v[80:81], s[2:3], v[80:81]
	v_cvt_f32_f64_e32 v78, v[80:81]
	v_add_co_u32 v80, vcc_lo, v74, v166
	v_add_co_ci_u32_e64 v81, null, v75, v167, vcc_lo
	v_add_co_u32 v76, vcc_lo, v76, v162
	v_add_co_ci_u32_e64 v77, null, v77, v163, vcc_lo
	v_min_f32_e32 v78, v78, v79
	v_cvt_f64_f32_e32 v[78:79], v78
	flat_store_dwordx2 v[80:81], v[78:79]
	flat_load_dwordx2 v[76:77], v[76:77]
	s_waitcnt vmcnt(0) lgkmcnt(0)
	v_mul_f64 v[76:77], s[2:3], v[76:77]
	v_cvt_f32_f64_e32 v78, v[76:77]
.LBB112_107:
	v_add_f64 v[70:71], v[2:3], v[70:71]
	v_add_f64 v[72:73], v[4:5], v[72:73]
	;; [unrolled: 1-line block ×6, first 2 shown]
	v_add_co_u32 v74, vcc_lo, v74, v162
	v_add_co_ci_u32_e64 v75, null, v75, v163, vcc_lo
	s_mov_b32 s5, -1
	v_cvt_f32_f64_e32 v70, v[70:71]
	v_cvt_f32_f64_e32 v71, v[72:73]
	;; [unrolled: 1-line block ×4, first 2 shown]
	v_add_f64 v[66:67], v[34:35], v[58:59]
	v_add_f64 v[68:69], v[36:37], v[60:61]
	v_cvt_f32_f64_e32 v79, v[79:80]
	v_cvt_f32_f64_e32 v76, v[76:77]
	v_add_nc_u32_e32 v77, 0x60, v229
	v_min3_f32 v70, v70, v71, v183
	v_min_f32_e32 v71, v72, v73
	v_cvt_f32_f64_e32 v80, v[66:67]
	v_cvt_f32_f64_e32 v81, v[68:69]
	v_mad_i64_i32 v[66:67], null, v77, s10, 0
	v_min3_f32 v68, v78, v71, v70
	v_min3_f32 v70, v79, v76, v184
	v_cvt_f64_f32_e32 v[72:73], v68
	v_mad_i64_i32 v[68:69], null, v77, s7, 0
	v_lshlrev_b64 v[66:67], 3, v[66:67]
	v_add_co_u32 v66, vcc_lo, s1, v66
	v_lshlrev_b64 v[68:69], 3, v[68:69]
	v_add_co_ci_u32_e64 v67, null, s4, v67, vcc_lo
	v_min3_f32 v70, v80, v81, v70
	v_add_co_u32 v68, vcc_lo, s12, v68
	v_add_co_ci_u32_e64 v69, null, s13, v69, vcc_lo
	v_max_f32_e32 v71, v70, v70
	s_mov_b32 vcc_lo, s0
	flat_store_dwordx2 v[74:75], v[72:73]
	s_cbranch_vccz .LBB112_109
; %bb.108:
	v_min_f32_e32 v70, 0, v71
	v_add_co_u32 v74, vcc_lo, v66, v164
	v_add_co_ci_u32_e64 v75, null, v67, v165, vcc_lo
	v_cvt_f64_f32_e32 v[72:73], v70
	s_mov_b32 s5, 0
	flat_store_dwordx2 v[74:75], v[72:73]
.LBB112_109:
	v_mov_b32_e32 v70, 0
	s_andn2_b32 vcc_lo, exec_lo, s5
	s_cbranch_vccnz .LBB112_111
; %bb.110:
	v_add_co_u32 v72, vcc_lo, v68, v164
	v_add_co_ci_u32_e64 v73, null, v69, v165, vcc_lo
	flat_load_dwordx2 v[72:73], v[72:73]
	s_waitcnt vmcnt(0) lgkmcnt(0)
	v_mul_f64 v[72:73], s[2:3], v[72:73]
	v_cvt_f32_f64_e32 v70, v[72:73]
	v_add_co_u32 v72, vcc_lo, v66, v164
	v_add_co_ci_u32_e64 v73, null, v67, v165, vcc_lo
	v_add_co_u32 v74, vcc_lo, v68, v0
	v_add_co_ci_u32_e64 v75, null, v69, v1, vcc_lo
	v_min_f32_e32 v70, v70, v71
	v_cvt_f64_f32_e32 v[70:71], v70
	flat_store_dwordx2 v[72:73], v[70:71]
	flat_load_dwordx2 v[70:71], v[74:75]
	s_waitcnt vmcnt(0) lgkmcnt(0)
	v_mul_f64 v[70:71], s[2:3], v[70:71]
	v_cvt_f32_f64_e32 v70, v[70:71]
.LBB112_111:
	v_add_f64 v[71:72], v[22:23], v[62:63]
	v_add_f64 v[73:74], v[24:25], v[64:65]
	;; [unrolled: 1-line block ×7, first 2 shown]
	s_mov_b32 s5, -1
	v_cvt_f32_f64_e32 v85, v[71:72]
	v_cvt_f32_f64_e32 v73, v[73:74]
	;; [unrolled: 1-line block ×4, first 2 shown]
	v_add_f64 v[71:72], v[20:21], v[60:61]
	v_cvt_f32_f64_e32 v76, v[81:82]
	v_cvt_f32_f64_e32 v77, v[79:80]
	;; [unrolled: 1-line block ×3, first 2 shown]
	v_min3_f32 v73, v85, v73, v181
	v_min_f32_e32 v74, v74, v75
	v_cvt_f32_f64_e32 v71, v[71:72]
	v_min3_f32 v70, v70, v74, v73
	v_add_co_u32 v74, vcc_lo, v66, v0
	v_add_co_ci_u32_e64 v75, null, v67, v1, vcc_lo
	v_cvt_f64_f32_e32 v[72:73], v70
	v_min3_f32 v70, v76, v77, v182
	s_mov_b32 vcc_lo, s0
	v_min3_f32 v70, v78, v71, v70
	v_max_f32_e32 v71, v70, v70
	flat_store_dwordx2 v[74:75], v[72:73]
	s_cbranch_vccz .LBB112_113
; %bb.112:
	v_min_f32_e32 v70, 0, v71
	v_add_co_u32 v74, vcc_lo, v66, v166
	v_add_co_ci_u32_e64 v75, null, v67, v167, vcc_lo
	v_cvt_f64_f32_e32 v[72:73], v70
	s_mov_b32 s5, 0
	flat_store_dwordx2 v[74:75], v[72:73]
.LBB112_113:
	v_mov_b32_e32 v70, 0
	s_andn2_b32 vcc_lo, exec_lo, s5
	s_cbranch_vccnz .LBB112_115
; %bb.114:
	v_add_co_u32 v72, vcc_lo, v68, v166
	v_add_co_ci_u32_e64 v73, null, v69, v167, vcc_lo
	flat_load_dwordx2 v[72:73], v[72:73]
	s_waitcnt vmcnt(0) lgkmcnt(0)
	v_mul_f64 v[72:73], s[2:3], v[72:73]
	v_cvt_f32_f64_e32 v70, v[72:73]
	v_add_co_u32 v72, vcc_lo, v66, v166
	v_add_co_ci_u32_e64 v73, null, v67, v167, vcc_lo
	v_add_co_u32 v68, vcc_lo, v68, v162
	v_add_co_ci_u32_e64 v69, null, v69, v163, vcc_lo
	v_min_f32_e32 v70, v70, v71
	v_cvt_f64_f32_e32 v[70:71], v70
	flat_store_dwordx2 v[72:73], v[70:71]
	flat_load_dwordx2 v[68:69], v[68:69]
	s_waitcnt vmcnt(0) lgkmcnt(0)
	v_mul_f64 v[68:69], s[2:3], v[68:69]
	v_cvt_f32_f64_e32 v70, v[68:69]
.LBB112_115:
	v_add_f64 v[62:63], v[2:3], v[62:63]
	v_add_f64 v[64:65], v[4:5], v[64:65]
	;; [unrolled: 1-line block ×6, first 2 shown]
	v_add_co_u32 v66, vcc_lo, v66, v162
	v_add_co_ci_u32_e64 v67, null, v67, v163, vcc_lo
	s_mov_b32 s5, -1
	v_cvt_f32_f64_e32 v62, v[62:63]
	v_cvt_f32_f64_e32 v63, v[64:65]
	v_cvt_f32_f64_e32 v64, v[58:59]
	v_cvt_f32_f64_e32 v65, v[60:61]
	v_add_f64 v[58:59], v[34:35], v[50:51]
	v_add_f64 v[60:61], v[36:37], v[52:53]
	v_cvt_f32_f64_e32 v71, v[71:72]
	v_cvt_f32_f64_e32 v68, v[68:69]
	v_add_nc_u32_e32 v69, 0x68, v229
	v_min3_f32 v62, v62, v63, v179
	v_min_f32_e32 v63, v64, v65
	v_cvt_f32_f64_e32 v72, v[58:59]
	v_cvt_f32_f64_e32 v73, v[60:61]
	v_mad_i64_i32 v[58:59], null, v69, s10, 0
	v_min3_f32 v60, v70, v63, v62
	v_min3_f32 v62, v71, v68, v180
	v_cvt_f64_f32_e32 v[64:65], v60
	v_mad_i64_i32 v[60:61], null, v69, s7, 0
	v_lshlrev_b64 v[58:59], 3, v[58:59]
	v_add_co_u32 v58, vcc_lo, s1, v58
	v_lshlrev_b64 v[60:61], 3, v[60:61]
	v_add_co_ci_u32_e64 v59, null, s4, v59, vcc_lo
	v_min3_f32 v62, v72, v73, v62
	v_add_co_u32 v60, vcc_lo, s12, v60
	v_add_co_ci_u32_e64 v61, null, s13, v61, vcc_lo
	v_max_f32_e32 v63, v62, v62
	s_mov_b32 vcc_lo, s0
	flat_store_dwordx2 v[66:67], v[64:65]
	s_cbranch_vccz .LBB112_117
; %bb.116:
	v_min_f32_e32 v62, 0, v63
	v_add_co_u32 v66, vcc_lo, v58, v164
	v_add_co_ci_u32_e64 v67, null, v59, v165, vcc_lo
	v_cvt_f64_f32_e32 v[64:65], v62
	s_mov_b32 s5, 0
	flat_store_dwordx2 v[66:67], v[64:65]
.LBB112_117:
	v_mov_b32_e32 v62, 0
	s_andn2_b32 vcc_lo, exec_lo, s5
	s_cbranch_vccnz .LBB112_119
; %bb.118:
	v_add_co_u32 v64, vcc_lo, v60, v164
	v_add_co_ci_u32_e64 v65, null, v61, v165, vcc_lo
	flat_load_dwordx2 v[64:65], v[64:65]
	s_waitcnt vmcnt(0) lgkmcnt(0)
	v_mul_f64 v[64:65], s[2:3], v[64:65]
	v_cvt_f32_f64_e32 v62, v[64:65]
	v_add_co_u32 v64, vcc_lo, v58, v164
	v_add_co_ci_u32_e64 v65, null, v59, v165, vcc_lo
	v_add_co_u32 v66, vcc_lo, v60, v0
	v_add_co_ci_u32_e64 v67, null, v61, v1, vcc_lo
	v_min_f32_e32 v62, v62, v63
	v_cvt_f64_f32_e32 v[62:63], v62
	flat_store_dwordx2 v[64:65], v[62:63]
	flat_load_dwordx2 v[62:63], v[66:67]
	s_waitcnt vmcnt(0) lgkmcnt(0)
	v_mul_f64 v[62:63], s[2:3], v[62:63]
	v_cvt_f32_f64_e32 v62, v[62:63]
.LBB112_119:
	v_add_f64 v[63:64], v[22:23], v[54:55]
	v_add_f64 v[65:66], v[24:25], v[56:57]
	;; [unrolled: 1-line block ×7, first 2 shown]
	s_mov_b32 s5, -1
	v_cvt_f32_f64_e32 v77, v[63:64]
	v_cvt_f32_f64_e32 v65, v[65:66]
	v_cvt_f32_f64_e32 v66, v[67:68]
	v_cvt_f32_f64_e32 v67, v[69:70]
	v_add_f64 v[63:64], v[20:21], v[52:53]
	v_cvt_f32_f64_e32 v68, v[73:74]
	v_cvt_f32_f64_e32 v69, v[71:72]
	;; [unrolled: 1-line block ×3, first 2 shown]
	v_min3_f32 v65, v77, v65, v177
	v_min_f32_e32 v66, v66, v67
	v_cvt_f32_f64_e32 v63, v[63:64]
	v_min3_f32 v62, v62, v66, v65
	v_add_co_u32 v66, vcc_lo, v58, v0
	v_add_co_ci_u32_e64 v67, null, v59, v1, vcc_lo
	v_cvt_f64_f32_e32 v[64:65], v62
	v_min3_f32 v62, v68, v69, v178
	s_mov_b32 vcc_lo, s0
	v_min3_f32 v62, v70, v63, v62
	v_max_f32_e32 v63, v62, v62
	flat_store_dwordx2 v[66:67], v[64:65]
	s_cbranch_vccz .LBB112_121
; %bb.120:
	v_min_f32_e32 v62, 0, v63
	v_add_co_u32 v66, vcc_lo, v58, v166
	v_add_co_ci_u32_e64 v67, null, v59, v167, vcc_lo
	v_cvt_f64_f32_e32 v[64:65], v62
	s_mov_b32 s5, 0
	flat_store_dwordx2 v[66:67], v[64:65]
.LBB112_121:
	v_mov_b32_e32 v62, 0
	s_andn2_b32 vcc_lo, exec_lo, s5
	s_cbranch_vccnz .LBB112_123
; %bb.122:
	v_add_co_u32 v64, vcc_lo, v60, v166
	v_add_co_ci_u32_e64 v65, null, v61, v167, vcc_lo
	flat_load_dwordx2 v[64:65], v[64:65]
	s_waitcnt vmcnt(0) lgkmcnt(0)
	v_mul_f64 v[64:65], s[2:3], v[64:65]
	v_cvt_f32_f64_e32 v62, v[64:65]
	v_add_co_u32 v64, vcc_lo, v58, v166
	v_add_co_ci_u32_e64 v65, null, v59, v167, vcc_lo
	v_add_co_u32 v60, vcc_lo, v60, v162
	v_add_co_ci_u32_e64 v61, null, v61, v163, vcc_lo
	v_min_f32_e32 v62, v62, v63
	v_cvt_f64_f32_e32 v[62:63], v62
	flat_store_dwordx2 v[64:65], v[62:63]
	flat_load_dwordx2 v[60:61], v[60:61]
	s_waitcnt vmcnt(0) lgkmcnt(0)
	v_mul_f64 v[60:61], s[2:3], v[60:61]
	v_cvt_f32_f64_e32 v62, v[60:61]
.LBB112_123:
	v_add_f64 v[54:55], v[2:3], v[54:55]
	v_add_f64 v[56:57], v[4:5], v[56:57]
	;; [unrolled: 1-line block ×4, first 2 shown]
	s_waitcnt lgkmcnt(30)
	v_add_f64 v[60:61], v[40:41], v[48:49]
	v_add_f64 v[63:64], v[38:39], v[46:47]
	v_add_co_u32 v58, vcc_lo, v58, v162
	v_add_co_ci_u32_e64 v59, null, v59, v163, vcc_lo
	s_mov_b32 s5, -1
	v_cvt_f32_f64_e32 v54, v[54:55]
	v_cvt_f32_f64_e32 v55, v[56:57]
	;; [unrolled: 1-line block ×4, first 2 shown]
	s_waitcnt lgkmcnt(29)
	v_add_f64 v[50:51], v[34:35], v[42:43]
	v_add_f64 v[52:53], v[36:37], v[44:45]
	v_cvt_f32_f64_e32 v63, v[63:64]
	v_cvt_f32_f64_e32 v60, v[60:61]
	v_add_nc_u32_e32 v61, 0x70, v229
	v_min3_f32 v54, v54, v55, v175
	v_min_f32_e32 v55, v56, v57
	v_cvt_f32_f64_e32 v64, v[50:51]
	v_cvt_f32_f64_e32 v65, v[52:53]
	v_mad_i64_i32 v[50:51], null, v61, s10, 0
	v_min3_f32 v52, v62, v55, v54
	v_min3_f32 v54, v63, v60, v176
	v_cvt_f64_f32_e32 v[56:57], v52
	v_mad_i64_i32 v[52:53], null, v61, s7, 0
	v_lshlrev_b64 v[50:51], 3, v[50:51]
	v_add_co_u32 v50, vcc_lo, s1, v50
	v_lshlrev_b64 v[52:53], 3, v[52:53]
	v_add_co_ci_u32_e64 v51, null, s4, v51, vcc_lo
	v_min3_f32 v54, v64, v65, v54
	v_add_co_u32 v52, vcc_lo, s12, v52
	v_add_co_ci_u32_e64 v53, null, s13, v53, vcc_lo
	v_max_f32_e32 v55, v54, v54
	s_mov_b32 vcc_lo, s0
	flat_store_dwordx2 v[58:59], v[56:57]
	s_cbranch_vccz .LBB112_125
; %bb.124:
	v_min_f32_e32 v54, 0, v55
	v_add_co_u32 v58, vcc_lo, v50, v164
	v_add_co_ci_u32_e64 v59, null, v51, v165, vcc_lo
	v_cvt_f64_f32_e32 v[56:57], v54
	s_mov_b32 s5, 0
	flat_store_dwordx2 v[58:59], v[56:57]
.LBB112_125:
	v_mov_b32_e32 v54, 0
	s_andn2_b32 vcc_lo, exec_lo, s5
	s_cbranch_vccnz .LBB112_127
; %bb.126:
	v_add_co_u32 v56, vcc_lo, v52, v164
	v_add_co_ci_u32_e64 v57, null, v53, v165, vcc_lo
	flat_load_dwordx2 v[56:57], v[56:57]
	s_waitcnt vmcnt(0) lgkmcnt(0)
	v_mul_f64 v[56:57], s[2:3], v[56:57]
	v_cvt_f32_f64_e32 v54, v[56:57]
	v_add_co_u32 v56, vcc_lo, v50, v164
	v_add_co_ci_u32_e64 v57, null, v51, v165, vcc_lo
	v_add_co_u32 v58, vcc_lo, v52, v0
	v_add_co_ci_u32_e64 v59, null, v53, v1, vcc_lo
	v_min_f32_e32 v54, v54, v55
	v_cvt_f64_f32_e32 v[54:55], v54
	flat_store_dwordx2 v[56:57], v[54:55]
	flat_load_dwordx2 v[54:55], v[58:59]
	s_waitcnt vmcnt(0) lgkmcnt(0)
	v_mul_f64 v[54:55], s[2:3], v[54:55]
	v_cvt_f32_f64_e32 v54, v[54:55]
.LBB112_127:
	v_add_f64 v[55:56], v[22:23], v[46:47]
	v_add_f64 v[57:58], v[24:25], v[48:49]
	;; [unrolled: 1-line block ×7, first 2 shown]
	s_mov_b32 s5, -1
	v_cvt_f32_f64_e32 v69, v[55:56]
	v_cvt_f32_f64_e32 v57, v[57:58]
	;; [unrolled: 1-line block ×4, first 2 shown]
	v_add_f64 v[55:56], v[20:21], v[44:45]
	v_cvt_f32_f64_e32 v60, v[65:66]
	v_cvt_f32_f64_e32 v61, v[63:64]
	;; [unrolled: 1-line block ×3, first 2 shown]
	v_min3_f32 v57, v69, v57, v173
	v_min_f32_e32 v58, v58, v59
	v_cvt_f32_f64_e32 v55, v[55:56]
	v_min3_f32 v54, v54, v58, v57
	v_add_co_u32 v58, vcc_lo, v50, v0
	v_add_co_ci_u32_e64 v59, null, v51, v1, vcc_lo
	v_cvt_f64_f32_e32 v[56:57], v54
	v_min3_f32 v54, v60, v61, v174
	s_mov_b32 vcc_lo, s0
	v_min3_f32 v54, v62, v55, v54
	v_max_f32_e32 v55, v54, v54
	flat_store_dwordx2 v[58:59], v[56:57]
	s_cbranch_vccz .LBB112_129
; %bb.128:
	v_min_f32_e32 v54, 0, v55
	v_add_co_u32 v58, vcc_lo, v50, v166
	v_add_co_ci_u32_e64 v59, null, v51, v167, vcc_lo
	v_cvt_f64_f32_e32 v[56:57], v54
	s_mov_b32 s5, 0
	flat_store_dwordx2 v[58:59], v[56:57]
.LBB112_129:
	v_mov_b32_e32 v54, 0
	s_andn2_b32 vcc_lo, exec_lo, s5
	s_cbranch_vccnz .LBB112_131
; %bb.130:
	v_add_co_u32 v56, vcc_lo, v52, v166
	v_add_co_ci_u32_e64 v57, null, v53, v167, vcc_lo
	flat_load_dwordx2 v[56:57], v[56:57]
	s_waitcnt vmcnt(0) lgkmcnt(0)
	v_mul_f64 v[56:57], s[2:3], v[56:57]
	v_cvt_f32_f64_e32 v54, v[56:57]
	v_add_co_u32 v56, vcc_lo, v50, v166
	v_add_co_ci_u32_e64 v57, null, v51, v167, vcc_lo
	v_add_co_u32 v52, vcc_lo, v52, v162
	v_add_co_ci_u32_e64 v53, null, v53, v163, vcc_lo
	v_min_f32_e32 v54, v54, v55
	v_cvt_f64_f32_e32 v[54:55], v54
	flat_store_dwordx2 v[56:57], v[54:55]
	flat_load_dwordx2 v[52:53], v[52:53]
	s_waitcnt vmcnt(0) lgkmcnt(0)
	v_mul_f64 v[52:53], s[2:3], v[52:53]
	v_cvt_f32_f64_e32 v54, v[52:53]
.LBB112_131:
	v_add_f64 v[46:47], v[2:3], v[46:47]
	v_add_f64 v[48:49], v[4:5], v[48:49]
	;; [unrolled: 1-line block ×4, first 2 shown]
	s_waitcnt lgkmcnt(30)
	v_add_f64 v[40:41], v[40:41], v[12:13]
	v_add_f64 v[38:39], v[38:39], v[10:11]
	s_waitcnt lgkmcnt(29)
	v_add_f64 v[34:35], v[34:35], v[14:15]
	v_add_f64 v[36:37], v[36:37], v[16:17]
	s_mov_b32 s5, -1
	v_cvt_f32_f64_e32 v46, v[46:47]
	v_cvt_f32_f64_e32 v47, v[48:49]
	v_cvt_f32_f64_e32 v42, v[42:43]
	v_cvt_f32_f64_e32 v43, v[44:45]
	v_cvt_f32_f64_e32 v38, v[38:39]
	v_cvt_f32_f64_e32 v39, v[40:41]
	v_cvt_f32_f64_e32 v44, v[34:35]
	v_cvt_f32_f64_e32 v45, v[36:37]
	v_min3_f32 v40, v46, v47, v171
	v_min_f32_e32 v41, v42, v43
	v_add_nc_u32_e32 v42, 0x78, v229
	v_min3_f32 v38, v38, v39, v172
	v_min3_f32 v36, v54, v41, v40
	v_mad_i64_i32 v[34:35], null, v42, s10, 0
	v_min3_f32 v38, v44, v45, v38
	v_cvt_f64_f32_e32 v[40:41], v36
	v_mad_i64_i32 v[36:37], null, v42, s7, 0
	v_add_co_u32 v42, vcc_lo, v50, v162
	v_lshlrev_b64 v[34:35], 3, v[34:35]
	v_add_co_ci_u32_e64 v43, null, v51, v163, vcc_lo
	v_max_f32_e32 v39, v38, v38
	v_lshlrev_b64 v[36:37], 3, v[36:37]
	v_add_co_u32 v34, vcc_lo, s1, v34
	v_add_co_ci_u32_e64 v35, null, s4, v35, vcc_lo
	v_add_co_u32 v36, vcc_lo, s12, v36
	v_add_co_ci_u32_e64 v37, null, s13, v37, vcc_lo
	s_mov_b32 vcc_lo, s0
	flat_store_dwordx2 v[42:43], v[40:41]
	s_cbranch_vccz .LBB112_133
; %bb.132:
	v_min_f32_e32 v38, 0, v39
	v_add_co_u32 v42, vcc_lo, v34, v164
	v_add_co_ci_u32_e64 v43, null, v35, v165, vcc_lo
	v_cvt_f64_f32_e32 v[40:41], v38
	s_mov_b32 s5, 0
	flat_store_dwordx2 v[42:43], v[40:41]
.LBB112_133:
	v_mov_b32_e32 v38, 0
	s_andn2_b32 vcc_lo, exec_lo, s5
	s_cbranch_vccnz .LBB112_135
; %bb.134:
	v_add_co_u32 v40, vcc_lo, v36, v164
	v_add_co_ci_u32_e64 v41, null, v37, v165, vcc_lo
	flat_load_dwordx2 v[40:41], v[40:41]
	s_waitcnt vmcnt(0) lgkmcnt(0)
	v_mul_f64 v[40:41], s[2:3], v[40:41]
	v_cvt_f32_f64_e32 v38, v[40:41]
	v_add_co_u32 v40, vcc_lo, v34, v164
	v_add_co_ci_u32_e64 v41, null, v35, v165, vcc_lo
	v_add_co_u32 v42, vcc_lo, v36, v0
	v_add_co_ci_u32_e64 v43, null, v37, v1, vcc_lo
	v_min_f32_e32 v38, v38, v39
	v_cvt_f64_f32_e32 v[38:39], v38
	flat_store_dwordx2 v[40:41], v[38:39]
	flat_load_dwordx2 v[38:39], v[42:43]
	s_waitcnt vmcnt(0) lgkmcnt(0)
	v_mul_f64 v[38:39], s[2:3], v[38:39]
	v_cvt_f32_f64_e32 v38, v[38:39]
.LBB112_135:
	v_add_f64 v[22:23], v[22:23], v[10:11]
	v_add_f64 v[24:25], v[24:25], v[12:13]
	;; [unrolled: 1-line block ×8, first 2 shown]
	s_mov_b32 s1, -1
	v_cvt_f32_f64_e32 v22, v[22:23]
	v_cvt_f32_f64_e32 v23, v[24:25]
	;; [unrolled: 1-line block ×8, first 2 shown]
	v_min3_f32 v18, v22, v23, v169
	v_min_f32_e32 v19, v24, v25
	v_min3_f32 v21, v26, v27, v170
	v_min3_f32 v18, v38, v19, v18
	;; [unrolled: 1-line block ×3, first 2 shown]
	v_add_co_u32 v20, vcc_lo, v34, v0
	v_cvt_f64_f32_e32 v[18:19], v18
	v_add_co_ci_u32_e64 v21, null, v35, v1, vcc_lo
	v_max_f32_e32 v1, v22, v22
	s_mov_b32 vcc_lo, s0
	flat_store_dwordx2 v[20:21], v[18:19]
	s_cbranch_vccz .LBB112_137
; %bb.136:
	v_min_f32_e32 v0, 0, v1
	v_add_co_u32 v20, vcc_lo, v34, v166
	v_add_co_ci_u32_e64 v21, null, v35, v167, vcc_lo
	v_cvt_f64_f32_e32 v[18:19], v0
	s_mov_b32 s1, 0
	flat_store_dwordx2 v[20:21], v[18:19]
.LBB112_137:
	v_mov_b32_e32 v0, 0
	s_andn2_b32 vcc_lo, exec_lo, s1
	s_cbranch_vccnz .LBB112_139
; %bb.138:
	v_add_co_u32 v18, vcc_lo, v36, v166
	v_add_co_ci_u32_e64 v19, null, v37, v167, vcc_lo
	flat_load_dwordx2 v[18:19], v[18:19]
	s_waitcnt vmcnt(0) lgkmcnt(0)
	v_mul_f64 v[18:19], s[2:3], v[18:19]
	v_cvt_f32_f64_e32 v0, v[18:19]
	v_add_co_u32 v18, vcc_lo, v34, v166
	v_add_co_ci_u32_e64 v19, null, v35, v167, vcc_lo
	v_add_co_u32 v20, vcc_lo, v36, v162
	v_add_co_ci_u32_e64 v21, null, v37, v163, vcc_lo
	v_min_f32_e32 v0, v0, v1
	v_cvt_f64_f32_e32 v[0:1], v0
	flat_store_dwordx2 v[18:19], v[0:1]
	flat_load_dwordx2 v[0:1], v[20:21]
	s_waitcnt vmcnt(0) lgkmcnt(0)
	v_mul_f64 v[0:1], s[2:3], v[0:1]
	v_cvt_f32_f64_e32 v0, v[0:1]
.LBB112_139:
	v_add_f64 v[6:7], v[6:7], v[14:15]
	v_add_f64 v[8:9], v[8:9], v[16:17]
	;; [unrolled: 1-line block ×4, first 2 shown]
	v_cvt_f32_f64_e32 v5, v[6:7]
	v_cvt_f32_f64_e32 v6, v[8:9]
	;; [unrolled: 1-line block ×4, first 2 shown]
	v_min_f32_e32 v3, v5, v6
	v_min3_f32 v1, v1, v2, v168
	v_add_co_u32 v2, vcc_lo, v34, v162
	v_min3_f32 v0, v0, v3, v1
	v_add_co_ci_u32_e64 v3, null, v35, v163, vcc_lo
	v_cvt_f64_f32_e32 v[0:1], v0
	flat_store_dwordx2 v[2:3], v[0:1]
	s_endpgm
	.section	.rodata,"a",@progbits
	.p2align	6, 0x0
	.amdhsa_kernel _ZN12_GLOBAL__N_120geam_min_plus_kernelId15HIP_vector_typeIdLj2EEdLi32ELi8ELi128ELi128ELi4ELi4ELi64ELi4ELi64ELc84ELc78ELb1ELb0ELb1EdKPKdKPdEEviiiT16_PT17_ilSA_ilS8_SA_ilPT18_ili26rocblas_geam_ex_operation_
		.amdhsa_group_segment_fixed_size 16384
		.amdhsa_private_segment_fixed_size 0
		.amdhsa_kernarg_size 136
		.amdhsa_user_sgpr_count 6
		.amdhsa_user_sgpr_private_segment_buffer 1
		.amdhsa_user_sgpr_dispatch_ptr 0
		.amdhsa_user_sgpr_queue_ptr 0
		.amdhsa_user_sgpr_kernarg_segment_ptr 1
		.amdhsa_user_sgpr_dispatch_id 0
		.amdhsa_user_sgpr_flat_scratch_init 0
		.amdhsa_user_sgpr_private_segment_size 0
		.amdhsa_wavefront_size32 1
		.amdhsa_uses_dynamic_stack 0
		.amdhsa_system_sgpr_private_segment_wavefront_offset 0
		.amdhsa_system_sgpr_workgroup_id_x 1
		.amdhsa_system_sgpr_workgroup_id_y 0
		.amdhsa_system_sgpr_workgroup_id_z 1
		.amdhsa_system_sgpr_workgroup_info 0
		.amdhsa_system_vgpr_workitem_id 1
		.amdhsa_next_free_vgpr 249
		.amdhsa_next_free_sgpr 22
		.amdhsa_reserve_vcc 1
		.amdhsa_reserve_flat_scratch 1
		.amdhsa_float_round_mode_32 0
		.amdhsa_float_round_mode_16_64 0
		.amdhsa_float_denorm_mode_32 3
		.amdhsa_float_denorm_mode_16_64 3
		.amdhsa_dx10_clamp 1
		.amdhsa_ieee_mode 1
		.amdhsa_fp16_overflow 0
		.amdhsa_workgroup_processor_mode 1
		.amdhsa_memory_ordered 1
		.amdhsa_forward_progress 1
		.amdhsa_shared_vgpr_count 0
		.amdhsa_exception_fp_ieee_invalid_op 0
		.amdhsa_exception_fp_denorm_src 0
		.amdhsa_exception_fp_ieee_div_zero 0
		.amdhsa_exception_fp_ieee_overflow 0
		.amdhsa_exception_fp_ieee_underflow 0
		.amdhsa_exception_fp_ieee_inexact 0
		.amdhsa_exception_int_div_zero 0
	.end_amdhsa_kernel
	.section	.text._ZN12_GLOBAL__N_120geam_min_plus_kernelId15HIP_vector_typeIdLj2EEdLi32ELi8ELi128ELi128ELi4ELi4ELi64ELi4ELi64ELc84ELc78ELb1ELb0ELb1EdKPKdKPdEEviiiT16_PT17_ilSA_ilS8_SA_ilPT18_ili26rocblas_geam_ex_operation_,"axG",@progbits,_ZN12_GLOBAL__N_120geam_min_plus_kernelId15HIP_vector_typeIdLj2EEdLi32ELi8ELi128ELi128ELi4ELi4ELi64ELi4ELi64ELc84ELc78ELb1ELb0ELb1EdKPKdKPdEEviiiT16_PT17_ilSA_ilS8_SA_ilPT18_ili26rocblas_geam_ex_operation_,comdat
.Lfunc_end112:
	.size	_ZN12_GLOBAL__N_120geam_min_plus_kernelId15HIP_vector_typeIdLj2EEdLi32ELi8ELi128ELi128ELi4ELi4ELi64ELi4ELi64ELc84ELc78ELb1ELb0ELb1EdKPKdKPdEEviiiT16_PT17_ilSA_ilS8_SA_ilPT18_ili26rocblas_geam_ex_operation_, .Lfunc_end112-_ZN12_GLOBAL__N_120geam_min_plus_kernelId15HIP_vector_typeIdLj2EEdLi32ELi8ELi128ELi128ELi4ELi4ELi64ELi4ELi64ELc84ELc78ELb1ELb0ELb1EdKPKdKPdEEviiiT16_PT17_ilSA_ilS8_SA_ilPT18_ili26rocblas_geam_ex_operation_
                                        ; -- End function
	.set _ZN12_GLOBAL__N_120geam_min_plus_kernelId15HIP_vector_typeIdLj2EEdLi32ELi8ELi128ELi128ELi4ELi4ELi64ELi4ELi64ELc84ELc78ELb1ELb0ELb1EdKPKdKPdEEviiiT16_PT17_ilSA_ilS8_SA_ilPT18_ili26rocblas_geam_ex_operation_.num_vgpr, 249
	.set _ZN12_GLOBAL__N_120geam_min_plus_kernelId15HIP_vector_typeIdLj2EEdLi32ELi8ELi128ELi128ELi4ELi4ELi64ELi4ELi64ELc84ELc78ELb1ELb0ELb1EdKPKdKPdEEviiiT16_PT17_ilSA_ilS8_SA_ilPT18_ili26rocblas_geam_ex_operation_.num_agpr, 0
	.set _ZN12_GLOBAL__N_120geam_min_plus_kernelId15HIP_vector_typeIdLj2EEdLi32ELi8ELi128ELi128ELi4ELi4ELi64ELi4ELi64ELc84ELc78ELb1ELb0ELb1EdKPKdKPdEEviiiT16_PT17_ilSA_ilS8_SA_ilPT18_ili26rocblas_geam_ex_operation_.numbered_sgpr, 22
	.set _ZN12_GLOBAL__N_120geam_min_plus_kernelId15HIP_vector_typeIdLj2EEdLi32ELi8ELi128ELi128ELi4ELi4ELi64ELi4ELi64ELc84ELc78ELb1ELb0ELb1EdKPKdKPdEEviiiT16_PT17_ilSA_ilS8_SA_ilPT18_ili26rocblas_geam_ex_operation_.num_named_barrier, 0
	.set _ZN12_GLOBAL__N_120geam_min_plus_kernelId15HIP_vector_typeIdLj2EEdLi32ELi8ELi128ELi128ELi4ELi4ELi64ELi4ELi64ELc84ELc78ELb1ELb0ELb1EdKPKdKPdEEviiiT16_PT17_ilSA_ilS8_SA_ilPT18_ili26rocblas_geam_ex_operation_.private_seg_size, 0
	.set _ZN12_GLOBAL__N_120geam_min_plus_kernelId15HIP_vector_typeIdLj2EEdLi32ELi8ELi128ELi128ELi4ELi4ELi64ELi4ELi64ELc84ELc78ELb1ELb0ELb1EdKPKdKPdEEviiiT16_PT17_ilSA_ilS8_SA_ilPT18_ili26rocblas_geam_ex_operation_.uses_vcc, 1
	.set _ZN12_GLOBAL__N_120geam_min_plus_kernelId15HIP_vector_typeIdLj2EEdLi32ELi8ELi128ELi128ELi4ELi4ELi64ELi4ELi64ELc84ELc78ELb1ELb0ELb1EdKPKdKPdEEviiiT16_PT17_ilSA_ilS8_SA_ilPT18_ili26rocblas_geam_ex_operation_.uses_flat_scratch, 1
	.set _ZN12_GLOBAL__N_120geam_min_plus_kernelId15HIP_vector_typeIdLj2EEdLi32ELi8ELi128ELi128ELi4ELi4ELi64ELi4ELi64ELc84ELc78ELb1ELb0ELb1EdKPKdKPdEEviiiT16_PT17_ilSA_ilS8_SA_ilPT18_ili26rocblas_geam_ex_operation_.has_dyn_sized_stack, 0
	.set _ZN12_GLOBAL__N_120geam_min_plus_kernelId15HIP_vector_typeIdLj2EEdLi32ELi8ELi128ELi128ELi4ELi4ELi64ELi4ELi64ELc84ELc78ELb1ELb0ELb1EdKPKdKPdEEviiiT16_PT17_ilSA_ilS8_SA_ilPT18_ili26rocblas_geam_ex_operation_.has_recursion, 0
	.set _ZN12_GLOBAL__N_120geam_min_plus_kernelId15HIP_vector_typeIdLj2EEdLi32ELi8ELi128ELi128ELi4ELi4ELi64ELi4ELi64ELc84ELc78ELb1ELb0ELb1EdKPKdKPdEEviiiT16_PT17_ilSA_ilS8_SA_ilPT18_ili26rocblas_geam_ex_operation_.has_indirect_call, 0
	.section	.AMDGPU.csdata,"",@progbits
; Kernel info:
; codeLenInByte = 27080
; TotalNumSgprs: 24
; NumVgprs: 249
; ScratchSize: 0
; MemoryBound: 0
; FloatMode: 240
; IeeeMode: 1
; LDSByteSize: 16384 bytes/workgroup (compile time only)
; SGPRBlocks: 0
; VGPRBlocks: 31
; NumSGPRsForWavesPerEU: 24
; NumVGPRsForWavesPerEU: 249
; Occupancy: 4
; WaveLimiterHint : 1
; COMPUTE_PGM_RSRC2:SCRATCH_EN: 0
; COMPUTE_PGM_RSRC2:USER_SGPR: 6
; COMPUTE_PGM_RSRC2:TRAP_HANDLER: 0
; COMPUTE_PGM_RSRC2:TGID_X_EN: 1
; COMPUTE_PGM_RSRC2:TGID_Y_EN: 0
; COMPUTE_PGM_RSRC2:TGID_Z_EN: 1
; COMPUTE_PGM_RSRC2:TIDIG_COMP_CNT: 1
	.section	.text._ZN12_GLOBAL__N_120geam_min_plus_kernelId15HIP_vector_typeIdLj2EEdLi32ELi8ELi128ELi128ELi4ELi4ELi64ELi4ELi64ELc84ELc78ELb0ELb0ELb1EdKPKdKPdEEviiiT16_PT17_ilSA_ilS8_SA_ilPT18_ili26rocblas_geam_ex_operation_,"axG",@progbits,_ZN12_GLOBAL__N_120geam_min_plus_kernelId15HIP_vector_typeIdLj2EEdLi32ELi8ELi128ELi128ELi4ELi4ELi64ELi4ELi64ELc84ELc78ELb0ELb0ELb1EdKPKdKPdEEviiiT16_PT17_ilSA_ilS8_SA_ilPT18_ili26rocblas_geam_ex_operation_,comdat
	.globl	_ZN12_GLOBAL__N_120geam_min_plus_kernelId15HIP_vector_typeIdLj2EEdLi32ELi8ELi128ELi128ELi4ELi4ELi64ELi4ELi64ELc84ELc78ELb0ELb0ELb1EdKPKdKPdEEviiiT16_PT17_ilSA_ilS8_SA_ilPT18_ili26rocblas_geam_ex_operation_ ; -- Begin function _ZN12_GLOBAL__N_120geam_min_plus_kernelId15HIP_vector_typeIdLj2EEdLi32ELi8ELi128ELi128ELi4ELi4ELi64ELi4ELi64ELc84ELc78ELb0ELb0ELb1EdKPKdKPdEEviiiT16_PT17_ilSA_ilS8_SA_ilPT18_ili26rocblas_geam_ex_operation_
	.p2align	8
	.type	_ZN12_GLOBAL__N_120geam_min_plus_kernelId15HIP_vector_typeIdLj2EEdLi32ELi8ELi128ELi128ELi4ELi4ELi64ELi4ELi64ELc84ELc78ELb0ELb0ELb1EdKPKdKPdEEviiiT16_PT17_ilSA_ilS8_SA_ilPT18_ili26rocblas_geam_ex_operation_,@function
_ZN12_GLOBAL__N_120geam_min_plus_kernelId15HIP_vector_typeIdLj2EEdLi32ELi8ELi128ELi128ELi4ELi4ELi64ELi4ELi64ELc84ELc78ELb0ELb0ELb1EdKPKdKPdEEviiiT16_PT17_ilSA_ilS8_SA_ilPT18_ili26rocblas_geam_ex_operation_: ; @_ZN12_GLOBAL__N_120geam_min_plus_kernelId15HIP_vector_typeIdLj2EEdLi32ELi8ELi128ELi128ELi4ELi4ELi64ELi4ELi64ELc84ELc78ELb0ELb0ELb1EdKPKdKPdEEviiiT16_PT17_ilSA_ilS8_SA_ilPT18_ili26rocblas_geam_ex_operation_
; %bb.0:
	s_mov_b64 s[26:27], s[2:3]
	s_mov_b64 s[24:25], s[0:1]
	s_mov_b32 s20, s7
	s_add_u32 s24, s24, s8
	s_clause 0x1
	s_load_dwordx4 s[8:11], s[4:5], 0x10
	s_load_dwordx4 s[12:15], s[4:5], 0x28
	v_mov_b32_e32 v163, v1
	v_mov_b32_e32 v162, v0
	s_addc_u32 s25, s25, 0
	s_mov_b64 s[16:17], 0
	s_waitcnt lgkmcnt(0)
	v_cmp_eq_f64_e64 s7, s[8:9], 0
	s_and_b32 vcc_lo, exec_lo, s7
	s_cbranch_vccnz .LBB113_2
; %bb.1:
	s_mov_b32 s21, 0
	s_lshl_b64 s[0:1], s[20:21], 3
	s_add_u32 s0, s10, s0
	s_addc_u32 s1, s11, s1
	s_lshl_b64 s[2:3], s[12:13], 3
	s_load_dwordx2 s[0:1], s[0:1], 0x0
	s_waitcnt lgkmcnt(0)
	s_add_u32 s16, s0, s2
	s_addc_u32 s17, s1, s3
.LBB113_2:
	s_clause 0x1
	s_load_dwordx4 s[0:3], s[4:5], 0x40
	s_load_dwordx2 s[22:23], s[4:5], 0x50
	s_andn2_b32 vcc_lo, exec_lo, s7
	s_mov_b32 s21, 0
	s_cbranch_vccnz .LBB113_4
; %bb.3:
	s_mov_b32 s7, s21
	s_mov_b64 s[10:11], 0
	s_andn2_b32 vcc_lo, exec_lo, s7
	s_mov_b64 s[18:19], 0
	s_cbranch_vccz .LBB113_5
	s_branch .LBB113_6
.LBB113_4:
	s_mov_b64 s[10:11], 0
	s_mov_b64 s[18:19], 0
.LBB113_5:
	s_lshl_b64 s[12:13], s[20:21], 3
	s_add_u32 s12, s14, s12
	s_addc_u32 s13, s15, s13
	s_waitcnt lgkmcnt(0)
	s_lshl_b64 s[0:1], s[0:1], 3
	s_load_dwordx2 s[12:13], s[12:13], 0x0
	s_waitcnt lgkmcnt(0)
	s_add_u32 s18, s12, s0
	s_addc_u32 s19, s13, s1
.LBB113_6:
	s_waitcnt lgkmcnt(0)
	v_cmp_eq_f64_e64 s0, s[2:3], 0
	v_cmp_neq_f64_e64 s7, s[8:9], 0
	s_load_dwordx4 s[12:15], s[4:5], 0x60
	s_and_b32 s0, exec_lo, s0
	s_mov_b32 vcc_lo, s0
	s_cbranch_vccnz .LBB113_8
; %bb.7:
	s_lshl_b64 s[10:11], s[20:21], 3
	s_add_u32 s10, s22, s10
	s_addc_u32 s11, s23, s11
	s_waitcnt lgkmcnt(0)
	s_lshl_b64 s[12:13], s[12:13], 3
	s_load_dwordx2 s[10:11], s[10:11], 0x0
	s_waitcnt lgkmcnt(0)
	s_add_u32 s10, s10, s12
	s_addc_u32 s11, s11, s13
.LBB113_8:
	s_load_dword s1, s[4:5], 0x0
	s_waitcnt lgkmcnt(0)
	s_lshl_b64 s[12:13], s[20:21], 3
	s_load_dword s20, s[4:5], 0x20
	s_add_u32 s12, s14, s12
	s_addc_u32 s13, s15, s13
	v_and_b32_e32 v10, 3, v162
	v_cndmask_b32_e64 v1, 0, 1, s7
	v_mov_b32_e32 v4, 0
	v_mov_b32_e32 v2, 0
	;; [unrolled: 1-line block ×3, first 2 shown]
	v_lshlrev_b32_e32 v170, 3, v10
	v_mov_b32_e32 v3, 0
	s_add_i32 s1, s1, -1
	s_ashr_i32 s14, s1, 31
	s_lshr_b32 s14, s14, 25
	s_add_i32 s1, s1, s14
	s_ashr_i32 s1, s1, 7
	s_add_i32 s14, s1, 1
	s_not_b32 s1, s1
	v_cvt_f32_u32_e32 v0, s14
	v_rcp_iflag_f32_e32 v0, v0
	v_mul_f32_e32 v0, 0x4f7ffffe, v0
	v_cvt_u32_f32_e32 v0, v0
	v_readfirstlane_b32 s15, v0
	v_lshl_add_u32 v0, v163, 5, v162
	s_mul_i32 s1, s1, s15
	v_lshrrev_b32_e32 v11, 2, v0
	s_mul_hi_u32 s1, s15, s1
	s_add_i32 s15, s15, s1
	s_mul_hi_u32 s1, s6, s15
	s_mul_i32 s15, s1, s14
	s_add_i32 s21, s1, 1
	s_sub_i32 s15, s6, s15
	s_sub_i32 s22, s15, s14
	s_cmp_ge_u32 s15, s14
	s_cselect_b32 s1, s21, s1
	s_cselect_b32 s15, s22, s15
	s_add_i32 s21, s1, 1
	s_cmp_ge_u32 s15, s14
	s_cselect_b32 s15, s21, s1
	s_andn2_b32 vcc_lo, exec_lo, s7
	s_mul_i32 s1, s15, s14
	s_sub_i32 s1, s6, s1
	v_add_co_u32 v12, s6, s16, v170
	s_lshl_b32 s14, s1, 7
	v_cmp_ne_u32_e64 s1, 1, v1
	v_add_nc_u32_e32 v90, s14, v11
	v_add_co_ci_u32_e64 v13, null, s17, 0, s6
	s_cbranch_vccnz .LBB113_10
; %bb.9:
	s_waitcnt lgkmcnt(0)
	v_mad_i64_i32 v[2:3], null, v90, s20, 0
	v_lshlrev_b64 v[2:3], 3, v[2:3]
	v_add_co_u32 v2, vcc_lo, v12, v2
	v_add_co_ci_u32_e64 v3, null, v13, v3, vcc_lo
	flat_load_dwordx2 v[2:3], v[2:3]
	s_waitcnt vmcnt(0) lgkmcnt(0)
	v_mul_f64 v[2:3], s[8:9], v[2:3]
.LBB113_10:
	s_load_dword s21, s[4:5], 0x38
	s_lshl_b32 s15, s15, 7
	v_mov_b32_e32 v6, 0
	v_add_nc_u32_e32 v92, s15, v11
	v_mov_b32_e32 v8, 0
	v_add_nc_u32_e32 v91, 64, v90
	v_mov_b32_e32 v7, 0
	v_mov_b32_e32 v9, 0
	v_add_nc_u32_e32 v93, 64, v92
	s_and_b32 vcc_lo, exec_lo, s1
	s_cbranch_vccnz .LBB113_12
; %bb.11:
	s_waitcnt lgkmcnt(0)
	v_mad_i64_i32 v[4:5], null, v91, s20, 0
	v_mad_i64_i32 v[6:7], null, v92, s21, 0
	;; [unrolled: 1-line block ×3, first 2 shown]
	v_add_co_u32 v0, s6, s18, v170
	v_lshlrev_b64 v[4:5], 3, v[4:5]
	v_add_co_ci_u32_e64 v1, null, s19, 0, s6
	v_lshlrev_b64 v[6:7], 3, v[6:7]
	v_lshlrev_b64 v[8:9], 3, v[8:9]
	v_add_co_u32 v4, vcc_lo, v12, v4
	v_add_co_ci_u32_e64 v5, null, v13, v5, vcc_lo
	v_add_co_u32 v6, vcc_lo, v0, v6
	v_add_co_ci_u32_e64 v7, null, v1, v7, vcc_lo
	;; [unrolled: 2-line block ×3, first 2 shown]
	flat_load_dwordx2 v[4:5], v[4:5]
	s_clause 0x1
	flat_load_dwordx2 v[6:7], v[6:7]
	flat_load_dwordx2 v[8:9], v[8:9]
	s_waitcnt vmcnt(2) lgkmcnt(2)
	v_mul_f64 v[4:5], s[8:9], v[4:5]
	s_waitcnt vmcnt(1) lgkmcnt(1)
	v_mul_f64 v[6:7], s[8:9], v[6:7]
	;; [unrolled: 2-line block ×3, first 2 shown]
.LBB113_12:
	v_mov_b32_e32 v88, 0
	v_mov_b32_e32 v86, 0
	;; [unrolled: 1-line block ×4, first 2 shown]
	s_and_b32 vcc_lo, exec_lo, s1
	s_cbranch_vccnz .LBB113_14
; %bb.13:
	s_waitcnt lgkmcnt(0)
	v_mad_i64_i32 v[14:15], null, v90, s20, 0
	v_lshlrev_b64 v[14:15], 3, v[14:15]
	v_add_co_u32 v14, vcc_lo, v12, v14
	v_add_co_ci_u32_e64 v15, null, v13, v15, vcc_lo
	flat_load_dwordx2 v[14:15], v[14:15] offset:32
	s_waitcnt vmcnt(0) lgkmcnt(0)
	v_mul_f64 v[86:87], s[8:9], v[14:15]
.LBB113_14:
	v_mov_b32_e32 v82, 0
	v_mov_b32_e32 v84, 0
	v_mov_b32_e32 v83, 0
	v_mov_b32_e32 v85, 0
	s_and_b32 vcc_lo, exec_lo, s1
	s_cbranch_vccnz .LBB113_16
; %bb.15:
	s_waitcnt lgkmcnt(0)
	v_mad_i64_i32 v[14:15], null, v91, s20, 0
	v_mad_i64_i32 v[16:17], null, v92, s21, 0
	;; [unrolled: 1-line block ×3, first 2 shown]
	v_add_co_u32 v0, s6, s18, v170
	v_lshlrev_b64 v[14:15], 3, v[14:15]
	v_add_co_ci_u32_e64 v1, null, s19, 0, s6
	v_lshlrev_b64 v[16:17], 3, v[16:17]
	v_add_co_u32 v12, vcc_lo, v12, v14
	v_add_co_ci_u32_e64 v13, null, v13, v15, vcc_lo
	v_lshlrev_b64 v[14:15], 3, v[18:19]
	v_add_co_u32 v16, vcc_lo, v0, v16
	v_add_co_ci_u32_e64 v17, null, v1, v17, vcc_lo
	v_add_co_u32 v14, vcc_lo, v0, v14
	v_add_co_ci_u32_e64 v15, null, v1, v15, vcc_lo
	flat_load_dwordx2 v[12:13], v[12:13] offset:32
	s_clause 0x1
	flat_load_dwordx2 v[16:17], v[16:17] offset:32
	flat_load_dwordx2 v[14:15], v[14:15] offset:32
	s_waitcnt vmcnt(2) lgkmcnt(2)
	v_mul_f64 v[88:89], s[8:9], v[12:13]
	s_waitcnt vmcnt(1) lgkmcnt(1)
	v_mul_f64 v[82:83], s[8:9], v[16:17]
	s_waitcnt vmcnt(0) lgkmcnt(0)
	v_mul_f64 v[84:85], s[8:9], v[14:15]
.LBB113_16:
	v_lshlrev_b32_e32 v0, 5, v11
	v_lshlrev_b32_e32 v158, 5, v162
	;; [unrolled: 1-line block ×3, first 2 shown]
	s_load_dwordx2 s[6:7], s[12:13], 0x0
	s_load_dword s12, s[4:5], 0x8
	v_lshl_or_b32 v171, v10, 3, v0
	ds_write2st64_b64 v171, v[2:3], v[4:5] offset1:4
	ds_write2st64_b64 v171, v[6:7], v[8:9] offset0:16 offset1:20
	s_waitcnt lgkmcnt(0)
	s_barrier
	buffer_gl0_inv
	ds_read_b128 v[6:9], v158 offset:1024
	ds_read_b128 v[10:13], v158 offset:2048
	;; [unrolled: 1-line block ×18, first 2 shown]
	ds_read_b128 v[94:97], v158
	ds_read_b128 v[2:5], v158 offset:16
	ds_read_b128 v[98:101], v166 offset:8192
	;; [unrolled: 1-line block ×3, first 2 shown]
	s_cmp_lt_i32 s12, 9
	s_waitcnt lgkmcnt(1)
	v_add_f64 v[102:103], v[96:97], v[100:101]
	v_add_f64 v[104:105], v[94:95], v[98:99]
	s_waitcnt lgkmcnt(0)
	v_add_f64 v[160:161], v[2:3], v[18:19]
	v_cvt_f32_f64_e32 v1, v[102:103]
	v_cvt_f32_f64_e32 v0, v[104:105]
	v_add_f64 v[102:103], v[8:9], v[100:101]
	v_add_f64 v[104:105], v[6:7], v[98:99]
	v_min3_f32 v157, v0, v1, 0x7f800000
	v_cvt_f32_f64_e32 v1, v[102:103]
	v_cvt_f32_f64_e32 v0, v[104:105]
	v_add_f64 v[102:103], v[12:13], v[100:101]
	v_add_f64 v[104:105], v[10:11], v[98:99]
	;; [unrolled: 1-line block ×4, first 2 shown]
	v_min3_f32 v156, v0, v1, 0x7f800000
	v_cvt_f32_f64_e32 v1, v[102:103]
	v_cvt_f32_f64_e32 v0, v[104:105]
	v_min3_f32 v155, v0, v1, 0x7f800000
	v_cvt_f32_f64_e32 v0, v[98:99]
	v_cvt_f32_f64_e32 v1, v[100:101]
	v_add_f64 v[98:99], v[96:97], v[24:25]
	v_add_f64 v[100:101], v[94:95], v[22:23]
	v_min3_f32 v154, v0, v1, 0x7f800000
	v_cvt_f32_f64_e32 v1, v[98:99]
	v_cvt_f32_f64_e32 v0, v[100:101]
	v_add_f64 v[98:99], v[8:9], v[24:25]
	v_add_f64 v[100:101], v[6:7], v[22:23]
	;; [unrolled: 5-line block ×3, first 2 shown]
	v_add_f64 v[24:25], v[16:17], v[24:25]
	v_add_f64 v[22:23], v[14:15], v[22:23]
	v_min3_f32 v152, v0, v1, 0x7f800000
	v_cvt_f32_f64_e32 v1, v[98:99]
	v_cvt_f32_f64_e32 v0, v[100:101]
	v_min3_f32 v151, v0, v1, 0x7f800000
	v_cvt_f32_f64_e32 v0, v[22:23]
	v_cvt_f32_f64_e32 v1, v[24:25]
	v_add_f64 v[22:23], v[96:97], v[28:29]
	v_add_f64 v[24:25], v[94:95], v[26:27]
	v_min3_f32 v150, v0, v1, 0x7f800000
	v_cvt_f32_f64_e32 v1, v[22:23]
	v_cvt_f32_f64_e32 v0, v[24:25]
	v_add_f64 v[22:23], v[8:9], v[28:29]
	v_add_f64 v[24:25], v[6:7], v[26:27]
	;; [unrolled: 5-line block ×50, first 2 shown]
	v_add_f64 v[8:9], v[8:9], v[80:81]
	v_add_f64 v[6:7], v[6:7], v[78:79]
	v_min3_f32 v101, v0, v1, 0x7f800000
	v_cvt_f32_f64_e32 v1, v[22:23]
	v_cvt_f32_f64_e32 v0, v[24:25]
	v_add_f64 v[22:23], v[12:13], v[76:77]
	v_add_f64 v[24:25], v[10:11], v[74:75]
	v_min3_f32 v100, v0, v1, 0x7f800000
	v_cvt_f32_f64_e32 v1, v[22:23]
	v_cvt_f32_f64_e32 v0, v[24:25]
	;; [unrolled: 5-line block ×4, first 2 shown]
	v_min3_f32 v97, v0, v1, 0x7f800000
	v_cvt_f32_f64_e32 v0, v[6:7]
	v_cvt_f32_f64_e32 v1, v[8:9]
	v_add_f64 v[6:7], v[12:13], v[80:81]
	v_add_f64 v[8:9], v[10:11], v[78:79]
	v_min3_f32 v96, v0, v1, 0x7f800000
	v_cvt_f32_f64_e32 v1, v[6:7]
	v_cvt_f32_f64_e32 v0, v[8:9]
	v_add_f64 v[6:7], v[16:17], v[80:81]
	v_add_f64 v[8:9], v[14:15], v[78:79]
	ds_read_b128 v[14:17], v158 offset:1040
	ds_read_b128 v[10:13], v158 offset:2064
	buffer_store_dword v158, off, s[24:27], 0 offset:144 ; 4-byte Folded Spill
	v_min3_f32 v95, v0, v1, 0x7f800000
	v_cvt_f32_f64_e32 v1, v[6:7]
	v_cvt_f32_f64_e32 v0, v[8:9]
	ds_read_b128 v[6:9], v158 offset:3088
	ds_read_b128 v[78:81], v166 offset:8464
	;; [unrolled: 1-line block ×16, first 2 shown]
	v_add_f64 v[158:159], v[4:5], v[20:21]
	ds_write2st64_b64 v171, v[86:87], v[88:89] offset0:8 offset1:12
	ds_write2st64_b64 v171, v[82:83], v[84:85] offset0:24 offset1:28
	s_waitcnt lgkmcnt(0)
	s_waitcnt_vscnt null, 0x0
	s_barrier
	buffer_gl0_inv
	v_min3_f32 v94, v0, v1, 0x7f800000
	v_cvt_f32_f64_e32 v0, v[160:161]
	v_cvt_f32_f64_e32 v1, v[158:159]
	v_add_f64 v[159:160], v[14:15], v[18:19]
	v_min3_f32 v180, v0, v1, v157
	v_add_f64 v[157:158], v[16:17], v[20:21]
	v_cvt_f32_f64_e32 v0, v[159:160]
	v_cvt_f32_f64_e32 v1, v[157:158]
	v_add_f64 v[158:159], v[10:11], v[18:19]
	v_add_f64 v[18:19], v[6:7], v[18:19]
	v_min3_f32 v187, v0, v1, v156
	v_add_f64 v[156:157], v[12:13], v[20:21]
	v_cvt_f32_f64_e32 v0, v[158:159]
	v_add_f64 v[20:21], v[8:9], v[20:21]
	v_cvt_f32_f64_e32 v1, v[156:157]
	v_min3_f32 v190, v0, v1, v155
	v_cvt_f32_f64_e32 v0, v[18:19]
	v_cvt_f32_f64_e32 v1, v[20:21]
	v_add_f64 v[18:19], v[4:5], v[80:81]
	v_add_f64 v[20:21], v[2:3], v[78:79]
	v_min3_f32 v233, v0, v1, v154
	v_cvt_f32_f64_e32 v1, v[18:19]
	v_cvt_f32_f64_e32 v0, v[20:21]
	v_add_f64 v[18:19], v[16:17], v[80:81]
	v_add_f64 v[20:21], v[14:15], v[78:79]
	;; [unrolled: 5-line block ×53, first 2 shown]
	v_add_f64 v[4:5], v[4:5], v[24:25]
	v_add_f64 v[2:3], v[2:3], v[22:23]
	v_min3_f32 v206, v0, v1, v102
	v_cvt_f32_f64_e32 v1, v[18:19]
	v_cvt_f32_f64_e32 v0, v[20:21]
	v_add_f64 v[18:19], v[16:17], v[28:29]
	v_add_f64 v[20:21], v[14:15], v[26:27]
	v_min3_f32 v205, v0, v1, v101
	v_cvt_f32_f64_e32 v1, v[18:19]
	v_cvt_f32_f64_e32 v0, v[20:21]
	;; [unrolled: 5-line block ×4, first 2 shown]
	v_min3_f32 v202, v0, v1, v98
	v_cvt_f32_f64_e32 v0, v[2:3]
	v_cvt_f32_f64_e32 v1, v[4:5]
	v_add_f64 v[2:3], v[16:17], v[24:25]
	v_add_f64 v[4:5], v[14:15], v[22:23]
	v_min3_f32 v201, v0, v1, v97
	v_cvt_f32_f64_e32 v1, v[2:3]
	v_cvt_f32_f64_e32 v0, v[4:5]
	v_add_f64 v[2:3], v[12:13], v[24:25]
	v_add_f64 v[4:5], v[10:11], v[22:23]
	v_min3_f32 v200, v0, v1, v96
	v_cvt_f32_f64_e32 v1, v[2:3]
	v_cvt_f32_f64_e32 v0, v[4:5]
	v_add_f64 v[2:3], v[8:9], v[24:25]
	v_add_f64 v[4:5], v[6:7], v[22:23]
	v_min3_f32 v189, v0, v1, v95
	v_cvt_f32_f64_e32 v1, v[2:3]
	v_cvt_f32_f64_e32 v0, v[4:5]
	v_min3_f32 v188, v0, v1, v94
	s_cbranch_scc1 .LBB113_29
; %bb.17:
	v_mad_i64_i32 v[2:3], null, s21, v93, 0
	v_mad_i64_i32 v[4:5], null, s21, v92, 0
	;; [unrolled: 1-line block ×4, first 2 shown]
	v_lshlrev_b64 v[2:3], 3, v[2:3]
	v_or_b32_e32 v0, 0x2000, v166
	v_lshlrev_b64 v[4:5], 3, v[4:5]
	buffer_store_dword v166, off, s[24:27], 0 offset:176 ; 4-byte Folded Spill
	buffer_store_dword v162, off, s[24:27], 0 offset:172 ; 4-byte Folded Spill
	s_add_i32 s12, s12, -8
	v_add_co_u32 v1, vcc_lo, s18, v2
	v_add_co_ci_u32_e64 v172, null, s19, v3, vcc_lo
	v_lshlrev_b64 v[2:3], 3, v[6:7]
	v_add_co_u32 v173, vcc_lo, s18, v4
	v_add_co_ci_u32_e64 v174, null, s19, v5, vcc_lo
	v_lshlrev_b64 v[4:5], 3, v[8:9]
	buffer_store_dword v0, off, s[24:27], 0 offset:156 ; 4-byte Folded Spill
	v_lshl_add_u32 v0, v162, 5, 0x1000
	v_add_co_u32 v175, vcc_lo, s16, v2
	v_add_co_ci_u32_e64 v176, null, s17, v3, vcc_lo
	v_add_co_u32 v177, vcc_lo, s16, v4
	buffer_store_dword v0, off, s[24:27], 0 offset:152 ; 4-byte Folded Spill
	buffer_store_dword v163, off, s[24:27], 0 offset:168 ; 4-byte Folded Spill
	v_lshl_add_u32 v0, v163, 5, 0x3000
	v_add_co_ci_u32_e64 v178, null, s17, v5, vcc_lo
	s_mov_b32 s13, 0
	buffer_store_dword v0, off, s[24:27], 0 offset:160 ; 4-byte Folded Spill
	buffer_store_dword v170, off, s[24:27], 0 offset:164 ; 4-byte Folded Spill
	;; [unrolled: 1-line block ×3, first 2 shown]
.LBB113_18:                             ; =>This Inner Loop Header: Depth=1
	v_mov_b32_e32 v164, 0
	v_mov_b32_e32 v162, 0
	;; [unrolled: 1-line block ×4, first 2 shown]
	s_and_b32 vcc_lo, exec_lo, s1
	s_cbranch_vccnz .LBB113_20
; %bb.19:                               ;   in Loop: Header=BB113_18 Depth=1
	s_waitcnt vmcnt(0)
	v_add_co_u32 v2, vcc_lo, v177, v170
	v_add_co_ci_u32_e64 v3, null, 0, v178, vcc_lo
	flat_load_dwordx2 v[2:3], v[2:3] offset:64
	s_waitcnt vmcnt(0) lgkmcnt(0)
	v_mul_f64 v[162:163], s[8:9], v[2:3]
.LBB113_20:                             ;   in Loop: Header=BB113_18 Depth=1
	v_mov_b32_e32 v166, 0
	v_mov_b32_e32 v168, 0
	;; [unrolled: 1-line block ×5, first 2 shown]
	s_and_b32 vcc_lo, exec_lo, s1
	s_cbranch_vccnz .LBB113_22
; %bb.21:                               ;   in Loop: Header=BB113_18 Depth=1
	s_waitcnt vmcnt(0)
	v_add_co_u32 v2, vcc_lo, v175, v170
	v_add_co_ci_u32_e64 v3, null, 0, v176, vcc_lo
	v_add_co_u32 v4, vcc_lo, v173, v170
	v_add_co_ci_u32_e64 v5, null, 0, v174, vcc_lo
	;; [unrolled: 2-line block ×3, first 2 shown]
	flat_load_dwordx2 v[2:3], v[2:3] offset:64
	flat_load_dwordx2 v[4:5], v[4:5] offset:64
	;; [unrolled: 1-line block ×3, first 2 shown]
	s_waitcnt vmcnt(2) lgkmcnt(2)
	v_mul_f64 v[164:165], s[8:9], v[2:3]
	s_waitcnt vmcnt(1) lgkmcnt(1)
	v_mul_f64 v[166:167], s[8:9], v[4:5]
	;; [unrolled: 2-line block ×3, first 2 shown]
.LBB113_22:                             ;   in Loop: Header=BB113_18 Depth=1
	buffer_store_dword v194, off, s[24:27], 0 offset:140 ; 4-byte Folded Spill
	buffer_store_dword v228, off, s[24:27], 0 offset:136 ; 4-byte Folded Spill
	buffer_load_dword v18, off, s[24:27], 0 offset:160 ; 4-byte Folded Reload
	v_mov_b32_e32 v234, v191
	s_and_b32 vcc_lo, exec_lo, s1
	s_waitcnt vmcnt(0)
	ds_read_b128 v[158:161], v18
	ds_read_b128 v[78:81], v18 offset:16
	buffer_load_dword v0, off, s[24:27], 0 offset:152 ; 4-byte Folded Reload
	s_waitcnt vmcnt(0)
	ds_read_b128 v[98:101], v0
	ds_read_b128 v[2:5], v0 offset:16
	ds_read_b128 v[94:97], v0 offset:1024
	;; [unrolled: 1-line block ×37, first 2 shown]
	ds_write2st64_b64 v171, v[162:163], v[164:165] offset1:4
	v_mov_b32_e32 v164, 0
	v_mov_b32_e32 v162, 0
	v_add_nc_u32_e32 v0, 0x2000, v171
	v_mov_b32_e32 v165, 0
	v_mov_b32_e32 v163, 0
	ds_write2st64_b64 v0, v[166:167], v[168:169] offset1:4
	s_waitcnt lgkmcnt(0)
	s_waitcnt_vscnt null, 0x0
	s_barrier
	buffer_gl0_inv
	s_cbranch_vccnz .LBB113_24
; %bb.23:                               ;   in Loop: Header=BB113_18 Depth=1
	v_add_co_u32 v162, vcc_lo, v177, v170
	v_add_co_ci_u32_e64 v163, null, 0, v178, vcc_lo
	flat_load_dwordx2 v[162:163], v[162:163] offset:96
	s_waitcnt vmcnt(0) lgkmcnt(0)
	v_mul_f64 v[162:163], s[8:9], v[162:163]
.LBB113_24:                             ;   in Loop: Header=BB113_18 Depth=1
	buffer_store_dword v162, off, s[24:27], 0 offset:92 ; 4-byte Folded Spill
	buffer_store_dword v163, off, s[24:27], 0 offset:96 ; 4-byte Folded Spill
	;; [unrolled: 1-line block ×5, first 2 shown]
	v_mov_b32_e32 v162, 0
	v_mov_b32_e32 v166, 0
	;; [unrolled: 1-line block ×7, first 2 shown]
	s_and_b32 vcc_lo, exec_lo, s1
	buffer_store_dword v214, off, s[24:27], 0 offset:128 ; 4-byte Folded Spill
	buffer_store_dword v213, off, s[24:27], 0 offset:116 ; 4-byte Folded Spill
	;; [unrolled: 1-line block ×17, first 2 shown]
	s_cbranch_vccnz .LBB113_26
; %bb.25:                               ;   in Loop: Header=BB113_18 Depth=1
	v_add_co_u32 v164, vcc_lo, v175, v170
	v_add_co_ci_u32_e64 v165, null, 0, v176, vcc_lo
	v_add_co_u32 v166, vcc_lo, v173, v170
	v_add_co_ci_u32_e64 v167, null, 0, v174, vcc_lo
	;; [unrolled: 2-line block ×3, first 2 shown]
	flat_load_dwordx2 v[164:165], v[164:165] offset:96
	flat_load_dwordx2 v[166:167], v[166:167] offset:96
	;; [unrolled: 1-line block ×3, first 2 shown]
	s_waitcnt vmcnt(2) lgkmcnt(2)
	v_mul_f64 v[164:165], s[8:9], v[164:165]
	s_waitcnt vmcnt(1) lgkmcnt(1)
	v_mul_f64 v[162:163], s[8:9], v[166:167]
	;; [unrolled: 2-line block ×3, first 2 shown]
.LBB113_26:                             ;   in Loop: Header=BB113_18 Depth=1
	v_add_f64 v[249:250], v[100:101], v[160:161]
	v_add_f64 v[251:252], v[98:99], v[158:159]
	buffer_store_dword v164, off, s[24:27], 0 offset:120 ; 4-byte Folded Spill
	buffer_store_dword v165, off, s[24:27], 0 offset:124 ; 4-byte Folded Spill
	;; [unrolled: 1-line block ×6, first 2 shown]
	v_add_f64 v[253:254], v[96:97], v[160:161]
	v_add_f64 v[170:171], v[94:95], v[158:159]
	;; [unrolled: 1-line block ×3, first 2 shown]
	buffer_store_dword v1, off, s[24:27], 0 ; 4-byte Folded Spill
	v_add_f64 v[0:1], v[86:87], v[158:159]
	v_add_f64 v[206:207], v[98:99], v[146:147]
	;; [unrolled: 1-line block ×14, first 2 shown]
	buffer_store_dword v172, off, s[24:27], 0 offset:4 ; 4-byte Folded Spill
	buffer_store_dword v173, off, s[24:27], 0 offset:8 ; 4-byte Folded Spill
	v_cvt_f32_f64_e32 v147, v[249:250]
	v_cvt_f32_f64_e32 v146, v[251:252]
	v_add_f64 v[172:173], v[94:95], v[154:155]
	v_cvt_f32_f64_e32 v152, v[253:254]
	buffer_store_dword v174, off, s[24:27], 0 offset:12 ; 4-byte Folded Spill
	buffer_store_dword v175, off, s[24:27], 0 offset:16 ; 4-byte Folded Spill
	v_add_f64 v[174:175], v[88:89], v[156:157]
	buffer_store_dword v176, off, s[24:27], 0 offset:20 ; 4-byte Folded Spill
	v_cvt_f32_f64_e32 v0, v[0:1]
	v_cvt_f32_f64_e32 v1, v[162:163]
	v_add_f64 v[176:177], v[86:87], v[154:155]
	v_add_f64 v[156:157], v[84:85], v[156:157]
	;; [unrolled: 1-line block ×11, first 2 shown]
	s_add_i32 s13, s13, 8
	s_cmp_ge_i32 s13, s12
	v_min3_f32 v146, v146, v147, v228
	v_cvt_f32_f64_e32 v147, v[170:171]
	v_cvt_f32_f64_e32 v171, v[210:211]
	v_add_f64 v[210:211], v[98:99], v[130:131]
	v_cvt_f32_f64_e32 v157, v[156:157]
	v_cvt_f32_f64_e32 v162, v[154:155]
	v_cvt_f32_f64_e32 v163, v[180:181]
	v_add_f64 v[180:181], v[88:89], v[140:141]
	v_cvt_f32_f64_e32 v150, v[150:151]
	v_cvt_f32_f64_e32 v151, v[202:203]
	v_cvt_f32_f64_e32 v170, v[204:205]
	v_add_f64 v[202:203], v[94:95], v[134:135]
	v_add_f64 v[204:205], v[88:89], v[136:137]
	v_min3_f32 v147, v147, v152, v187
	v_min3_f32 v152, v0, v1, v190
	v_cvt_f32_f64_e32 v0, v[158:159]
	v_cvt_f32_f64_e32 v1, v[160:161]
	;; [unrolled: 1-line block ×13, first 2 shown]
	v_min3_f32 v157, v162, v157, v248
	v_add_f64 v[188:189], v[98:99], v[134:135]
	v_add_f64 v[206:207], v[86:87], v[134:135]
	;; [unrolled: 1-line block ×8, first 2 shown]
	buffer_load_dword v187, off, s[24:27], 0 offset:156 ; 4-byte Folded Reload
	v_min3_f32 v153, v0, v1, v233
	v_cvt_f32_f64_e32 v0, v[166:167]
	v_cvt_f32_f64_e32 v1, v[164:165]
	;; [unrolled: 1-line block ×6, first 2 shown]
	v_min3_f32 v155, v158, v159, v191
	v_min3_f32 v156, v160, v161, v234
	;; [unrolled: 1-line block ×7, first 2 shown]
	v_add_f64 v[170:171], v[86:87], v[142:143]
	v_add_f64 v[172:173], v[100:101], v[140:141]
	;; [unrolled: 1-line block ×10, first 2 shown]
	v_min3_f32 v154, v0, v1, v186
	v_min3_f32 v158, v163, v164, v247
	v_add_f64 v[0:1], v[100:101], v[144:145]
	v_add_f64 v[162:163], v[98:99], v[142:143]
	v_min3_f32 v159, v165, v166, v245
	v_min3_f32 v160, v167, v168, v246
	v_add_f64 v[164:165], v[96:97], v[144:145]
	v_add_f64 v[166:167], v[94:95], v[142:143]
	v_add_f64 v[168:169], v[88:89], v[144:145]
	v_add_f64 v[144:145], v[84:85], v[144:145]
	v_add_f64 v[142:143], v[82:83], v[142:143]
	v_add_f64 v[233:234], v[86:87], v[130:131]
	v_add_f64 v[130:131], v[82:83], v[130:131]
	v_add_f64 v[136:137], v[84:85], v[136:137]
	v_cvt_f32_f64_e32 v140, v[140:141]
	v_cvt_f32_f64_e32 v141, v[188:189]
	;; [unrolled: 1-line block ×3, first 2 shown]
	v_add_f64 v[132:133], v[94:95], v[126:127]
	v_cvt_f32_f64_e32 v162, v[162:163]
	v_cvt_f32_f64_e32 v163, v[0:1]
	v_add_f64 v[0:1], v[98:99], v[126:127]
	v_cvt_f32_f64_e32 v164, v[164:165]
	v_cvt_f32_f64_e32 v166, v[166:167]
	;; [unrolled: 1-line block ×15, first 2 shown]
	v_add_f64 v[130:131], v[100:101], v[128:129]
	v_add_f64 v[134:135], v[96:97], v[128:129]
	;; [unrolled: 1-line block ×3, first 2 shown]
	v_cvt_f32_f64_e32 v165, v[170:171]
	v_cvt_f32_f64_e32 v169, v[176:177]
	;; [unrolled: 1-line block ×4, first 2 shown]
	v_add_f64 v[0:1], v[86:87], v[126:127]
	v_cvt_f32_f64_e32 v174, v[202:203]
	v_cvt_f32_f64_e32 v176, v[206:207]
	;; [unrolled: 1-line block ×5, first 2 shown]
	v_min3_f32 v133, v142, v143, v218
	v_add_f64 v[142:143], v[96:97], v[124:125]
	v_min3_f32 v137, v172, v140, v236
	v_min3_f32 v207, v141, v173, v235
	v_add_f64 v[140:141], v[94:95], v[122:123]
	v_cvt_f32_f64_e32 v170, v[182:183]
	v_cvt_f32_f64_e32 v182, v[214:215]
	v_min3_f32 v208, v184, v185, v219
	v_cvt_f32_f64_e32 v183, v[212:213]
	v_cvt_f32_f64_e32 v201, v[130:131]
	;; [unrolled: 1-line block ×3, first 2 shown]
	v_min3_f32 v130, v162, v163, v224
	v_min3_f32 v134, v144, v145, v239
	v_cvt_f32_f64_e32 v185, v[138:139]
	v_add_f64 v[138:139], v[100:101], v[124:125]
	v_add_f64 v[144:145], v[86:87], v[122:123]
	v_cvt_f32_f64_e32 v184, v[0:1]
	v_add_f64 v[0:1], v[82:83], v[126:127]
	v_add_f64 v[126:127], v[84:85], v[128:129]
	;; [unrolled: 1-line block ×6, first 2 shown]
	v_min3_f32 v212, v178, v179, v223
	v_min3_f32 v217, v188, v189, v229
	v_add_f64 v[178:179], v[100:101], v[116:117]
	v_cvt_f32_f64_e32 v177, v[204:205]
	v_cvt_f32_f64_e32 v180, v[210:211]
	v_min3_f32 v131, v166, v164, v221
	v_min3_f32 v132, v165, v167, v222
	;; [unrolled: 1-line block ×3, first 2 shown]
	v_add_f64 v[182:183], v[96:97], v[116:117]
	v_min3_f32 v135, v168, v169, v237
	v_min3_f32 v136, v170, v171, v238
	v_min3_f32 v210, v174, v175, v231
	v_add_f64 v[164:165], v[98:99], v[118:119]
	v_cvt_f32_f64_e32 v191, v[138:139]
	v_add_f64 v[138:139], v[84:85], v[116:117]
	v_add_f64 v[166:167], v[100:101], v[120:121]
	v_add_f64 v[168:169], v[94:95], v[118:119]
	v_cvt_f32_f64_e32 v188, v[126:127]
	v_add_f64 v[126:127], v[88:89], v[116:117]
	v_add_f64 v[170:171], v[96:97], v[120:121]
	v_cvt_f32_f64_e32 v122, v[122:123]
	v_cvt_f32_f64_e32 v123, v[124:125]
	v_add_f64 v[172:173], v[86:87], v[118:119]
	v_add_f64 v[174:175], v[88:89], v[120:121]
	;; [unrolled: 1-line block ×3, first 2 shown]
	v_min3_f32 v211, v176, v177, v232
	v_min3_f32 v209, v180, v181, v220
	v_add_f64 v[120:121], v[84:85], v[120:121]
	v_add_f64 v[176:177], v[98:99], v[114:115]
	;; [unrolled: 1-line block ×3, first 2 shown]
	v_min3_f32 v215, v202, v203, v198
	v_cvt_f32_f64_e32 v186, v[0:1]
	v_cvt_f32_f64_e32 v203, v[162:163]
	v_add_f64 v[0:1], v[86:87], v[114:115]
	v_add_f64 v[162:163], v[96:97], v[112:113]
	v_min3_f32 v216, v200, v201, v199
	v_cvt_f32_f64_e32 v189, v[128:129]
	v_cvt_f32_f64_e32 v200, v[140:141]
	;; [unrolled: 1-line block ×7, first 2 shown]
	v_min3_f32 v117, v122, v123, v225
	s_clause 0x1
	buffer_load_dword v122, off, s[24:27], 0 offset:140
	buffer_load_dword v123, off, s[24:27], 0 offset:136
	v_cvt_f32_f64_e32 v170, v[172:173]
	v_cvt_f32_f64_e32 v171, v[174:175]
	;; [unrolled: 1-line block ×9, first 2 shown]
	v_add_f64 v[128:129], v[82:83], v[114:115]
	v_add_f64 v[140:141], v[98:99], v[110:111]
	;; [unrolled: 1-line block ×6, first 2 shown]
	v_cvt_f32_f64_e32 v179, v[162:163]
	v_add_f64 v[162:163], v[100:101], v[104:105]
	v_min3_f32 v119, v168, v169, v194
	v_add_f64 v[168:169], v[86:87], v[102:103]
	v_min3_f32 v124, v184, v185, v196
	v_min3_f32 v125, v186, v188, v193
	;; [unrolled: 1-line block ×5, first 2 shown]
	v_add_f64 v[170:171], v[88:89], v[104:105]
	v_min3_f32 v121, v172, v121, v195
	v_cvt_f32_f64_e32 v172, v[0:1]
	v_add_f64 v[0:1], v[82:83], v[110:111]
	v_add_f64 v[110:111], v[84:85], v[112:113]
	;; [unrolled: 1-line block ×3, first 2 shown]
	v_min3_f32 v118, v204, v205, v255
	v_min3_f32 v115, v200, v201, v226
	v_cvt_f32_f64_e32 v177, v[142:143]
	v_cvt_f32_f64_e32 v178, v[144:145]
	;; [unrolled: 1-line block ×3, first 2 shown]
	v_add_f64 v[144:145], v[98:99], v[102:103]
	v_add_f64 v[164:165], v[94:95], v[102:103]
	;; [unrolled: 1-line block ×3, first 2 shown]
	v_cvt_f32_f64_e32 v181, v[166:167]
	v_add_f64 v[166:167], v[96:97], v[104:105]
	v_add_f64 v[98:99], v[98:99], v[90:91]
	;; [unrolled: 1-line block ×4, first 2 shown]
	v_cvt_f32_f64_e32 v182, v[0:1]
	v_cvt_f32_f64_e32 v110, v[110:111]
	;; [unrolled: 1-line block ×3, first 2 shown]
	v_add_f64 v[0:1], v[86:87], v[90:91]
	s_waitcnt vmcnt(1)
	v_min3_f32 v122, v173, v174, v122
	s_waitcnt vmcnt(0)
	v_min3_f32 v123, v175, v176, v123
	v_cvt_f32_f64_e32 v173, v[126:127]
	v_cvt_f32_f64_e32 v175, v[138:139]
	v_add_f64 v[126:127], v[100:101], v[108:109]
	v_add_f64 v[138:139], v[96:97], v[108:109]
	;; [unrolled: 1-line block ×3, first 2 shown]
	v_cvt_f32_f64_e32 v174, v[128:129]
	v_cvt_f32_f64_e32 v176, v[140:141]
	v_add_f64 v[128:129], v[94:95], v[106:107]
	v_add_f64 v[140:141], v[86:87], v[106:107]
	;; [unrolled: 1-line block ×6, first 2 shown]
	v_cvt_f32_f64_e32 v112, v[126:127]
	v_cvt_f32_f64_e32 v126, v[138:139]
	;; [unrolled: 1-line block ×4, first 2 shown]
	v_add_f64 v[100:101], v[82:83], v[90:91]
	buffer_load_dword v82, off, s[24:27], 0 offset:132 ; 4-byte Folded Reload
	v_cvt_f32_f64_e32 v139, v[164:165]
	v_cvt_f32_f64_e32 v113, v[128:129]
	;; [unrolled: 1-line block ×8, first 2 shown]
	v_add_f64 v[98:99], v[88:89], v[92:93]
	v_add_f64 v[102:103], v[84:85], v[92:93]
	v_cvt_f32_f64_e32 v163, v[94:95]
	v_cvt_f32_f64_e32 v127, v[140:141]
	;; [unrolled: 1-line block ×7, first 2 shown]
	v_add_f64 v[104:105], v[2:3], v[78:79]
	v_add_f64 v[106:107], v[4:5], v[80:81]
	v_cvt_f32_f64_e32 v166, v[100:101]
	v_add_f64 v[100:101], v[10:11], v[78:79]
	v_cvt_f32_f64_e32 v165, v[98:99]
	v_cvt_f32_f64_e32 v167, v[102:103]
	v_add_f64 v[98:99], v[8:9], v[80:81]
	v_add_f64 v[102:103], v[12:13], v[80:81]
	;; [unrolled: 1-line block ×3, first 2 shown]
	v_cvt_f32_f64_e32 v168, v[104:105]
	v_cvt_f32_f64_e32 v169, v[106:107]
	v_add_f64 v[104:105], v[2:3], v[74:75]
	v_add_f64 v[106:107], v[4:5], v[76:77]
	v_cvt_f32_f64_e32 v98, v[98:99]
	v_cvt_f32_f64_e32 v99, v[100:101]
	v_cvt_f32_f64_e32 v100, v[102:103]
	v_cvt_f32_f64_e32 v102, v[80:81]
	v_add_f64 v[80:81], v[14:15], v[66:67]
	v_cvt_f32_f64_e32 v103, v[104:105]
	v_cvt_f32_f64_e32 v104, v[106:107]
	s_waitcnt vmcnt(0)
	v_min3_f32 v96, v172, v173, v82
	buffer_load_dword v82, off, s[24:27], 0 offset:128 ; 4-byte Folded Reload
	s_waitcnt vmcnt(0)
	v_min3_f32 v97, v174, v175, v82
	buffer_load_dword v82, off, s[24:27], 0 offset:116 ; 4-byte Folded Reload
	;; [unrolled: 3-line block ×7, first 2 shown]
	v_add_f64 v[110:111], v[8:9], v[76:77]
	v_cvt_f32_f64_e32 v106, v[110:111]
	s_waitcnt vmcnt(0)
	v_min3_f32 v89, v113, v126, v82
	buffer_load_dword v82, off, s[24:27], 0 offset:68 ; 4-byte Folded Reload
	v_add_f64 v[112:113], v[10:11], v[74:75]
	v_cvt_f32_f64_e32 v107, v[112:113]
	s_waitcnt vmcnt(0)
	v_min3_f32 v90, v127, v128, v82
	buffer_load_dword v82, off, s[24:27], 0 offset:64 ; 4-byte Folded Reload
	v_add_f64 v[126:127], v[12:13], v[76:77]
	v_add_f64 v[76:77], v[16:17], v[76:77]
	v_cvt_f32_f64_e32 v110, v[76:77]
	v_add_f64 v[76:77], v[10:11], v[66:67]
	s_waitcnt vmcnt(0)
	v_min3_f32 v87, v129, v108, v82
	buffer_load_dword v82, off, s[24:27], 0 offset:60 ; 4-byte Folded Reload
	v_add_f64 v[128:129], v[2:3], v[70:71]
	v_cvt_f32_f64_e32 v111, v[128:129]
	s_waitcnt vmcnt(0)
	v_min3_f32 v88, v109, v138, v82
	buffer_load_dword v82, off, s[24:27], 0 offset:56 ; 4-byte Folded Reload
	v_add_f64 v[108:109], v[6:7], v[74:75]
	v_add_f64 v[74:75], v[14:15], v[74:75]
	v_cvt_f32_f64_e32 v105, v[108:109]
	v_cvt_f32_f64_e32 v108, v[126:127]
	;; [unrolled: 1-line block ×3, first 2 shown]
	v_add_f64 v[74:75], v[8:9], v[68:69]
	s_waitcnt vmcnt(0)
	v_min3_f32 v85, v139, v140, v82
	buffer_load_dword v82, off, s[24:27], 0 offset:52 ; 4-byte Folded Reload
	v_add_f64 v[138:139], v[4:5], v[72:73]
	v_cvt_f32_f64_e32 v112, v[138:139]
	v_min3_f32 v138, v168, v169, v146
	v_min3_f32 v146, v111, v112, v158
	s_waitcnt vmcnt(0)
	v_min3_f32 v86, v141, v142, v82
	buffer_load_dword v82, off, s[24:27], 0 offset:48 ; 4-byte Folded Reload
	v_add_f64 v[140:141], v[6:7], v[70:71]
	v_cvt_f32_f64_e32 v113, v[140:141]
	v_min3_f32 v140, v99, v100, v152
	s_waitcnt vmcnt(0)
	v_min3_f32 v83, v143, v144, v82
	buffer_load_dword v82, off, s[24:27], 0 offset:44 ; 4-byte Folded Reload
	v_add_f64 v[142:143], v[8:9], v[72:73]
	v_cvt_f32_f64_e32 v126, v[142:143]
	v_min3_f32 v142, v103, v104, v154
	v_min3_f32 v143, v105, v106, v155
	v_add_f64 v[104:105], v[12:13], v[60:61]
	v_cvt_f32_f64_e32 v155, v[104:105]
	v_add_f64 v[104:105], v[12:13], v[48:49]
	s_waitcnt vmcnt(0)
	v_min3_f32 v84, v145, v162, v82
	buffer_load_dword v82, off, s[24:27], 0 offset:40 ; 4-byte Folded Reload
	v_add_f64 v[144:145], v[10:11], v[70:71]
	v_add_f64 v[70:71], v[14:15], v[70:71]
	v_cvt_f32_f64_e32 v127, v[144:145]
	v_cvt_f32_f64_e32 v129, v[70:71]
	v_add_f64 v[70:71], v[4:5], v[68:69]
	v_min3_f32 v145, v109, v110, v157
	v_min3_f32 v144, v107, v108, v156
	v_add_f64 v[106:107], v[2:3], v[54:55]
	v_add_f64 v[108:109], v[4:5], v[56:57]
	v_cvt_f32_f64_e32 v111, v[70:71]
	v_add_f64 v[70:71], v[6:7], v[62:63]
	v_cvt_f32_f64_e32 v106, v[106:107]
	v_cvt_f32_f64_e32 v107, v[108:109]
	s_waitcnt vmcnt(0)
	v_min3_f32 v82, v163, v164, v82
	v_cvt_f32_f64_e32 v164, v[0:1]
	v_add_f64 v[0:1], v[6:7], v[78:79]
	v_add_f64 v[78:79], v[14:15], v[78:79]
	;; [unrolled: 1-line block ×4, first 2 shown]
	v_cvt_f32_f64_e32 v170, v[0:1]
	v_cvt_f32_f64_e32 v101, v[78:79]
	;; [unrolled: 1-line block ×4, first 2 shown]
	v_add_f64 v[0:1], v[2:3], v[66:67]
	v_add_f64 v[72:73], v[6:7], v[66:67]
	v_add_f64 v[78:79], v[12:13], v[68:69]
	v_add_f64 v[68:69], v[16:17], v[68:69]
	buffer_load_dword v66, off, s[24:27], 0 offset:36 ; 4-byte Folded Reload
	v_min3_f32 v139, v170, v98, v147
	v_min3_f32 v141, v101, v102, v153
	;; [unrolled: 1-line block ×5, first 2 shown]
	v_cvt_f32_f64_e32 v110, v[0:1]
	v_cvt_f32_f64_e32 v112, v[72:73]
	;; [unrolled: 1-line block ×7, first 2 shown]
	v_add_f64 v[0:1], v[2:3], v[62:63]
	v_add_f64 v[68:69], v[4:5], v[64:65]
	;; [unrolled: 1-line block ×14, first 2 shown]
	v_min3_f32 v184, v110, v111, v148
	v_min3_f32 v185, v112, v113, v149
	v_cvt_f32_f64_e32 v112, v[70:71]
	v_min3_f32 v186, v126, v127, v150
	v_add_f64 v[70:71], v[6:7], v[50:51]
	v_min3_f32 v189, v128, v129, v151
	v_cvt_f32_f64_e32 v110, v[0:1]
	v_cvt_f32_f64_e32 v111, v[68:69]
	v_cvt_f32_f64_e32 v113, v[72:73]
	v_cvt_f32_f64_e32 v126, v[74:75]
	v_cvt_f32_f64_e32 v127, v[76:77]
	v_cvt_f32_f64_e32 v128, v[62:63]
	v_cvt_f32_f64_e32 v129, v[64:65]
	v_cvt_f32_f64_e32 v150, v[78:79]
	v_cvt_f32_f64_e32 v151, v[80:81]
	v_cvt_f32_f64_e32 v152, v[98:99]
	v_cvt_f32_f64_e32 v153, v[100:101]
	v_cvt_f32_f64_e32 v154, v[102:103]
	v_cvt_f32_f64_e32 v156, v[58:59]
	v_cvt_f32_f64_e32 v157, v[60:61]
	v_add_f64 v[0:1], v[6:7], v[54:55]
	v_add_f64 v[58:59], v[8:9], v[56:57]
	;; [unrolled: 1-line block ×20, first 2 shown]
	v_min3_f32 v150, v150, v151, v134
	v_min3_f32 v151, v152, v153, v135
	v_cvt_f32_f64_e32 v108, v[0:1]
	v_cvt_f32_f64_e32 v58, v[58:59]
	;; [unrolled: 1-line block ×16, first 2 shown]
	v_add_f64 v[0:1], v[2:3], v[42:43]
	v_min3_f32 v153, v156, v157, v137
	v_cvt_f32_f64_e32 v71, v[46:47]
	v_cvt_f32_f64_e32 v48, v[48:49]
	v_add_f64 v[46:47], v[4:5], v[44:45]
	v_cvt_f32_f64_e32 v65, v[98:99]
	v_cvt_f32_f64_e32 v68, v[100:101]
	v_cvt_f32_f64_e32 v69, v[102:103]
	v_cvt_f32_f64_e32 v70, v[104:105]
	v_min3_f32 v156, v59, v60, v211
	v_min3_f32 v152, v154, v155, v136
	;; [unrolled: 1-line block ×3, first 2 shown]
	v_add_f64 v[54:55], v[4:5], v[40:41]
	v_min3_f32 v158, v56, v57, v209
	v_add_f64 v[56:57], v[6:7], v[38:39]
	v_min3_f32 v159, v61, v62, v206
	;; [unrolled: 2-line block ×5, first 2 shown]
	v_cvt_f32_f64_e32 v78, v[0:1]
	v_add_f64 v[0:1], v[6:7], v[42:43]
	v_add_f64 v[52:53], v[2:3], v[38:39]
	v_min3_f32 v177, v71, v48, v125
	v_cvt_f32_f64_e32 v79, v[46:47]
	v_add_f64 v[46:47], v[8:9], v[44:45]
	v_add_f64 v[48:49], v[10:11], v[42:43]
	;; [unrolled: 1-line block ×4, first 2 shown]
	v_min3_f32 v155, v108, v58, v210
	v_min3_f32 v175, v65, v68, v215
	;; [unrolled: 1-line block ×3, first 2 shown]
	v_add_f64 v[58:59], v[8:9], v[40:41]
	v_add_f64 v[38:39], v[14:15], v[38:39]
	;; [unrolled: 1-line block ×11, first 2 shown]
	v_cvt_f32_f64_e32 v80, v[0:1]
	v_cvt_f32_f64_e32 v52, v[52:53]
	;; [unrolled: 1-line block ×10, first 2 shown]
	v_add_f64 v[42:43], v[12:13], v[32:33]
	v_add_f64 v[44:45], v[2:3], v[26:27]
	v_cvt_f32_f64_e32 v55, v[58:59]
	v_cvt_f32_f64_e32 v58, v[38:39]
	;; [unrolled: 1-line block ×4, first 2 shown]
	v_add_f64 v[0:1], v[2:3], v[30:31]
	v_add_f64 v[38:39], v[8:9], v[32:33]
	;; [unrolled: 1-line block ×3, first 2 shown]
	v_cvt_f32_f64_e32 v81, v[46:47]
	v_cvt_f32_f64_e32 v68, v[34:35]
	;; [unrolled: 1-line block ×3, first 2 shown]
	v_add_f64 v[34:35], v[4:5], v[32:33]
	v_add_f64 v[36:37], v[6:7], v[30:31]
	;; [unrolled: 1-line block ×5, first 2 shown]
	v_cvt_f32_f64_e32 v60, v[64:65]
	v_min3_f32 v182, v48, v49, v116
	v_min3_f32 v116, v52, v53, v118
	;; [unrolled: 1-line block ×4, first 2 shown]
	v_cvt_f32_f64_e32 v53, v[42:43]
	v_cvt_f32_f64_e32 v56, v[44:45]
	v_add_f64 v[42:43], v[8:9], v[24:25]
	v_add_f64 v[44:45], v[10:11], v[22:23]
	v_min3_f32 v117, v54, v55, v119
	v_cvt_f32_f64_e32 v62, v[70:71]
	v_cvt_f32_f64_e32 v48, v[0:1]
	;; [unrolled: 1-line block ×3, first 2 shown]
	v_add_f64 v[0:1], v[6:7], v[26:27]
	v_add_f64 v[38:39], v[4:5], v[24:25]
	v_cvt_f32_f64_e32 v52, v[40:41]
	v_add_f64 v[40:41], v[6:7], v[22:23]
	v_cvt_f32_f64_e32 v49, v[34:35]
	v_cvt_f32_f64_e32 v50, v[36:37]
	;; [unrolled: 1-line block ×4, first 2 shown]
	v_add_f64 v[30:31], v[8:9], v[28:29]
	v_add_f64 v[32:33], v[10:11], v[26:27]
	;; [unrolled: 1-line block ×6, first 2 shown]
	v_cvt_f32_f64_e32 v57, v[46:47]
	v_add_f64 v[46:47], v[12:13], v[24:25]
	v_cvt_f32_f64_e32 v42, v[42:43]
	v_cvt_f32_f64_e32 v43, v[44:45]
	s_clause 0x1
	buffer_load_dword v45, off, s[24:27], 0 offset:144
	buffer_load_dword v67, off, s[24:27], 0 offset:32
	v_add_f64 v[22:23], v[14:15], v[22:23]
	v_add_f64 v[24:25], v[16:17], v[24:25]
	;; [unrolled: 1-line block ×6, first 2 shown]
	v_cvt_f32_f64_e32 v63, v[72:73]
	v_cvt_f32_f64_e32 v64, v[74:75]
	;; [unrolled: 1-line block ×11, first 2 shown]
	v_add_f64 v[10:11], v[10:11], v[18:19]
	v_add_f64 v[12:13], v[12:13], v[20:21]
	v_add_f64 v[14:15], v[14:15], v[18:19]
	v_add_f64 v[16:17], v[16:17], v[20:21]
	v_min3_f32 v119, v58, v59, v121
	v_cvt_f32_f64_e32 v58, v[40:41]
	v_cvt_f32_f64_e32 v44, v[46:47]
	;; [unrolled: 1-line block ×8, first 2 shown]
	v_min3_f32 v191, v110, v111, v130
	v_min3_f32 v200, v112, v113, v131
	;; [unrolled: 1-line block ×6, first 2 shown]
	ds_read_b128 v[18:21], v187
	ds_read_b128 v[62:65], v187 offset:256
	v_min3_f32 v130, v30, v31, v90
	v_min3_f32 v131, v26, v27, v87
	;; [unrolled: 1-line block ×3, first 2 shown]
	v_cvt_f32_f64_e32 v6, v[10:11]
	v_cvt_f32_f64_e32 v7, v[12:13]
	;; [unrolled: 1-line block ×4, first 2 shown]
	v_min3_f32 v149, v128, v129, v133
	v_min3_f32 v154, v106, v107, v207
	;; [unrolled: 1-line block ×16, first 2 shown]
	s_waitcnt vmcnt(2)
	v_min3_f32 v66, v164, v165, v66
	v_min3_f32 v114, v6, v7, v66
	s_waitcnt vmcnt(1)
	ds_read_b128 v[38:41], v45
	ds_read_b128 v[34:37], v45 offset:1024
	ds_read_b128 v[30:33], v45 offset:2048
	;; [unrolled: 1-line block ×3, first 2 shown]
	s_waitcnt vmcnt(0)
	v_min3_f32 v67, v166, v167, v67
	ds_read_b128 v[58:61], v187 offset:512
	ds_read_b128 v[54:57], v187 offset:768
	;; [unrolled: 1-line block ×6, first 2 shown]
	v_min3_f32 v115, v8, v9, v67
	ds_read_b128 v[6:9], v45 offset:2064
	s_waitcnt lgkmcnt(10)
	v_add_f64 v[78:79], v[38:39], v[18:19]
	s_waitcnt lgkmcnt(9)
	v_add_f64 v[82:83], v[34:35], v[18:19]
	;; [unrolled: 2-line block ×3, first 2 shown]
	v_add_f64 v[86:87], v[30:31], v[18:19]
	s_waitcnt lgkmcnt(7)
	v_add_f64 v[84:85], v[28:29], v[20:21]
	v_add_f64 v[88:89], v[26:27], v[18:19]
	v_add_f64 v[92:93], v[38:39], v[62:63]
	v_add_f64 v[90:91], v[40:41], v[64:65]
	v_add_f64 v[108:109], v[34:35], v[62:63]
	v_add_f64 v[106:107], v[36:37], v[64:65]
	v_add_f64 v[112:113], v[30:31], v[62:63]
	v_add_f64 v[110:111], v[32:33], v[64:65]
	v_add_f64 v[70:71], v[40:41], v[20:21]
	v_add_f64 v[72:73], v[36:37], v[20:21]
	ds_read_b128 v[18:21], v187 offset:272
	ds_read_b128 v[46:49], v187 offset:1024
	;; [unrolled: 1-line block ×9, first 2 shown]
	v_add_f64 v[0:1], v[28:29], v[64:65]
	s_waitcnt lgkmcnt(14)
	v_add_f64 v[162:163], v[30:31], v[54:55]
	v_add_f64 v[164:165], v[28:29], v[56:57]
	;; [unrolled: 1-line block ×3, first 2 shown]
	v_cvt_f32_f64_e32 v188, v[78:79]
	v_cvt_f32_f64_e32 v204, v[82:83]
	;; [unrolled: 1-line block ×12, first 2 shown]
	v_add_f64 v[78:79], v[26:27], v[62:63]
	v_add_f64 v[80:81], v[40:41], v[60:61]
	;; [unrolled: 1-line block ×14, first 2 shown]
	s_waitcnt lgkmcnt(7)
	v_add_f64 v[168:169], v[38:39], v[46:47]
	v_add_f64 v[170:171], v[40:41], v[48:49]
	;; [unrolled: 1-line block ×4, first 2 shown]
	v_cvt_f32_f64_e32 v203, v[70:71]
	v_cvt_f32_f64_e32 v205, v[72:73]
	;; [unrolled: 1-line block ×24, first 2 shown]
	v_min3_f32 v106, v188, v203, v138
	v_min3_f32 v107, v204, v205, v139
	v_min3_f32 v108, v206, v207, v140
	v_min3_f32 v109, v208, v209, v141
	v_min3_f32 v110, v210, v211, v142
	v_min3_f32 v111, v212, v213, v143
	v_min3_f32 v112, v214, v215, v144
	v_min3_f32 v113, v216, v0, v145
	v_min3_f32 v138, v1, v217, v146
	v_min3_f32 v139, v218, v219, v147
	v_min3_f32 v140, v220, v221, v178
	v_min3_f32 v141, v58, v59, v179
	v_add_f64 v[0:1], v[32:33], v[48:49]
	v_min3_f32 v142, v60, v61, v184
	s_waitcnt lgkmcnt(6)
	v_add_f64 v[170:171], v[34:35], v[42:43]
	v_min3_f32 v143, v222, v223, v185
	v_min3_f32 v144, v162, v163, v186
	;; [unrolled: 1-line block ×3, first 2 shown]
	v_add_f64 v[162:163], v[26:27], v[46:47]
	v_min3_f32 v146, v165, v167, v191
	v_add_f64 v[164:165], v[40:41], v[44:45]
	v_min3_f32 v147, v168, v169, v200
	v_add_f64 v[166:167], v[38:39], v[42:43]
	v_add_f64 v[168:169], v[36:37], v[44:45]
	;; [unrolled: 1-line block ×6, first 2 shown]
	s_waitcnt lgkmcnt(5)
	v_add_f64 v[200:201], v[40:41], v[52:53]
	v_add_f64 v[202:203], v[38:39], v[50:51]
	;; [unrolled: 1-line block ×10, first 2 shown]
	s_waitcnt lgkmcnt(4)
	v_add_f64 v[216:217], v[38:39], v[66:67]
	v_add_f64 v[218:219], v[40:41], v[68:69]
	v_cvt_f32_f64_e32 v191, v[0:1]
	v_cvt_f32_f64_e32 v220, v[162:163]
	;; [unrolled: 1-line block ×18, first 2 shown]
	v_add_f64 v[0:1], v[36:37], v[68:69]
	v_add_f64 v[162:163], v[34:35], v[66:67]
	;; [unrolled: 1-line block ×6, first 2 shown]
	s_waitcnt lgkmcnt(3)
	v_add_f64 v[172:173], v[40:41], v[104:105]
	v_add_f64 v[178:179], v[38:39], v[102:103]
	;; [unrolled: 1-line block ×8, first 2 shown]
	s_waitcnt lgkmcnt(2)
	v_add_f64 v[204:205], v[38:39], v[74:75]
	v_add_f64 v[206:207], v[40:41], v[76:77]
	;; [unrolled: 1-line block ×8, first 2 shown]
	v_cvt_f32_f64_e32 v186, v[58:59]
	v_cvt_f32_f64_e32 v221, v[60:61]
	;; [unrolled: 1-line block ×26, first 2 shown]
	ds_read_b128 v[70:73], v187 offset:528
	ds_read_b128 v[62:65], v187 offset:784
	;; [unrolled: 1-line block ×7, first 2 shown]
	v_min3_f32 v178, v186, v191, v148
	v_min3_f32 v179, v220, v221, v149
	;; [unrolled: 1-line block ×22, first 2 shown]
	s_waitcnt lgkmcnt(8)
	v_add_f64 v[0:1], v[40:41], v[100:101]
	v_add_f64 v[162:163], v[38:39], v[98:99]
	;; [unrolled: 1-line block ×8, first 2 shown]
	s_waitcnt lgkmcnt(7)
	v_add_f64 v[180:181], v[40:41], v[96:97]
	v_add_f64 v[182:183], v[38:39], v[94:95]
	v_add_f64 v[184:185], v[36:37], v[96:97]
	v_add_f64 v[188:189], v[34:35], v[94:95]
	v_add_f64 v[200:201], v[32:33], v[96:97]
	v_add_f64 v[202:203], v[30:31], v[94:95]
	v_add_f64 v[204:205], v[28:29], v[96:97]
	v_add_f64 v[206:207], v[26:27], v[94:95]
	s_waitcnt lgkmcnt(3)
	v_add_f64 v[208:209], v[38:39], v[90:91]
	v_add_f64 v[210:211], v[40:41], v[92:93]
	;; [unrolled: 1-line block ×6, first 2 shown]
	v_cvt_f32_f64_e32 v191, v[0:1]
	v_cvt_f32_f64_e32 v186, v[162:163]
	v_cvt_f32_f64_e32 v221, v[164:165]
	v_cvt_f32_f64_e32 v220, v[166:167]
	v_cvt_f32_f64_e32 v223, v[168:169]
	v_cvt_f32_f64_e32 v222, v[170:171]
	v_cvt_f32_f64_e32 v225, v[172:173]
	v_cvt_f32_f64_e32 v224, v[176:177]
	v_cvt_f32_f64_e32 v227, v[180:181]
	v_cvt_f32_f64_e32 v226, v[182:183]
	v_cvt_f32_f64_e32 v229, v[184:185]
	v_cvt_f32_f64_e32 v228, v[188:189]
	v_cvt_f32_f64_e32 v231, v[200:201]
	v_cvt_f32_f64_e32 v230, v[202:203]
	v_cvt_f32_f64_e32 v233, v[204:205]
	v_cvt_f32_f64_e32 v232, v[206:207]
	v_cvt_f32_f64_e32 v234, v[208:209]
	v_cvt_f32_f64_e32 v235, v[210:211]
	v_add_f64 v[0:1], v[28:29], v[92:93]
	v_add_f64 v[162:163], v[26:27], v[90:91]
	s_waitcnt lgkmcnt(2)
	v_add_f64 v[164:165], v[40:41], v[88:89]
	v_add_f64 v[166:167], v[38:39], v[86:87]
	;; [unrolled: 1-line block ×8, first 2 shown]
	s_waitcnt lgkmcnt(1)
	v_add_f64 v[184:185], v[40:41], v[84:85]
	v_add_f64 v[188:189], v[38:39], v[82:83]
	;; [unrolled: 1-line block ×8, first 2 shown]
	s_waitcnt lgkmcnt(0)
	v_add_f64 v[38:39], v[38:39], v[78:79]
	v_add_f64 v[40:41], v[40:41], v[80:81]
	;; [unrolled: 1-line block ×4, first 2 shown]
	v_cvt_f32_f64_e32 v212, v[212:213]
	v_cvt_f32_f64_e32 v213, v[214:215]
	;; [unrolled: 1-line block ×26, first 2 shown]
	v_min3_f32 v176, v186, v191, v116
	v_min3_f32 v177, v220, v221, v117
	;; [unrolled: 1-line block ×22, first 2 shown]
	v_add_f64 v[0:1], v[30:31], v[78:79]
	v_add_f64 v[30:31], v[32:33], v[80:81]
	;; [unrolled: 1-line block ×22, first 2 shown]
	v_cvt_f32_f64_e32 v180, v[0:1]
	v_cvt_f32_f64_e32 v181, v[30:31]
	;; [unrolled: 1-line block ×17, first 2 shown]
	v_add_f64 v[0:1], v[10:11], v[70:71]
	v_cvt_f32_f64_e32 v166, v[18:19]
	v_cvt_f32_f64_e32 v167, v[20:21]
	v_add_f64 v[18:19], v[12:13], v[72:73]
	v_add_f64 v[20:21], v[6:7], v[70:71]
	;; [unrolled: 1-line block ×21, first 2 shown]
	v_cvt_f32_f64_e32 v0, v[0:1]
	v_cvt_f32_f64_e32 v1, v[18:19]
	;; [unrolled: 1-line block ×22, first 2 shown]
	ds_read_b128 v[46:49], v187 offset:1296
	ds_read_b128 v[42:45], v187 offset:1552
	v_cvt_f32_f64_e32 v165, v[168:169]
	v_min3_f32 v245, v0, v1, v139
	v_min3_f32 v246, v20, v21, v140
	;; [unrolled: 1-line block ×3, first 2 shown]
	ds_read_b128 v[50:53], v187 offset:1808
	ds_read_b128 v[66:69], v187 offset:2064
	v_min3_f32 v243, v24, v25, v142
	v_min3_f32 v241, v26, v27, v143
	ds_read_b128 v[58:61], v187 offset:2320
	ds_read_b128 v[74:77], v187 offset:2576
	v_min3_f32 v242, v28, v29, v144
	v_min3_f32 v240, v30, v31, v145
	v_min3_f32 v18, v180, v181, v114
	v_min3_f32 v224, v32, v33, v146
	v_min3_f32 v19, v182, v183, v115
	v_min3_f32 v221, v62, v63, v147
	v_min3_f32 v190, v189, v191, v108
	v_min3_f32 v222, v64, v65, v178
	s_waitcnt lgkmcnt(5)
	v_add_f64 v[0:1], v[14:15], v[46:47]
	v_min3_f32 v218, v54, v55, v179
	v_add_f64 v[20:21], v[16:17], v[48:49]
	v_add_f64 v[22:23], v[10:11], v[46:47]
	;; [unrolled: 1-line block ×7, first 2 shown]
	s_waitcnt lgkmcnt(4)
	v_add_f64 v[46:47], v[14:15], v[42:43]
	v_add_f64 v[48:49], v[16:17], v[44:45]
	;; [unrolled: 1-line block ×8, first 2 shown]
	v_min3_f32 v234, v202, v203, v110
	v_min3_f32 v249, v162, v163, v111
	v_min3_f32 v191, v164, v165, v112
	v_min3_f32 v248, v166, v167, v113
	ds_read_b128 v[98:101], v187 offset:2832
	ds_read_b128 v[94:97], v187 offset:3088
	v_cvt_f32_f64_e32 v110, v[0:1]
	v_cvt_f32_f64_e32 v111, v[20:21]
	;; [unrolled: 1-line block ×6, first 2 shown]
	s_waitcnt lgkmcnt(5)
	v_add_f64 v[0:1], v[2:3], v[50:51]
	v_add_f64 v[20:21], v[4:5], v[52:53]
	v_cvt_f32_f64_e32 v130, v[46:47]
	v_cvt_f32_f64_e32 v131, v[48:49]
	s_waitcnt lgkmcnt(4)
	v_add_f64 v[22:23], v[14:15], v[66:67]
	v_add_f64 v[24:25], v[16:17], v[68:69]
	;; [unrolled: 1-line block ×4, first 2 shown]
	v_cvt_f32_f64_e32 v136, v[42:43]
	v_cvt_f32_f64_e32 v137, v[44:45]
	v_add_f64 v[42:43], v[2:3], v[66:67]
	v_add_f64 v[44:45], v[4:5], v[68:69]
	s_waitcnt lgkmcnt(3)
	v_add_f64 v[46:47], v[14:15], v[58:59]
	v_add_f64 v[48:49], v[16:17], v[60:61]
	ds_read_b128 v[90:93], v187 offset:3344
	ds_read_b128 v[86:89], v187 offset:3600
	;; [unrolled: 1-line block ×3, first 2 shown]
	v_min3_f32 v180, v184, v185, v106
	v_min3_f32 v187, v186, v188, v107
	;; [unrolled: 1-line block ×3, first 2 shown]
	v_add_f64 v[70:71], v[14:15], v[50:51]
	v_add_f64 v[72:73], v[16:17], v[52:53]
	;; [unrolled: 1-line block ×6, first 2 shown]
	v_cvt_f32_f64_e32 v128, v[30:31]
	v_cvt_f32_f64_e32 v129, v[32:33]
	v_add_f64 v[30:31], v[6:7], v[66:67]
	v_add_f64 v[32:33], v[8:9], v[68:69]
	v_add_f64 v[50:51], v[10:11], v[58:59]
	v_add_f64 v[52:53], v[12:13], v[60:61]
	s_waitcnt lgkmcnt(5)
	v_add_f64 v[66:67], v[10:11], v[74:75]
	v_add_f64 v[68:69], v[12:13], v[76:77]
	v_cvt_f32_f64_e32 v0, v[0:1]
	v_cvt_f32_f64_e32 v1, v[20:21]
	;; [unrolled: 1-line block ×15, first 2 shown]
	v_add_f64 v[54:55], v[6:7], v[58:59]
	v_add_f64 v[58:59], v[2:3], v[58:59]
	;; [unrolled: 1-line block ×4, first 2 shown]
	v_cvt_f32_f64_e32 v24, v[30:31]
	v_cvt_f32_f64_e32 v25, v[32:33]
	;; [unrolled: 1-line block ×6, first 2 shown]
	v_min3_f32 v229, v0, v1, v155
	v_min3_f32 v199, v20, v21, v156
	v_add_f64 v[0:1], v[6:7], v[74:75]
	v_add_f64 v[20:21], v[8:9], v[76:77]
	v_min3_f32 v193, v26, v27, v159
	s_waitcnt lgkmcnt(4)
	v_add_f64 v[26:27], v[14:15], v[98:99]
	v_min3_f32 v192, v28, v29, v160
	v_add_f64 v[28:29], v[16:17], v[100:101]
	s_waitcnt lgkmcnt(3)
	v_add_f64 v[50:51], v[14:15], v[94:95]
	v_add_f64 v[52:53], v[16:17], v[96:97]
	v_cvt_f32_f64_e32 v133, v[56:57]
	v_add_f64 v[56:57], v[8:9], v[60:61]
	v_add_f64 v[60:61], v[4:5], v[60:61]
	v_cvt_f32_f64_e32 v32, v[54:55]
	v_cvt_f32_f64_e32 v42, v[58:59]
	;; [unrolled: 1-line block ×4, first 2 shown]
	v_min3_f32 v220, v70, v71, v152
	v_min3_f32 v198, v22, v23, v157
	;; [unrolled: 1-line block ×3, first 2 shown]
	v_add_f64 v[22:23], v[2:3], v[74:75]
	v_min3_f32 v215, v46, v47, v177
	v_add_f64 v[24:25], v[4:5], v[76:77]
	v_add_f64 v[46:47], v[2:3], v[98:99]
	;; [unrolled: 1-line block ×7, first 2 shown]
	v_cvt_f32_f64_e32 v70, v[0:1]
	v_cvt_f32_f64_e32 v71, v[20:21]
	;; [unrolled: 1-line block ×6, first 2 shown]
	s_waitcnt lgkmcnt(2)
	v_add_f64 v[0:1], v[10:11], v[90:91]
	v_add_f64 v[20:21], v[12:13], v[92:93]
	;; [unrolled: 1-line block ×4, first 2 shown]
	s_waitcnt lgkmcnt(1)
	v_add_f64 v[50:51], v[2:3], v[86:87]
	v_add_f64 v[52:53], v[4:5], v[88:89]
	s_waitcnt lgkmcnt(0)
	v_add_f64 v[2:3], v[2:3], v[82:83]
	v_add_f64 v[4:5], v[4:5], v[84:85]
	v_cvt_f32_f64_e32 v33, v[56:57]
	v_cvt_f32_f64_e32 v43, v[60:61]
	;; [unrolled: 1-line block ×4, first 2 shown]
	s_clause 0x1
	buffer_load_dword v173, off, s[24:27], 0 offset:8
	buffer_load_dword v172, off, s[24:27], 0 offset:4
	v_min3_f32 v255, v44, v45, v176
	s_clause 0x1
	buffer_load_dword v176, off, s[24:27], 0 offset:20
	buffer_load_dword v171, off, s[24:27], 0 offset:148
	v_cvt_f32_f64_e32 v72, v[78:79]
	v_cvt_f32_f64_e32 v73, v[80:81]
	;; [unrolled: 1-line block ×4, first 2 shown]
	v_min3_f32 v226, v30, v31, v161
	v_add_f64 v[30:31], v[10:11], v[98:99]
	v_cvt_f32_f64_e32 v0, v[0:1]
	v_cvt_f32_f64_e32 v1, v[20:21]
	v_add_f64 v[44:45], v[8:9], v[100:101]
	v_add_f64 v[56:57], v[12:13], v[96:97]
	;; [unrolled: 1-line block ×4, first 2 shown]
	v_cvt_f32_f64_e32 v2, v[2:3]
	v_cvt_f32_f64_e32 v3, v[4:5]
	v_min3_f32 v227, v32, v33, v174
	buffer_load_dword v174, off, s[24:27], 0 offset:12 ; 4-byte Folded Reload
	v_min3_f32 v225, v42, v43, v175
	buffer_load_dword v175, off, s[24:27], 0 offset:16 ; 4-byte Folded Reload
	v_add_f64 v[32:33], v[12:13], v[100:101]
	v_add_f64 v[42:43], v[6:7], v[98:99]
	;; [unrolled: 1-line block ×3, first 2 shown]
	v_cvt_f32_f64_e32 v80, v[46:47]
	v_cvt_f32_f64_e32 v81, v[48:49]
	v_min3_f32 v230, v72, v73, v153
	v_cvt_f32_f64_e32 v72, v[22:23]
	v_min3_f32 v219, v78, v79, v154
	v_cvt_f32_f64_e32 v73, v[24:25]
	v_cvt_f32_f64_e32 v76, v[30:31]
	v_add_f64 v[22:23], v[6:7], v[90:91]
	v_min3_f32 v207, v0, v1, v119
	buffer_load_dword v1, off, s[24:27], 0  ; 4-byte Folded Reload
	v_cvt_f32_f64_e32 v79, v[44:45]
	v_add_f64 v[24:25], v[8:9], v[92:93]
	v_add_f64 v[30:31], v[14:15], v[86:87]
	;; [unrolled: 1-line block ×3, first 2 shown]
	v_min3_f32 v188, v2, v3, v19
	s_clause 0x3
	buffer_load_dword v2, off, s[24:27], 0 offset:92
	buffer_load_dword v3, off, s[24:27], 0 offset:96
	;; [unrolled: 1-line block ×4, first 2 shown]
	v_add_f64 v[46:47], v[6:7], v[86:87]
	v_add_f64 v[48:49], v[8:9], v[88:89]
	;; [unrolled: 1-line block ×3, first 2 shown]
	v_cvt_f32_f64_e32 v77, v[32:33]
	v_cvt_f32_f64_e32 v78, v[42:43]
	v_add_f64 v[32:33], v[16:17], v[88:89]
	v_add_f64 v[42:43], v[10:11], v[86:87]
	;; [unrolled: 1-line block ×7, first 2 shown]
	v_cvt_f32_f64_e32 v54, v[54:55]
	v_cvt_f32_f64_e32 v55, v[56:57]
	;; [unrolled: 1-line block ×26, first 2 shown]
	v_min3_f32 v247, v168, v169, v138
	v_min3_f32 v239, v110, v111, v102
	;; [unrolled: 1-line block ×29, first 2 shown]
	s_waitcnt vmcnt(7)
	v_add_nc_u32_e32 v0, 0x1000, v171
	s_waitcnt vmcnt(4)
	v_add_co_u32 v1, vcc_lo, v1, 64
	v_add_co_ci_u32_e64 v172, null, 0, v172, vcc_lo
	v_add_co_u32 v173, vcc_lo, v173, 64
	s_waitcnt vmcnt(0)
	ds_write2st64_b64 v0, v[2:3], v[4:5] offset1:4
	s_clause 0x5
	buffer_load_dword v2, off, s[24:27], 0 offset:100
	buffer_load_dword v3, off, s[24:27], 0 offset:104
	;; [unrolled: 1-line block ×6, first 2 shown]
	v_add_co_ci_u32_e64 v174, null, 0, v174, vcc_lo
	v_add_co_u32 v175, vcc_lo, v175, 64
	v_add_co_ci_u32_e64 v176, null, 0, v176, vcc_lo
	v_add_nc_u32_e32 v0, 0x3000, v171
	s_waitcnt vmcnt(2)
	ds_write2st64_b64 v0, v[2:3], v[4:5] offset1:4
	s_waitcnt vmcnt(1)
	v_add_co_u32 v177, vcc_lo, v177, 64
	s_waitcnt vmcnt(0)
	v_add_co_ci_u32_e64 v178, null, 0, v178, vcc_lo
	s_waitcnt lgkmcnt(0)
	s_waitcnt_vscnt null, 0x0
	s_barrier
	buffer_gl0_inv
	s_cbranch_scc1 .LBB113_28
; %bb.27:                               ;   in Loop: Header=BB113_18 Depth=1
	buffer_load_dword v170, off, s[24:27], 0 offset:164 ; 4-byte Folded Reload
	s_branch .LBB113_18
.LBB113_28:
	s_clause 0x2
	buffer_load_dword v163, off, s[24:27], 0 offset:168
	buffer_load_dword v162, off, s[24:27], 0 offset:172
	;; [unrolled: 1-line block ×3, first 2 shown]
.LBB113_29:
	buffer_load_dword v0, off, s[24:27], 0 offset:144 ; 4-byte Folded Reload
	s_waitcnt vmcnt(1)
	ds_read_b128 v[158:161], v166 offset:12288
	v_add_nc_u32_e32 v168, s15, v163
	v_add_nc_u32_e32 v162, s14, v162
	s_waitcnt vmcnt(0)
	ds_read_b128 v[38:41], v0 offset:4096
	ds_read_b128 v[34:37], v0 offset:4112
	ds_read_b128 v[154:157], v166 offset:12304
	s_clause 0x2
	s_load_dword s1, s[4:5], 0x58
	s_load_dword s8, s[4:5], 0x70
	s_load_dwordx2 s[4:5], s[4:5], 0x78
	ds_read_b128 v[22:25], v0 offset:5120
	ds_read_b128 v[30:33], v0 offset:5136
	;; [unrolled: 1-line block ×34, first 2 shown]
	v_ashrrev_i32_e32 v163, 31, v162
	v_add_nc_u32_e32 v0, 32, v162
	v_ashrrev_i32_e32 v1, 31, v0
	s_waitcnt lgkmcnt(0)
	v_add_f64 v[10:11], v[38:39], v[158:159]
	v_add_f64 v[12:13], v[40:41], v[160:161]
	;; [unrolled: 1-line block ×4, first 2 shown]
	v_mad_i64_i32 v[164:165], null, v168, s8, 0
	s_lshl_b64 s[4:5], s[4:5], 3
	s_add_u32 s4, s6, s4
	s_addc_u32 s5, s7, s5
	s_mov_b32 s6, -1
	v_lshlrev_b64 v[164:165], 3, v[164:165]
	v_cvt_f32_f64_e32 v169, v[10:11]
	v_cvt_f32_f64_e32 v170, v[12:13]
	;; [unrolled: 1-line block ×4, first 2 shown]
	ds_read_b128 v[10:13], v166 offset:16128
	ds_read_b128 v[14:17], v166 offset:16144
	v_mad_i64_i32 v[166:167], null, v168, s1, 0
	v_lshlrev_b64 v[166:167], 3, v[166:167]
	v_min3_f32 v169, v169, v170, v180
	v_min3_f32 v173, v171, v172, v169
	v_add_co_u32 v169, vcc_lo, s4, v164
	v_add_co_ci_u32_e64 v170, null, s5, v165, vcc_lo
	v_add_co_u32 v171, vcc_lo, s10, v166
	v_lshlrev_b64 v[164:165], 3, v[162:163]
	v_add_co_ci_u32_e64 v172, null, s11, v167, vcc_lo
	v_max_f32_e32 v166, v173, v173
	s_mov_b32 vcc_lo, s0
	s_cbranch_vccz .LBB113_31
; %bb.30:
	v_min_f32_e32 v163, 0, v166
	v_add_co_u32 v175, vcc_lo, v169, v164
	v_add_co_ci_u32_e64 v176, null, v170, v165, vcc_lo
	v_cvt_f64_f32_e32 v[173:174], v163
	s_mov_b32 s6, 0
	flat_store_dwordx2 v[175:176], v[173:174]
.LBB113_31:
	v_lshlrev_b64 v[0:1], 3, v[0:1]
	v_mov_b32_e32 v163, 0
	s_andn2_b32 vcc_lo, exec_lo, s6
	s_cbranch_vccnz .LBB113_33
; %bb.32:
	v_add_co_u32 v173, vcc_lo, v171, v164
	v_add_co_ci_u32_e64 v174, null, v172, v165, vcc_lo
	flat_load_dwordx2 v[173:174], v[173:174]
	s_waitcnt vmcnt(0) lgkmcnt(0)
	v_mul_f64 v[173:174], s[2:3], v[173:174]
	v_cvt_f32_f64_e32 v163, v[173:174]
	v_add_co_u32 v173, vcc_lo, v169, v164
	v_add_co_ci_u32_e64 v174, null, v170, v165, vcc_lo
	v_add_co_u32 v175, vcc_lo, v171, v0
	v_add_co_ci_u32_e64 v176, null, v172, v1, vcc_lo
	v_min_f32_e32 v163, v163, v166
	v_cvt_f64_f32_e32 v[166:167], v163
	flat_store_dwordx2 v[173:174], v[166:167]
	flat_load_dwordx2 v[166:167], v[175:176]
	s_waitcnt vmcnt(0) lgkmcnt(0)
	v_mul_f64 v[166:167], s[2:3], v[166:167]
	v_cvt_f32_f64_e32 v163, v[166:167]
.LBB113_33:
	v_add_f64 v[166:167], v[22:23], v[158:159]
	v_add_f64 v[173:174], v[24:25], v[160:161]
	v_add_f64 v[175:176], v[30:31], v[154:155]
	v_add_f64 v[177:178], v[32:33], v[156:157]
	v_add_f64 v[179:180], v[28:29], v[160:161]
	v_add_f64 v[181:182], v[26:27], v[158:159]
	v_add_f64 v[183:184], v[18:19], v[154:155]
	s_mov_b32 s6, -1
	v_cvt_f32_f64_e32 v185, v[166:167]
	v_cvt_f32_f64_e32 v173, v[173:174]
	;; [unrolled: 1-line block ×4, first 2 shown]
	v_add_f64 v[166:167], v[20:21], v[156:157]
	v_cvt_f32_f64_e32 v176, v[181:182]
	v_cvt_f32_f64_e32 v177, v[179:180]
	;; [unrolled: 1-line block ×3, first 2 shown]
	v_min3_f32 v173, v185, v173, v187
	v_min_f32_e32 v174, v174, v175
	v_cvt_f32_f64_e32 v175, v[166:167]
	v_add_nc_u32_e32 v166, 64, v162
	v_add_nc_u32_e32 v162, 0x60, v162
	v_min3_f32 v163, v163, v174, v173
	v_ashrrev_i32_e32 v167, 31, v166
	v_cvt_f64_f32_e32 v[173:174], v163
	v_min3_f32 v163, v176, v177, v190
	v_lshlrev_b64 v[166:167], 3, v[166:167]
	v_min3_f32 v177, v178, v175, v163
	v_add_co_u32 v175, vcc_lo, v169, v0
	v_add_co_ci_u32_e64 v176, null, v170, v1, vcc_lo
	v_ashrrev_i32_e32 v163, 31, v162
	v_max_f32_e32 v187, v177, v177
	s_mov_b32 vcc_lo, s0
	flat_store_dwordx2 v[175:176], v[173:174]
	s_cbranch_vccz .LBB113_35
; %bb.34:
	v_min_f32_e32 v173, 0, v187
	v_add_co_u32 v175, vcc_lo, v169, v166
	v_add_co_ci_u32_e64 v176, null, v170, v167, vcc_lo
	v_cvt_f64_f32_e32 v[173:174], v173
	s_mov_b32 s6, 0
	flat_store_dwordx2 v[175:176], v[173:174]
.LBB113_35:
	v_lshlrev_b64 v[162:163], 3, v[162:163]
	v_mov_b32_e32 v173, 0
	s_andn2_b32 vcc_lo, exec_lo, s6
	s_cbranch_vccnz .LBB113_37
; %bb.36:
	v_add_co_u32 v173, vcc_lo, v171, v166
	v_add_co_ci_u32_e64 v174, null, v172, v167, vcc_lo
	v_add_co_u32 v175, vcc_lo, v169, v166
	v_add_co_ci_u32_e64 v176, null, v170, v167, vcc_lo
	flat_load_dwordx2 v[173:174], v[173:174]
	v_add_co_u32 v171, vcc_lo, v171, v162
	v_add_co_ci_u32_e64 v172, null, v172, v163, vcc_lo
	s_waitcnt vmcnt(0) lgkmcnt(0)
	v_mul_f64 v[173:174], s[2:3], v[173:174]
	v_cvt_f32_f64_e32 v173, v[173:174]
	v_min_f32_e32 v173, v173, v187
	v_cvt_f64_f32_e32 v[173:174], v173
	flat_store_dwordx2 v[175:176], v[173:174]
	flat_load_dwordx2 v[171:172], v[171:172]
	s_waitcnt vmcnt(0) lgkmcnt(0)
	v_mul_f64 v[171:172], s[2:3], v[171:172]
	v_cvt_f32_f64_e32 v173, v[171:172]
.LBB113_37:
	v_add_f64 v[158:159], v[2:3], v[158:159]
	v_add_f64 v[160:161], v[4:5], v[160:161]
	;; [unrolled: 1-line block ×6, first 2 shown]
	v_add_co_u32 v169, vcc_lo, v169, v162
	v_add_co_ci_u32_e64 v170, null, v170, v163, vcc_lo
	s_mov_b32 s6, -1
	v_cvt_f32_f64_e32 v158, v[158:159]
	v_cvt_f32_f64_e32 v159, v[160:161]
	;; [unrolled: 1-line block ×4, first 2 shown]
	v_add_f64 v[154:155], v[34:35], v[146:147]
	v_add_f64 v[156:157], v[36:37], v[148:149]
	v_cvt_f32_f64_e32 v174, v[174:175]
	v_cvt_f32_f64_e32 v171, v[171:172]
	v_add_nc_u32_e32 v172, 8, v168
	v_min3_f32 v158, v158, v159, v233
	v_min_f32_e32 v159, v160, v161
	v_cvt_f32_f64_e32 v175, v[154:155]
	v_cvt_f32_f64_e32 v176, v[156:157]
	v_mad_i64_i32 v[154:155], null, v172, s8, 0
	v_min3_f32 v156, v173, v159, v158
	v_min3_f32 v158, v174, v171, v234
	v_cvt_f64_f32_e32 v[160:161], v156
	v_mad_i64_i32 v[156:157], null, v172, s1, 0
	v_lshlrev_b64 v[154:155], 3, v[154:155]
	v_add_co_u32 v154, vcc_lo, s4, v154
	v_lshlrev_b64 v[156:157], 3, v[156:157]
	v_add_co_ci_u32_e64 v155, null, s5, v155, vcc_lo
	v_min3_f32 v158, v175, v176, v158
	v_add_co_u32 v156, vcc_lo, s10, v156
	v_add_co_ci_u32_e64 v157, null, s11, v157, vcc_lo
	v_max_f32_e32 v159, v158, v158
	s_mov_b32 vcc_lo, s0
	flat_store_dwordx2 v[169:170], v[160:161]
	s_cbranch_vccz .LBB113_39
; %bb.38:
	v_min_f32_e32 v158, 0, v159
	v_add_co_u32 v169, vcc_lo, v154, v164
	v_add_co_ci_u32_e64 v170, null, v155, v165, vcc_lo
	v_cvt_f64_f32_e32 v[160:161], v158
	s_mov_b32 s6, 0
	flat_store_dwordx2 v[169:170], v[160:161]
.LBB113_39:
	v_mov_b32_e32 v158, 0
	s_andn2_b32 vcc_lo, exec_lo, s6
	s_cbranch_vccnz .LBB113_41
; %bb.40:
	v_add_co_u32 v160, vcc_lo, v156, v164
	v_add_co_ci_u32_e64 v161, null, v157, v165, vcc_lo
	flat_load_dwordx2 v[160:161], v[160:161]
	s_waitcnt vmcnt(0) lgkmcnt(0)
	v_mul_f64 v[160:161], s[2:3], v[160:161]
	v_cvt_f32_f64_e32 v158, v[160:161]
	v_add_co_u32 v160, vcc_lo, v154, v164
	v_add_co_ci_u32_e64 v161, null, v155, v165, vcc_lo
	v_add_co_u32 v169, vcc_lo, v156, v0
	v_add_co_ci_u32_e64 v170, null, v157, v1, vcc_lo
	v_min_f32_e32 v158, v158, v159
	v_cvt_f64_f32_e32 v[158:159], v158
	flat_store_dwordx2 v[160:161], v[158:159]
	flat_load_dwordx2 v[158:159], v[169:170]
	s_waitcnt vmcnt(0) lgkmcnt(0)
	v_mul_f64 v[158:159], s[2:3], v[158:159]
	v_cvt_f32_f64_e32 v158, v[158:159]
.LBB113_41:
	v_add_f64 v[159:160], v[22:23], v[150:151]
	v_add_f64 v[169:170], v[24:25], v[152:153]
	;; [unrolled: 1-line block ×7, first 2 shown]
	s_mov_b32 s6, -1
	v_cvt_f32_f64_e32 v161, v[159:160]
	v_cvt_f32_f64_e32 v169, v[169:170]
	;; [unrolled: 1-line block ×4, first 2 shown]
	v_add_f64 v[159:160], v[20:21], v[148:149]
	v_cvt_f32_f64_e32 v172, v[177:178]
	v_cvt_f32_f64_e32 v173, v[175:176]
	;; [unrolled: 1-line block ×3, first 2 shown]
	v_min3_f32 v161, v161, v169, v249
	v_min_f32_e32 v169, v170, v171
	v_cvt_f32_f64_e32 v159, v[159:160]
	v_min3_f32 v158, v158, v169, v161
	v_add_co_u32 v169, vcc_lo, v154, v0
	v_add_co_ci_u32_e64 v170, null, v155, v1, vcc_lo
	v_cvt_f64_f32_e32 v[160:161], v158
	v_min3_f32 v158, v172, v173, v191
	s_mov_b32 vcc_lo, s0
	v_min3_f32 v158, v174, v159, v158
	v_max_f32_e32 v159, v158, v158
	flat_store_dwordx2 v[169:170], v[160:161]
	s_cbranch_vccz .LBB113_43
; %bb.42:
	v_min_f32_e32 v158, 0, v159
	v_add_co_u32 v169, vcc_lo, v154, v166
	v_add_co_ci_u32_e64 v170, null, v155, v167, vcc_lo
	v_cvt_f64_f32_e32 v[160:161], v158
	s_mov_b32 s6, 0
	flat_store_dwordx2 v[169:170], v[160:161]
.LBB113_43:
	v_mov_b32_e32 v158, 0
	s_andn2_b32 vcc_lo, exec_lo, s6
	s_cbranch_vccnz .LBB113_45
; %bb.44:
	v_add_co_u32 v160, vcc_lo, v156, v166
	v_add_co_ci_u32_e64 v161, null, v157, v167, vcc_lo
	flat_load_dwordx2 v[160:161], v[160:161]
	s_waitcnt vmcnt(0) lgkmcnt(0)
	v_mul_f64 v[160:161], s[2:3], v[160:161]
	v_cvt_f32_f64_e32 v158, v[160:161]
	v_add_co_u32 v160, vcc_lo, v154, v166
	v_add_co_ci_u32_e64 v161, null, v155, v167, vcc_lo
	v_add_co_u32 v156, vcc_lo, v156, v162
	v_add_co_ci_u32_e64 v157, null, v157, v163, vcc_lo
	v_min_f32_e32 v158, v158, v159
	v_cvt_f64_f32_e32 v[158:159], v158
	flat_store_dwordx2 v[160:161], v[158:159]
	flat_load_dwordx2 v[156:157], v[156:157]
	s_waitcnt vmcnt(0) lgkmcnt(0)
	v_mul_f64 v[156:157], s[2:3], v[156:157]
	v_cvt_f32_f64_e32 v158, v[156:157]
.LBB113_45:
	v_add_f64 v[150:151], v[2:3], v[150:151]
	v_add_f64 v[152:153], v[4:5], v[152:153]
	;; [unrolled: 1-line block ×6, first 2 shown]
	v_add_co_u32 v154, vcc_lo, v154, v162
	v_add_co_ci_u32_e64 v155, null, v155, v163, vcc_lo
	s_mov_b32 s6, -1
	v_cvt_f32_f64_e32 v150, v[150:151]
	v_cvt_f32_f64_e32 v151, v[152:153]
	;; [unrolled: 1-line block ×4, first 2 shown]
	v_add_f64 v[146:147], v[34:35], v[138:139]
	v_add_f64 v[148:149], v[36:37], v[140:141]
	v_cvt_f32_f64_e32 v159, v[159:160]
	v_cvt_f32_f64_e32 v156, v[156:157]
	v_add_nc_u32_e32 v157, 16, v168
	v_min3_f32 v150, v150, v151, v248
	v_min_f32_e32 v151, v152, v153
	v_cvt_f32_f64_e32 v160, v[146:147]
	v_cvt_f32_f64_e32 v161, v[148:149]
	v_mad_i64_i32 v[146:147], null, v157, s8, 0
	v_min3_f32 v148, v158, v151, v150
	v_min3_f32 v150, v159, v156, v247
	v_cvt_f64_f32_e32 v[152:153], v148
	v_mad_i64_i32 v[148:149], null, v157, s1, 0
	v_lshlrev_b64 v[146:147], 3, v[146:147]
	v_add_co_u32 v146, vcc_lo, s4, v146
	v_lshlrev_b64 v[148:149], 3, v[148:149]
	v_add_co_ci_u32_e64 v147, null, s5, v147, vcc_lo
	v_min3_f32 v150, v160, v161, v150
	v_add_co_u32 v148, vcc_lo, s10, v148
	v_add_co_ci_u32_e64 v149, null, s11, v149, vcc_lo
	v_max_f32_e32 v151, v150, v150
	s_mov_b32 vcc_lo, s0
	flat_store_dwordx2 v[154:155], v[152:153]
	s_cbranch_vccz .LBB113_47
; %bb.46:
	v_min_f32_e32 v150, 0, v151
	v_add_co_u32 v154, vcc_lo, v146, v164
	v_add_co_ci_u32_e64 v155, null, v147, v165, vcc_lo
	v_cvt_f64_f32_e32 v[152:153], v150
	s_mov_b32 s6, 0
	flat_store_dwordx2 v[154:155], v[152:153]
.LBB113_47:
	v_mov_b32_e32 v150, 0
	s_andn2_b32 vcc_lo, exec_lo, s6
	s_cbranch_vccnz .LBB113_49
; %bb.48:
	v_add_co_u32 v152, vcc_lo, v148, v164
	v_add_co_ci_u32_e64 v153, null, v149, v165, vcc_lo
	flat_load_dwordx2 v[152:153], v[152:153]
	s_waitcnt vmcnt(0) lgkmcnt(0)
	v_mul_f64 v[152:153], s[2:3], v[152:153]
	v_cvt_f32_f64_e32 v150, v[152:153]
	v_add_co_u32 v152, vcc_lo, v146, v164
	v_add_co_ci_u32_e64 v153, null, v147, v165, vcc_lo
	v_add_co_u32 v154, vcc_lo, v148, v0
	v_add_co_ci_u32_e64 v155, null, v149, v1, vcc_lo
	v_min_f32_e32 v150, v150, v151
	v_cvt_f64_f32_e32 v[150:151], v150
	flat_store_dwordx2 v[152:153], v[150:151]
	flat_load_dwordx2 v[150:151], v[154:155]
	s_waitcnt vmcnt(0) lgkmcnt(0)
	v_mul_f64 v[150:151], s[2:3], v[150:151]
	v_cvt_f32_f64_e32 v150, v[150:151]
.LBB113_49:
	v_add_f64 v[151:152], v[22:23], v[142:143]
	v_add_f64 v[153:154], v[24:25], v[144:145]
	;; [unrolled: 1-line block ×7, first 2 shown]
	s_mov_b32 s6, -1
	v_cvt_f32_f64_e32 v161, v[151:152]
	v_cvt_f32_f64_e32 v153, v[153:154]
	;; [unrolled: 1-line block ×4, first 2 shown]
	v_add_f64 v[151:152], v[20:21], v[140:141]
	v_cvt_f32_f64_e32 v156, v[169:170]
	v_cvt_f32_f64_e32 v157, v[159:160]
	;; [unrolled: 1-line block ×3, first 2 shown]
	v_min3_f32 v153, v161, v153, v245
	v_min_f32_e32 v154, v154, v155
	v_cvt_f32_f64_e32 v151, v[151:152]
	v_min3_f32 v150, v150, v154, v153
	v_add_co_u32 v154, vcc_lo, v146, v0
	v_add_co_ci_u32_e64 v155, null, v147, v1, vcc_lo
	v_cvt_f64_f32_e32 v[152:153], v150
	v_min3_f32 v150, v156, v157, v246
	s_mov_b32 vcc_lo, s0
	v_min3_f32 v150, v158, v151, v150
	v_max_f32_e32 v151, v150, v150
	flat_store_dwordx2 v[154:155], v[152:153]
	s_cbranch_vccz .LBB113_51
; %bb.50:
	v_min_f32_e32 v150, 0, v151
	v_add_co_u32 v154, vcc_lo, v146, v166
	v_add_co_ci_u32_e64 v155, null, v147, v167, vcc_lo
	v_cvt_f64_f32_e32 v[152:153], v150
	s_mov_b32 s6, 0
	flat_store_dwordx2 v[154:155], v[152:153]
.LBB113_51:
	v_mov_b32_e32 v150, 0
	s_andn2_b32 vcc_lo, exec_lo, s6
	s_cbranch_vccnz .LBB113_53
; %bb.52:
	v_add_co_u32 v152, vcc_lo, v148, v166
	v_add_co_ci_u32_e64 v153, null, v149, v167, vcc_lo
	flat_load_dwordx2 v[152:153], v[152:153]
	s_waitcnt vmcnt(0) lgkmcnt(0)
	v_mul_f64 v[152:153], s[2:3], v[152:153]
	v_cvt_f32_f64_e32 v150, v[152:153]
	v_add_co_u32 v152, vcc_lo, v146, v166
	v_add_co_ci_u32_e64 v153, null, v147, v167, vcc_lo
	v_add_co_u32 v148, vcc_lo, v148, v162
	v_add_co_ci_u32_e64 v149, null, v149, v163, vcc_lo
	v_min_f32_e32 v150, v150, v151
	v_cvt_f64_f32_e32 v[150:151], v150
	flat_store_dwordx2 v[152:153], v[150:151]
	flat_load_dwordx2 v[148:149], v[148:149]
	s_waitcnt vmcnt(0) lgkmcnt(0)
	v_mul_f64 v[148:149], s[2:3], v[148:149]
	v_cvt_f32_f64_e32 v150, v[148:149]
.LBB113_53:
	v_add_f64 v[142:143], v[2:3], v[142:143]
	v_add_f64 v[144:145], v[4:5], v[144:145]
	;; [unrolled: 1-line block ×6, first 2 shown]
	v_add_co_u32 v146, vcc_lo, v146, v162
	v_add_co_ci_u32_e64 v147, null, v147, v163, vcc_lo
	s_mov_b32 s6, -1
	v_cvt_f32_f64_e32 v142, v[142:143]
	v_cvt_f32_f64_e32 v143, v[144:145]
	;; [unrolled: 1-line block ×4, first 2 shown]
	v_add_f64 v[138:139], v[34:35], v[130:131]
	v_add_f64 v[140:141], v[36:37], v[132:133]
	v_cvt_f32_f64_e32 v151, v[151:152]
	v_cvt_f32_f64_e32 v148, v[148:149]
	v_add_nc_u32_e32 v149, 24, v168
	v_min3_f32 v142, v142, v143, v244
	v_min_f32_e32 v143, v144, v145
	v_cvt_f32_f64_e32 v152, v[138:139]
	v_cvt_f32_f64_e32 v153, v[140:141]
	v_mad_i64_i32 v[138:139], null, v149, s8, 0
	v_min3_f32 v140, v150, v143, v142
	v_min3_f32 v142, v151, v148, v243
	v_cvt_f64_f32_e32 v[144:145], v140
	v_mad_i64_i32 v[140:141], null, v149, s1, 0
	v_lshlrev_b64 v[138:139], 3, v[138:139]
	v_add_co_u32 v138, vcc_lo, s4, v138
	v_lshlrev_b64 v[140:141], 3, v[140:141]
	v_add_co_ci_u32_e64 v139, null, s5, v139, vcc_lo
	v_min3_f32 v142, v152, v153, v142
	v_add_co_u32 v140, vcc_lo, s10, v140
	v_add_co_ci_u32_e64 v141, null, s11, v141, vcc_lo
	v_max_f32_e32 v143, v142, v142
	s_mov_b32 vcc_lo, s0
	flat_store_dwordx2 v[146:147], v[144:145]
	s_cbranch_vccz .LBB113_55
; %bb.54:
	v_min_f32_e32 v142, 0, v143
	v_add_co_u32 v146, vcc_lo, v138, v164
	v_add_co_ci_u32_e64 v147, null, v139, v165, vcc_lo
	v_cvt_f64_f32_e32 v[144:145], v142
	s_mov_b32 s6, 0
	flat_store_dwordx2 v[146:147], v[144:145]
.LBB113_55:
	v_mov_b32_e32 v142, 0
	s_andn2_b32 vcc_lo, exec_lo, s6
	s_cbranch_vccnz .LBB113_57
; %bb.56:
	v_add_co_u32 v144, vcc_lo, v140, v164
	v_add_co_ci_u32_e64 v145, null, v141, v165, vcc_lo
	flat_load_dwordx2 v[144:145], v[144:145]
	s_waitcnt vmcnt(0) lgkmcnt(0)
	v_mul_f64 v[144:145], s[2:3], v[144:145]
	v_cvt_f32_f64_e32 v142, v[144:145]
	v_add_co_u32 v144, vcc_lo, v138, v164
	v_add_co_ci_u32_e64 v145, null, v139, v165, vcc_lo
	v_add_co_u32 v146, vcc_lo, v140, v0
	v_add_co_ci_u32_e64 v147, null, v141, v1, vcc_lo
	v_min_f32_e32 v142, v142, v143
	v_cvt_f64_f32_e32 v[142:143], v142
	flat_store_dwordx2 v[144:145], v[142:143]
	flat_load_dwordx2 v[142:143], v[146:147]
	s_waitcnt vmcnt(0) lgkmcnt(0)
	v_mul_f64 v[142:143], s[2:3], v[142:143]
	v_cvt_f32_f64_e32 v142, v[142:143]
.LBB113_57:
	v_add_f64 v[143:144], v[22:23], v[134:135]
	v_add_f64 v[145:146], v[24:25], v[136:137]
	;; [unrolled: 1-line block ×7, first 2 shown]
	s_mov_b32 s6, -1
	v_cvt_f32_f64_e32 v157, v[143:144]
	v_cvt_f32_f64_e32 v145, v[145:146]
	v_cvt_f32_f64_e32 v146, v[147:148]
	v_cvt_f32_f64_e32 v147, v[149:150]
	v_add_f64 v[143:144], v[20:21], v[132:133]
	v_cvt_f32_f64_e32 v148, v[153:154]
	v_cvt_f32_f64_e32 v149, v[151:152]
	;; [unrolled: 1-line block ×3, first 2 shown]
	v_min3_f32 v145, v157, v145, v241
	v_min_f32_e32 v146, v146, v147
	v_cvt_f32_f64_e32 v143, v[143:144]
	v_min3_f32 v142, v142, v146, v145
	v_add_co_u32 v146, vcc_lo, v138, v0
	v_add_co_ci_u32_e64 v147, null, v139, v1, vcc_lo
	v_cvt_f64_f32_e32 v[144:145], v142
	v_min3_f32 v142, v148, v149, v242
	s_mov_b32 vcc_lo, s0
	v_min3_f32 v142, v150, v143, v142
	v_max_f32_e32 v143, v142, v142
	flat_store_dwordx2 v[146:147], v[144:145]
	s_cbranch_vccz .LBB113_59
; %bb.58:
	v_min_f32_e32 v142, 0, v143
	v_add_co_u32 v146, vcc_lo, v138, v166
	v_add_co_ci_u32_e64 v147, null, v139, v167, vcc_lo
	v_cvt_f64_f32_e32 v[144:145], v142
	s_mov_b32 s6, 0
	flat_store_dwordx2 v[146:147], v[144:145]
.LBB113_59:
	v_mov_b32_e32 v142, 0
	s_andn2_b32 vcc_lo, exec_lo, s6
	s_cbranch_vccnz .LBB113_61
; %bb.60:
	v_add_co_u32 v144, vcc_lo, v140, v166
	v_add_co_ci_u32_e64 v145, null, v141, v167, vcc_lo
	flat_load_dwordx2 v[144:145], v[144:145]
	s_waitcnt vmcnt(0) lgkmcnt(0)
	v_mul_f64 v[144:145], s[2:3], v[144:145]
	v_cvt_f32_f64_e32 v142, v[144:145]
	v_add_co_u32 v144, vcc_lo, v138, v166
	v_add_co_ci_u32_e64 v145, null, v139, v167, vcc_lo
	v_add_co_u32 v140, vcc_lo, v140, v162
	v_add_co_ci_u32_e64 v141, null, v141, v163, vcc_lo
	v_min_f32_e32 v142, v142, v143
	v_cvt_f64_f32_e32 v[142:143], v142
	flat_store_dwordx2 v[144:145], v[142:143]
	flat_load_dwordx2 v[140:141], v[140:141]
	s_waitcnt vmcnt(0) lgkmcnt(0)
	v_mul_f64 v[140:141], s[2:3], v[140:141]
	v_cvt_f32_f64_e32 v142, v[140:141]
.LBB113_61:
	v_add_f64 v[134:135], v[2:3], v[134:135]
	v_add_f64 v[136:137], v[4:5], v[136:137]
	;; [unrolled: 1-line block ×6, first 2 shown]
	v_add_co_u32 v138, vcc_lo, v138, v162
	v_add_co_ci_u32_e64 v139, null, v139, v163, vcc_lo
	s_mov_b32 s6, -1
	v_cvt_f32_f64_e32 v134, v[134:135]
	v_cvt_f32_f64_e32 v135, v[136:137]
	;; [unrolled: 1-line block ×4, first 2 shown]
	v_add_f64 v[130:131], v[34:35], v[122:123]
	v_add_f64 v[132:133], v[36:37], v[124:125]
	v_cvt_f32_f64_e32 v143, v[143:144]
	v_cvt_f32_f64_e32 v140, v[140:141]
	v_add_nc_u32_e32 v141, 32, v168
	v_min3_f32 v134, v134, v135, v240
	v_min_f32_e32 v135, v136, v137
	v_cvt_f32_f64_e32 v144, v[130:131]
	v_cvt_f32_f64_e32 v145, v[132:133]
	v_mad_i64_i32 v[130:131], null, v141, s8, 0
	v_min3_f32 v132, v142, v135, v134
	v_min3_f32 v134, v143, v140, v224
	v_cvt_f64_f32_e32 v[136:137], v132
	v_mad_i64_i32 v[132:133], null, v141, s1, 0
	v_lshlrev_b64 v[130:131], 3, v[130:131]
	v_add_co_u32 v130, vcc_lo, s4, v130
	v_lshlrev_b64 v[132:133], 3, v[132:133]
	v_add_co_ci_u32_e64 v131, null, s5, v131, vcc_lo
	v_min3_f32 v134, v144, v145, v134
	v_add_co_u32 v132, vcc_lo, s10, v132
	v_add_co_ci_u32_e64 v133, null, s11, v133, vcc_lo
	v_max_f32_e32 v135, v134, v134
	s_mov_b32 vcc_lo, s0
	flat_store_dwordx2 v[138:139], v[136:137]
	s_cbranch_vccz .LBB113_63
; %bb.62:
	v_min_f32_e32 v134, 0, v135
	v_add_co_u32 v138, vcc_lo, v130, v164
	v_add_co_ci_u32_e64 v139, null, v131, v165, vcc_lo
	v_cvt_f64_f32_e32 v[136:137], v134
	s_mov_b32 s6, 0
	flat_store_dwordx2 v[138:139], v[136:137]
.LBB113_63:
	v_mov_b32_e32 v134, 0
	s_andn2_b32 vcc_lo, exec_lo, s6
	s_cbranch_vccnz .LBB113_65
; %bb.64:
	v_add_co_u32 v136, vcc_lo, v132, v164
	v_add_co_ci_u32_e64 v137, null, v133, v165, vcc_lo
	flat_load_dwordx2 v[136:137], v[136:137]
	s_waitcnt vmcnt(0) lgkmcnt(0)
	v_mul_f64 v[136:137], s[2:3], v[136:137]
	v_cvt_f32_f64_e32 v134, v[136:137]
	v_add_co_u32 v136, vcc_lo, v130, v164
	v_add_co_ci_u32_e64 v137, null, v131, v165, vcc_lo
	v_add_co_u32 v138, vcc_lo, v132, v0
	v_add_co_ci_u32_e64 v139, null, v133, v1, vcc_lo
	v_min_f32_e32 v134, v134, v135
	v_cvt_f64_f32_e32 v[134:135], v134
	flat_store_dwordx2 v[136:137], v[134:135]
	flat_load_dwordx2 v[134:135], v[138:139]
	s_waitcnt vmcnt(0) lgkmcnt(0)
	v_mul_f64 v[134:135], s[2:3], v[134:135]
	v_cvt_f32_f64_e32 v134, v[134:135]
.LBB113_65:
	v_add_f64 v[135:136], v[22:23], v[126:127]
	v_add_f64 v[137:138], v[24:25], v[128:129]
	;; [unrolled: 1-line block ×7, first 2 shown]
	s_mov_b32 s6, -1
	v_cvt_f32_f64_e32 v149, v[135:136]
	v_cvt_f32_f64_e32 v137, v[137:138]
	;; [unrolled: 1-line block ×4, first 2 shown]
	v_add_f64 v[135:136], v[20:21], v[124:125]
	v_cvt_f32_f64_e32 v140, v[145:146]
	v_cvt_f32_f64_e32 v141, v[143:144]
	;; [unrolled: 1-line block ×3, first 2 shown]
	v_min3_f32 v137, v149, v137, v221
	v_min_f32_e32 v138, v138, v139
	v_cvt_f32_f64_e32 v135, v[135:136]
	v_min3_f32 v134, v134, v138, v137
	v_add_co_u32 v138, vcc_lo, v130, v0
	v_add_co_ci_u32_e64 v139, null, v131, v1, vcc_lo
	v_cvt_f64_f32_e32 v[136:137], v134
	v_min3_f32 v134, v140, v141, v222
	s_mov_b32 vcc_lo, s0
	v_min3_f32 v134, v142, v135, v134
	v_max_f32_e32 v135, v134, v134
	flat_store_dwordx2 v[138:139], v[136:137]
	s_cbranch_vccz .LBB113_67
; %bb.66:
	v_min_f32_e32 v134, 0, v135
	v_add_co_u32 v138, vcc_lo, v130, v166
	v_add_co_ci_u32_e64 v139, null, v131, v167, vcc_lo
	v_cvt_f64_f32_e32 v[136:137], v134
	s_mov_b32 s6, 0
	flat_store_dwordx2 v[138:139], v[136:137]
.LBB113_67:
	v_mov_b32_e32 v134, 0
	s_andn2_b32 vcc_lo, exec_lo, s6
	s_cbranch_vccnz .LBB113_69
; %bb.68:
	v_add_co_u32 v136, vcc_lo, v132, v166
	v_add_co_ci_u32_e64 v137, null, v133, v167, vcc_lo
	flat_load_dwordx2 v[136:137], v[136:137]
	s_waitcnt vmcnt(0) lgkmcnt(0)
	v_mul_f64 v[136:137], s[2:3], v[136:137]
	v_cvt_f32_f64_e32 v134, v[136:137]
	v_add_co_u32 v136, vcc_lo, v130, v166
	v_add_co_ci_u32_e64 v137, null, v131, v167, vcc_lo
	v_add_co_u32 v132, vcc_lo, v132, v162
	v_add_co_ci_u32_e64 v133, null, v133, v163, vcc_lo
	v_min_f32_e32 v134, v134, v135
	v_cvt_f64_f32_e32 v[134:135], v134
	flat_store_dwordx2 v[136:137], v[134:135]
	flat_load_dwordx2 v[132:133], v[132:133]
	s_waitcnt vmcnt(0) lgkmcnt(0)
	v_mul_f64 v[132:133], s[2:3], v[132:133]
	v_cvt_f32_f64_e32 v134, v[132:133]
.LBB113_69:
	v_add_f64 v[126:127], v[2:3], v[126:127]
	v_add_f64 v[128:129], v[4:5], v[128:129]
	;; [unrolled: 1-line block ×6, first 2 shown]
	v_add_co_u32 v130, vcc_lo, v130, v162
	v_add_co_ci_u32_e64 v131, null, v131, v163, vcc_lo
	s_mov_b32 s6, -1
	v_cvt_f32_f64_e32 v126, v[126:127]
	v_cvt_f32_f64_e32 v127, v[128:129]
	;; [unrolled: 1-line block ×4, first 2 shown]
	v_add_f64 v[122:123], v[34:35], v[114:115]
	v_add_f64 v[124:125], v[36:37], v[116:117]
	v_cvt_f32_f64_e32 v135, v[135:136]
	v_cvt_f32_f64_e32 v132, v[132:133]
	v_add_nc_u32_e32 v133, 40, v168
	v_min3_f32 v126, v126, v127, v218
	v_min_f32_e32 v127, v128, v129
	v_cvt_f32_f64_e32 v136, v[122:123]
	v_cvt_f32_f64_e32 v137, v[124:125]
	v_mad_i64_i32 v[122:123], null, v133, s8, 0
	v_min3_f32 v124, v134, v127, v126
	v_min3_f32 v126, v135, v132, v239
	v_cvt_f64_f32_e32 v[128:129], v124
	v_mad_i64_i32 v[124:125], null, v133, s1, 0
	v_lshlrev_b64 v[122:123], 3, v[122:123]
	v_add_co_u32 v122, vcc_lo, s4, v122
	v_lshlrev_b64 v[124:125], 3, v[124:125]
	v_add_co_ci_u32_e64 v123, null, s5, v123, vcc_lo
	v_min3_f32 v126, v136, v137, v126
	v_add_co_u32 v124, vcc_lo, s10, v124
	v_add_co_ci_u32_e64 v125, null, s11, v125, vcc_lo
	v_max_f32_e32 v127, v126, v126
	s_mov_b32 vcc_lo, s0
	flat_store_dwordx2 v[130:131], v[128:129]
	s_cbranch_vccz .LBB113_71
; %bb.70:
	v_min_f32_e32 v126, 0, v127
	v_add_co_u32 v130, vcc_lo, v122, v164
	v_add_co_ci_u32_e64 v131, null, v123, v165, vcc_lo
	v_cvt_f64_f32_e32 v[128:129], v126
	s_mov_b32 s6, 0
	flat_store_dwordx2 v[130:131], v[128:129]
.LBB113_71:
	v_mov_b32_e32 v126, 0
	s_andn2_b32 vcc_lo, exec_lo, s6
	s_cbranch_vccnz .LBB113_73
; %bb.72:
	v_add_co_u32 v128, vcc_lo, v124, v164
	v_add_co_ci_u32_e64 v129, null, v125, v165, vcc_lo
	flat_load_dwordx2 v[128:129], v[128:129]
	s_waitcnt vmcnt(0) lgkmcnt(0)
	v_mul_f64 v[128:129], s[2:3], v[128:129]
	v_cvt_f32_f64_e32 v126, v[128:129]
	v_add_co_u32 v128, vcc_lo, v122, v164
	v_add_co_ci_u32_e64 v129, null, v123, v165, vcc_lo
	v_add_co_u32 v130, vcc_lo, v124, v0
	v_add_co_ci_u32_e64 v131, null, v125, v1, vcc_lo
	v_min_f32_e32 v126, v126, v127
	v_cvt_f64_f32_e32 v[126:127], v126
	flat_store_dwordx2 v[128:129], v[126:127]
	flat_load_dwordx2 v[126:127], v[130:131]
	s_waitcnt vmcnt(0) lgkmcnt(0)
	v_mul_f64 v[126:127], s[2:3], v[126:127]
	v_cvt_f32_f64_e32 v126, v[126:127]
.LBB113_73:
	v_add_f64 v[127:128], v[22:23], v[118:119]
	v_add_f64 v[129:130], v[24:25], v[120:121]
	;; [unrolled: 1-line block ×7, first 2 shown]
	s_mov_b32 s6, -1
	v_cvt_f32_f64_e32 v141, v[127:128]
	v_cvt_f32_f64_e32 v129, v[129:130]
	;; [unrolled: 1-line block ×4, first 2 shown]
	v_add_f64 v[127:128], v[20:21], v[116:117]
	v_cvt_f32_f64_e32 v132, v[137:138]
	v_cvt_f32_f64_e32 v133, v[135:136]
	;; [unrolled: 1-line block ×3, first 2 shown]
	v_min3_f32 v129, v141, v129, v237
	v_min_f32_e32 v130, v130, v131
	v_cvt_f32_f64_e32 v127, v[127:128]
	v_min3_f32 v126, v126, v130, v129
	v_add_co_u32 v130, vcc_lo, v122, v0
	v_add_co_ci_u32_e64 v131, null, v123, v1, vcc_lo
	v_cvt_f64_f32_e32 v[128:129], v126
	v_min3_f32 v126, v132, v133, v238
	s_mov_b32 vcc_lo, s0
	v_min3_f32 v126, v134, v127, v126
	v_max_f32_e32 v127, v126, v126
	flat_store_dwordx2 v[130:131], v[128:129]
	s_cbranch_vccz .LBB113_75
; %bb.74:
	v_min_f32_e32 v126, 0, v127
	v_add_co_u32 v130, vcc_lo, v122, v166
	v_add_co_ci_u32_e64 v131, null, v123, v167, vcc_lo
	v_cvt_f64_f32_e32 v[128:129], v126
	s_mov_b32 s6, 0
	flat_store_dwordx2 v[130:131], v[128:129]
.LBB113_75:
	v_mov_b32_e32 v126, 0
	s_andn2_b32 vcc_lo, exec_lo, s6
	s_cbranch_vccnz .LBB113_77
; %bb.76:
	v_add_co_u32 v128, vcc_lo, v124, v166
	v_add_co_ci_u32_e64 v129, null, v125, v167, vcc_lo
	flat_load_dwordx2 v[128:129], v[128:129]
	s_waitcnt vmcnt(0) lgkmcnt(0)
	v_mul_f64 v[128:129], s[2:3], v[128:129]
	v_cvt_f32_f64_e32 v126, v[128:129]
	v_add_co_u32 v128, vcc_lo, v122, v166
	v_add_co_ci_u32_e64 v129, null, v123, v167, vcc_lo
	v_add_co_u32 v124, vcc_lo, v124, v162
	v_add_co_ci_u32_e64 v125, null, v125, v163, vcc_lo
	v_min_f32_e32 v126, v126, v127
	v_cvt_f64_f32_e32 v[126:127], v126
	flat_store_dwordx2 v[128:129], v[126:127]
	flat_load_dwordx2 v[124:125], v[124:125]
	s_waitcnt vmcnt(0) lgkmcnt(0)
	v_mul_f64 v[124:125], s[2:3], v[124:125]
	v_cvt_f32_f64_e32 v126, v[124:125]
.LBB113_77:
	v_add_f64 v[118:119], v[2:3], v[118:119]
	v_add_f64 v[120:121], v[4:5], v[120:121]
	;; [unrolled: 1-line block ×6, first 2 shown]
	v_add_co_u32 v122, vcc_lo, v122, v162
	v_add_co_ci_u32_e64 v123, null, v123, v163, vcc_lo
	s_mov_b32 s6, -1
	v_cvt_f32_f64_e32 v118, v[118:119]
	v_cvt_f32_f64_e32 v119, v[120:121]
	;; [unrolled: 1-line block ×4, first 2 shown]
	v_add_f64 v[114:115], v[34:35], v[106:107]
	v_add_f64 v[116:117], v[36:37], v[108:109]
	v_cvt_f32_f64_e32 v127, v[127:128]
	v_cvt_f32_f64_e32 v124, v[124:125]
	v_add_nc_u32_e32 v125, 48, v168
	v_min3_f32 v118, v118, v119, v236
	v_min_f32_e32 v119, v120, v121
	v_cvt_f32_f64_e32 v128, v[114:115]
	v_cvt_f32_f64_e32 v129, v[116:117]
	v_mad_i64_i32 v[114:115], null, v125, s8, 0
	v_min3_f32 v116, v126, v119, v118
	v_min3_f32 v118, v127, v124, v235
	v_cvt_f64_f32_e32 v[120:121], v116
	v_mad_i64_i32 v[116:117], null, v125, s1, 0
	v_lshlrev_b64 v[114:115], 3, v[114:115]
	v_add_co_u32 v114, vcc_lo, s4, v114
	v_lshlrev_b64 v[116:117], 3, v[116:117]
	v_add_co_ci_u32_e64 v115, null, s5, v115, vcc_lo
	v_min3_f32 v118, v128, v129, v118
	v_add_co_u32 v116, vcc_lo, s10, v116
	v_add_co_ci_u32_e64 v117, null, s11, v117, vcc_lo
	v_max_f32_e32 v119, v118, v118
	s_mov_b32 vcc_lo, s0
	flat_store_dwordx2 v[122:123], v[120:121]
	s_cbranch_vccz .LBB113_79
; %bb.78:
	v_min_f32_e32 v118, 0, v119
	v_add_co_u32 v122, vcc_lo, v114, v164
	v_add_co_ci_u32_e64 v123, null, v115, v165, vcc_lo
	v_cvt_f64_f32_e32 v[120:121], v118
	s_mov_b32 s6, 0
	flat_store_dwordx2 v[122:123], v[120:121]
.LBB113_79:
	v_mov_b32_e32 v118, 0
	s_andn2_b32 vcc_lo, exec_lo, s6
	s_cbranch_vccnz .LBB113_81
; %bb.80:
	v_add_co_u32 v120, vcc_lo, v116, v164
	v_add_co_ci_u32_e64 v121, null, v117, v165, vcc_lo
	flat_load_dwordx2 v[120:121], v[120:121]
	s_waitcnt vmcnt(0) lgkmcnt(0)
	v_mul_f64 v[120:121], s[2:3], v[120:121]
	v_cvt_f32_f64_e32 v118, v[120:121]
	v_add_co_u32 v120, vcc_lo, v114, v164
	v_add_co_ci_u32_e64 v121, null, v115, v165, vcc_lo
	v_add_co_u32 v122, vcc_lo, v116, v0
	v_add_co_ci_u32_e64 v123, null, v117, v1, vcc_lo
	v_min_f32_e32 v118, v118, v119
	v_cvt_f64_f32_e32 v[118:119], v118
	flat_store_dwordx2 v[120:121], v[118:119]
	flat_load_dwordx2 v[118:119], v[122:123]
	s_waitcnt vmcnt(0) lgkmcnt(0)
	v_mul_f64 v[118:119], s[2:3], v[118:119]
	v_cvt_f32_f64_e32 v118, v[118:119]
.LBB113_81:
	v_add_f64 v[119:120], v[22:23], v[110:111]
	v_add_f64 v[121:122], v[24:25], v[112:113]
	;; [unrolled: 1-line block ×7, first 2 shown]
	s_mov_b32 s6, -1
	v_cvt_f32_f64_e32 v133, v[119:120]
	v_cvt_f32_f64_e32 v121, v[121:122]
	;; [unrolled: 1-line block ×4, first 2 shown]
	v_add_f64 v[119:120], v[20:21], v[108:109]
	v_cvt_f32_f64_e32 v124, v[129:130]
	v_cvt_f32_f64_e32 v125, v[127:128]
	;; [unrolled: 1-line block ×3, first 2 shown]
	v_min3_f32 v121, v133, v121, v231
	v_min_f32_e32 v122, v122, v123
	v_cvt_f32_f64_e32 v119, v[119:120]
	v_min3_f32 v118, v118, v122, v121
	v_add_co_u32 v122, vcc_lo, v114, v0
	v_add_co_ci_u32_e64 v123, null, v115, v1, vcc_lo
	v_cvt_f64_f32_e32 v[120:121], v118
	v_min3_f32 v118, v124, v125, v232
	s_mov_b32 vcc_lo, s0
	v_min3_f32 v118, v126, v119, v118
	v_max_f32_e32 v119, v118, v118
	flat_store_dwordx2 v[122:123], v[120:121]
	s_cbranch_vccz .LBB113_83
; %bb.82:
	v_min_f32_e32 v118, 0, v119
	v_add_co_u32 v122, vcc_lo, v114, v166
	v_add_co_ci_u32_e64 v123, null, v115, v167, vcc_lo
	v_cvt_f64_f32_e32 v[120:121], v118
	s_mov_b32 s6, 0
	flat_store_dwordx2 v[122:123], v[120:121]
.LBB113_83:
	v_mov_b32_e32 v118, 0
	s_andn2_b32 vcc_lo, exec_lo, s6
	s_cbranch_vccnz .LBB113_85
; %bb.84:
	v_add_co_u32 v120, vcc_lo, v116, v166
	v_add_co_ci_u32_e64 v121, null, v117, v167, vcc_lo
	flat_load_dwordx2 v[120:121], v[120:121]
	s_waitcnt vmcnt(0) lgkmcnt(0)
	v_mul_f64 v[120:121], s[2:3], v[120:121]
	v_cvt_f32_f64_e32 v118, v[120:121]
	v_add_co_u32 v120, vcc_lo, v114, v166
	v_add_co_ci_u32_e64 v121, null, v115, v167, vcc_lo
	v_add_co_u32 v116, vcc_lo, v116, v162
	v_add_co_ci_u32_e64 v117, null, v117, v163, vcc_lo
	v_min_f32_e32 v118, v118, v119
	v_cvt_f64_f32_e32 v[118:119], v118
	flat_store_dwordx2 v[120:121], v[118:119]
	flat_load_dwordx2 v[116:117], v[116:117]
	s_waitcnt vmcnt(0) lgkmcnt(0)
	v_mul_f64 v[116:117], s[2:3], v[116:117]
	v_cvt_f32_f64_e32 v118, v[116:117]
.LBB113_85:
	v_add_f64 v[110:111], v[2:3], v[110:111]
	v_add_f64 v[112:113], v[4:5], v[112:113]
	;; [unrolled: 1-line block ×6, first 2 shown]
	v_add_co_u32 v114, vcc_lo, v114, v162
	v_add_co_ci_u32_e64 v115, null, v115, v163, vcc_lo
	s_mov_b32 s6, -1
	v_cvt_f32_f64_e32 v110, v[110:111]
	v_cvt_f32_f64_e32 v111, v[112:113]
	;; [unrolled: 1-line block ×4, first 2 shown]
	v_add_f64 v[106:107], v[34:35], v[98:99]
	v_add_f64 v[108:109], v[36:37], v[100:101]
	v_cvt_f32_f64_e32 v119, v[119:120]
	v_cvt_f32_f64_e32 v116, v[116:117]
	v_add_nc_u32_e32 v117, 56, v168
	v_min3_f32 v110, v110, v111, v223
	v_min_f32_e32 v111, v112, v113
	v_cvt_f32_f64_e32 v120, v[106:107]
	v_cvt_f32_f64_e32 v121, v[108:109]
	v_mad_i64_i32 v[106:107], null, v117, s8, 0
	v_min3_f32 v108, v118, v111, v110
	v_min3_f32 v110, v119, v116, v220
	v_cvt_f64_f32_e32 v[112:113], v108
	v_mad_i64_i32 v[108:109], null, v117, s1, 0
	v_lshlrev_b64 v[106:107], 3, v[106:107]
	v_add_co_u32 v106, vcc_lo, s4, v106
	v_lshlrev_b64 v[108:109], 3, v[108:109]
	v_add_co_ci_u32_e64 v107, null, s5, v107, vcc_lo
	v_min3_f32 v110, v120, v121, v110
	v_add_co_u32 v108, vcc_lo, s10, v108
	v_add_co_ci_u32_e64 v109, null, s11, v109, vcc_lo
	v_max_f32_e32 v111, v110, v110
	s_mov_b32 vcc_lo, s0
	flat_store_dwordx2 v[114:115], v[112:113]
	s_cbranch_vccz .LBB113_87
; %bb.86:
	v_min_f32_e32 v110, 0, v111
	v_add_co_u32 v114, vcc_lo, v106, v164
	v_add_co_ci_u32_e64 v115, null, v107, v165, vcc_lo
	v_cvt_f64_f32_e32 v[112:113], v110
	s_mov_b32 s6, 0
	flat_store_dwordx2 v[114:115], v[112:113]
.LBB113_87:
	v_mov_b32_e32 v110, 0
	s_andn2_b32 vcc_lo, exec_lo, s6
	s_cbranch_vccnz .LBB113_89
; %bb.88:
	v_add_co_u32 v112, vcc_lo, v108, v164
	v_add_co_ci_u32_e64 v113, null, v109, v165, vcc_lo
	flat_load_dwordx2 v[112:113], v[112:113]
	s_waitcnt vmcnt(0) lgkmcnt(0)
	v_mul_f64 v[112:113], s[2:3], v[112:113]
	v_cvt_f32_f64_e32 v110, v[112:113]
	v_add_co_u32 v112, vcc_lo, v106, v164
	v_add_co_ci_u32_e64 v113, null, v107, v165, vcc_lo
	v_add_co_u32 v114, vcc_lo, v108, v0
	v_add_co_ci_u32_e64 v115, null, v109, v1, vcc_lo
	v_min_f32_e32 v110, v110, v111
	v_cvt_f64_f32_e32 v[110:111], v110
	flat_store_dwordx2 v[112:113], v[110:111]
	flat_load_dwordx2 v[110:111], v[114:115]
	s_waitcnt vmcnt(0) lgkmcnt(0)
	v_mul_f64 v[110:111], s[2:3], v[110:111]
	v_cvt_f32_f64_e32 v110, v[110:111]
.LBB113_89:
	v_add_f64 v[111:112], v[22:23], v[102:103]
	v_add_f64 v[113:114], v[24:25], v[104:105]
	;; [unrolled: 1-line block ×7, first 2 shown]
	s_mov_b32 s6, -1
	v_cvt_f32_f64_e32 v125, v[111:112]
	v_cvt_f32_f64_e32 v113, v[113:114]
	;; [unrolled: 1-line block ×4, first 2 shown]
	v_add_f64 v[111:112], v[20:21], v[100:101]
	v_cvt_f32_f64_e32 v116, v[121:122]
	v_cvt_f32_f64_e32 v117, v[119:120]
	;; [unrolled: 1-line block ×3, first 2 shown]
	v_min3_f32 v113, v125, v113, v230
	v_min_f32_e32 v114, v114, v115
	v_cvt_f32_f64_e32 v111, v[111:112]
	v_min3_f32 v110, v110, v114, v113
	v_add_co_u32 v114, vcc_lo, v106, v0
	v_add_co_ci_u32_e64 v115, null, v107, v1, vcc_lo
	v_cvt_f64_f32_e32 v[112:113], v110
	v_min3_f32 v110, v116, v117, v219
	s_mov_b32 vcc_lo, s0
	v_min3_f32 v110, v118, v111, v110
	v_max_f32_e32 v111, v110, v110
	flat_store_dwordx2 v[114:115], v[112:113]
	s_cbranch_vccz .LBB113_91
; %bb.90:
	v_min_f32_e32 v110, 0, v111
	v_add_co_u32 v114, vcc_lo, v106, v166
	v_add_co_ci_u32_e64 v115, null, v107, v167, vcc_lo
	v_cvt_f64_f32_e32 v[112:113], v110
	s_mov_b32 s6, 0
	flat_store_dwordx2 v[114:115], v[112:113]
.LBB113_91:
	v_mov_b32_e32 v110, 0
	s_andn2_b32 vcc_lo, exec_lo, s6
	s_cbranch_vccnz .LBB113_93
; %bb.92:
	v_add_co_u32 v112, vcc_lo, v108, v166
	v_add_co_ci_u32_e64 v113, null, v109, v167, vcc_lo
	flat_load_dwordx2 v[112:113], v[112:113]
	s_waitcnt vmcnt(0) lgkmcnt(0)
	v_mul_f64 v[112:113], s[2:3], v[112:113]
	v_cvt_f32_f64_e32 v110, v[112:113]
	v_add_co_u32 v112, vcc_lo, v106, v166
	v_add_co_ci_u32_e64 v113, null, v107, v167, vcc_lo
	v_add_co_u32 v108, vcc_lo, v108, v162
	v_add_co_ci_u32_e64 v109, null, v109, v163, vcc_lo
	v_min_f32_e32 v110, v110, v111
	v_cvt_f64_f32_e32 v[110:111], v110
	flat_store_dwordx2 v[112:113], v[110:111]
	flat_load_dwordx2 v[108:109], v[108:109]
	s_waitcnt vmcnt(0) lgkmcnt(0)
	v_mul_f64 v[108:109], s[2:3], v[108:109]
	v_cvt_f32_f64_e32 v110, v[108:109]
.LBB113_93:
	v_add_f64 v[102:103], v[2:3], v[102:103]
	v_add_f64 v[104:105], v[4:5], v[104:105]
	;; [unrolled: 1-line block ×6, first 2 shown]
	v_add_co_u32 v106, vcc_lo, v106, v162
	v_add_co_ci_u32_e64 v107, null, v107, v163, vcc_lo
	s_mov_b32 s6, -1
	v_cvt_f32_f64_e32 v102, v[102:103]
	v_cvt_f32_f64_e32 v103, v[104:105]
	;; [unrolled: 1-line block ×4, first 2 shown]
	v_add_f64 v[98:99], v[34:35], v[90:91]
	v_add_f64 v[100:101], v[36:37], v[92:93]
	v_cvt_f32_f64_e32 v111, v[111:112]
	v_cvt_f32_f64_e32 v108, v[108:109]
	v_add_nc_u32_e32 v109, 64, v168
	v_min3_f32 v102, v102, v103, v229
	v_min_f32_e32 v103, v104, v105
	v_cvt_f32_f64_e32 v112, v[98:99]
	v_cvt_f32_f64_e32 v113, v[100:101]
	v_mad_i64_i32 v[98:99], null, v109, s8, 0
	v_min3_f32 v100, v110, v103, v102
	v_min3_f32 v102, v111, v108, v199
	v_cvt_f64_f32_e32 v[104:105], v100
	v_mad_i64_i32 v[100:101], null, v109, s1, 0
	v_lshlrev_b64 v[98:99], 3, v[98:99]
	v_add_co_u32 v98, vcc_lo, s4, v98
	v_lshlrev_b64 v[100:101], 3, v[100:101]
	v_add_co_ci_u32_e64 v99, null, s5, v99, vcc_lo
	v_min3_f32 v102, v112, v113, v102
	v_add_co_u32 v100, vcc_lo, s10, v100
	v_add_co_ci_u32_e64 v101, null, s11, v101, vcc_lo
	v_max_f32_e32 v103, v102, v102
	s_mov_b32 vcc_lo, s0
	flat_store_dwordx2 v[106:107], v[104:105]
	s_cbranch_vccz .LBB113_95
; %bb.94:
	v_min_f32_e32 v102, 0, v103
	v_add_co_u32 v106, vcc_lo, v98, v164
	v_add_co_ci_u32_e64 v107, null, v99, v165, vcc_lo
	v_cvt_f64_f32_e32 v[104:105], v102
	s_mov_b32 s6, 0
	flat_store_dwordx2 v[106:107], v[104:105]
.LBB113_95:
	v_mov_b32_e32 v102, 0
	s_andn2_b32 vcc_lo, exec_lo, s6
	s_cbranch_vccnz .LBB113_97
; %bb.96:
	v_add_co_u32 v104, vcc_lo, v100, v164
	v_add_co_ci_u32_e64 v105, null, v101, v165, vcc_lo
	flat_load_dwordx2 v[104:105], v[104:105]
	s_waitcnt vmcnt(0) lgkmcnt(0)
	v_mul_f64 v[104:105], s[2:3], v[104:105]
	v_cvt_f32_f64_e32 v102, v[104:105]
	v_add_co_u32 v104, vcc_lo, v98, v164
	v_add_co_ci_u32_e64 v105, null, v99, v165, vcc_lo
	v_add_co_u32 v106, vcc_lo, v100, v0
	v_add_co_ci_u32_e64 v107, null, v101, v1, vcc_lo
	v_min_f32_e32 v102, v102, v103
	v_cvt_f64_f32_e32 v[102:103], v102
	flat_store_dwordx2 v[104:105], v[102:103]
	flat_load_dwordx2 v[102:103], v[106:107]
	s_waitcnt vmcnt(0) lgkmcnt(0)
	v_mul_f64 v[102:103], s[2:3], v[102:103]
	v_cvt_f32_f64_e32 v102, v[102:103]
.LBB113_97:
	v_add_f64 v[103:104], v[22:23], v[94:95]
	v_add_f64 v[105:106], v[24:25], v[96:97]
	;; [unrolled: 1-line block ×7, first 2 shown]
	s_mov_b32 s6, -1
	v_cvt_f32_f64_e32 v117, v[103:104]
	v_cvt_f32_f64_e32 v105, v[105:106]
	;; [unrolled: 1-line block ×4, first 2 shown]
	v_add_f64 v[103:104], v[20:21], v[92:93]
	v_cvt_f32_f64_e32 v108, v[113:114]
	v_cvt_f32_f64_e32 v109, v[111:112]
	;; [unrolled: 1-line block ×3, first 2 shown]
	v_min3_f32 v105, v117, v105, v198
	v_min_f32_e32 v106, v106, v107
	v_cvt_f32_f64_e32 v103, v[103:104]
	v_min3_f32 v102, v102, v106, v105
	v_add_co_u32 v106, vcc_lo, v98, v0
	v_add_co_ci_u32_e64 v107, null, v99, v1, vcc_lo
	v_cvt_f64_f32_e32 v[104:105], v102
	v_min3_f32 v102, v108, v109, v196
	s_mov_b32 vcc_lo, s0
	v_min3_f32 v102, v110, v103, v102
	v_max_f32_e32 v103, v102, v102
	flat_store_dwordx2 v[106:107], v[104:105]
	s_cbranch_vccz .LBB113_99
; %bb.98:
	v_min_f32_e32 v102, 0, v103
	v_add_co_u32 v106, vcc_lo, v98, v166
	v_add_co_ci_u32_e64 v107, null, v99, v167, vcc_lo
	v_cvt_f64_f32_e32 v[104:105], v102
	s_mov_b32 s6, 0
	flat_store_dwordx2 v[106:107], v[104:105]
.LBB113_99:
	v_mov_b32_e32 v102, 0
	s_andn2_b32 vcc_lo, exec_lo, s6
	s_cbranch_vccnz .LBB113_101
; %bb.100:
	v_add_co_u32 v104, vcc_lo, v100, v166
	v_add_co_ci_u32_e64 v105, null, v101, v167, vcc_lo
	flat_load_dwordx2 v[104:105], v[104:105]
	s_waitcnt vmcnt(0) lgkmcnt(0)
	v_mul_f64 v[104:105], s[2:3], v[104:105]
	v_cvt_f32_f64_e32 v102, v[104:105]
	v_add_co_u32 v104, vcc_lo, v98, v166
	v_add_co_ci_u32_e64 v105, null, v99, v167, vcc_lo
	v_add_co_u32 v100, vcc_lo, v100, v162
	v_add_co_ci_u32_e64 v101, null, v101, v163, vcc_lo
	v_min_f32_e32 v102, v102, v103
	v_cvt_f64_f32_e32 v[102:103], v102
	flat_store_dwordx2 v[104:105], v[102:103]
	flat_load_dwordx2 v[100:101], v[100:101]
	s_waitcnt vmcnt(0) lgkmcnt(0)
	v_mul_f64 v[100:101], s[2:3], v[100:101]
	v_cvt_f32_f64_e32 v102, v[100:101]
.LBB113_101:
	v_add_f64 v[94:95], v[2:3], v[94:95]
	v_add_f64 v[96:97], v[4:5], v[96:97]
	;; [unrolled: 1-line block ×6, first 2 shown]
	v_add_co_u32 v98, vcc_lo, v98, v162
	v_add_co_ci_u32_e64 v99, null, v99, v163, vcc_lo
	s_mov_b32 s6, -1
	v_cvt_f32_f64_e32 v94, v[94:95]
	v_cvt_f32_f64_e32 v95, v[96:97]
	;; [unrolled: 1-line block ×4, first 2 shown]
	v_add_f64 v[90:91], v[34:35], v[82:83]
	v_add_f64 v[92:93], v[36:37], v[84:85]
	v_cvt_f32_f64_e32 v103, v[103:104]
	v_cvt_f32_f64_e32 v100, v[100:101]
	v_add_nc_u32_e32 v101, 0x48, v168
	v_min3_f32 v94, v94, v95, v193
	v_min_f32_e32 v95, v96, v97
	v_cvt_f32_f64_e32 v104, v[90:91]
	v_cvt_f32_f64_e32 v105, v[92:93]
	v_mad_i64_i32 v[90:91], null, v101, s8, 0
	v_min3_f32 v92, v102, v95, v94
	v_min3_f32 v94, v103, v100, v192
	v_cvt_f64_f32_e32 v[96:97], v92
	v_mad_i64_i32 v[92:93], null, v101, s1, 0
	v_lshlrev_b64 v[90:91], 3, v[90:91]
	v_add_co_u32 v90, vcc_lo, s4, v90
	v_lshlrev_b64 v[92:93], 3, v[92:93]
	v_add_co_ci_u32_e64 v91, null, s5, v91, vcc_lo
	v_min3_f32 v94, v104, v105, v94
	v_add_co_u32 v92, vcc_lo, s10, v92
	v_add_co_ci_u32_e64 v93, null, s11, v93, vcc_lo
	v_max_f32_e32 v95, v94, v94
	s_mov_b32 vcc_lo, s0
	flat_store_dwordx2 v[98:99], v[96:97]
	s_cbranch_vccz .LBB113_103
; %bb.102:
	v_min_f32_e32 v94, 0, v95
	v_add_co_u32 v98, vcc_lo, v90, v164
	v_add_co_ci_u32_e64 v99, null, v91, v165, vcc_lo
	v_cvt_f64_f32_e32 v[96:97], v94
	s_mov_b32 s6, 0
	flat_store_dwordx2 v[98:99], v[96:97]
.LBB113_103:
	v_mov_b32_e32 v94, 0
	s_andn2_b32 vcc_lo, exec_lo, s6
	s_cbranch_vccnz .LBB113_105
; %bb.104:
	v_add_co_u32 v96, vcc_lo, v92, v164
	v_add_co_ci_u32_e64 v97, null, v93, v165, vcc_lo
	flat_load_dwordx2 v[96:97], v[96:97]
	s_waitcnt vmcnt(0) lgkmcnt(0)
	v_mul_f64 v[96:97], s[2:3], v[96:97]
	v_cvt_f32_f64_e32 v94, v[96:97]
	v_add_co_u32 v96, vcc_lo, v90, v164
	v_add_co_ci_u32_e64 v97, null, v91, v165, vcc_lo
	v_add_co_u32 v98, vcc_lo, v92, v0
	v_add_co_ci_u32_e64 v99, null, v93, v1, vcc_lo
	v_min_f32_e32 v94, v94, v95
	v_cvt_f64_f32_e32 v[94:95], v94
	flat_store_dwordx2 v[96:97], v[94:95]
	flat_load_dwordx2 v[94:95], v[98:99]
	s_waitcnt vmcnt(0) lgkmcnt(0)
	v_mul_f64 v[94:95], s[2:3], v[94:95]
	v_cvt_f32_f64_e32 v94, v[94:95]
.LBB113_105:
	v_add_f64 v[95:96], v[22:23], v[86:87]
	v_add_f64 v[97:98], v[24:25], v[88:89]
	v_add_f64 v[99:100], v[30:31], v[82:83]
	v_add_f64 v[101:102], v[32:33], v[84:85]
	v_add_f64 v[103:104], v[28:29], v[88:89]
	v_add_f64 v[105:106], v[26:27], v[86:87]
	v_add_f64 v[107:108], v[18:19], v[82:83]
	s_mov_b32 s6, -1
	v_cvt_f32_f64_e32 v109, v[95:96]
	v_cvt_f32_f64_e32 v97, v[97:98]
	;; [unrolled: 1-line block ×4, first 2 shown]
	v_add_f64 v[95:96], v[20:21], v[84:85]
	v_cvt_f32_f64_e32 v100, v[105:106]
	v_cvt_f32_f64_e32 v101, v[103:104]
	;; [unrolled: 1-line block ×3, first 2 shown]
	v_min3_f32 v97, v109, v97, v226
	v_min_f32_e32 v98, v98, v99
	v_cvt_f32_f64_e32 v95, v[95:96]
	v_min3_f32 v94, v94, v98, v97
	v_add_co_u32 v98, vcc_lo, v90, v0
	v_add_co_ci_u32_e64 v99, null, v91, v1, vcc_lo
	v_cvt_f64_f32_e32 v[96:97], v94
	v_min3_f32 v94, v100, v101, v227
	s_mov_b32 vcc_lo, s0
	v_min3_f32 v94, v102, v95, v94
	v_max_f32_e32 v95, v94, v94
	flat_store_dwordx2 v[98:99], v[96:97]
	s_cbranch_vccz .LBB113_107
; %bb.106:
	v_min_f32_e32 v94, 0, v95
	v_add_co_u32 v98, vcc_lo, v90, v166
	v_add_co_ci_u32_e64 v99, null, v91, v167, vcc_lo
	v_cvt_f64_f32_e32 v[96:97], v94
	s_mov_b32 s6, 0
	flat_store_dwordx2 v[98:99], v[96:97]
.LBB113_107:
	v_mov_b32_e32 v94, 0
	s_andn2_b32 vcc_lo, exec_lo, s6
	s_cbranch_vccnz .LBB113_109
; %bb.108:
	v_add_co_u32 v96, vcc_lo, v92, v166
	v_add_co_ci_u32_e64 v97, null, v93, v167, vcc_lo
	flat_load_dwordx2 v[96:97], v[96:97]
	s_waitcnt vmcnt(0) lgkmcnt(0)
	v_mul_f64 v[96:97], s[2:3], v[96:97]
	v_cvt_f32_f64_e32 v94, v[96:97]
	v_add_co_u32 v96, vcc_lo, v90, v166
	v_add_co_ci_u32_e64 v97, null, v91, v167, vcc_lo
	v_add_co_u32 v92, vcc_lo, v92, v162
	v_add_co_ci_u32_e64 v93, null, v93, v163, vcc_lo
	v_min_f32_e32 v94, v94, v95
	v_cvt_f64_f32_e32 v[94:95], v94
	flat_store_dwordx2 v[96:97], v[94:95]
	flat_load_dwordx2 v[92:93], v[92:93]
	s_waitcnt vmcnt(0) lgkmcnt(0)
	v_mul_f64 v[92:93], s[2:3], v[92:93]
	v_cvt_f32_f64_e32 v94, v[92:93]
.LBB113_109:
	v_add_f64 v[86:87], v[2:3], v[86:87]
	v_add_f64 v[88:89], v[4:5], v[88:89]
	;; [unrolled: 1-line block ×6, first 2 shown]
	v_add_co_u32 v90, vcc_lo, v90, v162
	v_add_co_ci_u32_e64 v91, null, v91, v163, vcc_lo
	s_mov_b32 s6, -1
	v_cvt_f32_f64_e32 v86, v[86:87]
	v_cvt_f32_f64_e32 v87, v[88:89]
	;; [unrolled: 1-line block ×4, first 2 shown]
	v_add_f64 v[82:83], v[34:35], v[74:75]
	v_add_f64 v[84:85], v[36:37], v[76:77]
	v_cvt_f32_f64_e32 v95, v[95:96]
	v_cvt_f32_f64_e32 v92, v[92:93]
	v_add_nc_u32_e32 v93, 0x50, v168
	v_min3_f32 v86, v86, v87, v225
	v_min_f32_e32 v87, v88, v89
	v_cvt_f32_f64_e32 v96, v[82:83]
	v_cvt_f32_f64_e32 v97, v[84:85]
	v_mad_i64_i32 v[82:83], null, v93, s8, 0
	v_min3_f32 v84, v94, v87, v86
	v_min3_f32 v86, v95, v92, v255
	v_cvt_f64_f32_e32 v[88:89], v84
	v_mad_i64_i32 v[84:85], null, v93, s1, 0
	v_lshlrev_b64 v[82:83], 3, v[82:83]
	v_add_co_u32 v82, vcc_lo, s4, v82
	v_lshlrev_b64 v[84:85], 3, v[84:85]
	v_add_co_ci_u32_e64 v83, null, s5, v83, vcc_lo
	v_min3_f32 v86, v96, v97, v86
	v_add_co_u32 v84, vcc_lo, s10, v84
	v_add_co_ci_u32_e64 v85, null, s11, v85, vcc_lo
	v_max_f32_e32 v87, v86, v86
	s_mov_b32 vcc_lo, s0
	flat_store_dwordx2 v[90:91], v[88:89]
	s_cbranch_vccz .LBB113_111
; %bb.110:
	v_min_f32_e32 v86, 0, v87
	v_add_co_u32 v90, vcc_lo, v82, v164
	v_add_co_ci_u32_e64 v91, null, v83, v165, vcc_lo
	v_cvt_f64_f32_e32 v[88:89], v86
	s_mov_b32 s6, 0
	flat_store_dwordx2 v[90:91], v[88:89]
.LBB113_111:
	v_mov_b32_e32 v86, 0
	s_andn2_b32 vcc_lo, exec_lo, s6
	s_cbranch_vccnz .LBB113_113
; %bb.112:
	v_add_co_u32 v88, vcc_lo, v84, v164
	v_add_co_ci_u32_e64 v89, null, v85, v165, vcc_lo
	flat_load_dwordx2 v[88:89], v[88:89]
	s_waitcnt vmcnt(0) lgkmcnt(0)
	v_mul_f64 v[88:89], s[2:3], v[88:89]
	v_cvt_f32_f64_e32 v86, v[88:89]
	v_add_co_u32 v88, vcc_lo, v82, v164
	v_add_co_ci_u32_e64 v89, null, v83, v165, vcc_lo
	v_add_co_u32 v90, vcc_lo, v84, v0
	v_add_co_ci_u32_e64 v91, null, v85, v1, vcc_lo
	v_min_f32_e32 v86, v86, v87
	v_cvt_f64_f32_e32 v[86:87], v86
	flat_store_dwordx2 v[88:89], v[86:87]
	flat_load_dwordx2 v[86:87], v[90:91]
	s_waitcnt vmcnt(0) lgkmcnt(0)
	v_mul_f64 v[86:87], s[2:3], v[86:87]
	v_cvt_f32_f64_e32 v86, v[86:87]
.LBB113_113:
	v_add_f64 v[87:88], v[22:23], v[78:79]
	v_add_f64 v[89:90], v[24:25], v[80:81]
	;; [unrolled: 1-line block ×7, first 2 shown]
	s_mov_b32 s6, -1
	v_cvt_f32_f64_e32 v101, v[87:88]
	v_cvt_f32_f64_e32 v89, v[89:90]
	;; [unrolled: 1-line block ×4, first 2 shown]
	v_add_f64 v[87:88], v[20:21], v[76:77]
	v_cvt_f32_f64_e32 v92, v[97:98]
	v_cvt_f32_f64_e32 v93, v[95:96]
	;; [unrolled: 1-line block ×3, first 2 shown]
	v_min3_f32 v89, v101, v89, v215
	v_min_f32_e32 v90, v90, v91
	v_cvt_f32_f64_e32 v87, v[87:88]
	v_min3_f32 v86, v86, v90, v89
	v_add_co_u32 v90, vcc_lo, v82, v0
	v_add_co_ci_u32_e64 v91, null, v83, v1, vcc_lo
	v_cvt_f64_f32_e32 v[88:89], v86
	v_min3_f32 v86, v92, v93, v197
	s_mov_b32 vcc_lo, s0
	v_min3_f32 v86, v94, v87, v86
	v_max_f32_e32 v87, v86, v86
	flat_store_dwordx2 v[90:91], v[88:89]
	s_cbranch_vccz .LBB113_115
; %bb.114:
	v_min_f32_e32 v86, 0, v87
	v_add_co_u32 v90, vcc_lo, v82, v166
	v_add_co_ci_u32_e64 v91, null, v83, v167, vcc_lo
	v_cvt_f64_f32_e32 v[88:89], v86
	s_mov_b32 s6, 0
	flat_store_dwordx2 v[90:91], v[88:89]
.LBB113_115:
	v_mov_b32_e32 v86, 0
	s_andn2_b32 vcc_lo, exec_lo, s6
	s_cbranch_vccnz .LBB113_117
; %bb.116:
	v_add_co_u32 v88, vcc_lo, v84, v166
	v_add_co_ci_u32_e64 v89, null, v85, v167, vcc_lo
	flat_load_dwordx2 v[88:89], v[88:89]
	s_waitcnt vmcnt(0) lgkmcnt(0)
	v_mul_f64 v[88:89], s[2:3], v[88:89]
	v_cvt_f32_f64_e32 v86, v[88:89]
	v_add_co_u32 v88, vcc_lo, v82, v166
	v_add_co_ci_u32_e64 v89, null, v83, v167, vcc_lo
	v_add_co_u32 v84, vcc_lo, v84, v162
	v_add_co_ci_u32_e64 v85, null, v85, v163, vcc_lo
	v_min_f32_e32 v86, v86, v87
	v_cvt_f64_f32_e32 v[86:87], v86
	flat_store_dwordx2 v[88:89], v[86:87]
	flat_load_dwordx2 v[84:85], v[84:85]
	s_waitcnt vmcnt(0) lgkmcnt(0)
	v_mul_f64 v[84:85], s[2:3], v[84:85]
	v_cvt_f32_f64_e32 v86, v[84:85]
.LBB113_117:
	v_add_f64 v[78:79], v[2:3], v[78:79]
	v_add_f64 v[80:81], v[4:5], v[80:81]
	;; [unrolled: 1-line block ×6, first 2 shown]
	v_add_co_u32 v82, vcc_lo, v82, v162
	v_add_co_ci_u32_e64 v83, null, v83, v163, vcc_lo
	s_mov_b32 s6, -1
	v_cvt_f32_f64_e32 v78, v[78:79]
	v_cvt_f32_f64_e32 v79, v[80:81]
	;; [unrolled: 1-line block ×4, first 2 shown]
	v_add_f64 v[74:75], v[34:35], v[66:67]
	v_add_f64 v[76:77], v[36:37], v[68:69]
	v_cvt_f32_f64_e32 v87, v[87:88]
	v_cvt_f32_f64_e32 v84, v[84:85]
	v_add_nc_u32_e32 v85, 0x58, v168
	v_min3_f32 v78, v78, v79, v195
	v_min_f32_e32 v79, v80, v81
	v_cvt_f32_f64_e32 v88, v[74:75]
	v_cvt_f32_f64_e32 v89, v[76:77]
	v_mad_i64_i32 v[74:75], null, v85, s8, 0
	v_min3_f32 v76, v86, v79, v78
	v_min3_f32 v78, v87, v84, v194
	v_cvt_f64_f32_e32 v[80:81], v76
	v_mad_i64_i32 v[76:77], null, v85, s1, 0
	v_lshlrev_b64 v[74:75], 3, v[74:75]
	v_add_co_u32 v74, vcc_lo, s4, v74
	v_lshlrev_b64 v[76:77], 3, v[76:77]
	v_add_co_ci_u32_e64 v75, null, s5, v75, vcc_lo
	v_min3_f32 v78, v88, v89, v78
	v_add_co_u32 v76, vcc_lo, s10, v76
	v_add_co_ci_u32_e64 v77, null, s11, v77, vcc_lo
	v_max_f32_e32 v79, v78, v78
	s_mov_b32 vcc_lo, s0
	flat_store_dwordx2 v[82:83], v[80:81]
	s_cbranch_vccz .LBB113_119
; %bb.118:
	v_min_f32_e32 v78, 0, v79
	v_add_co_u32 v82, vcc_lo, v74, v164
	v_add_co_ci_u32_e64 v83, null, v75, v165, vcc_lo
	v_cvt_f64_f32_e32 v[80:81], v78
	s_mov_b32 s6, 0
	flat_store_dwordx2 v[82:83], v[80:81]
.LBB113_119:
	v_mov_b32_e32 v78, 0
	s_andn2_b32 vcc_lo, exec_lo, s6
	s_cbranch_vccnz .LBB113_121
; %bb.120:
	v_add_co_u32 v80, vcc_lo, v76, v164
	v_add_co_ci_u32_e64 v81, null, v77, v165, vcc_lo
	flat_load_dwordx2 v[80:81], v[80:81]
	s_waitcnt vmcnt(0) lgkmcnt(0)
	v_mul_f64 v[80:81], s[2:3], v[80:81]
	v_cvt_f32_f64_e32 v78, v[80:81]
	v_add_co_u32 v80, vcc_lo, v74, v164
	v_add_co_ci_u32_e64 v81, null, v75, v165, vcc_lo
	v_add_co_u32 v82, vcc_lo, v76, v0
	v_add_co_ci_u32_e64 v83, null, v77, v1, vcc_lo
	v_min_f32_e32 v78, v78, v79
	v_cvt_f64_f32_e32 v[78:79], v78
	flat_store_dwordx2 v[80:81], v[78:79]
	flat_load_dwordx2 v[78:79], v[82:83]
	s_waitcnt vmcnt(0) lgkmcnt(0)
	v_mul_f64 v[78:79], s[2:3], v[78:79]
	v_cvt_f32_f64_e32 v78, v[78:79]
.LBB113_121:
	v_add_f64 v[79:80], v[22:23], v[70:71]
	v_add_f64 v[81:82], v[24:25], v[72:73]
	;; [unrolled: 1-line block ×7, first 2 shown]
	s_mov_b32 s6, -1
	v_cvt_f32_f64_e32 v93, v[79:80]
	v_cvt_f32_f64_e32 v81, v[81:82]
	;; [unrolled: 1-line block ×4, first 2 shown]
	v_add_f64 v[79:80], v[20:21], v[68:69]
	v_cvt_f32_f64_e32 v84, v[89:90]
	v_cvt_f32_f64_e32 v85, v[87:88]
	;; [unrolled: 1-line block ×3, first 2 shown]
	v_min3_f32 v81, v93, v81, v228
	v_min_f32_e32 v82, v82, v83
	v_cvt_f32_f64_e32 v79, v[79:80]
	v_min3_f32 v78, v78, v82, v81
	v_add_co_u32 v82, vcc_lo, v74, v0
	v_add_co_ci_u32_e64 v83, null, v75, v1, vcc_lo
	v_cvt_f64_f32_e32 v[80:81], v78
	v_min3_f32 v78, v84, v85, v216
	s_mov_b32 vcc_lo, s0
	v_min3_f32 v78, v86, v79, v78
	v_max_f32_e32 v79, v78, v78
	flat_store_dwordx2 v[82:83], v[80:81]
	s_cbranch_vccz .LBB113_123
; %bb.122:
	v_min_f32_e32 v78, 0, v79
	v_add_co_u32 v82, vcc_lo, v74, v166
	v_add_co_ci_u32_e64 v83, null, v75, v167, vcc_lo
	v_cvt_f64_f32_e32 v[80:81], v78
	s_mov_b32 s6, 0
	flat_store_dwordx2 v[82:83], v[80:81]
.LBB113_123:
	v_mov_b32_e32 v78, 0
	s_andn2_b32 vcc_lo, exec_lo, s6
	s_cbranch_vccnz .LBB113_125
; %bb.124:
	v_add_co_u32 v80, vcc_lo, v76, v166
	v_add_co_ci_u32_e64 v81, null, v77, v167, vcc_lo
	flat_load_dwordx2 v[80:81], v[80:81]
	s_waitcnt vmcnt(0) lgkmcnt(0)
	v_mul_f64 v[80:81], s[2:3], v[80:81]
	v_cvt_f32_f64_e32 v78, v[80:81]
	v_add_co_u32 v80, vcc_lo, v74, v166
	v_add_co_ci_u32_e64 v81, null, v75, v167, vcc_lo
	v_add_co_u32 v76, vcc_lo, v76, v162
	v_add_co_ci_u32_e64 v77, null, v77, v163, vcc_lo
	v_min_f32_e32 v78, v78, v79
	v_cvt_f64_f32_e32 v[78:79], v78
	flat_store_dwordx2 v[80:81], v[78:79]
	flat_load_dwordx2 v[76:77], v[76:77]
	s_waitcnt vmcnt(0) lgkmcnt(0)
	v_mul_f64 v[76:77], s[2:3], v[76:77]
	v_cvt_f32_f64_e32 v78, v[76:77]
.LBB113_125:
	v_add_f64 v[70:71], v[2:3], v[70:71]
	v_add_f64 v[72:73], v[4:5], v[72:73]
	;; [unrolled: 1-line block ×6, first 2 shown]
	v_add_co_u32 v74, vcc_lo, v74, v162
	v_add_co_ci_u32_e64 v75, null, v75, v163, vcc_lo
	s_mov_b32 s6, -1
	v_cvt_f32_f64_e32 v70, v[70:71]
	v_cvt_f32_f64_e32 v71, v[72:73]
	;; [unrolled: 1-line block ×4, first 2 shown]
	v_add_f64 v[66:67], v[34:35], v[58:59]
	v_add_f64 v[68:69], v[36:37], v[60:61]
	v_cvt_f32_f64_e32 v79, v[79:80]
	v_cvt_f32_f64_e32 v76, v[76:77]
	v_add_nc_u32_e32 v77, 0x60, v168
	v_min3_f32 v70, v70, v71, v214
	v_min_f32_e32 v71, v72, v73
	v_cvt_f32_f64_e32 v80, v[66:67]
	v_cvt_f32_f64_e32 v81, v[68:69]
	v_mad_i64_i32 v[66:67], null, v77, s8, 0
	v_min3_f32 v68, v78, v71, v70
	v_min3_f32 v70, v79, v76, v213
	v_cvt_f64_f32_e32 v[72:73], v68
	v_mad_i64_i32 v[68:69], null, v77, s1, 0
	v_lshlrev_b64 v[66:67], 3, v[66:67]
	v_add_co_u32 v66, vcc_lo, s4, v66
	v_lshlrev_b64 v[68:69], 3, v[68:69]
	v_add_co_ci_u32_e64 v67, null, s5, v67, vcc_lo
	v_min3_f32 v70, v80, v81, v70
	v_add_co_u32 v68, vcc_lo, s10, v68
	v_add_co_ci_u32_e64 v69, null, s11, v69, vcc_lo
	v_max_f32_e32 v71, v70, v70
	s_mov_b32 vcc_lo, s0
	flat_store_dwordx2 v[74:75], v[72:73]
	s_cbranch_vccz .LBB113_127
; %bb.126:
	v_min_f32_e32 v70, 0, v71
	v_add_co_u32 v74, vcc_lo, v66, v164
	v_add_co_ci_u32_e64 v75, null, v67, v165, vcc_lo
	v_cvt_f64_f32_e32 v[72:73], v70
	s_mov_b32 s6, 0
	flat_store_dwordx2 v[74:75], v[72:73]
.LBB113_127:
	v_mov_b32_e32 v70, 0
	s_andn2_b32 vcc_lo, exec_lo, s6
	s_cbranch_vccnz .LBB113_129
; %bb.128:
	v_add_co_u32 v72, vcc_lo, v68, v164
	v_add_co_ci_u32_e64 v73, null, v69, v165, vcc_lo
	flat_load_dwordx2 v[72:73], v[72:73]
	s_waitcnt vmcnt(0) lgkmcnt(0)
	v_mul_f64 v[72:73], s[2:3], v[72:73]
	v_cvt_f32_f64_e32 v70, v[72:73]
	v_add_co_u32 v72, vcc_lo, v66, v164
	v_add_co_ci_u32_e64 v73, null, v67, v165, vcc_lo
	v_add_co_u32 v74, vcc_lo, v68, v0
	v_add_co_ci_u32_e64 v75, null, v69, v1, vcc_lo
	v_min_f32_e32 v70, v70, v71
	v_cvt_f64_f32_e32 v[70:71], v70
	flat_store_dwordx2 v[72:73], v[70:71]
	flat_load_dwordx2 v[70:71], v[74:75]
	s_waitcnt vmcnt(0) lgkmcnt(0)
	v_mul_f64 v[70:71], s[2:3], v[70:71]
	v_cvt_f32_f64_e32 v70, v[70:71]
.LBB113_129:
	v_add_f64 v[71:72], v[22:23], v[62:63]
	v_add_f64 v[73:74], v[24:25], v[64:65]
	;; [unrolled: 1-line block ×7, first 2 shown]
	s_mov_b32 s6, -1
	v_cvt_f32_f64_e32 v85, v[71:72]
	v_cvt_f32_f64_e32 v73, v[73:74]
	;; [unrolled: 1-line block ×4, first 2 shown]
	v_add_f64 v[71:72], v[20:21], v[60:61]
	v_cvt_f32_f64_e32 v76, v[81:82]
	v_cvt_f32_f64_e32 v77, v[79:80]
	;; [unrolled: 1-line block ×3, first 2 shown]
	v_min3_f32 v73, v85, v73, v211
	v_min_f32_e32 v74, v74, v75
	v_cvt_f32_f64_e32 v71, v[71:72]
	v_min3_f32 v70, v70, v74, v73
	v_add_co_u32 v74, vcc_lo, v66, v0
	v_add_co_ci_u32_e64 v75, null, v67, v1, vcc_lo
	v_cvt_f64_f32_e32 v[72:73], v70
	v_min3_f32 v70, v76, v77, v212
	s_mov_b32 vcc_lo, s0
	v_min3_f32 v70, v78, v71, v70
	v_max_f32_e32 v71, v70, v70
	flat_store_dwordx2 v[74:75], v[72:73]
	s_cbranch_vccz .LBB113_131
; %bb.130:
	v_min_f32_e32 v70, 0, v71
	v_add_co_u32 v74, vcc_lo, v66, v166
	v_add_co_ci_u32_e64 v75, null, v67, v167, vcc_lo
	v_cvt_f64_f32_e32 v[72:73], v70
	s_mov_b32 s6, 0
	flat_store_dwordx2 v[74:75], v[72:73]
.LBB113_131:
	v_mov_b32_e32 v70, 0
	s_andn2_b32 vcc_lo, exec_lo, s6
	s_cbranch_vccnz .LBB113_133
; %bb.132:
	v_add_co_u32 v72, vcc_lo, v68, v166
	v_add_co_ci_u32_e64 v73, null, v69, v167, vcc_lo
	flat_load_dwordx2 v[72:73], v[72:73]
	s_waitcnt vmcnt(0) lgkmcnt(0)
	v_mul_f64 v[72:73], s[2:3], v[72:73]
	v_cvt_f32_f64_e32 v70, v[72:73]
	v_add_co_u32 v72, vcc_lo, v66, v166
	v_add_co_ci_u32_e64 v73, null, v67, v167, vcc_lo
	v_add_co_u32 v68, vcc_lo, v68, v162
	v_add_co_ci_u32_e64 v69, null, v69, v163, vcc_lo
	v_min_f32_e32 v70, v70, v71
	v_cvt_f64_f32_e32 v[70:71], v70
	flat_store_dwordx2 v[72:73], v[70:71]
	flat_load_dwordx2 v[68:69], v[68:69]
	s_waitcnt vmcnt(0) lgkmcnt(0)
	v_mul_f64 v[68:69], s[2:3], v[68:69]
	v_cvt_f32_f64_e32 v70, v[68:69]
.LBB113_133:
	v_add_f64 v[62:63], v[2:3], v[62:63]
	v_add_f64 v[64:65], v[4:5], v[64:65]
	;; [unrolled: 1-line block ×6, first 2 shown]
	v_add_co_u32 v66, vcc_lo, v66, v162
	v_add_co_ci_u32_e64 v67, null, v67, v163, vcc_lo
	s_mov_b32 s6, -1
	v_cvt_f32_f64_e32 v62, v[62:63]
	v_cvt_f32_f64_e32 v63, v[64:65]
	;; [unrolled: 1-line block ×4, first 2 shown]
	v_add_f64 v[58:59], v[34:35], v[50:51]
	v_add_f64 v[60:61], v[36:37], v[52:53]
	v_cvt_f32_f64_e32 v71, v[71:72]
	v_cvt_f32_f64_e32 v68, v[68:69]
	v_add_nc_u32_e32 v69, 0x68, v168
	v_min3_f32 v62, v62, v63, v210
	v_min_f32_e32 v63, v64, v65
	v_cvt_f32_f64_e32 v72, v[58:59]
	v_cvt_f32_f64_e32 v73, v[60:61]
	v_mad_i64_i32 v[58:59], null, v69, s8, 0
	v_min3_f32 v60, v70, v63, v62
	v_min3_f32 v62, v71, v68, v209
	v_cvt_f64_f32_e32 v[64:65], v60
	v_mad_i64_i32 v[60:61], null, v69, s1, 0
	v_lshlrev_b64 v[58:59], 3, v[58:59]
	v_add_co_u32 v58, vcc_lo, s4, v58
	v_lshlrev_b64 v[60:61], 3, v[60:61]
	v_add_co_ci_u32_e64 v59, null, s5, v59, vcc_lo
	v_min3_f32 v62, v72, v73, v62
	v_add_co_u32 v60, vcc_lo, s10, v60
	v_add_co_ci_u32_e64 v61, null, s11, v61, vcc_lo
	v_max_f32_e32 v63, v62, v62
	s_mov_b32 vcc_lo, s0
	flat_store_dwordx2 v[66:67], v[64:65]
	s_cbranch_vccz .LBB113_135
; %bb.134:
	v_min_f32_e32 v62, 0, v63
	v_add_co_u32 v66, vcc_lo, v58, v164
	v_add_co_ci_u32_e64 v67, null, v59, v165, vcc_lo
	v_cvt_f64_f32_e32 v[64:65], v62
	s_mov_b32 s6, 0
	flat_store_dwordx2 v[66:67], v[64:65]
.LBB113_135:
	v_mov_b32_e32 v62, 0
	s_andn2_b32 vcc_lo, exec_lo, s6
	s_cbranch_vccnz .LBB113_137
; %bb.136:
	v_add_co_u32 v64, vcc_lo, v60, v164
	v_add_co_ci_u32_e64 v65, null, v61, v165, vcc_lo
	flat_load_dwordx2 v[64:65], v[64:65]
	s_waitcnt vmcnt(0) lgkmcnt(0)
	v_mul_f64 v[64:65], s[2:3], v[64:65]
	v_cvt_f32_f64_e32 v62, v[64:65]
	v_add_co_u32 v64, vcc_lo, v58, v164
	v_add_co_ci_u32_e64 v65, null, v59, v165, vcc_lo
	v_add_co_u32 v66, vcc_lo, v60, v0
	v_add_co_ci_u32_e64 v67, null, v61, v1, vcc_lo
	v_min_f32_e32 v62, v62, v63
	v_cvt_f64_f32_e32 v[62:63], v62
	flat_store_dwordx2 v[64:65], v[62:63]
	flat_load_dwordx2 v[62:63], v[66:67]
	s_waitcnt vmcnt(0) lgkmcnt(0)
	v_mul_f64 v[62:63], s[2:3], v[62:63]
	v_cvt_f32_f64_e32 v62, v[62:63]
.LBB113_137:
	v_add_f64 v[63:64], v[22:23], v[54:55]
	v_add_f64 v[65:66], v[24:25], v[56:57]
	v_add_f64 v[67:68], v[30:31], v[50:51]
	v_add_f64 v[69:70], v[32:33], v[52:53]
	v_add_f64 v[71:72], v[28:29], v[56:57]
	v_add_f64 v[73:74], v[26:27], v[54:55]
	v_add_f64 v[75:76], v[18:19], v[50:51]
	s_mov_b32 s6, -1
	v_cvt_f32_f64_e32 v77, v[63:64]
	v_cvt_f32_f64_e32 v65, v[65:66]
	;; [unrolled: 1-line block ×4, first 2 shown]
	v_add_f64 v[63:64], v[20:21], v[52:53]
	v_cvt_f32_f64_e32 v68, v[73:74]
	v_cvt_f32_f64_e32 v69, v[71:72]
	;; [unrolled: 1-line block ×3, first 2 shown]
	v_min3_f32 v65, v77, v65, v207
	v_min_f32_e32 v66, v66, v67
	v_cvt_f32_f64_e32 v63, v[63:64]
	v_min3_f32 v62, v62, v66, v65
	v_add_co_u32 v66, vcc_lo, v58, v0
	v_add_co_ci_u32_e64 v67, null, v59, v1, vcc_lo
	v_cvt_f64_f32_e32 v[64:65], v62
	v_min3_f32 v62, v68, v69, v208
	s_mov_b32 vcc_lo, s0
	v_min3_f32 v62, v70, v63, v62
	v_max_f32_e32 v63, v62, v62
	flat_store_dwordx2 v[66:67], v[64:65]
	s_cbranch_vccz .LBB113_139
; %bb.138:
	v_min_f32_e32 v62, 0, v63
	v_add_co_u32 v66, vcc_lo, v58, v166
	v_add_co_ci_u32_e64 v67, null, v59, v167, vcc_lo
	v_cvt_f64_f32_e32 v[64:65], v62
	s_mov_b32 s6, 0
	flat_store_dwordx2 v[66:67], v[64:65]
.LBB113_139:
	v_mov_b32_e32 v62, 0
	s_andn2_b32 vcc_lo, exec_lo, s6
	s_cbranch_vccnz .LBB113_141
; %bb.140:
	v_add_co_u32 v64, vcc_lo, v60, v166
	v_add_co_ci_u32_e64 v65, null, v61, v167, vcc_lo
	flat_load_dwordx2 v[64:65], v[64:65]
	s_waitcnt vmcnt(0) lgkmcnt(0)
	v_mul_f64 v[64:65], s[2:3], v[64:65]
	v_cvt_f32_f64_e32 v62, v[64:65]
	v_add_co_u32 v64, vcc_lo, v58, v166
	v_add_co_ci_u32_e64 v65, null, v59, v167, vcc_lo
	v_add_co_u32 v60, vcc_lo, v60, v162
	v_add_co_ci_u32_e64 v61, null, v61, v163, vcc_lo
	v_min_f32_e32 v62, v62, v63
	v_cvt_f64_f32_e32 v[62:63], v62
	flat_store_dwordx2 v[64:65], v[62:63]
	flat_load_dwordx2 v[60:61], v[60:61]
	s_waitcnt vmcnt(0) lgkmcnt(0)
	v_mul_f64 v[60:61], s[2:3], v[60:61]
	v_cvt_f32_f64_e32 v62, v[60:61]
.LBB113_141:
	v_add_f64 v[54:55], v[2:3], v[54:55]
	v_add_f64 v[56:57], v[4:5], v[56:57]
	;; [unrolled: 1-line block ×6, first 2 shown]
	v_add_co_u32 v58, vcc_lo, v58, v162
	v_add_co_ci_u32_e64 v59, null, v59, v163, vcc_lo
	s_mov_b32 s6, -1
	v_cvt_f32_f64_e32 v54, v[54:55]
	v_cvt_f32_f64_e32 v55, v[56:57]
	;; [unrolled: 1-line block ×4, first 2 shown]
	v_add_f64 v[50:51], v[34:35], v[42:43]
	v_add_f64 v[52:53], v[36:37], v[44:45]
	v_cvt_f32_f64_e32 v63, v[63:64]
	v_cvt_f32_f64_e32 v60, v[60:61]
	v_add_nc_u32_e32 v61, 0x70, v168
	v_min3_f32 v54, v54, v55, v206
	v_min_f32_e32 v55, v56, v57
	v_cvt_f32_f64_e32 v64, v[50:51]
	v_cvt_f32_f64_e32 v65, v[52:53]
	v_mad_i64_i32 v[50:51], null, v61, s8, 0
	v_min3_f32 v52, v62, v55, v54
	v_min3_f32 v54, v63, v60, v205
	v_cvt_f64_f32_e32 v[56:57], v52
	v_mad_i64_i32 v[52:53], null, v61, s1, 0
	v_lshlrev_b64 v[50:51], 3, v[50:51]
	v_add_co_u32 v50, vcc_lo, s4, v50
	v_lshlrev_b64 v[52:53], 3, v[52:53]
	v_add_co_ci_u32_e64 v51, null, s5, v51, vcc_lo
	v_min3_f32 v54, v64, v65, v54
	v_add_co_u32 v52, vcc_lo, s10, v52
	v_add_co_ci_u32_e64 v53, null, s11, v53, vcc_lo
	v_max_f32_e32 v55, v54, v54
	s_mov_b32 vcc_lo, s0
	flat_store_dwordx2 v[58:59], v[56:57]
	s_cbranch_vccz .LBB113_143
; %bb.142:
	v_min_f32_e32 v54, 0, v55
	v_add_co_u32 v58, vcc_lo, v50, v164
	v_add_co_ci_u32_e64 v59, null, v51, v165, vcc_lo
	v_cvt_f64_f32_e32 v[56:57], v54
	s_mov_b32 s6, 0
	flat_store_dwordx2 v[58:59], v[56:57]
.LBB113_143:
	v_mov_b32_e32 v54, 0
	s_andn2_b32 vcc_lo, exec_lo, s6
	s_cbranch_vccnz .LBB113_145
; %bb.144:
	v_add_co_u32 v56, vcc_lo, v52, v164
	v_add_co_ci_u32_e64 v57, null, v53, v165, vcc_lo
	flat_load_dwordx2 v[56:57], v[56:57]
	s_waitcnt vmcnt(0) lgkmcnt(0)
	v_mul_f64 v[56:57], s[2:3], v[56:57]
	v_cvt_f32_f64_e32 v54, v[56:57]
	v_add_co_u32 v56, vcc_lo, v50, v164
	v_add_co_ci_u32_e64 v57, null, v51, v165, vcc_lo
	v_add_co_u32 v58, vcc_lo, v52, v0
	v_add_co_ci_u32_e64 v59, null, v53, v1, vcc_lo
	v_min_f32_e32 v54, v54, v55
	v_cvt_f64_f32_e32 v[54:55], v54
	flat_store_dwordx2 v[56:57], v[54:55]
	flat_load_dwordx2 v[54:55], v[58:59]
	s_waitcnt vmcnt(0) lgkmcnt(0)
	v_mul_f64 v[54:55], s[2:3], v[54:55]
	v_cvt_f32_f64_e32 v54, v[54:55]
.LBB113_145:
	v_add_f64 v[55:56], v[22:23], v[46:47]
	v_add_f64 v[57:58], v[24:25], v[48:49]
	;; [unrolled: 1-line block ×7, first 2 shown]
	s_mov_b32 s6, -1
	v_cvt_f32_f64_e32 v69, v[55:56]
	v_cvt_f32_f64_e32 v57, v[57:58]
	;; [unrolled: 1-line block ×4, first 2 shown]
	v_add_f64 v[55:56], v[20:21], v[44:45]
	v_cvt_f32_f64_e32 v60, v[65:66]
	v_cvt_f32_f64_e32 v61, v[63:64]
	;; [unrolled: 1-line block ×3, first 2 shown]
	v_min3_f32 v57, v69, v57, v203
	v_min_f32_e32 v58, v58, v59
	v_cvt_f32_f64_e32 v55, v[55:56]
	v_min3_f32 v54, v54, v58, v57
	v_add_co_u32 v58, vcc_lo, v50, v0
	v_add_co_ci_u32_e64 v59, null, v51, v1, vcc_lo
	v_cvt_f64_f32_e32 v[56:57], v54
	v_min3_f32 v54, v60, v61, v204
	s_mov_b32 vcc_lo, s0
	v_min3_f32 v54, v62, v55, v54
	v_max_f32_e32 v55, v54, v54
	flat_store_dwordx2 v[58:59], v[56:57]
	s_cbranch_vccz .LBB113_147
; %bb.146:
	v_min_f32_e32 v54, 0, v55
	v_add_co_u32 v58, vcc_lo, v50, v166
	v_add_co_ci_u32_e64 v59, null, v51, v167, vcc_lo
	v_cvt_f64_f32_e32 v[56:57], v54
	s_mov_b32 s6, 0
	flat_store_dwordx2 v[58:59], v[56:57]
.LBB113_147:
	v_mov_b32_e32 v54, 0
	s_andn2_b32 vcc_lo, exec_lo, s6
	s_cbranch_vccnz .LBB113_149
; %bb.148:
	v_add_co_u32 v56, vcc_lo, v52, v166
	v_add_co_ci_u32_e64 v57, null, v53, v167, vcc_lo
	flat_load_dwordx2 v[56:57], v[56:57]
	s_waitcnt vmcnt(0) lgkmcnt(0)
	v_mul_f64 v[56:57], s[2:3], v[56:57]
	v_cvt_f32_f64_e32 v54, v[56:57]
	v_add_co_u32 v56, vcc_lo, v50, v166
	v_add_co_ci_u32_e64 v57, null, v51, v167, vcc_lo
	v_add_co_u32 v52, vcc_lo, v52, v162
	v_add_co_ci_u32_e64 v53, null, v53, v163, vcc_lo
	v_min_f32_e32 v54, v54, v55
	v_cvt_f64_f32_e32 v[54:55], v54
	flat_store_dwordx2 v[56:57], v[54:55]
	flat_load_dwordx2 v[52:53], v[52:53]
	s_waitcnt vmcnt(0) lgkmcnt(0)
	v_mul_f64 v[52:53], s[2:3], v[52:53]
	v_cvt_f32_f64_e32 v54, v[52:53]
.LBB113_149:
	v_add_f64 v[46:47], v[2:3], v[46:47]
	v_add_f64 v[48:49], v[4:5], v[48:49]
	;; [unrolled: 1-line block ×4, first 2 shown]
	s_waitcnt lgkmcnt(30)
	v_add_f64 v[40:41], v[40:41], v[12:13]
	v_add_f64 v[38:39], v[38:39], v[10:11]
	s_waitcnt lgkmcnt(29)
	v_add_f64 v[34:35], v[34:35], v[14:15]
	v_add_f64 v[36:37], v[36:37], v[16:17]
	v_cvt_f32_f64_e32 v46, v[46:47]
	v_cvt_f32_f64_e32 v47, v[48:49]
	;; [unrolled: 1-line block ×8, first 2 shown]
	v_min3_f32 v40, v46, v47, v202
	v_min_f32_e32 v41, v42, v43
	v_add_nc_u32_e32 v42, 0x78, v168
	v_min3_f32 v38, v38, v39, v201
	v_min3_f32 v36, v54, v41, v40
	v_mad_i64_i32 v[34:35], null, v42, s8, 0
	v_min3_f32 v38, v44, v45, v38
	v_cvt_f64_f32_e32 v[40:41], v36
	v_mad_i64_i32 v[36:37], null, v42, s1, 0
	v_add_co_u32 v42, vcc_lo, v50, v162
	v_lshlrev_b64 v[34:35], 3, v[34:35]
	v_add_co_ci_u32_e64 v43, null, v51, v163, vcc_lo
	v_max_f32_e32 v39, v38, v38
	v_lshlrev_b64 v[36:37], 3, v[36:37]
	s_mov_b32 s1, -1
	v_add_co_u32 v34, vcc_lo, s4, v34
	v_add_co_ci_u32_e64 v35, null, s5, v35, vcc_lo
	v_add_co_u32 v36, vcc_lo, s10, v36
	v_add_co_ci_u32_e64 v37, null, s11, v37, vcc_lo
	s_mov_b32 vcc_lo, s0
	flat_store_dwordx2 v[42:43], v[40:41]
	s_cbranch_vccz .LBB113_151
; %bb.150:
	v_min_f32_e32 v38, 0, v39
	v_add_co_u32 v42, vcc_lo, v34, v164
	v_add_co_ci_u32_e64 v43, null, v35, v165, vcc_lo
	v_cvt_f64_f32_e32 v[40:41], v38
	s_mov_b32 s1, 0
	flat_store_dwordx2 v[42:43], v[40:41]
.LBB113_151:
	v_mov_b32_e32 v38, 0
	s_andn2_b32 vcc_lo, exec_lo, s1
	s_cbranch_vccnz .LBB113_153
; %bb.152:
	v_add_co_u32 v40, vcc_lo, v36, v164
	v_add_co_ci_u32_e64 v41, null, v37, v165, vcc_lo
	flat_load_dwordx2 v[40:41], v[40:41]
	s_waitcnt vmcnt(0) lgkmcnt(0)
	v_mul_f64 v[40:41], s[2:3], v[40:41]
	v_cvt_f32_f64_e32 v38, v[40:41]
	v_add_co_u32 v40, vcc_lo, v34, v164
	v_add_co_ci_u32_e64 v41, null, v35, v165, vcc_lo
	v_add_co_u32 v42, vcc_lo, v36, v0
	v_add_co_ci_u32_e64 v43, null, v37, v1, vcc_lo
	v_min_f32_e32 v38, v38, v39
	v_cvt_f64_f32_e32 v[38:39], v38
	flat_store_dwordx2 v[40:41], v[38:39]
	flat_load_dwordx2 v[38:39], v[42:43]
	s_waitcnt vmcnt(0) lgkmcnt(0)
	v_mul_f64 v[38:39], s[2:3], v[38:39]
	v_cvt_f32_f64_e32 v38, v[38:39]
.LBB113_153:
	v_add_f64 v[22:23], v[22:23], v[10:11]
	v_add_f64 v[24:25], v[24:25], v[12:13]
	;; [unrolled: 1-line block ×8, first 2 shown]
	s_mov_b32 s1, -1
	v_cvt_f32_f64_e32 v22, v[22:23]
	v_cvt_f32_f64_e32 v23, v[24:25]
	;; [unrolled: 1-line block ×8, first 2 shown]
	v_min3_f32 v18, v22, v23, v200
	v_min_f32_e32 v19, v24, v25
	v_min3_f32 v21, v26, v27, v189
	v_min3_f32 v18, v38, v19, v18
	;; [unrolled: 1-line block ×3, first 2 shown]
	v_add_co_u32 v20, vcc_lo, v34, v0
	v_cvt_f64_f32_e32 v[18:19], v18
	v_add_co_ci_u32_e64 v21, null, v35, v1, vcc_lo
	v_max_f32_e32 v1, v22, v22
	s_mov_b32 vcc_lo, s0
	flat_store_dwordx2 v[20:21], v[18:19]
	s_cbranch_vccz .LBB113_155
; %bb.154:
	v_min_f32_e32 v0, 0, v1
	v_add_co_u32 v20, vcc_lo, v34, v166
	v_add_co_ci_u32_e64 v21, null, v35, v167, vcc_lo
	v_cvt_f64_f32_e32 v[18:19], v0
	s_mov_b32 s1, 0
	flat_store_dwordx2 v[20:21], v[18:19]
.LBB113_155:
	v_mov_b32_e32 v0, 0
	s_andn2_b32 vcc_lo, exec_lo, s1
	s_cbranch_vccnz .LBB113_157
; %bb.156:
	v_add_co_u32 v18, vcc_lo, v36, v166
	v_add_co_ci_u32_e64 v19, null, v37, v167, vcc_lo
	flat_load_dwordx2 v[18:19], v[18:19]
	s_waitcnt vmcnt(0) lgkmcnt(0)
	v_mul_f64 v[18:19], s[2:3], v[18:19]
	v_cvt_f32_f64_e32 v0, v[18:19]
	v_add_co_u32 v18, vcc_lo, v34, v166
	v_add_co_ci_u32_e64 v19, null, v35, v167, vcc_lo
	v_add_co_u32 v20, vcc_lo, v36, v162
	v_add_co_ci_u32_e64 v21, null, v37, v163, vcc_lo
	v_min_f32_e32 v0, v0, v1
	v_cvt_f64_f32_e32 v[0:1], v0
	flat_store_dwordx2 v[18:19], v[0:1]
	flat_load_dwordx2 v[0:1], v[20:21]
	s_waitcnt vmcnt(0) lgkmcnt(0)
	v_mul_f64 v[0:1], s[2:3], v[0:1]
	v_cvt_f32_f64_e32 v0, v[0:1]
.LBB113_157:
	v_add_f64 v[6:7], v[6:7], v[14:15]
	v_add_f64 v[8:9], v[8:9], v[16:17]
	;; [unrolled: 1-line block ×4, first 2 shown]
	v_cvt_f32_f64_e32 v5, v[6:7]
	v_cvt_f32_f64_e32 v6, v[8:9]
	;; [unrolled: 1-line block ×4, first 2 shown]
	v_min_f32_e32 v3, v5, v6
	v_min3_f32 v1, v1, v2, v188
	v_add_co_u32 v2, vcc_lo, v34, v162
	v_min3_f32 v0, v0, v3, v1
	v_add_co_ci_u32_e64 v3, null, v35, v163, vcc_lo
	v_cvt_f64_f32_e32 v[0:1], v0
	flat_store_dwordx2 v[2:3], v[0:1]
	s_endpgm
	.section	.rodata,"a",@progbits
	.p2align	6, 0x0
	.amdhsa_kernel _ZN12_GLOBAL__N_120geam_min_plus_kernelId15HIP_vector_typeIdLj2EEdLi32ELi8ELi128ELi128ELi4ELi4ELi64ELi4ELi64ELc84ELc78ELb0ELb0ELb1EdKPKdKPdEEviiiT16_PT17_ilSA_ilS8_SA_ilPT18_ili26rocblas_geam_ex_operation_
		.amdhsa_group_segment_fixed_size 16384
		.amdhsa_private_segment_fixed_size 184
		.amdhsa_kernarg_size 136
		.amdhsa_user_sgpr_count 6
		.amdhsa_user_sgpr_private_segment_buffer 1
		.amdhsa_user_sgpr_dispatch_ptr 0
		.amdhsa_user_sgpr_queue_ptr 0
		.amdhsa_user_sgpr_kernarg_segment_ptr 1
		.amdhsa_user_sgpr_dispatch_id 0
		.amdhsa_user_sgpr_flat_scratch_init 0
		.amdhsa_user_sgpr_private_segment_size 0
		.amdhsa_wavefront_size32 1
		.amdhsa_uses_dynamic_stack 0
		.amdhsa_system_sgpr_private_segment_wavefront_offset 1
		.amdhsa_system_sgpr_workgroup_id_x 1
		.amdhsa_system_sgpr_workgroup_id_y 0
		.amdhsa_system_sgpr_workgroup_id_z 1
		.amdhsa_system_sgpr_workgroup_info 0
		.amdhsa_system_vgpr_workitem_id 1
		.amdhsa_next_free_vgpr 256
		.amdhsa_next_free_sgpr 28
		.amdhsa_reserve_vcc 1
		.amdhsa_reserve_flat_scratch 1
		.amdhsa_float_round_mode_32 0
		.amdhsa_float_round_mode_16_64 0
		.amdhsa_float_denorm_mode_32 3
		.amdhsa_float_denorm_mode_16_64 3
		.amdhsa_dx10_clamp 1
		.amdhsa_ieee_mode 1
		.amdhsa_fp16_overflow 0
		.amdhsa_workgroup_processor_mode 1
		.amdhsa_memory_ordered 1
		.amdhsa_forward_progress 1
		.amdhsa_shared_vgpr_count 0
		.amdhsa_exception_fp_ieee_invalid_op 0
		.amdhsa_exception_fp_denorm_src 0
		.amdhsa_exception_fp_ieee_div_zero 0
		.amdhsa_exception_fp_ieee_overflow 0
		.amdhsa_exception_fp_ieee_underflow 0
		.amdhsa_exception_fp_ieee_inexact 0
		.amdhsa_exception_int_div_zero 0
	.end_amdhsa_kernel
	.section	.text._ZN12_GLOBAL__N_120geam_min_plus_kernelId15HIP_vector_typeIdLj2EEdLi32ELi8ELi128ELi128ELi4ELi4ELi64ELi4ELi64ELc84ELc78ELb0ELb0ELb1EdKPKdKPdEEviiiT16_PT17_ilSA_ilS8_SA_ilPT18_ili26rocblas_geam_ex_operation_,"axG",@progbits,_ZN12_GLOBAL__N_120geam_min_plus_kernelId15HIP_vector_typeIdLj2EEdLi32ELi8ELi128ELi128ELi4ELi4ELi64ELi4ELi64ELc84ELc78ELb0ELb0ELb1EdKPKdKPdEEviiiT16_PT17_ilSA_ilS8_SA_ilPT18_ili26rocblas_geam_ex_operation_,comdat
.Lfunc_end113:
	.size	_ZN12_GLOBAL__N_120geam_min_plus_kernelId15HIP_vector_typeIdLj2EEdLi32ELi8ELi128ELi128ELi4ELi4ELi64ELi4ELi64ELc84ELc78ELb0ELb0ELb1EdKPKdKPdEEviiiT16_PT17_ilSA_ilS8_SA_ilPT18_ili26rocblas_geam_ex_operation_, .Lfunc_end113-_ZN12_GLOBAL__N_120geam_min_plus_kernelId15HIP_vector_typeIdLj2EEdLi32ELi8ELi128ELi128ELi4ELi4ELi64ELi4ELi64ELc84ELc78ELb0ELb0ELb1EdKPKdKPdEEviiiT16_PT17_ilSA_ilS8_SA_ilPT18_ili26rocblas_geam_ex_operation_
                                        ; -- End function
	.set _ZN12_GLOBAL__N_120geam_min_plus_kernelId15HIP_vector_typeIdLj2EEdLi32ELi8ELi128ELi128ELi4ELi4ELi64ELi4ELi64ELc84ELc78ELb0ELb0ELb1EdKPKdKPdEEviiiT16_PT17_ilSA_ilS8_SA_ilPT18_ili26rocblas_geam_ex_operation_.num_vgpr, 256
	.set _ZN12_GLOBAL__N_120geam_min_plus_kernelId15HIP_vector_typeIdLj2EEdLi32ELi8ELi128ELi128ELi4ELi4ELi64ELi4ELi64ELc84ELc78ELb0ELb0ELb1EdKPKdKPdEEviiiT16_PT17_ilSA_ilS8_SA_ilPT18_ili26rocblas_geam_ex_operation_.num_agpr, 0
	.set _ZN12_GLOBAL__N_120geam_min_plus_kernelId15HIP_vector_typeIdLj2EEdLi32ELi8ELi128ELi128ELi4ELi4ELi64ELi4ELi64ELc84ELc78ELb0ELb0ELb1EdKPKdKPdEEviiiT16_PT17_ilSA_ilS8_SA_ilPT18_ili26rocblas_geam_ex_operation_.numbered_sgpr, 28
	.set _ZN12_GLOBAL__N_120geam_min_plus_kernelId15HIP_vector_typeIdLj2EEdLi32ELi8ELi128ELi128ELi4ELi4ELi64ELi4ELi64ELc84ELc78ELb0ELb0ELb1EdKPKdKPdEEviiiT16_PT17_ilSA_ilS8_SA_ilPT18_ili26rocblas_geam_ex_operation_.num_named_barrier, 0
	.set _ZN12_GLOBAL__N_120geam_min_plus_kernelId15HIP_vector_typeIdLj2EEdLi32ELi8ELi128ELi128ELi4ELi4ELi64ELi4ELi64ELc84ELc78ELb0ELb0ELb1EdKPKdKPdEEviiiT16_PT17_ilSA_ilS8_SA_ilPT18_ili26rocblas_geam_ex_operation_.private_seg_size, 184
	.set _ZN12_GLOBAL__N_120geam_min_plus_kernelId15HIP_vector_typeIdLj2EEdLi32ELi8ELi128ELi128ELi4ELi4ELi64ELi4ELi64ELc84ELc78ELb0ELb0ELb1EdKPKdKPdEEviiiT16_PT17_ilSA_ilS8_SA_ilPT18_ili26rocblas_geam_ex_operation_.uses_vcc, 1
	.set _ZN12_GLOBAL__N_120geam_min_plus_kernelId15HIP_vector_typeIdLj2EEdLi32ELi8ELi128ELi128ELi4ELi4ELi64ELi4ELi64ELc84ELc78ELb0ELb0ELb1EdKPKdKPdEEviiiT16_PT17_ilSA_ilS8_SA_ilPT18_ili26rocblas_geam_ex_operation_.uses_flat_scratch, 1
	.set _ZN12_GLOBAL__N_120geam_min_plus_kernelId15HIP_vector_typeIdLj2EEdLi32ELi8ELi128ELi128ELi4ELi4ELi64ELi4ELi64ELc84ELc78ELb0ELb0ELb1EdKPKdKPdEEviiiT16_PT17_ilSA_ilS8_SA_ilPT18_ili26rocblas_geam_ex_operation_.has_dyn_sized_stack, 0
	.set _ZN12_GLOBAL__N_120geam_min_plus_kernelId15HIP_vector_typeIdLj2EEdLi32ELi8ELi128ELi128ELi4ELi4ELi64ELi4ELi64ELc84ELc78ELb0ELb0ELb1EdKPKdKPdEEviiiT16_PT17_ilSA_ilS8_SA_ilPT18_ili26rocblas_geam_ex_operation_.has_recursion, 0
	.set _ZN12_GLOBAL__N_120geam_min_plus_kernelId15HIP_vector_typeIdLj2EEdLi32ELi8ELi128ELi128ELi4ELi4ELi64ELi4ELi64ELc84ELc78ELb0ELb0ELb1EdKPKdKPdEEviiiT16_PT17_ilSA_ilS8_SA_ilPT18_ili26rocblas_geam_ex_operation_.has_indirect_call, 0
	.section	.AMDGPU.csdata,"",@progbits
; Kernel info:
; codeLenInByte = 28780
; TotalNumSgprs: 30
; NumVgprs: 256
; ScratchSize: 184
; MemoryBound: 0
; FloatMode: 240
; IeeeMode: 1
; LDSByteSize: 16384 bytes/workgroup (compile time only)
; SGPRBlocks: 0
; VGPRBlocks: 31
; NumSGPRsForWavesPerEU: 30
; NumVGPRsForWavesPerEU: 256
; Occupancy: 4
; WaveLimiterHint : 1
; COMPUTE_PGM_RSRC2:SCRATCH_EN: 1
; COMPUTE_PGM_RSRC2:USER_SGPR: 6
; COMPUTE_PGM_RSRC2:TRAP_HANDLER: 0
; COMPUTE_PGM_RSRC2:TGID_X_EN: 1
; COMPUTE_PGM_RSRC2:TGID_Y_EN: 0
; COMPUTE_PGM_RSRC2:TGID_Z_EN: 1
; COMPUTE_PGM_RSRC2:TIDIG_COMP_CNT: 1
	.section	.text._ZN12_GLOBAL__N_120geam_min_plus_kernelId15HIP_vector_typeIdLj2EEdLi32ELi8ELi128ELi128ELi4ELi4ELi64ELi4ELi64ELc84ELc78ELb0ELb1ELb1EPKdKS4_KPdEEviiiT16_PT17_ilSA_ilS8_SA_ilPT18_ili26rocblas_geam_ex_operation_,"axG",@progbits,_ZN12_GLOBAL__N_120geam_min_plus_kernelId15HIP_vector_typeIdLj2EEdLi32ELi8ELi128ELi128ELi4ELi4ELi64ELi4ELi64ELc84ELc78ELb0ELb1ELb1EPKdKS4_KPdEEviiiT16_PT17_ilSA_ilS8_SA_ilPT18_ili26rocblas_geam_ex_operation_,comdat
	.globl	_ZN12_GLOBAL__N_120geam_min_plus_kernelId15HIP_vector_typeIdLj2EEdLi32ELi8ELi128ELi128ELi4ELi4ELi64ELi4ELi64ELc84ELc78ELb0ELb1ELb1EPKdKS4_KPdEEviiiT16_PT17_ilSA_ilS8_SA_ilPT18_ili26rocblas_geam_ex_operation_ ; -- Begin function _ZN12_GLOBAL__N_120geam_min_plus_kernelId15HIP_vector_typeIdLj2EEdLi32ELi8ELi128ELi128ELi4ELi4ELi64ELi4ELi64ELc84ELc78ELb0ELb1ELb1EPKdKS4_KPdEEviiiT16_PT17_ilSA_ilS8_SA_ilPT18_ili26rocblas_geam_ex_operation_
	.p2align	8
	.type	_ZN12_GLOBAL__N_120geam_min_plus_kernelId15HIP_vector_typeIdLj2EEdLi32ELi8ELi128ELi128ELi4ELi4ELi64ELi4ELi64ELc84ELc78ELb0ELb1ELb1EPKdKS4_KPdEEviiiT16_PT17_ilSA_ilS8_SA_ilPT18_ili26rocblas_geam_ex_operation_,@function
_ZN12_GLOBAL__N_120geam_min_plus_kernelId15HIP_vector_typeIdLj2EEdLi32ELi8ELi128ELi128ELi4ELi4ELi64ELi4ELi64ELc84ELc78ELb0ELb1ELb1EPKdKS4_KPdEEviiiT16_PT17_ilSA_ilS8_SA_ilPT18_ili26rocblas_geam_ex_operation_: ; @_ZN12_GLOBAL__N_120geam_min_plus_kernelId15HIP_vector_typeIdLj2EEdLi32ELi8ELi128ELi128ELi4ELi4ELi64ELi4ELi64ELc84ELc78ELb0ELb1ELb1EPKdKS4_KPdEEviiiT16_PT17_ilSA_ilS8_SA_ilPT18_ili26rocblas_geam_ex_operation_
; %bb.0:
	s_load_dwordx4 s[12:15], s[4:5], 0x10
	s_mov_b64 s[38:39], s[2:3]
	s_mov_b64 s[36:37], s[0:1]
	s_mov_b32 s0, s7
	s_mov_b32 s1, 0
	s_add_u32 s36, s36, s8
	s_addc_u32 s37, s37, 0
	s_lshl_b64 s[22:23], s[0:1], 3
	s_clause 0x1
	s_load_dwordx4 s[0:3], s[4:5], 0x28
	s_load_dwordx2 s[24:25], s[4:5], 0x50
	v_mov_b32_e32 v163, v1
	v_mov_b32_e32 v162, v0
	s_mov_b64 s[18:19], 0
	s_mov_b64 s[20:21], 0
	s_waitcnt lgkmcnt(0)
	s_add_u32 s8, s12, s22
	s_addc_u32 s9, s13, s23
	s_load_dwordx2 s[16:17], s[8:9], 0x0
	s_load_dwordx4 s[8:11], s[4:5], 0x40
	s_waitcnt lgkmcnt(0)
	v_cmp_eq_f64_e64 s12, s[16:17], 0
	v_cmp_neq_f64_e64 s7, s[16:17], 0
	s_add_u32 s10, s10, s22
	s_addc_u32 s11, s11, s23
	s_and_b32 vcc_lo, exec_lo, s12
	s_cbranch_vccnz .LBB114_2
; %bb.1:
	s_add_u32 s12, s14, s22
	s_addc_u32 s13, s15, s23
	s_lshl_b64 s[0:1], s[0:1], 3
	s_load_dwordx2 s[12:13], s[12:13], 0x0
	s_waitcnt lgkmcnt(0)
	s_add_u32 s20, s12, s0
	s_addc_u32 s21, s13, s1
.LBB114_2:
	s_load_dwordx2 s[12:13], s[10:11], 0x0
	s_andn2_b32 vcc_lo, exec_lo, s7
	s_cbranch_vccnz .LBB114_4
; %bb.3:
	s_add_u32 s0, s2, s22
	s_addc_u32 s1, s3, s23
	s_lshl_b64 s[2:3], s[8:9], 3
	s_load_dwordx2 s[0:1], s[0:1], 0x0
	s_waitcnt lgkmcnt(0)
	s_add_u32 s18, s0, s2
	s_addc_u32 s19, s1, s3
.LBB114_4:
	s_waitcnt lgkmcnt(0)
	v_cmp_eq_f64_e64 s8, s[12:13], 0
	v_cmp_neq_f64_e64 s7, s[12:13], 0
	s_load_dwordx4 s[0:3], s[4:5], 0x60
	s_mov_b64 s[14:15], 0
	s_and_b32 vcc_lo, exec_lo, s8
	s_cbranch_vccnz .LBB114_6
; %bb.5:
	s_add_u32 s8, s24, s22
	s_addc_u32 s9, s25, s23
	s_waitcnt lgkmcnt(0)
	s_lshl_b64 s[0:1], s[0:1], 3
	s_load_dwordx2 s[8:9], s[8:9], 0x0
	s_waitcnt lgkmcnt(0)
	s_add_u32 s14, s8, s0
	s_addc_u32 s15, s9, s1
.LBB114_6:
	s_clause 0x1
	s_load_dwordx4 s[8:11], s[4:5], 0x0
	s_load_dword s27, s[4:5], 0x20
	s_waitcnt lgkmcnt(0)
	s_add_u32 s22, s2, s22
	s_addc_u32 s23, s3, s23
	v_and_b32_e32 v1, 3, v162
	v_cmp_eq_f64_e64 s26, s[16:17], 0
	buffer_store_dword v1, off, s[36:39], 0 offset:60 ; 4-byte Folded Spill
	s_add_i32 s0, s8, -1
	s_ashr_i32 s1, s0, 31
	s_lshr_b32 s1, s1, 25
	s_add_i32 s0, s0, s1
	s_ashr_i32 s0, s0, 7
	s_add_i32 s1, s0, 1
	s_not_b32 s0, s0
	v_cvt_f32_u32_e32 v0, s1
	v_rcp_iflag_f32_e32 v0, v0
	v_mul_f32_e32 v0, 0x4f7ffffe, v0
	v_cvt_u32_f32_e32 v0, v0
	v_readfirstlane_b32 s2, v0
	v_lshl_add_u32 v0, v163, 5, v162
	s_mul_i32 s0, s0, s2
	v_lshrrev_b32_e32 v12, 2, v0
	s_mul_hi_u32 s0, s2, s0
	s_add_i32 s2, s2, s0
	s_mul_hi_u32 s0, s6, s2
	s_mul_i32 s2, s0, s1
	s_add_i32 s3, s0, 1
	s_sub_i32 s2, s6, s2
	s_sub_i32 s11, s2, s1
	s_cmp_ge_u32 s2, s1
	s_cselect_b32 s0, s3, s0
	s_cselect_b32 s2, s11, s2
	s_add_i32 s3, s0, 1
	s_cmp_ge_u32 s2, s1
	s_cselect_b32 s2, s3, s0
	s_add_i32 s25, s10, -1
	s_mul_i32 s0, s2, s1
	v_min_i32_e32 v2, s25, v1
	s_sub_i32 s0, s6, s0
	v_cmp_le_i32_e64 s3, s10, v1
	s_lshl_b32 s11, s0, 7
	v_ashrrev_i32_e32 v3, 31, v2
	v_add_nc_u32_e32 v90, s11, v12
	v_lshlrev_b64 v[6:7], 3, v[2:3]
	v_cmp_le_i32_e32 vcc_lo, s8, v90
	v_add_co_u32 v8, s0, s20, v6
	v_add_co_ci_u32_e64 v9, null, s21, v7, s0
	s_or_b32 s0, s3, vcc_lo
	v_cndmask_b32_e64 v3, 0, 0x7fefffff, s0
	v_cndmask_b32_e64 v2, 0, -1, s0
	s_nor_b32 s0, s26, s0
	s_and_saveexec_b32 s1, s0
	s_cbranch_execz .LBB114_8
; %bb.7:
	v_mad_i64_i32 v[2:3], null, v90, s27, 0
	v_lshlrev_b64 v[2:3], 3, v[2:3]
	v_add_co_u32 v2, s0, v8, v2
	v_add_co_ci_u32_e64 v3, null, v9, v3, s0
	flat_load_dwordx2 v[2:3], v[2:3]
	s_waitcnt vmcnt(0) lgkmcnt(0)
	v_mul_f64 v[2:3], s[16:17], v[2:3]
.LBB114_8:
	s_or_b32 exec_lo, exec_lo, s1
	v_add_nc_u32_e32 v91, 64, v90
	v_cmp_le_i32_e64 s0, s8, v91
	s_or_b32 s1, s3, s0
	v_cndmask_b32_e64 v5, 0, 0x7fefffff, s1
	v_cndmask_b32_e64 v4, 0, -1, s1
	s_nor_b32 s1, s26, s1
	s_and_saveexec_b32 s6, s1
	s_cbranch_execz .LBB114_10
; %bb.9:
	v_mad_i64_i32 v[4:5], null, v91, s27, 0
	v_lshlrev_b64 v[4:5], 3, v[4:5]
	v_add_co_u32 v4, s1, v8, v4
	v_add_co_ci_u32_e64 v5, null, v9, v5, s1
	flat_load_dwordx2 v[4:5], v[4:5]
	s_waitcnt vmcnt(0) lgkmcnt(0)
	v_mul_f64 v[4:5], s[16:17], v[4:5]
.LBB114_10:
	s_or_b32 exec_lo, exec_lo, s6
	s_load_dword s28, s[4:5], 0x38
	s_lshl_b32 s24, s2, 7
	v_add_co_u32 v10, s2, s18, v6
	v_add_nc_u32_e32 v92, s24, v12
	v_add_co_ci_u32_e64 v11, null, s19, v7, s2
	v_cmp_le_i32_e64 s1, s9, v92
	s_or_b32 s2, s3, s1
	v_cndmask_b32_e64 v7, 0, 0x7fefffff, s2
	v_cndmask_b32_e64 v6, 0, -1, s2
	s_nor_b32 s2, s26, s2
	s_and_saveexec_b32 s6, s2
	s_cbranch_execz .LBB114_12
; %bb.11:
	s_waitcnt lgkmcnt(0)
	v_mad_i64_i32 v[6:7], null, v92, s28, 0
	v_lshlrev_b64 v[6:7], 3, v[6:7]
	v_add_co_u32 v6, s2, v10, v6
	v_add_co_ci_u32_e64 v7, null, v11, v7, s2
	flat_load_dwordx2 v[6:7], v[6:7]
	s_waitcnt vmcnt(0) lgkmcnt(0)
	v_mul_f64 v[6:7], s[16:17], v[6:7]
.LBB114_12:
	s_or_b32 exec_lo, exec_lo, s6
	v_add_nc_u32_e32 v93, 64, v92
	v_cmp_le_i32_e64 s2, s9, v93
	s_or_b32 s3, s3, s2
	v_cndmask_b32_e64 v9, 0, 0x7fefffff, s3
	v_cndmask_b32_e64 v8, 0, -1, s3
	s_nor_b32 s3, s26, s3
	s_and_saveexec_b32 s6, s3
	s_cbranch_execz .LBB114_14
; %bb.13:
	s_waitcnt lgkmcnt(0)
	v_mad_i64_i32 v[8:9], null, v93, s28, 0
	v_lshlrev_b64 v[8:9], 3, v[8:9]
	v_add_co_u32 v8, s3, v10, v8
	v_add_co_ci_u32_e64 v9, null, v11, v9, s3
	flat_load_dwordx2 v[8:9], v[8:9]
	s_waitcnt vmcnt(0) lgkmcnt(0)
	v_mul_f64 v[8:9], s[16:17], v[8:9]
.LBB114_14:
	s_or_b32 exec_lo, exec_lo, s6
	v_and_b32_e32 v0, 3, v162
	v_or_b32_e32 v0, 4, v0
	v_min_i32_e32 v10, s25, v0
	v_cmp_le_i32_e64 s3, s10, v0
	v_ashrrev_i32_e32 v11, 31, v10
	s_or_b32 s29, s3, vcc_lo
	v_cndmask_b32_e64 v87, 0, 0x7fefffff, s29
	v_cndmask_b32_e64 v86, 0, -1, s29
	v_lshlrev_b64 v[10:11], 3, v[10:11]
	v_add_co_u32 v13, s6, s20, v10
	v_add_co_ci_u32_e64 v14, null, s21, v11, s6
	s_nor_b32 s6, s26, s29
	s_and_saveexec_b32 s29, s6
	s_cbranch_execz .LBB114_16
; %bb.15:
	v_mad_i64_i32 v[15:16], null, v90, s27, 0
	v_lshlrev_b64 v[15:16], 3, v[15:16]
	v_add_co_u32 v15, s6, v13, v15
	v_add_co_ci_u32_e64 v16, null, v14, v16, s6
	flat_load_dwordx2 v[15:16], v[15:16]
	s_waitcnt vmcnt(0) lgkmcnt(0)
	v_mul_f64 v[86:87], s[16:17], v[15:16]
.LBB114_16:
	s_or_b32 exec_lo, exec_lo, s29
	s_or_b32 s6, s3, s0
	v_cndmask_b32_e64 v89, 0, 0x7fefffff, s6
	v_cndmask_b32_e64 v88, 0, -1, s6
	s_nor_b32 s6, s26, s6
	s_and_saveexec_b32 s29, s6
	s_cbranch_execz .LBB114_18
; %bb.17:
	v_mad_i64_i32 v[15:16], null, v91, s27, 0
	v_lshlrev_b64 v[15:16], 3, v[15:16]
	v_add_co_u32 v13, s6, v13, v15
	v_add_co_ci_u32_e64 v14, null, v14, v16, s6
	flat_load_dwordx2 v[13:14], v[13:14]
	s_waitcnt vmcnt(0) lgkmcnt(0)
	v_mul_f64 v[88:89], s[16:17], v[13:14]
.LBB114_18:
	s_or_b32 exec_lo, exec_lo, s29
	v_add_co_u32 v10, s6, s18, v10
	v_add_co_ci_u32_e64 v11, null, s19, v11, s6
	s_or_b32 s6, s3, s1
	v_cndmask_b32_e64 v83, 0, 0x7fefffff, s6
	v_cndmask_b32_e64 v82, 0, -1, s6
	s_nor_b32 s6, s26, s6
	s_and_saveexec_b32 s29, s6
	s_cbranch_execz .LBB114_20
; %bb.19:
	s_waitcnt lgkmcnt(0)
	v_mad_i64_i32 v[13:14], null, v92, s28, 0
	v_lshlrev_b64 v[13:14], 3, v[13:14]
	v_add_co_u32 v13, s6, v10, v13
	v_add_co_ci_u32_e64 v14, null, v11, v14, s6
	flat_load_dwordx2 v[13:14], v[13:14]
	s_waitcnt vmcnt(0) lgkmcnt(0)
	v_mul_f64 v[82:83], s[16:17], v[13:14]
.LBB114_20:
	s_or_b32 exec_lo, exec_lo, s29
	s_or_b32 s3, s3, s2
	v_cndmask_b32_e64 v85, 0, 0x7fefffff, s3
	v_cndmask_b32_e64 v84, 0, -1, s3
	s_nor_b32 s3, s26, s3
	s_and_saveexec_b32 s6, s3
	s_cbranch_execz .LBB114_22
; %bb.21:
	s_waitcnt lgkmcnt(0)
	v_mad_i64_i32 v[13:14], null, v93, s28, 0
	v_lshlrev_b64 v[13:14], 3, v[13:14]
	v_add_co_u32 v10, s3, v10, v13
	v_add_co_ci_u32_e64 v11, null, v11, v14, s3
	flat_load_dwordx2 v[10:11], v[10:11]
	s_waitcnt vmcnt(0) lgkmcnt(0)
	v_mul_f64 v[84:85], s[16:17], v[10:11]
.LBB114_22:
	s_or_b32 exec_lo, exec_lo, s6
	v_lshlrev_b32_e32 v0, 5, v12
	v_and_b32_e32 v1, 3, v162
	v_lshlrev_b32_e32 v158, 5, v162
	v_lshlrev_b32_e32 v164, 5, v163
	s_load_dwordx2 s[22:23], s[22:23], 0x0
	s_cmp_lt_i32 s10, 9
	v_lshl_or_b32 v165, v1, 3, v0
	ds_write2st64_b64 v165, v[2:3], v[4:5] offset1:4
	ds_write2st64_b64 v165, v[6:7], v[8:9] offset0:16 offset1:20
	s_waitcnt lgkmcnt(0)
	s_waitcnt_vscnt null, 0x0
	s_barrier
	buffer_gl0_inv
	ds_read_b128 v[6:9], v158 offset:1024
	ds_read_b128 v[10:13], v158 offset:2048
	;; [unrolled: 1-line block ×18, first 2 shown]
	ds_read_b128 v[94:97], v158
	ds_read_b128 v[2:5], v158 offset:16
	ds_read_b128 v[98:101], v164 offset:8192
	;; [unrolled: 1-line block ×3, first 2 shown]
	s_waitcnt lgkmcnt(1)
	v_add_f64 v[102:103], v[96:97], v[100:101]
	v_add_f64 v[104:105], v[94:95], v[98:99]
	s_waitcnt lgkmcnt(0)
	v_add_f64 v[160:161], v[2:3], v[18:19]
	v_cvt_f32_f64_e32 v1, v[102:103]
	v_cvt_f32_f64_e32 v0, v[104:105]
	v_add_f64 v[102:103], v[8:9], v[100:101]
	v_add_f64 v[104:105], v[6:7], v[98:99]
	v_min3_f32 v157, v0, v1, 0x7f800000
	v_cvt_f32_f64_e32 v1, v[102:103]
	v_cvt_f32_f64_e32 v0, v[104:105]
	v_add_f64 v[102:103], v[12:13], v[100:101]
	v_add_f64 v[104:105], v[10:11], v[98:99]
	;; [unrolled: 1-line block ×4, first 2 shown]
	v_min3_f32 v156, v0, v1, 0x7f800000
	v_cvt_f32_f64_e32 v1, v[102:103]
	v_cvt_f32_f64_e32 v0, v[104:105]
	v_min3_f32 v155, v0, v1, 0x7f800000
	v_cvt_f32_f64_e32 v0, v[98:99]
	v_cvt_f32_f64_e32 v1, v[100:101]
	v_add_f64 v[98:99], v[96:97], v[24:25]
	v_add_f64 v[100:101], v[94:95], v[22:23]
	v_min3_f32 v154, v0, v1, 0x7f800000
	v_cvt_f32_f64_e32 v1, v[98:99]
	v_cvt_f32_f64_e32 v0, v[100:101]
	v_add_f64 v[98:99], v[8:9], v[24:25]
	v_add_f64 v[100:101], v[6:7], v[22:23]
	;; [unrolled: 5-line block ×3, first 2 shown]
	v_add_f64 v[24:25], v[16:17], v[24:25]
	v_add_f64 v[22:23], v[14:15], v[22:23]
	v_min3_f32 v152, v0, v1, 0x7f800000
	v_cvt_f32_f64_e32 v1, v[98:99]
	v_cvt_f32_f64_e32 v0, v[100:101]
	v_min3_f32 v151, v0, v1, 0x7f800000
	v_cvt_f32_f64_e32 v0, v[22:23]
	v_cvt_f32_f64_e32 v1, v[24:25]
	v_add_f64 v[22:23], v[96:97], v[28:29]
	v_add_f64 v[24:25], v[94:95], v[26:27]
	v_min3_f32 v150, v0, v1, 0x7f800000
	v_cvt_f32_f64_e32 v1, v[22:23]
	v_cvt_f32_f64_e32 v0, v[24:25]
	v_add_f64 v[22:23], v[8:9], v[28:29]
	v_add_f64 v[24:25], v[6:7], v[26:27]
	;; [unrolled: 5-line block ×50, first 2 shown]
	v_add_f64 v[8:9], v[8:9], v[80:81]
	v_add_f64 v[6:7], v[6:7], v[78:79]
	v_min3_f32 v101, v0, v1, 0x7f800000
	v_cvt_f32_f64_e32 v1, v[22:23]
	v_cvt_f32_f64_e32 v0, v[24:25]
	v_add_f64 v[22:23], v[12:13], v[76:77]
	v_add_f64 v[24:25], v[10:11], v[74:75]
	v_min3_f32 v100, v0, v1, 0x7f800000
	v_cvt_f32_f64_e32 v1, v[22:23]
	v_cvt_f32_f64_e32 v0, v[24:25]
	;; [unrolled: 5-line block ×4, first 2 shown]
	v_min3_f32 v97, v0, v1, 0x7f800000
	v_cvt_f32_f64_e32 v0, v[6:7]
	v_cvt_f32_f64_e32 v1, v[8:9]
	v_add_f64 v[6:7], v[12:13], v[80:81]
	v_add_f64 v[8:9], v[10:11], v[78:79]
	v_min3_f32 v96, v0, v1, 0x7f800000
	v_cvt_f32_f64_e32 v1, v[6:7]
	v_cvt_f32_f64_e32 v0, v[8:9]
	v_add_f64 v[6:7], v[16:17], v[80:81]
	v_add_f64 v[8:9], v[14:15], v[78:79]
	ds_read_b128 v[14:17], v158 offset:1040
	ds_read_b128 v[10:13], v158 offset:2064
	buffer_store_dword v158, off, s[36:39], 0 offset:56 ; 4-byte Folded Spill
	v_min3_f32 v95, v0, v1, 0x7f800000
	v_cvt_f32_f64_e32 v1, v[6:7]
	v_cvt_f32_f64_e32 v0, v[8:9]
	ds_read_b128 v[6:9], v158 offset:3088
	ds_read_b128 v[78:81], v164 offset:8464
	;; [unrolled: 1-line block ×16, first 2 shown]
	v_add_f64 v[158:159], v[4:5], v[20:21]
	v_min3_f32 v94, v0, v1, 0x7f800000
	v_cvt_f32_f64_e32 v0, v[160:161]
	v_cvt_f32_f64_e32 v1, v[158:159]
	s_waitcnt lgkmcnt(17)
	v_add_f64 v[159:160], v[14:15], v[18:19]
	v_min3_f32 v222, v0, v1, v157
	v_add_f64 v[157:158], v[16:17], v[20:21]
	v_cvt_f32_f64_e32 v0, v[159:160]
	v_cvt_f32_f64_e32 v1, v[157:158]
	s_waitcnt lgkmcnt(16)
	v_add_f64 v[158:159], v[10:11], v[18:19]
	s_waitcnt lgkmcnt(15)
	v_add_f64 v[18:19], v[6:7], v[18:19]
	v_min3_f32 v221, v0, v1, v156
	v_add_f64 v[156:157], v[12:13], v[20:21]
	v_cvt_f32_f64_e32 v0, v[158:159]
	v_add_f64 v[20:21], v[8:9], v[20:21]
	v_cvt_f32_f64_e32 v1, v[156:157]
	v_min3_f32 v220, v0, v1, v155
	v_cvt_f32_f64_e32 v0, v[18:19]
	v_cvt_f32_f64_e32 v1, v[20:21]
	s_waitcnt lgkmcnt(14)
	v_add_f64 v[18:19], v[4:5], v[80:81]
	v_add_f64 v[20:21], v[2:3], v[78:79]
	v_min3_f32 v219, v0, v1, v154
	v_cvt_f32_f64_e32 v1, v[18:19]
	v_cvt_f32_f64_e32 v0, v[20:21]
	v_add_f64 v[18:19], v[16:17], v[80:81]
	v_add_f64 v[20:21], v[14:15], v[78:79]
	v_min3_f32 v244, v0, v1, v153
	v_cvt_f32_f64_e32 v1, v[18:19]
	v_cvt_f32_f64_e32 v0, v[20:21]
	v_add_f64 v[18:19], v[12:13], v[80:81]
	v_add_f64 v[20:21], v[10:11], v[78:79]
	v_min3_f32 v243, v0, v1, v152
	v_cvt_f32_f64_e32 v1, v[18:19]
	v_cvt_f32_f64_e32 v0, v[20:21]
	v_add_f64 v[18:19], v[8:9], v[80:81]
	v_add_f64 v[20:21], v[6:7], v[78:79]
	v_min3_f32 v242, v0, v1, v151
	v_cvt_f32_f64_e32 v1, v[18:19]
	v_cvt_f32_f64_e32 v0, v[20:21]
	s_waitcnt lgkmcnt(13)
	v_add_f64 v[18:19], v[4:5], v[76:77]
	v_add_f64 v[20:21], v[2:3], v[74:75]
	v_min3_f32 v241, v0, v1, v150
	v_cvt_f32_f64_e32 v1, v[18:19]
	v_cvt_f32_f64_e32 v0, v[20:21]
	v_add_f64 v[18:19], v[16:17], v[76:77]
	v_add_f64 v[20:21], v[14:15], v[74:75]
	v_min3_f32 v240, v0, v1, v149
	v_cvt_f32_f64_e32 v1, v[18:19]
	v_cvt_f32_f64_e32 v0, v[20:21]
	v_add_f64 v[18:19], v[12:13], v[76:77]
	v_add_f64 v[20:21], v[10:11], v[74:75]
	v_min3_f32 v239, v0, v1, v148
	v_cvt_f32_f64_e32 v1, v[18:19]
	v_cvt_f32_f64_e32 v0, v[20:21]
	v_add_f64 v[18:19], v[8:9], v[76:77]
	v_add_f64 v[20:21], v[6:7], v[74:75]
	;; [unrolled: 21-line block ×10, first 2 shown]
	v_min3_f32 v212, v0, v1, v115
	v_cvt_f32_f64_e32 v1, v[18:19]
	v_cvt_f32_f64_e32 v0, v[20:21]
	s_waitcnt lgkmcnt(4)
	v_add_f64 v[18:19], v[4:5], v[40:41]
	v_add_f64 v[20:21], v[2:3], v[38:39]
	v_min3_f32 v210, v0, v1, v114
	v_cvt_f32_f64_e32 v1, v[18:19]
	v_cvt_f32_f64_e32 v0, v[20:21]
	v_add_f64 v[18:19], v[16:17], v[40:41]
	v_add_f64 v[20:21], v[14:15], v[38:39]
	v_min3_f32 v0, v0, v1, v113
	v_cvt_f32_f64_e32 v1, v[18:19]
	v_add_f64 v[18:19], v[12:13], v[40:41]
	buffer_store_dword v0, off, s[36:39], 0 ; 4-byte Folded Spill
	v_cvt_f32_f64_e32 v0, v[20:21]
	v_add_f64 v[20:21], v[10:11], v[38:39]
	ds_write2st64_b64 v165, v[86:87], v[88:89] offset0:8 offset1:12
	ds_write2st64_b64 v165, v[82:83], v[84:85] offset0:24 offset1:28
	s_waitcnt lgkmcnt(0)
	s_waitcnt_vscnt null, 0x0
	s_barrier
	buffer_gl0_inv
	buffer_store_dword v162, off, s[36:39], 0 offset:104 ; 4-byte Folded Spill
	buffer_store_dword v163, off, s[36:39], 0 offset:108 ; 4-byte Folded Spill
	;; [unrolled: 1-line block ×3, first 2 shown]
	v_min3_f32 v200, v0, v1, v112
	v_cvt_f32_f64_e32 v0, v[20:21]
	v_cvt_f32_f64_e32 v1, v[18:19]
	v_add_f64 v[18:19], v[8:9], v[40:41]
	v_add_f64 v[20:21], v[6:7], v[38:39]
	v_min3_f32 v199, v0, v1, v111
	v_cvt_f32_f64_e32 v1, v[18:19]
	v_cvt_f32_f64_e32 v0, v[20:21]
	v_add_f64 v[18:19], v[4:5], v[36:37]
	v_add_f64 v[20:21], v[2:3], v[34:35]
	v_min3_f32 v198, v0, v1, v110
	v_cvt_f32_f64_e32 v1, v[18:19]
	v_cvt_f32_f64_e32 v0, v[20:21]
	v_add_f64 v[18:19], v[16:17], v[36:37]
	v_add_f64 v[20:21], v[14:15], v[34:35]
	v_min3_f32 v255, v0, v1, v109
	v_cvt_f32_f64_e32 v1, v[18:19]
	v_cvt_f32_f64_e32 v0, v[20:21]
	v_add_f64 v[18:19], v[12:13], v[36:37]
	v_add_f64 v[20:21], v[10:11], v[34:35]
	v_min3_f32 v196, v0, v1, v108
	v_cvt_f32_f64_e32 v1, v[18:19]
	v_cvt_f32_f64_e32 v0, v[20:21]
	v_add_f64 v[18:19], v[8:9], v[36:37]
	v_add_f64 v[20:21], v[6:7], v[34:35]
	v_min3_f32 v248, v0, v1, v107
	v_cvt_f32_f64_e32 v1, v[18:19]
	v_cvt_f32_f64_e32 v0, v[20:21]
	v_add_f64 v[18:19], v[4:5], v[32:33]
	v_add_f64 v[20:21], v[2:3], v[30:31]
	v_min3_f32 v247, v0, v1, v106
	v_cvt_f32_f64_e32 v1, v[18:19]
	v_cvt_f32_f64_e32 v0, v[20:21]
	v_add_f64 v[18:19], v[16:17], v[32:33]
	v_add_f64 v[20:21], v[14:15], v[30:31]
	v_min3_f32 v193, v0, v1, v105
	v_cvt_f32_f64_e32 v1, v[18:19]
	v_cvt_f32_f64_e32 v0, v[20:21]
	v_add_f64 v[18:19], v[12:13], v[32:33]
	v_add_f64 v[20:21], v[10:11], v[30:31]
	v_min3_f32 v192, v0, v1, v104
	v_cvt_f32_f64_e32 v1, v[18:19]
	v_cvt_f32_f64_e32 v0, v[20:21]
	v_add_f64 v[18:19], v[8:9], v[32:33]
	v_add_f64 v[20:21], v[6:7], v[30:31]
	v_min3_f32 v191, v0, v1, v103
	v_cvt_f32_f64_e32 v1, v[18:19]
	v_cvt_f32_f64_e32 v0, v[20:21]
	v_add_f64 v[18:19], v[4:5], v[28:29]
	v_add_f64 v[20:21], v[2:3], v[26:27]
	v_add_f64 v[4:5], v[4:5], v[24:25]
	v_add_f64 v[2:3], v[2:3], v[22:23]
	v_min3_f32 v190, v0, v1, v102
	v_cvt_f32_f64_e32 v1, v[18:19]
	v_cvt_f32_f64_e32 v0, v[20:21]
	v_add_f64 v[18:19], v[16:17], v[28:29]
	v_add_f64 v[20:21], v[14:15], v[26:27]
	v_min3_f32 v189, v0, v1, v101
	v_cvt_f32_f64_e32 v1, v[18:19]
	v_cvt_f32_f64_e32 v0, v[20:21]
	;; [unrolled: 5-line block ×4, first 2 shown]
	v_min3_f32 v186, v0, v1, v98
	v_cvt_f32_f64_e32 v0, v[2:3]
	v_cvt_f32_f64_e32 v1, v[4:5]
	v_add_f64 v[2:3], v[16:17], v[24:25]
	v_add_f64 v[4:5], v[14:15], v[22:23]
	v_min3_f32 v185, v0, v1, v97
	v_cvt_f32_f64_e32 v1, v[2:3]
	v_cvt_f32_f64_e32 v0, v[4:5]
	v_add_f64 v[2:3], v[12:13], v[24:25]
	v_add_f64 v[4:5], v[10:11], v[22:23]
	;; [unrolled: 5-line block ×3, first 2 shown]
	v_min3_f32 v183, v0, v1, v95
	v_cvt_f32_f64_e32 v1, v[2:3]
	v_cvt_f32_f64_e32 v0, v[4:5]
	v_min3_f32 v182, v0, v1, v94
	s_cbranch_scc1 .LBB114_41
; %bb.23:
	v_mad_i64_i32 v[2:3], null, v90, s27, 0
	v_lshl_add_u32 v0, v162, 5, 0x1000
	v_mad_i64_i32 v[4:5], null, v91, s27, 0
	v_mad_i64_i32 v[6:7], null, v92, s28, 0
	buffer_store_dword v0, off, s[36:39], 0 offset:68 ; 4-byte Folded Spill
	v_lshlrev_b64 v[0:1], 3, v[2:3]
	v_mad_i64_i32 v[8:9], null, v93, s28, 0
	v_or_b32_e32 v201, 0x2000, v164
	v_lshl_add_u32 v204, v163, 5, 0x3000
	s_add_i32 s27, s10, -8
	buffer_store_dword v0, off, s[36:39], 0 offset:72 ; 4-byte Folded Spill
	buffer_store_dword v1, off, s[36:39], 0 offset:76 ; 4-byte Folded Spill
	v_lshlrev_b64 v[0:1], 3, v[4:5]
	s_mov_b32 s28, 0
	buffer_store_dword v0, off, s[36:39], 0 offset:80 ; 4-byte Folded Spill
	buffer_store_dword v1, off, s[36:39], 0 offset:84 ; 4-byte Folded Spill
	v_lshlrev_b64 v[0:1], 3, v[6:7]
	buffer_store_dword v0, off, s[36:39], 0 offset:88 ; 4-byte Folded Spill
	buffer_store_dword v1, off, s[36:39], 0 offset:92 ; 4-byte Folded Spill
	v_lshlrev_b64 v[0:1], 3, v[8:9]
	buffer_store_dword v0, off, s[36:39], 0 offset:96 ; 4-byte Folded Spill
	buffer_store_dword v1, off, s[36:39], 0 offset:100 ; 4-byte Folded Spill
	;; [unrolled: 1-line block ×3, first 2 shown]
	s_branch .LBB114_25
.LBB114_24:                             ;   in Loop: Header=BB114_25 Depth=1
	s_or_b32 exec_lo, exec_lo, s6
	v_add_f64 v[249:250], v[100:101], v[160:161]
	v_add_f64 v[251:252], v[98:99], v[158:159]
	;; [unrolled: 1-line block ×24, first 2 shown]
	v_cvt_f32_f64_e32 v251, v[251:252]
	v_cvt_f32_f64_e32 v162, v[162:163]
	;; [unrolled: 1-line block ×10, first 2 shown]
	v_add_f64 v[0:1], v[98:99], v[146:147]
	v_cvt_f32_f64_e32 v249, v[249:250]
	v_cvt_f32_f64_e32 v186, v[150:151]
	v_add_f64 v[150:151], v[100:101], v[148:149]
	v_cvt_f32_f64_e32 v160, v[168:169]
	v_cvt_f32_f64_e32 v167, v[178:179]
	;; [unrolled: 1-line block ×12, first 2 shown]
	v_min3_f32 v152, v162, v163, v221
	v_add_f64 v[162:163], v[96:97], v[148:149]
	v_min3_f32 v154, v158, v159, v219
	v_add_f64 v[190:191], v[100:101], v[140:141]
	v_add_f64 v[192:193], v[98:99], v[138:139]
	;; [unrolled: 1-line block ×3, first 2 shown]
	v_cvt_f32_f64_e32 v0, v[0:1]
	v_min3_f32 v153, v164, v165, v220
	v_add_f64 v[164:165], v[88:89], v[148:149]
	v_cvt_f32_f64_e32 v1, v[150:151]
	v_min3_f32 v151, v251, v249, v222
	v_min3_f32 v155, v160, v161, v244
	;; [unrolled: 1-line block ×3, first 2 shown]
	v_add_f64 v[166:167], v[86:87], v[146:147]
	v_min3_f32 v157, v168, v169, v242
	v_min3_f32 v158, v178, v179, v241
	;; [unrolled: 1-line block ×3, first 2 shown]
	v_add_f64 v[178:179], v[100:101], v[144:145]
	v_min3_f32 v160, v182, v183, v239
	v_add_f64 v[180:181], v[98:99], v[142:143]
	v_min3_f32 v161, v184, v185, v238
	v_min3_f32 v249, v186, v187, v224
	v_add_f64 v[182:183], v[96:97], v[144:145]
	v_add_f64 v[184:185], v[94:95], v[142:143]
	;; [unrolled: 1-line block ×9, first 2 shown]
	v_min3_f32 v150, v0, v1, v236
	v_add_f64 v[0:1], v[94:95], v[146:147]
	v_add_f64 v[146:147], v[82:83], v[146:147]
	;; [unrolled: 1-line block ×5, first 2 shown]
	v_cvt_f32_f64_e32 v149, v[166:167]
	v_add_f64 v[166:167], v[94:95], v[130:131]
	v_cvt_f32_f64_e32 v178, v[178:179]
	s_add_i32 s28, s28, 8
	v_cvt_f32_f64_e32 v180, v[180:181]
	s_cmp_ge_i32 s28, s27
	v_cvt_f32_f64_e32 v181, v[182:183]
	v_cvt_f32_f64_e32 v179, v[184:185]
	;; [unrolled: 1-line block ×6, first 2 shown]
	v_add_f64 v[140:141], v[94:95], v[134:135]
	v_add_f64 v[144:145], v[86:87], v[134:135]
	v_cvt_f32_f64_e32 v242, v[168:169]
	v_cvt_f32_f64_e32 v182, v[188:189]
	v_cvt_f32_f64_e32 v0, v[0:1]
	v_cvt_f32_f64_e32 v1, v[162:163]
	v_cvt_f32_f64_e32 v236, v[146:147]
	v_add_f64 v[146:147], v[88:89], v[136:137]
	v_cvt_f32_f64_e32 v184, v[142:143]
	v_cvt_f32_f64_e32 v189, v[194:195]
	v_add_f64 v[142:143], v[96:97], v[136:137]
	v_add_f64 v[162:163], v[98:99], v[130:131]
	v_add_f64 v[168:169], v[96:97], v[132:133]
	v_cvt_f32_f64_e32 v187, v[190:191]
	v_cvt_f32_f64_e32 v188, v[196:197]
	;; [unrolled: 1-line block ×4, first 2 shown]
	v_add_f64 v[138:139], v[100:101], v[136:137]
	v_add_f64 v[136:137], v[84:85], v[136:137]
	v_cvt_f32_f64_e32 v190, v[240:241]
	v_cvt_f32_f64_e32 v196, v[140:141]
	;; [unrolled: 1-line block ×3, first 2 shown]
	v_add_f64 v[140:141], v[94:95], v[126:127]
	v_min3_f32 v148, v0, v1, v235
	v_add_f64 v[0:1], v[98:99], v[134:135]
	v_add_f64 v[134:135], v[82:83], v[134:135]
	v_cvt_f32_f64_e32 v235, v[164:165]
	v_add_f64 v[164:165], v[100:101], v[132:133]
	v_cvt_f32_f64_e32 v145, v[146:147]
	v_cvt_f32_f64_e32 v197, v[142:143]
	;; [unrolled: 1-line block ×3, first 2 shown]
	v_add_f64 v[142:143], v[96:97], v[128:129]
	v_add_f64 v[162:163], v[88:89], v[128:129]
	v_min3_f32 v229, v236, v242, v229
	v_cvt_f32_f64_e32 v195, v[138:139]
	v_cvt_f32_f64_e32 v147, v[136:137]
	v_add_f64 v[136:137], v[98:99], v[126:127]
	v_add_f64 v[138:139], v[100:101], v[128:129]
	v_cvt_f32_f64_e32 v243, v[140:141]
	v_cvt_f32_f64_e32 v194, v[0:1]
	;; [unrolled: 1-line block ×3, first 2 shown]
	v_add_f64 v[0:1], v[86:87], v[130:131]
	v_add_f64 v[134:135], v[88:89], v[132:133]
	;; [unrolled: 1-line block ×4, first 2 shown]
	v_cvt_f32_f64_e32 v164, v[164:165]
	v_cvt_f32_f64_e32 v165, v[166:167]
	;; [unrolled: 1-line block ×4, first 2 shown]
	v_min3_f32 v140, v144, v145, v225
	v_min3_f32 v149, v149, v235, v223
	v_cvt_f32_f64_e32 v240, v[136:137]
	v_cvt_f32_f64_e32 v241, v[138:139]
	v_min3_f32 v136, v190, v191, v216
	v_min3_f32 v137, v192, v193, v215
	v_add_f64 v[215:216], v[96:97], v[116:117]
	v_min3_f32 v139, v196, v197, v227
	v_add_f64 v[190:191], v[88:89], v[120:121]
	v_add_f64 v[192:193], v[98:99], v[114:115]
	;; [unrolled: 1-line block ×3, first 2 shown]
	v_min3_f32 v138, v194, v195, v228
	v_add_f64 v[194:195], v[100:101], v[116:117]
	v_cvt_f32_f64_e32 v167, v[0:1]
	v_cvt_f32_f64_e32 v168, v[134:135]
	;; [unrolled: 1-line block ×4, first 2 shown]
	v_add_f64 v[0:1], v[86:87], v[126:127]
	v_min3_f32 v130, v180, v178, v226
	v_min3_f32 v131, v179, v181, v246
	;; [unrolled: 1-line block ×6, first 2 shown]
	v_cvt_f32_f64_e32 v218, v[162:163]
	v_add_f64 v[162:163], v[100:101], v[124:125]
	v_add_f64 v[164:165], v[94:95], v[122:123]
	;; [unrolled: 1-line block ×3, first 2 shown]
	v_min3_f32 v132, v182, v183, v237
	v_min3_f32 v133, v184, v185, v234
	v_add_f64 v[180:181], v[98:99], v[118:119]
	v_add_f64 v[182:183], v[100:101], v[120:121]
	;; [unrolled: 1-line block ×6, first 2 shown]
	v_min3_f32 v144, v167, v168, v231
	v_add_f64 v[166:167], v[96:97], v[124:125]
	v_min3_f32 v145, v169, v239, v230
	v_cvt_f32_f64_e32 v217, v[0:1]
	v_add_f64 v[0:1], v[82:83], v[126:127]
	v_add_f64 v[126:127], v[84:85], v[128:129]
	;; [unrolled: 1-line block ×7, first 2 shown]
	v_cvt_f32_f64_e32 v222, v[162:163]
	v_add_f64 v[162:163], v[84:85], v[116:117]
	v_cvt_f32_f64_e32 v226, v[178:179]
	v_add_f64 v[178:179], v[96:97], v[112:113]
	v_cvt_f32_f64_e32 v223, v[164:165]
	v_cvt_f32_f64_e32 v227, v[180:181]
	;; [unrolled: 1-line block ×13, first 2 shown]
	v_add_f64 v[126:127], v[88:89], v[116:117]
	v_cvt_f32_f64_e32 v192, v[215:216]
	v_cvt_f32_f64_e32 v122, v[122:123]
	v_cvt_f32_f64_e32 v123, v[124:125]
	v_cvt_f32_f64_e32 v121, v[120:121]
	v_add_f64 v[0:1], v[86:87], v[114:115]
	v_cvt_f32_f64_e32 v221, v[128:129]
	v_cvt_f32_f64_e32 v224, v[166:167]
	;; [unrolled: 1-line block ×3, first 2 shown]
	v_add_f64 v[128:129], v[82:83], v[114:115]
	v_add_f64 v[164:165], v[98:99], v[110:111]
	;; [unrolled: 1-line block ×6, first 2 shown]
	v_cvt_f32_f64_e32 v195, v[178:179]
	v_add_f64 v[178:179], v[100:101], v[104:105]
	v_min3_f32 v119, v184, v185, v202
	v_add_f64 v[184:185], v[86:87], v[102:103]
	v_min3_f32 v120, v186, v187, v212
	;; [unrolled: 2-line block ×3, first 2 shown]
	v_min3_f32 v146, v240, v241, v214
	v_min3_f32 v147, v243, v244, v213
	;; [unrolled: 1-line block ×4, first 2 shown]
	buffer_load_dword v122, off, s[36:39], 0 ; 4-byte Folded Reload
	v_min3_f32 v121, v188, v121, v210
	v_min3_f32 v123, v191, v192, v200
	v_cvt_f32_f64_e32 v188, v[0:1]
	v_cvt_f32_f64_e32 v191, v[162:163]
	v_add_f64 v[0:1], v[82:83], v[110:111]
	v_add_f64 v[110:111], v[84:85], v[112:113]
	;; [unrolled: 1-line block ×4, first 2 shown]
	v_cvt_f32_f64_e32 v192, v[164:165]
	v_cvt_f32_f64_e32 v194, v[168:169]
	;; [unrolled: 1-line block ×3, first 2 shown]
	v_add_f64 v[164:165], v[86:87], v[106:107]
	v_add_f64 v[168:169], v[98:99], v[102:103]
	;; [unrolled: 1-line block ×4, first 2 shown]
	v_cvt_f32_f64_e32 v197, v[182:183]
	v_add_f64 v[182:183], v[96:97], v[104:105]
	v_cvt_f32_f64_e32 v193, v[166:167]
	v_add_f64 v[166:167], v[88:89], v[108:109]
	v_add_f64 v[104:105], v[84:85], v[104:105]
	v_add_f64 v[98:99], v[98:99], v[90:91]
	v_add_f64 v[96:97], v[96:97], v[92:93]
	v_min3_f32 v125, v219, v220, v209
	v_min3_f32 v114, v221, v222, v208
	;; [unrolled: 1-line block ×4, first 2 shown]
	v_cvt_f32_f64_e32 v200, v[0:1]
	v_cvt_f32_f64_e32 v110, v[110:111]
	;; [unrolled: 1-line block ×3, first 2 shown]
	v_add_f64 v[0:1], v[86:87], v[90:91]
	v_min3_f32 v116, v225, v226, v171
	s_waitcnt vmcnt(0)
	v_min3_f32 v122, v189, v190, v122
	v_cvt_f32_f64_e32 v189, v[126:127]
	v_add_f64 v[126:127], v[100:101], v[108:109]
	v_add_f64 v[100:101], v[100:101], v[92:93]
	v_cvt_f32_f64_e32 v190, v[128:129]
	v_add_f64 v[128:129], v[94:95], v[106:107]
	v_add_f64 v[106:107], v[82:83], v[106:107]
	;; [unrolled: 1-line block ×4, first 2 shown]
	v_cvt_f32_f64_e32 v112, v[126:127]
	v_cvt_f32_f64_e32 v126, v[162:163]
	v_cvt_f32_f64_e32 v162, v[178:179]
	v_cvt_f32_f64_e32 v178, v[100:101]
	v_add_f64 v[100:101], v[82:83], v[90:91]
	buffer_load_dword v82, off, s[36:39], 0 offset:36 ; 4-byte Folded Reload
	v_cvt_f32_f64_e32 v127, v[164:165]
	v_cvt_f32_f64_e32 v163, v[180:181]
	;; [unrolled: 1-line block ×6, first 2 shown]
	v_add_f64 v[102:103], v[84:85], v[92:93]
	v_cvt_f32_f64_e32 v165, v[184:185]
	v_cvt_f32_f64_e32 v166, v[186:187]
	;; [unrolled: 1-line block ×9, first 2 shown]
	v_add_f64 v[98:99], v[88:89], v[92:93]
	v_add_f64 v[104:105], v[2:3], v[78:79]
	;; [unrolled: 1-line block ×3, first 2 shown]
	v_min3_f32 v94, v200, v110, v247
	v_min3_f32 v95, v111, v112, v206
	v_cvt_f32_f64_e32 v182, v[100:101]
	v_add_f64 v[100:101], v[10:11], v[78:79]
	v_add_f64 v[110:111], v[8:9], v[76:77]
	v_min3_f32 v96, v188, v189, v199
	v_min3_f32 v89, v113, v126, v170
	;; [unrolled: 1-line block ×3, first 2 shown]
	v_add_f64 v[112:113], v[10:11], v[74:75]
	v_cvt_f32_f64_e32 v183, v[102:103]
	v_add_f64 v[102:103], v[12:13], v[80:81]
	v_add_f64 v[126:127], v[12:13], v[76:77]
	v_min3_f32 v91, v192, v193, v255
	v_min3_f32 v88, v109, v162, v174
	v_min3_f32 v92, v194, v195, v175
	v_min3_f32 v97, v190, v191, v198
	v_min3_f32 v87, v129, v108, v176
	v_add_f64 v[108:109], v[6:7], v[74:75]
	v_add_f64 v[128:129], v[2:3], v[70:71]
	v_cvt_f32_f64_e32 v181, v[98:99]
	v_cvt_f32_f64_e32 v184, v[104:105]
	;; [unrolled: 1-line block ×3, first 2 shown]
	v_add_f64 v[98:99], v[8:9], v[80:81]
	v_add_f64 v[80:81], v[16:17], v[80:81]
	;; [unrolled: 1-line block ×6, first 2 shown]
	v_min3_f32 v93, v196, v197, v248
	v_cvt_f32_f64_e32 v98, v[98:99]
	v_cvt_f32_f64_e32 v99, v[100:101]
	;; [unrolled: 1-line block ×12, first 2 shown]
	v_add_f64 v[74:75], v[8:9], v[68:69]
	v_add_f64 v[76:77], v[10:11], v[66:67]
	;; [unrolled: 1-line block ×3, first 2 shown]
	v_cvt_f32_f64_e32 v188, v[104:105]
	v_min3_f32 v102, v184, v185, v151
	v_min3_f32 v104, v99, v100, v153
	;; [unrolled: 1-line block ×5, first 2 shown]
	v_add_f64 v[157:158], v[4:5], v[56:57]
	v_min3_f32 v106, v188, v106, v155
	v_add_f64 v[155:156], v[2:3], v[54:55]
	v_cvt_f32_f64_e32 v155, v[155:156]
	v_cvt_f32_f64_e32 v156, v[157:158]
	v_min3_f32 v213, v155, v156, v138
	s_waitcnt vmcnt(0)
	v_min3_f32 v85, v163, v164, v82
	buffer_load_dword v82, off, s[36:39], 0 offset:24 ; 4-byte Folded Reload
	v_add_f64 v[162:163], v[4:5], v[72:73]
	v_cvt_f32_f64_e32 v126, v[162:163]
	v_min3_f32 v110, v113, v126, v159
	s_waitcnt vmcnt(0)
	v_min3_f32 v86, v165, v166, v82
	buffer_load_dword v82, off, s[36:39], 0 offset:20 ; 4-byte Folded Reload
	v_add_f64 v[164:165], v[6:7], v[70:71]
	v_cvt_f32_f64_e32 v127, v[164:165]
	v_cvt_f32_f64_e32 v165, v[80:81]
	v_add_f64 v[80:81], v[16:17], v[64:65]
	s_waitcnt vmcnt(0)
	v_min3_f32 v83, v167, v168, v82
	buffer_load_dword v82, off, s[36:39], 0 offset:16 ; 4-byte Folded Reload
	v_add_f64 v[166:167], v[8:9], v[72:73]
	v_cvt_f32_f64_e32 v128, v[166:167]
	v_min3_f32 v111, v127, v128, v160
	v_add_f64 v[126:127], v[6:7], v[58:59]
	s_waitcnt vmcnt(0)
	v_min3_f32 v84, v169, v178, v82
	buffer_load_dword v82, off, s[36:39], 0 offset:12 ; 4-byte Folded Reload
	v_add_f64 v[168:169], v[10:11], v[70:71]
	v_add_f64 v[70:71], v[14:15], v[70:71]
	v_cvt_f32_f64_e32 v129, v[168:169]
	v_cvt_f32_f64_e32 v163, v[70:71]
	v_add_f64 v[70:71], v[4:5], v[68:69]
	v_cvt_f32_f64_e32 v169, v[126:127]
	v_add_f64 v[126:127], v[6:7], v[46:47]
	;; [unrolled: 2-line block ×3, first 2 shown]
	s_waitcnt vmcnt(0)
	v_min3_f32 v82, v179, v180, v82
	v_cvt_f32_f64_e32 v180, v[0:1]
	v_add_f64 v[0:1], v[6:7], v[78:79]
	v_add_f64 v[78:79], v[14:15], v[78:79]
	;; [unrolled: 1-line block ×4, first 2 shown]
	v_cvt_f32_f64_e32 v186, v[0:1]
	v_cvt_f32_f64_e32 v101, v[78:79]
	;; [unrolled: 1-line block ×4, first 2 shown]
	v_add_f64 v[0:1], v[2:3], v[66:67]
	v_add_f64 v[72:73], v[6:7], v[66:67]
	;; [unrolled: 1-line block ×4, first 2 shown]
	buffer_load_dword v66, off, s[36:39], 0 offset:8 ; 4-byte Folded Reload
	v_min3_f32 v103, v186, v98, v152
	v_min3_f32 v105, v101, v187, v154
	;; [unrolled: 1-line block ×4, first 2 shown]
	v_cvt_f32_f64_e32 v159, v[0:1]
	v_cvt_f32_f64_e32 v161, v[72:73]
	;; [unrolled: 1-line block ×6, first 2 shown]
	v_add_f64 v[0:1], v[2:3], v[62:63]
	v_add_f64 v[68:69], v[4:5], v[64:65]
	v_add_f64 v[72:73], v[8:9], v[64:65]
	v_add_f64 v[74:75], v[10:11], v[62:63]
	v_add_f64 v[76:77], v[12:13], v[64:65]
	v_add_f64 v[78:79], v[14:15], v[62:63]
	v_add_f64 v[98:99], v[2:3], v[58:59]
	v_add_f64 v[100:101], v[4:5], v[60:61]
	v_add_f64 v[128:129], v[8:9], v[60:61]
	v_add_f64 v[151:152], v[10:11], v[58:59]
	v_add_f64 v[153:154], v[12:13], v[60:61]
	v_add_f64 v[58:59], v[14:15], v[58:59]
	v_add_f64 v[60:61], v[16:17], v[60:61]
	v_min3_f32 v62, v159, v160, v150
	v_min3_f32 v63, v161, v162, v148
	v_cvt_f32_f64_e32 v161, v[70:71]
	v_min3_f32 v64, v163, v164, v149
	v_min3_f32 v65, v165, v166, v229
	v_cvt_f32_f64_e32 v159, v[0:1]
	v_cvt_f32_f64_e32 v160, v[68:69]
	;; [unrolled: 1-line block ×13, first 2 shown]
	v_add_f64 v[0:1], v[6:7], v[54:55]
	v_add_f64 v[58:59], v[8:9], v[56:57]
	v_add_f64 v[60:61], v[10:11], v[54:55]
	v_add_f64 v[68:69], v[12:13], v[56:57]
	v_add_f64 v[54:55], v[14:15], v[54:55]
	v_add_f64 v[56:57], v[16:17], v[56:57]
	v_add_f64 v[70:71], v[2:3], v[50:51]
	v_add_f64 v[72:73], v[4:5], v[52:53]
	v_add_f64 v[74:75], v[6:7], v[50:51]
	v_add_f64 v[76:77], v[8:9], v[52:53]
	v_add_f64 v[78:79], v[10:11], v[50:51]
	v_add_f64 v[80:81], v[12:13], v[52:53]
	v_add_f64 v[50:51], v[14:15], v[50:51]
	v_add_f64 v[52:53], v[16:17], v[52:53]
	v_add_f64 v[98:99], v[2:3], v[46:47]
	v_add_f64 v[100:101], v[4:5], v[48:49]
	v_add_f64 v[128:129], v[8:9], v[48:49]
	v_cvt_f32_f64_e32 v152, v[151:152]
	v_add_f64 v[148:149], v[10:11], v[46:47]
	v_add_f64 v[150:151], v[12:13], v[48:49]
	;; [unrolled: 1-line block ×4, first 2 shown]
	v_cvt_f32_f64_e32 v157, v[0:1]
	v_cvt_f32_f64_e32 v58, v[58:59]
	v_cvt_f32_f64_e32 v59, v[60:61]
	v_cvt_f32_f64_e32 v60, v[68:69]
	v_cvt_f32_f64_e32 v54, v[54:55]
	v_cvt_f32_f64_e32 v55, v[56:57]
	v_cvt_f32_f64_e32 v56, v[70:71]
	v_cvt_f32_f64_e32 v57, v[72:73]
	v_cvt_f32_f64_e32 v61, v[74:75]
	v_cvt_f32_f64_e32 v68, v[76:77]
	v_cvt_f32_f64_e32 v69, v[78:79]
	v_cvt_f32_f64_e32 v70, v[80:81]
	v_cvt_f32_f64_e32 v50, v[50:51]
	v_cvt_f32_f64_e32 v51, v[52:53]
	v_cvt_f32_f64_e32 v52, v[98:99]
	v_cvt_f32_f64_e32 v53, v[100:101]
	v_cvt_f32_f64_e32 v71, v[126:127]
	v_cvt_f32_f64_e32 v72, v[128:129]
	v_add_f64 v[78:79], v[10:11], v[34:35]
	v_add_f64 v[80:81], v[12:13], v[36:37]
	v_cvt_f32_f64_e32 v73, v[148:149]
	v_cvt_f32_f64_e32 v74, v[150:151]
	;; [unrolled: 1-line block ×4, first 2 shown]
	v_add_f64 v[0:1], v[2:3], v[42:43]
	v_min3_f32 v215, v59, v60, v140
	v_add_f64 v[46:47], v[4:5], v[44:45]
	v_min3_f32 v216, v54, v55, v141
	v_add_f64 v[54:55], v[4:5], v[40:41]
	v_min3_f32 v217, v56, v57, v142
	v_add_f64 v[56:57], v[6:7], v[38:39]
	v_min3_f32 v218, v61, v68, v143
	v_add_f64 v[60:61], v[10:11], v[38:39]
	v_min3_f32 v219, v69, v70, v144
	v_min3_f32 v214, v157, v58, v139
	v_min3_f32 v220, v50, v51, v145
	v_add_f64 v[50:51], v[12:13], v[44:45]
	v_min3_f32 v221, v52, v53, v146
	v_add_f64 v[52:53], v[2:3], v[38:39]
	;; [unrolled: 2-line block ×3, first 2 shown]
	v_add_f64 v[58:59], v[8:9], v[40:41]
	v_add_f64 v[68:69], v[12:13], v[40:41]
	v_min3_f32 v223, v73, v74, v124
	v_add_f64 v[38:39], v[14:15], v[38:39]
	v_min3_f32 v224, v75, v48, v125
	v_cvt_f32_f64_e32 v98, v[0:1]
	v_add_f64 v[0:1], v[6:7], v[42:43]
	v_cvt_f32_f64_e32 v99, v[46:47]
	v_add_f64 v[46:47], v[8:9], v[44:45]
	v_add_f64 v[48:49], v[10:11], v[42:43]
	;; [unrolled: 1-line block ×10, first 2 shown]
	v_min3_f32 v126, v159, v160, v130
	v_cvt_f32_f64_e32 v52, v[52:53]
	v_cvt_f32_f64_e32 v53, v[54:55]
	;; [unrolled: 1-line block ×10, first 2 shown]
	v_add_f64 v[38:39], v[8:9], v[32:33]
	v_cvt_f32_f64_e32 v101, v[46:47]
	v_cvt_f32_f64_e32 v48, v[48:49]
	;; [unrolled: 1-line block ×8, first 2 shown]
	v_add_f64 v[36:37], v[6:7], v[30:31]
	v_add_f64 v[40:41], v[10:11], v[30:31]
	;; [unrolled: 1-line block ×5, first 2 shown]
	v_cvt_f32_f64_e32 v100, v[0:1]
	v_cvt_f32_f64_e32 v72, v[34:35]
	v_add_f64 v[0:1], v[2:3], v[30:31]
	v_add_f64 v[34:35], v[4:5], v[32:33]
	v_min3_f32 v188, v70, v71, v96
	s_clause 0x1
	buffer_load_dword v70, off, s[36:39], 0 offset:56
	buffer_load_dword v67, off, s[36:39], 0 offset:4
	v_add_f64 v[30:31], v[14:15], v[30:31]
	v_add_f64 v[32:33], v[16:17], v[32:33]
	v_min3_f32 v184, v56, v57, v120
	v_cvt_f32_f64_e32 v68, v[74:75]
	v_min3_f32 v227, v48, v49, v116
	v_cvt_f32_f64_e32 v69, v[76:77]
	;; [unrolled: 2-line block ×3, first 2 shown]
	v_add_f64 v[38:39], v[4:5], v[24:25]
	v_add_f64 v[4:5], v[4:5], v[20:21]
	v_cvt_f32_f64_e32 v50, v[36:37]
	v_add_f64 v[36:37], v[2:3], v[22:23]
	v_add_f64 v[2:3], v[2:3], v[18:19]
	v_cvt_f32_f64_e32 v56, v[44:45]
	v_cvt_f32_f64_e32 v57, v[46:47]
	v_add_f64 v[44:45], v[10:11], v[22:23]
	v_add_f64 v[46:47], v[12:13], v[24:25]
	v_cvt_f32_f64_e32 v48, v[0:1]
	v_cvt_f32_f64_e32 v49, v[34:35]
	v_add_f64 v[0:1], v[6:7], v[26:27]
	v_add_f64 v[34:35], v[12:13], v[28:29]
	;; [unrolled: 1-line block ×3, first 2 shown]
	v_min3_f32 v185, v58, v59, v121
	v_min3_f32 v186, v60, v61, v122
	;; [unrolled: 1-line block ×12, first 2 shown]
	v_cvt_f32_f64_e32 v2, v[2:3]
	v_cvt_f32_f64_e32 v3, v[4:5]
	v_min3_f32 v194, v56, v57, v95
	v_min3_f32 v211, v152, v153, v136
	v_min3_f32 v212, v154, v179, v137
	v_min3_f32 v190, v48, v49, v91
	v_cvt_f32_f64_e32 v0, v[0:1]
	v_min3_f32 v205, v2, v3, v84
	s_waitcnt vmcnt(2)
	v_min3_f32 v66, v180, v181, v66
	s_waitcnt vmcnt(1)
	ds_read_b128 v[58:61], v70
	s_waitcnt vmcnt(0)
	v_min3_f32 v67, v182, v183, v67
	v_min3_f32 v182, v52, v53, v118
	v_cvt_f32_f64_e32 v52, v[40:41]
	v_cvt_f32_f64_e32 v53, v[42:43]
	v_add_f64 v[40:41], v[6:7], v[22:23]
	v_add_f64 v[42:43], v[8:9], v[24:25]
	v_add_f64 v[22:23], v[14:15], v[22:23]
	v_add_f64 v[24:25], v[16:17], v[24:25]
	v_min3_f32 v183, v54, v55, v119
	v_cvt_f32_f64_e32 v54, v[30:31]
	v_cvt_f32_f64_e32 v55, v[32:33]
	v_add_f64 v[30:31], v[8:9], v[28:29]
	v_add_f64 v[32:33], v[10:11], v[26:27]
	v_add_f64 v[26:27], v[14:15], v[26:27]
	v_add_f64 v[28:29], v[16:17], v[28:29]
	v_add_f64 v[6:7], v[6:7], v[18:19]
	v_add_f64 v[8:9], v[8:9], v[20:21]
	v_add_f64 v[10:11], v[10:11], v[18:19]
	v_add_f64 v[14:15], v[14:15], v[18:19]
	v_add_f64 v[16:17], v[16:17], v[20:21]
	ds_read_b128 v[18:21], v201
	v_min3_f32 v192, v52, v53, v93
	v_cvt_f32_f64_e32 v22, v[22:23]
	v_cvt_f32_f64_e32 v23, v[24:25]
	v_min3_f32 v193, v54, v55, v94
	v_cvt_f32_f64_e32 v1, v[30:31]
	v_cvt_f32_f64_e32 v30, v[32:33]
	v_cvt_f32_f64_e32 v31, v[34:35]
	v_cvt_f32_f64_e32 v26, v[26:27]
	v_cvt_f32_f64_e32 v27, v[28:29]
	v_cvt_f32_f64_e32 v28, v[36:37]
	v_cvt_f32_f64_e32 v29, v[38:39]
	v_cvt_f32_f64_e32 v32, v[40:41]
	v_cvt_f32_f64_e32 v33, v[42:43]
	v_cvt_f32_f64_e32 v34, v[44:45]
	v_cvt_f32_f64_e32 v35, v[46:47]
	v_cvt_f32_f64_e32 v4, v[6:7]
	v_cvt_f32_f64_e32 v5, v[8:9]
	ds_read_b128 v[54:57], v70 offset:1024
	ds_read_b128 v[42:45], v70 offset:2048
	;; [unrolled: 1-line block ×3, first 2 shown]
	v_cvt_f32_f64_e32 v6, v[10:11]
	v_cvt_f32_f64_e32 v7, v[12:13]
	v_min3_f32 v203, v22, v23, v83
	ds_read_b128 v[22:25], v201 offset:256
	v_cvt_f32_f64_e32 v8, v[14:15]
	v_cvt_f32_f64_e32 v9, v[16:17]
	v_min3_f32 v195, v0, v1, v89
	s_waitcnt lgkmcnt(4)
	v_add_f64 v[0:1], v[60:61], v[20:21]
	v_min3_f32 v196, v30, v31, v90
	v_add_f64 v[46:47], v[58:59], v[18:19]
	v_min3_f32 v197, v26, v27, v87
	v_min3_f32 v198, v28, v29, v88
	;; [unrolled: 1-line block ×4, first 2 shown]
	s_waitcnt lgkmcnt(3)
	v_add_f64 v[48:49], v[56:57], v[20:21]
	v_min3_f32 v206, v4, v5, v82
	s_waitcnt lgkmcnt(2)
	v_add_f64 v[78:79], v[42:43], v[18:19]
	s_waitcnt lgkmcnt(1)
	v_add_f64 v[80:81], v[40:41], v[20:21]
	v_add_f64 v[82:83], v[38:39], v[18:19]
	;; [unrolled: 1-line block ×3, first 2 shown]
	s_waitcnt lgkmcnt(0)
	v_add_f64 v[84:85], v[58:59], v[22:23]
	v_add_f64 v[86:87], v[60:61], v[24:25]
	;; [unrolled: 1-line block ×6, first 2 shown]
	v_min3_f32 v142, v6, v7, v66
	v_min3_f32 v143, v8, v9, v67
	ds_read_b128 v[34:37], v201 offset:512
	ds_read_b128 v[66:69], v201 offset:768
	;; [unrolled: 1-line block ×6, first 2 shown]
	v_add_f64 v[52:53], v[44:45], v[20:21]
	ds_read_b128 v[2:5], v70 offset:3088
	ds_read_b128 v[26:29], v201 offset:272
	;; [unrolled: 1-line block ×10, first 2 shown]
	v_cvt_f32_f64_e32 v145, v[0:1]
	v_add_f64 v[0:1], v[40:41], v[24:25]
	v_add_f64 v[22:23], v[38:39], v[22:23]
	v_cvt_f32_f64_e32 v148, v[78:79]
	v_cvt_f32_f64_e32 v151, v[80:81]
	;; [unrolled: 1-line block ×10, first 2 shown]
	s_waitcnt lgkmcnt(15)
	v_add_f64 v[24:25], v[60:61], v[36:37]
	v_add_f64 v[78:79], v[58:59], v[34:35]
	v_add_f64 v[80:81], v[56:57], v[36:37]
	v_add_f64 v[82:83], v[54:55], v[34:35]
	v_add_f64 v[84:85], v[44:45], v[36:37]
	v_add_f64 v[86:87], v[42:43], v[34:35]
	v_add_f64 v[88:89], v[40:41], v[36:37]
	v_add_f64 v[114:115], v[38:39], v[34:35]
	s_waitcnt lgkmcnt(14)
	v_add_f64 v[116:117], v[60:61], v[68:69]
	v_add_f64 v[122:123], v[58:59], v[66:67]
	;; [unrolled: 1-line block ×8, first 2 shown]
	s_waitcnt lgkmcnt(7)
	v_add_f64 v[134:135], v[58:59], v[18:19]
	v_add_f64 v[136:137], v[60:61], v[20:21]
	;; [unrolled: 1-line block ×4, first 2 shown]
	v_cvt_f32_f64_e32 v146, v[50:51]
	v_cvt_f32_f64_e32 v147, v[48:49]
	;; [unrolled: 1-line block ×25, first 2 shown]
	v_min3_f32 v144, v144, v145, v102
	v_min3_f32 v145, v146, v147, v103
	;; [unrolled: 1-line block ×14, first 2 shown]
	v_add_f64 v[102:103], v[44:45], v[20:21]
	v_min3_f32 v158, v124, v125, v64
	v_add_f64 v[114:115], v[42:43], v[18:19]
	v_min3_f32 v159, v128, v129, v65
	;; [unrolled: 2-line block ×4, first 2 shown]
	s_waitcnt lgkmcnt(6)
	v_add_f64 v[106:107], v[60:61], v[120:121]
	v_add_f64 v[126:127], v[58:59], v[118:119]
	;; [unrolled: 1-line block ×8, first 2 shown]
	s_waitcnt lgkmcnt(5)
	v_add_f64 v[118:119], v[60:61], v[231:232]
	v_add_f64 v[134:135], v[58:59], v[229:230]
	;; [unrolled: 1-line block ×8, first 2 shown]
	s_waitcnt lgkmcnt(4)
	v_add_f64 v[0:1], v[58:59], v[74:75]
	v_add_f64 v[162:163], v[60:61], v[76:77]
	v_cvt_f32_f64_e32 v164, v[114:115]
	v_cvt_f32_f64_e32 v165, v[102:103]
	;; [unrolled: 1-line block ×6, first 2 shown]
	v_add_f64 v[102:103], v[54:55], v[74:75]
	v_cvt_f32_f64_e32 v178, v[128:129]
	v_add_f64 v[104:105], v[44:45], v[76:77]
	v_cvt_f32_f64_e32 v180, v[130:131]
	v_cvt_f32_f64_e32 v230, v[112:113]
	;; [unrolled: 1-line block ×9, first 2 shown]
	v_add_f64 v[106:107], v[42:43], v[74:75]
	v_cvt_f32_f64_e32 v140, v[140:141]
	v_cvt_f32_f64_e32 v141, v[124:125]
	;; [unrolled: 1-line block ×3, first 2 shown]
	v_add_f64 v[0:1], v[56:57], v[76:77]
	s_waitcnt lgkmcnt(3)
	v_add_f64 v[112:113], v[60:61], v[72:73]
	v_add_f64 v[114:115], v[58:59], v[70:71]
	;; [unrolled: 1-line block ×8, first 2 shown]
	s_waitcnt lgkmcnt(2)
	v_add_f64 v[128:129], v[58:59], v[90:91]
	v_add_f64 v[130:131], v[60:61], v[92:93]
	;; [unrolled: 1-line block ×6, first 2 shown]
	v_cvt_f32_f64_e32 v179, v[108:109]
	v_cvt_f32_f64_e32 v181, v[110:111]
	v_cvt_f32_f64_e32 v162, v[162:163]
	v_add_f64 v[108:109], v[40:41], v[76:77]
	v_add_f64 v[110:111], v[38:39], v[74:75]
	;; [unrolled: 1-line block ×4, first 2 shown]
	v_cvt_f32_f64_e32 v163, v[102:103]
	v_cvt_f32_f64_e32 v0, v[0:1]
	;; [unrolled: 1-line block ×18, first 2 shown]
	ds_read_b128 v[50:53], v201 offset:528
	ds_read_b128 v[46:49], v201 offset:784
	;; [unrolled: 1-line block ×7, first 2 shown]
	v_cvt_f32_f64_e32 v239, v[110:111]
	v_cvt_f32_f64_e32 v240, v[108:109]
	;; [unrolled: 1-line block ×4, first 2 shown]
	v_min3_f32 v134, v164, v165, v207
	v_min3_f32 v135, v166, v167, v208
	;; [unrolled: 1-line block ×16, first 2 shown]
	s_waitcnt lgkmcnt(8)
	v_add_f64 v[0:1], v[60:61], v[100:101]
	v_add_f64 v[122:123], v[58:59], v[98:99]
	;; [unrolled: 1-line block ×8, first 2 shown]
	s_waitcnt lgkmcnt(7)
	v_add_f64 v[138:139], v[60:61], v[96:97]
	v_add_f64 v[140:141], v[58:59], v[94:95]
	;; [unrolled: 1-line block ×8, first 2 shown]
	s_waitcnt lgkmcnt(3)
	v_add_f64 v[207:208], v[58:59], v[86:87]
	v_add_f64 v[209:210], v[60:61], v[88:89]
	v_min3_f32 v105, v229, v230, v212
	v_min3_f32 v106, v231, v232, v213
	v_min3_f32 v107, v233, v234, v214
	v_min3_f32 v108, v235, v236, v215
	v_min3_f32 v113, v239, v240, v220
	v_min3_f32 v121, v90, v91, v228
	v_add_f64 v[211:212], v[54:55], v[86:87]
	v_add_f64 v[213:214], v[56:57], v[88:89]
	v_cvt_f32_f64_e32 v219, v[122:123]
	v_cvt_f32_f64_e32 v220, v[0:1]
	;; [unrolled: 1-line block ×18, first 2 shown]
	v_add_f64 v[0:1], v[40:41], v[88:89]
	v_add_f64 v[122:123], v[38:39], v[86:87]
	s_waitcnt lgkmcnt(2)
	v_add_f64 v[124:125], v[60:61], v[84:85]
	v_add_f64 v[126:127], v[58:59], v[82:83]
	v_add_f64 v[128:129], v[56:57], v[84:85]
	v_add_f64 v[130:131], v[54:55], v[82:83]
	v_add_f64 v[132:133], v[44:45], v[84:85]
	v_add_f64 v[136:137], v[42:43], v[82:83]
	v_add_f64 v[138:139], v[40:41], v[84:85]
	v_add_f64 v[140:141], v[38:39], v[82:83]
	s_waitcnt lgkmcnt(1)
	v_add_f64 v[162:163], v[60:61], v[80:81]
	v_add_f64 v[164:165], v[58:59], v[78:79]
	v_add_f64 v[166:167], v[56:57], v[80:81]
	v_add_f64 v[168:169], v[54:55], v[78:79]
	v_add_f64 v[178:179], v[44:45], v[80:81]
	v_add_f64 v[180:181], v[42:43], v[78:79]
	;; [unrolled: 9-line block ×3, first 2 shown]
	v_cvt_f32_f64_e32 v123, v[122:123]
	v_cvt_f32_f64_e32 v0, v[0:1]
	;; [unrolled: 1-line block ×26, first 2 shown]
	v_min3_f32 v136, v219, v220, v182
	v_min3_f32 v137, v221, v222, v183
	;; [unrolled: 1-line block ×8, first 2 shown]
	v_add_f64 v[0:1], v[42:43], v[66:67]
	v_min3_f32 v129, v133, v138, v199
	v_add_f64 v[42:43], v[44:45], v[68:69]
	v_min3_f32 v130, v139, v140, v200
	;; [unrolled: 2-line block ×5, first 2 shown]
	v_add_f64 v[66:67], v[16:17], v[32:33]
	v_add_f64 v[68:69], v[10:11], v[30:31]
	;; [unrolled: 1-line block ×15, first 2 shown]
	v_min3_f32 v54, v223, v224, v184
	v_min3_f32 v55, v225, v226, v185
	;; [unrolled: 1-line block ×9, first 2 shown]
	v_add_f64 v[184:185], v[14:15], v[50:51]
	v_add_f64 v[186:187], v[16:17], v[52:53]
	v_cvt_f32_f64_e32 v188, v[0:1]
	v_cvt_f32_f64_e32 v189, v[42:43]
	;; [unrolled: 1-line block ×19, first 2 shown]
	v_add_f64 v[0:1], v[10:11], v[50:51]
	v_add_f64 v[26:27], v[12:13], v[52:53]
	;; [unrolled: 1-line block ×22, first 2 shown]
	v_cvt_f32_f64_e32 v0, v[0:1]
	v_cvt_f32_f64_e32 v1, v[26:27]
	v_cvt_f32_f64_e32 v28, v[28:29]
	v_cvt_f32_f64_e32 v29, v[30:31]
	v_cvt_f32_f64_e32 v30, v[32:33]
	v_cvt_f32_f64_e32 v31, v[38:39]
	v_cvt_f32_f64_e32 v32, v[40:41]
	v_cvt_f32_f64_e32 v33, v[42:43]
	v_cvt_f32_f64_e32 v38, v[44:45]
	v_cvt_f32_f64_e32 v39, v[50:51]
	v_cvt_f32_f64_e32 v40, v[52:53]
	v_cvt_f32_f64_e32 v41, v[66:67]
	v_cvt_f32_f64_e32 v42, v[46:47]
	v_cvt_f32_f64_e32 v43, v[48:49]
	v_cvt_f32_f64_e32 v44, v[68:69]
	v_cvt_f32_f64_e32 v45, v[138:139]
	v_cvt_f32_f64_e32 v46, v[140:141]
	v_cvt_f32_f64_e32 v47, v[162:163]
	v_cvt_f32_f64_e32 v48, v[164:165]
	v_cvt_f32_f64_e32 v49, v[166:167]
	v_cvt_f32_f64_e32 v34, v[34:35]
	v_cvt_f32_f64_e32 v35, v[36:37]
	ds_read_b128 v[22:25], v201 offset:1296
	ds_read_b128 v[18:21], v201 offset:1552
	v_min3_f32 v239, v0, v1, v153
	v_min3_f32 v238, v28, v29, v154
	ds_read_b128 v[62:65], v201 offset:1808
	ds_read_b128 v[74:77], v201 offset:2064
	v_min3_f32 v224, v30, v31, v155
	v_min3_f32 v236, v32, v33, v156
	;; [unrolled: 4-line block ×3, first 2 shown]
	v_cvt_f32_f64_e32 v179, v[182:183]
	v_min3_f32 v229, v42, v43, v159
	v_min3_f32 v222, v192, v193, v144
	;; [unrolled: 1-line block ×7, first 2 shown]
	s_waitcnt lgkmcnt(5)
	v_add_f64 v[0:1], v[14:15], v[22:23]
	v_min3_f32 v234, v34, v35, v135
	v_add_f64 v[28:29], v[16:17], v[24:25]
	v_add_f64 v[30:31], v[10:11], v[22:23]
	;; [unrolled: 1-line block ×7, first 2 shown]
	s_waitcnt lgkmcnt(4)
	v_add_f64 v[38:39], v[14:15], v[18:19]
	v_add_f64 v[40:41], v[16:17], v[20:21]
	;; [unrolled: 1-line block ×8, first 2 shown]
	v_min3_f32 v219, v198, v199, v147
	v_min3_f32 v244, v200, v203, v148
	;; [unrolled: 1-line block ×3, first 2 shown]
	s_waitcnt lgkmcnt(3)
	v_add_f64 v[66:67], v[10:11], v[62:63]
	v_add_f64 v[68:69], v[12:13], v[64:65]
	v_cvt_f32_f64_e32 v140, v[0:1]
	v_add_f64 v[0:1], v[2:3], v[62:63]
	v_cvt_f32_f64_e32 v141, v[28:29]
	s_waitcnt lgkmcnt(2)
	v_add_f64 v[28:29], v[12:13], v[76:77]
	v_cvt_f32_f64_e32 v182, v[184:185]
	v_cvt_f32_f64_e32 v144, v[34:35]
	v_cvt_f32_f64_e32 v145, v[36:37]
	v_cvt_f32_f64_e32 v146, v[22:23]
	v_cvt_f32_f64_e32 v147, v[24:25]
	v_cvt_f32_f64_e32 v148, v[38:39]
	v_cvt_f32_f64_e32 v149, v[40:41]
	v_add_f64 v[22:23], v[16:17], v[76:77]
	v_add_f64 v[24:25], v[10:11], v[74:75]
	;; [unrolled: 1-line block ×4, first 2 shown]
	v_cvt_f32_f64_e32 v154, v[18:19]
	v_cvt_f32_f64_e32 v155, v[20:21]
	v_add_f64 v[18:19], v[4:5], v[64:65]
	v_add_f64 v[20:21], v[14:15], v[74:75]
	s_waitcnt lgkmcnt(1)
	v_add_f64 v[38:39], v[14:15], v[70:71]
	v_add_f64 v[40:41], v[16:17], v[72:73]
	v_cvt_f32_f64_e32 v183, v[186:187]
	v_min3_f32 v26, v188, v189, v142
	v_min3_f32 v27, v190, v191, v143
	;; [unrolled: 1-line block ×4, first 2 shown]
	v_add_f64 v[50:51], v[14:15], v[62:63]
	v_cvt_f32_f64_e32 v142, v[30:31]
	v_cvt_f32_f64_e32 v143, v[32:33]
	;; [unrolled: 1-line block ×6, first 2 shown]
	v_add_f64 v[30:31], v[6:7], v[74:75]
	v_add_f64 v[32:33], v[8:9], v[76:77]
	;; [unrolled: 1-line block ×4, first 2 shown]
	s_waitcnt lgkmcnt(0)
	v_add_f64 v[66:67], v[10:11], v[90:91]
	v_add_f64 v[68:69], v[12:13], v[92:93]
	v_cvt_f32_f64_e32 v0, v[0:1]
	v_cvt_f32_f64_e32 v1, v[18:19]
	;; [unrolled: 1-line block ×10, first 2 shown]
	ds_read_b128 v[98:101], v201 offset:2832
	ds_read_b128 v[94:97], v201 offset:3088
	v_min3_f32 v240, v182, v183, v152
	v_add_f64 v[52:53], v[16:17], v[64:65]
	v_add_f64 v[134:135], v[6:7], v[62:63]
	;; [unrolled: 1-line block ×3, first 2 shown]
	v_cvt_f32_f64_e32 v152, v[46:47]
	v_cvt_f32_f64_e32 v156, v[50:51]
	v_add_f64 v[46:47], v[6:7], v[70:71]
	v_add_f64 v[50:51], v[2:3], v[70:71]
	;; [unrolled: 1-line block ×4, first 2 shown]
	v_cvt_f32_f64_e32 v22, v[30:31]
	v_cvt_f32_f64_e32 v23, v[32:33]
	;; [unrolled: 1-line block ×6, first 2 shown]
	v_min3_f32 v230, v0, v1, v113
	v_min3_f32 v214, v18, v19, v114
	v_min3_f32 v209, v24, v25, v117
	v_min3_f32 v208, v28, v29, v118
	v_add_f64 v[0:1], v[6:7], v[90:91]
	v_add_f64 v[18:19], v[8:9], v[92:93]
	s_waitcnt lgkmcnt(1)
	v_add_f64 v[24:25], v[14:15], v[98:99]
	v_add_f64 v[28:29], v[16:17], v[100:101]
	s_waitcnt lgkmcnt(0)
	v_add_f64 v[42:43], v[14:15], v[94:95]
	v_add_f64 v[44:45], v[16:17], v[96:97]
	ds_read_b128 v[86:89], v201 offset:3344
	ds_read_b128 v[82:85], v201 offset:3600
	;; [unrolled: 1-line block ×3, first 2 shown]
	v_cvt_f32_f64_e32 v157, v[52:53]
	v_add_f64 v[52:53], v[4:5], v[72:73]
	v_cvt_f32_f64_e32 v32, v[46:47]
	v_cvt_f32_f64_e32 v34, v[50:51]
	;; [unrolled: 1-line block ×4, first 2 shown]
	v_min3_f32 v213, v20, v21, v115
	v_min3_f32 v211, v22, v23, v116
	;; [unrolled: 1-line block ×3, first 2 shown]
	v_add_f64 v[20:21], v[2:3], v[90:91]
	v_add_f64 v[22:23], v[4:5], v[92:93]
	;; [unrolled: 1-line block ×8, first 2 shown]
	v_cvt_f32_f64_e32 v70, v[0:1]
	v_cvt_f32_f64_e32 v71, v[18:19]
	v_cvt_f32_f64_e32 v74, v[24:25]
	v_cvt_f32_f64_e32 v75, v[28:29]
	v_cvt_f32_f64_e32 v94, v[42:43]
	v_cvt_f32_f64_e32 v95, v[44:45]
	s_waitcnt lgkmcnt(2)
	v_add_f64 v[0:1], v[10:11], v[86:87]
	v_add_f64 v[18:19], v[12:13], v[88:89]
	;; [unrolled: 1-line block ×4, first 2 shown]
	s_waitcnt lgkmcnt(1)
	v_add_f64 v[42:43], v[2:3], v[82:83]
	v_add_f64 v[44:45], v[4:5], v[84:85]
	s_waitcnt lgkmcnt(0)
	v_add_f64 v[2:3], v[2:3], v[78:79]
	v_add_f64 v[4:5], v[4:5], v[80:81]
	buffer_load_dword v165, off, s[36:39], 0 offset:64 ; 4-byte Folded Reload
	v_cvt_f32_f64_e32 v153, v[48:49]
	v_add_f64 v[48:49], v[8:9], v[72:73]
	v_cvt_f32_f64_e32 v35, v[52:53]
	v_min3_f32 v207, v30, v31, v119
	v_min3_f32 v203, v36, v37, v136
	v_add_f64 v[30:31], v[10:11], v[98:99]
	v_add_f64 v[36:37], v[8:9], v[100:101]
	;; [unrolled: 1-line block ×5, first 2 shown]
	v_cvt_f32_f64_e32 v72, v[20:21]
	v_cvt_f32_f64_e32 v73, v[22:23]
	;; [unrolled: 1-line block ×6, first 2 shown]
	v_add_f64 v[20:21], v[6:7], v[86:87]
	v_add_f64 v[22:23], v[8:9], v[88:89]
	;; [unrolled: 1-line block ×3, first 2 shown]
	v_cvt_f32_f64_e32 v2, v[2:3]
	v_cvt_f32_f64_e32 v3, v[4:5]
	v_min3_f32 v4, v74, v75, v56
	v_add_f64 v[40:41], v[8:9], v[84:85]
	v_cvt_f32_f64_e32 v33, v[48:49]
	v_min3_f32 v205, v34, v35, v121
	v_add_f64 v[34:35], v[6:7], v[98:99]
	buffer_store_dword v4, off, s[36:39], 0 ; 4-byte Folded Spill
	v_add_f64 v[48:49], v[12:13], v[96:97]
	v_cvt_f32_f64_e32 v76, v[30:31]
	v_cvt_f32_f64_e32 v91, v[36:37]
	v_add_f64 v[30:31], v[14:15], v[82:83]
	v_add_f64 v[36:37], v[12:13], v[84:85]
	;; [unrolled: 1-line block ×5, first 2 shown]
	v_cvt_f32_f64_e32 v134, v[134:135]
	v_min3_f32 v192, v0, v1, v125
	v_cvt_f32_f64_e32 v135, v[138:139]
	v_cvt_f32_f64_e32 v46, v[46:47]
	;; [unrolled: 1-line block ×5, first 2 shown]
	v_min3_f32 v182, v2, v3, v27
	s_clause 0x3
	buffer_load_dword v1, off, s[36:39], 0 offset:40
	buffer_load_dword v2, off, s[36:39], 0 offset:44
	;; [unrolled: 1-line block ×4, first 2 shown]
	v_cvt_f32_f64_e32 v21, v[28:29]
	v_min3_f32 v206, v32, v33, v120
	v_add_f64 v[32:33], v[12:13], v[100:101]
	v_cvt_f32_f64_e32 v90, v[34:35]
	v_add_f64 v[34:35], v[10:11], v[82:83]
	v_add_f64 v[10:11], v[10:11], v[78:79]
	;; [unrolled: 1-line block ×3, first 2 shown]
	v_cvt_f32_f64_e32 v47, v[48:49]
	v_cvt_f32_f64_e32 v48, v[50:51]
	;; [unrolled: 1-line block ×16, first 2 shown]
	v_min3_f32 v218, v140, v141, v102
	v_cvt_f32_f64_e32 v77, v[32:33]
	v_add_f64 v[32:33], v[16:17], v[84:85]
	v_add_f64 v[16:17], v[16:17], v[80:81]
	v_cvt_f32_f64_e32 v24, v[34:35]
	v_cvt_f32_f64_e32 v10, v[10:11]
	;; [unrolled: 1-line block ×3, first 2 shown]
	v_min3_f32 v217, v142, v143, v103
	v_min3_f32 v216, v144, v145, v104
	;; [unrolled: 1-line block ×17, first 2 shown]
	v_cvt_f32_f64_e32 v23, v[32:33]
	v_cvt_f32_f64_e32 v15, v[16:17]
	v_min3_f32 v248, v48, v49, v122
	v_min3_f32 v247, v50, v51, v123
	;; [unrolled: 1-line block ×12, first 2 shown]
	s_waitcnt vmcnt(4)
	v_add_nc_u32_e32 v0, 0x1000, v165
	s_waitcnt vmcnt(0)
	ds_write2st64_b64 v0, v[1:2], v[3:4] offset1:4
	s_clause 0x1
	buffer_load_dword v1, off, s[36:39], 0 offset:28
	buffer_load_dword v2, off, s[36:39], 0 offset:32
	v_add_nc_u32_e32 v0, 0x3000, v165
	s_waitcnt vmcnt(0)
	ds_write2st64_b64 v0, v[1:2], v[172:173] offset1:4
	s_waitcnt lgkmcnt(0)
	s_waitcnt_vscnt null, 0x0
	s_barrier
	buffer_gl0_inv
	s_cbranch_scc1 .LBB114_41
.LBB114_25:                             ; =>This Inner Loop Header: Depth=1
	buffer_load_dword v0, off, s[36:39], 0 offset:60 ; 4-byte Folded Reload
	s_waitcnt vmcnt(0)
	v_add_nc_u32_e32 v10, s28, v0
	v_add_nc_u32_e32 v0, 8, v10
	v_min_i32_e32 v2, s25, v0
	v_cmp_le_i32_e64 s3, s10, v0
	v_ashrrev_i32_e32 v3, 31, v2
	s_or_b32 s29, vcc_lo, s3
	v_lshlrev_b64 v[6:7], 3, v[2:3]
	v_cndmask_b32_e64 v3, 0, 0x7fefffff, s29
	v_cndmask_b32_e64 v2, 0, -1, s29
	v_add_co_u32 v8, s6, s20, v6
	v_add_co_ci_u32_e64 v9, null, s21, v7, s6
	s_nor_b32 s6, s26, s29
	s_and_saveexec_b32 s29, s6
	s_cbranch_execz .LBB114_27
; %bb.26:                               ;   in Loop: Header=BB114_25 Depth=1
	s_clause 0x1
	buffer_load_dword v0, off, s[36:39], 0 offset:72
	buffer_load_dword v1, off, s[36:39], 0 offset:76
	s_waitcnt vmcnt(1)
	v_add_co_u32 v2, s6, v8, v0
	s_waitcnt vmcnt(0)
	v_add_co_ci_u32_e64 v3, null, v9, v1, s6
	flat_load_dwordx2 v[2:3], v[2:3]
	s_waitcnt vmcnt(0) lgkmcnt(0)
	v_mul_f64 v[2:3], s[16:17], v[2:3]
.LBB114_27:                             ;   in Loop: Header=BB114_25 Depth=1
	s_or_b32 exec_lo, exec_lo, s29
	s_or_b32 s6, s0, s3
	v_cndmask_b32_e64 v5, 0, 0x7fefffff, s6
	v_cndmask_b32_e64 v4, 0, -1, s6
	s_nor_b32 s6, s26, s6
	s_and_saveexec_b32 s29, s6
	s_cbranch_execz .LBB114_29
; %bb.28:                               ;   in Loop: Header=BB114_25 Depth=1
	s_clause 0x1
	buffer_load_dword v0, off, s[36:39], 0 offset:80
	buffer_load_dword v1, off, s[36:39], 0 offset:84
	s_waitcnt vmcnt(1)
	v_add_co_u32 v4, s6, v8, v0
	s_waitcnt vmcnt(0)
	v_add_co_ci_u32_e64 v5, null, v9, v1, s6
	flat_load_dwordx2 v[4:5], v[4:5]
	s_waitcnt vmcnt(0) lgkmcnt(0)
	v_mul_f64 v[4:5], s[16:17], v[4:5]
.LBB114_29:                             ;   in Loop: Header=BB114_25 Depth=1
	s_or_b32 exec_lo, exec_lo, s29
	v_add_co_u32 v11, s6, s18, v6
	v_add_co_ci_u32_e64 v12, null, s19, v7, s6
	s_or_b32 s6, s1, s3
	v_cndmask_b32_e64 v7, 0, 0x7fefffff, s6
	v_cndmask_b32_e64 v6, 0, -1, s6
	s_nor_b32 s6, s26, s6
	s_and_saveexec_b32 s29, s6
	s_cbranch_execz .LBB114_31
; %bb.30:                               ;   in Loop: Header=BB114_25 Depth=1
	s_clause 0x1
	buffer_load_dword v0, off, s[36:39], 0 offset:88
	buffer_load_dword v1, off, s[36:39], 0 offset:92
	s_waitcnt vmcnt(1)
	v_add_co_u32 v6, s6, v11, v0
	s_waitcnt vmcnt(0)
	v_add_co_ci_u32_e64 v7, null, v12, v1, s6
	flat_load_dwordx2 v[6:7], v[6:7]
	s_waitcnt vmcnt(0) lgkmcnt(0)
	v_mul_f64 v[6:7], s[16:17], v[6:7]
.LBB114_31:                             ;   in Loop: Header=BB114_25 Depth=1
	s_or_b32 exec_lo, exec_lo, s29
	s_or_b32 s3, s2, s3
	v_cndmask_b32_e64 v9, 0, 0x7fefffff, s3
	v_cndmask_b32_e64 v8, 0, -1, s3
	s_nor_b32 s3, s26, s3
	s_and_saveexec_b32 s6, s3
	s_cbranch_execz .LBB114_33
; %bb.32:                               ;   in Loop: Header=BB114_25 Depth=1
	s_clause 0x1
	buffer_load_dword v0, off, s[36:39], 0 offset:96
	buffer_load_dword v1, off, s[36:39], 0 offset:100
	s_waitcnt vmcnt(1)
	v_add_co_u32 v8, s3, v11, v0
	s_waitcnt vmcnt(0)
	v_add_co_ci_u32_e64 v9, null, v12, v1, s3
	flat_load_dwordx2 v[8:9], v[8:9]
	s_waitcnt vmcnt(0) lgkmcnt(0)
	v_mul_f64 v[8:9], s[16:17], v[8:9]
.LBB114_33:                             ;   in Loop: Header=BB114_25 Depth=1
	s_or_b32 exec_lo, exec_lo, s6
	ds_write2st64_b64 v165, v[2:3], v[4:5] offset1:4
	ds_read_b128 v[158:161], v204
	ds_read_b128 v[78:81], v204 offset:16
	buffer_load_dword v14, off, s[36:39], 0 offset:68 ; 4-byte Folded Reload
	v_add_nc_u32_e32 v1, 0x2000, v165
	v_add_nc_u32_e32 v0, 12, v10
	s_waitcnt vmcnt(0)
	ds_read_b128 v[98:101], v14
	ds_read_b128 v[2:5], v14 offset:16
	ds_write2st64_b64 v1, v[6:7], v[8:9] offset1:4
	ds_read_b128 v[94:97], v14 offset:1024
	ds_read_b128 v[6:9], v14 offset:1040
	;; [unrolled: 1-line block ×36, first 2 shown]
	v_min_i32_e32 v170, s25, v0
	v_cmp_le_i32_e64 s3, s10, v0
	s_waitcnt lgkmcnt(0)
	s_waitcnt_vscnt null, 0x0
	s_barrier
	buffer_gl0_inv
	v_ashrrev_i32_e32 v171, 31, v170
	s_or_b32 s6, vcc_lo, s3
	v_cndmask_b32_e64 v163, 0, 0x7fefffff, s6
	s_nor_b32 s30, s26, s6
	v_lshlrev_b64 v[170:171], 3, v[170:171]
	v_cndmask_b32_e64 v162, 0, -1, s6
	v_add_co_u32 v172, s6, s20, v170
	v_add_co_ci_u32_e64 v173, null, s21, v171, s6
	s_and_saveexec_b32 s29, s30
	s_cbranch_execz .LBB114_35
; %bb.34:                               ;   in Loop: Header=BB114_25 Depth=1
	s_clause 0x1
	buffer_load_dword v0, off, s[36:39], 0 offset:72
	buffer_load_dword v1, off, s[36:39], 0 offset:76
	s_waitcnt vmcnt(1)
	v_add_co_u32 v174, s6, v172, v0
	s_waitcnt vmcnt(0)
	v_add_co_ci_u32_e64 v175, null, v173, v1, s6
	flat_load_dwordx2 v[174:175], v[174:175]
	s_waitcnt vmcnt(0) lgkmcnt(0)
	v_mul_f64 v[162:163], s[16:17], v[174:175]
.LBB114_35:                             ;   in Loop: Header=BB114_25 Depth=1
	s_or_b32 exec_lo, exec_lo, s29
	s_or_b32 s6, s0, s3
	v_cndmask_b32_e64 v167, 0, 0x7fefffff, s6
	v_cndmask_b32_e64 v166, 0, -1, s6
	s_nor_b32 s6, s26, s6
	s_and_saveexec_b32 s29, s6
	s_cbranch_execz .LBB114_37
; %bb.36:                               ;   in Loop: Header=BB114_25 Depth=1
	s_clause 0x1
	buffer_load_dword v0, off, s[36:39], 0 offset:80
	buffer_load_dword v1, off, s[36:39], 0 offset:84
	s_waitcnt vmcnt(1)
	v_add_co_u32 v172, s6, v172, v0
	s_waitcnt vmcnt(0)
	v_add_co_ci_u32_e64 v173, null, v173, v1, s6
	flat_load_dwordx2 v[172:173], v[172:173]
	s_waitcnt vmcnt(0) lgkmcnt(0)
	v_mul_f64 v[166:167], s[16:17], v[172:173]
.LBB114_37:                             ;   in Loop: Header=BB114_25 Depth=1
	s_or_b32 exec_lo, exec_lo, s29
	v_add_co_u32 v249, s6, s18, v170
	v_add_co_ci_u32_e64 v250, null, s19, v171, s6
	s_or_b32 s6, s1, s3
	v_cndmask_b32_e64 v1, 0, 0x7fefffff, s6
	v_cndmask_b32_e64 v0, 0, -1, s6
	s_nor_b32 s6, s26, s6
	s_and_saveexec_b32 s29, s6
	s_cbranch_execz .LBB114_39
; %bb.38:                               ;   in Loop: Header=BB114_25 Depth=1
	s_clause 0x1
	buffer_load_dword v0, off, s[36:39], 0 offset:88
	buffer_load_dword v1, off, s[36:39], 0 offset:92
	s_waitcnt vmcnt(1)
	v_add_co_u32 v170, s6, v249, v0
	s_waitcnt vmcnt(0)
	v_add_co_ci_u32_e64 v171, null, v250, v1, s6
	flat_load_dwordx2 v[170:171], v[170:171]
	s_waitcnt vmcnt(0) lgkmcnt(0)
	v_mul_f64 v[0:1], s[16:17], v[170:171]
.LBB114_39:                             ;   in Loop: Header=BB114_25 Depth=1
	s_or_b32 exec_lo, exec_lo, s29
	s_or_b32 s3, s2, s3
	v_mov_b32_e32 v171, v206
	v_mov_b32_e32 v175, v196
	;; [unrolled: 1-line block ×7, first 2 shown]
	v_cndmask_b32_e64 v173, 0, 0x7fefffff, s3
	v_cndmask_b32_e64 v172, 0, -1, s3
	s_nor_b32 s3, s26, s3
	buffer_store_dword v166, off, s[36:39], 0 offset:48 ; 4-byte Folded Spill
	buffer_store_dword v167, off, s[36:39], 0 offset:52 ; 4-byte Folded Spill
	;; [unrolled: 1-line block ×13, first 2 shown]
	s_and_saveexec_b32 s6, s3
	s_cbranch_execz .LBB114_24
; %bb.40:                               ;   in Loop: Header=BB114_25 Depth=1
	s_clause 0x1
	buffer_load_dword v0, off, s[36:39], 0 offset:96
	buffer_load_dword v1, off, s[36:39], 0 offset:100
	s_waitcnt vmcnt(1)
	v_add_co_u32 v172, s3, v249, v0
	s_waitcnt vmcnt(0)
	v_add_co_ci_u32_e64 v173, null, v250, v1, s3
	flat_load_dwordx2 v[172:173], v[172:173]
	s_waitcnt vmcnt(0) lgkmcnt(0)
	v_mul_f64 v[172:173], s[16:17], v[172:173]
	s_branch .LBB114_24
.LBB114_41:
	s_clause 0x2
	s_load_dwordx2 s[0:1], s[4:5], 0x78
	s_load_dword s6, s[4:5], 0x58
	s_load_dword s5, s[4:5], 0x70
	buffer_load_dword v0, off, s[36:39], 0 offset:56 ; 4-byte Folded Reload
	v_cndmask_b32_e64 v168, 0, 1, s7
	s_waitcnt vmcnt(0)
	ds_read_b128 v[38:41], v0 offset:4096
	ds_read_b128 v[34:37], v0 offset:4112
	buffer_load_dword v1, off, s[36:39], 0 offset:112 ; 4-byte Folded Reload
	s_waitcnt lgkmcnt(0)
	s_lshl_b64 s[0:1], s[0:1], 3
	s_waitcnt vmcnt(0)
	ds_read_b128 v[158:161], v1 offset:12288
	ds_read_b128 v[154:157], v1 offset:12304
	;; [unrolled: 1-line block ×30, first 2 shown]
	buffer_load_dword v0, off, s[36:39], 0 offset:108 ; 4-byte Folded Reload
	ds_read_b128 v[62:65], v1 offset:15360
	ds_read_b128 v[58:61], v1 offset:15376
	ds_read_b128 v[54:57], v1 offset:15616
	ds_read_b128 v[50:53], v1 offset:15632
	ds_read_b128 v[46:49], v1 offset:15872
	ds_read_b128 v[42:45], v1 offset:15888
	s_add_u32 s10, s22, s0
	s_waitcnt vmcnt(0)
	v_add_nc_u32_e32 v169, s24, v0
	buffer_load_dword v0, off, s[36:39], 0 offset:104 ; 4-byte Folded Reload
	ds_read_b128 v[14:17], v1 offset:16128
	ds_read_b128 v[10:13], v1 offset:16144
	v_mad_i64_i32 v[162:163], null, v169, s6, 0
	v_mad_i64_i32 v[164:165], null, v169, s5, 0
	v_cmp_gt_i32_e64 s4, s9, v169
	v_lshlrev_b64 v[162:163], 3, v[162:163]
	v_lshlrev_b64 v[164:165], 3, v[164:165]
	v_add_co_u32 v172, vcc_lo, s14, v162
	v_add_co_ci_u32_e64 v173, null, s15, v163, vcc_lo
	v_add_co_u32 v170, vcc_lo, s10, v164
	s_waitcnt vmcnt(0)
	v_add_nc_u32_e32 v0, s11, v0
	s_addc_u32 s11, s23, s1
	v_add_co_ci_u32_e64 v171, null, s11, v165, vcc_lo
	v_cmp_gt_i32_e64 s0, s8, v0
	v_ashrrev_i32_e32 v1, 31, v0
	s_and_b32 s2, s0, s4
	s_and_saveexec_b32 s1, s2
	s_cbranch_execz .LBB114_46
; %bb.42:
	s_andn2_b32 vcc_lo, exec_lo, s7
	s_cbranch_vccnz .LBB114_44
; %bb.43:
	v_lshlrev_b64 v[162:163], 3, v[0:1]
	buffer_load_dword v164, off, s[36:39], 0 ; 4-byte Folded Reload
	v_add_co_u32 v162, vcc_lo, v172, v162
	v_add_co_ci_u32_e64 v163, null, v173, v163, vcc_lo
	flat_load_dwordx2 v[162:163], v[162:163]
	s_waitcnt vmcnt(0) lgkmcnt(0)
	v_mul_f64 v[162:163], s[12:13], v[162:163]
	v_cvt_f32_f64_e32 v162, v[162:163]
	s_branch .LBB114_45
.LBB114_44:
	buffer_load_dword v164, off, s[36:39], 0 ; 4-byte Folded Reload
	v_mov_b32_e32 v162, 0
.LBB114_45:
	s_waitcnt vmcnt(0)
	buffer_store_dword v164, off, s[36:39], 0 ; 4-byte Folded Spill
	s_waitcnt lgkmcnt(37)
	v_add_f64 v[163:164], v[38:39], v[158:159]
	v_add_f64 v[165:166], v[40:41], v[160:161]
	s_waitcnt lgkmcnt(36)
	v_add_f64 v[174:175], v[34:35], v[154:155]
	v_add_f64 v[176:177], v[36:37], v[156:157]
	v_cvt_f32_f64_e32 v163, v[163:164]
	v_cvt_f32_f64_e32 v164, v[165:166]
	;; [unrolled: 1-line block ×4, first 2 shown]
	v_min3_f32 v163, v163, v164, v222
	v_min_f32_e32 v164, v165, v166
	v_min3_f32 v162, v162, v164, v163
	v_lshlrev_b64 v[164:165], 3, v[0:1]
	v_cvt_f64_f32_e32 v[162:163], v162
	v_add_co_u32 v164, vcc_lo, v170, v164
	v_add_co_ci_u32_e64 v165, null, v171, v165, vcc_lo
	flat_store_dwordx2 v[164:165], v[162:163]
.LBB114_46:
	s_or_b32 exec_lo, exec_lo, s1
	v_add_nc_u32_e32 v162, 32, v0
	v_cmp_gt_i32_e64 s1, s8, v162
	v_ashrrev_i32_e32 v163, 31, v162
	s_and_b32 s3, s1, s4
	s_and_saveexec_b32 s2, s3
	s_cbranch_execz .LBB114_51
; %bb.47:
	v_cmp_ne_u32_e32 vcc_lo, 1, v168
	s_cbranch_vccnz .LBB114_49
; %bb.48:
	v_lshlrev_b64 v[164:165], 3, v[162:163]
	buffer_load_dword v166, off, s[36:39], 0 ; 4-byte Folded Reload
	v_add_co_u32 v164, vcc_lo, v172, v164
	v_add_co_ci_u32_e64 v165, null, v173, v165, vcc_lo
	flat_load_dwordx2 v[164:165], v[164:165]
	s_waitcnt vmcnt(0) lgkmcnt(0)
	v_mul_f64 v[164:165], s[12:13], v[164:165]
	v_cvt_f32_f64_e32 v164, v[164:165]
	s_branch .LBB114_50
.LBB114_49:
	buffer_load_dword v166, off, s[36:39], 0 ; 4-byte Folded Reload
	v_mov_b32_e32 v164, 0
.LBB114_50:
	s_waitcnt vmcnt(0)
	buffer_store_dword v166, off, s[36:39], 0 ; 4-byte Folded Spill
	s_waitcnt lgkmcnt(35)
	v_add_f64 v[165:166], v[26:27], v[158:159]
	v_add_f64 v[174:175], v[28:29], v[160:161]
	s_waitcnt lgkmcnt(34)
	v_add_f64 v[176:177], v[30:31], v[154:155]
	v_add_f64 v[178:179], v[32:33], v[156:157]
	v_cvt_f32_f64_e32 v165, v[165:166]
	v_cvt_f32_f64_e32 v166, v[174:175]
	;; [unrolled: 1-line block ×4, first 2 shown]
	v_min3_f32 v165, v165, v166, v221
	v_min_f32_e32 v166, v167, v174
	v_min3_f32 v164, v164, v166, v165
	v_lshlrev_b64 v[166:167], 3, v[162:163]
	v_cvt_f64_f32_e32 v[164:165], v164
	v_add_co_u32 v166, vcc_lo, v170, v166
	v_add_co_ci_u32_e64 v167, null, v171, v167, vcc_lo
	flat_store_dwordx2 v[166:167], v[164:165]
.LBB114_51:
	s_or_b32 exec_lo, exec_lo, s2
	v_add_nc_u32_e32 v164, 64, v0
	v_cmp_gt_i32_e64 s2, s8, v164
	v_ashrrev_i32_e32 v165, 31, v164
	s_and_b32 s7, s2, s4
	s_and_saveexec_b32 s3, s7
	s_cbranch_execz .LBB114_56
; %bb.52:
	v_cmp_ne_u32_e32 vcc_lo, 1, v168
	s_cbranch_vccnz .LBB114_54
; %bb.53:
	v_lshlrev_b64 v[166:167], 3, v[164:165]
	buffer_load_dword v174, off, s[36:39], 0 ; 4-byte Folded Reload
	v_add_co_u32 v166, vcc_lo, v172, v166
	v_add_co_ci_u32_e64 v167, null, v173, v167, vcc_lo
	flat_load_dwordx2 v[166:167], v[166:167]
	s_waitcnt vmcnt(0) lgkmcnt(0)
	v_mul_f64 v[166:167], s[12:13], v[166:167]
	v_cvt_f32_f64_e32 v166, v[166:167]
	s_branch .LBB114_55
.LBB114_54:
	buffer_load_dword v174, off, s[36:39], 0 ; 4-byte Folded Reload
	v_mov_b32_e32 v166, 0
.LBB114_55:
	s_waitcnt vmcnt(0)
	buffer_store_dword v174, off, s[36:39], 0 ; 4-byte Folded Spill
	s_waitcnt lgkmcnt(33)
	v_add_f64 v[174:175], v[22:23], v[158:159]
	v_add_f64 v[176:177], v[24:25], v[160:161]
	s_waitcnt lgkmcnt(32)
	v_add_f64 v[178:179], v[18:19], v[154:155]
	v_add_f64 v[180:181], v[20:21], v[156:157]
	v_cvt_f32_f64_e32 v167, v[174:175]
	v_cvt_f32_f64_e32 v174, v[176:177]
	;; [unrolled: 1-line block ×4, first 2 shown]
	v_min3_f32 v167, v167, v174, v220
	v_min_f32_e32 v174, v175, v176
	v_min3_f32 v166, v166, v174, v167
	v_lshlrev_b64 v[174:175], 3, v[164:165]
	v_cvt_f64_f32_e32 v[166:167], v166
	v_add_co_u32 v174, vcc_lo, v170, v174
	v_add_co_ci_u32_e64 v175, null, v171, v175, vcc_lo
	flat_store_dwordx2 v[174:175], v[166:167]
.LBB114_56:
	s_or_b32 exec_lo, exec_lo, s3
	v_add_nc_u32_e32 v166, 0x60, v0
	v_cmp_gt_i32_e64 s3, s8, v166
	v_ashrrev_i32_e32 v167, 31, v166
	s_and_b32 s7, s3, s4
	s_and_saveexec_b32 s4, s7
	s_cbranch_execz .LBB114_61
; %bb.57:
	v_cmp_ne_u32_e32 vcc_lo, 1, v168
	s_cbranch_vccnz .LBB114_59
; %bb.58:
	v_lshlrev_b64 v[174:175], 3, v[166:167]
	v_add_co_u32 v172, vcc_lo, v172, v174
	v_add_co_ci_u32_e64 v173, null, v173, v175, vcc_lo
	flat_load_dwordx2 v[172:173], v[172:173]
	s_waitcnt vmcnt(0) lgkmcnt(0)
	v_mul_f64 v[172:173], s[12:13], v[172:173]
	v_cvt_f32_f64_e32 v172, v[172:173]
	s_branch .LBB114_60
.LBB114_59:
	v_mov_b32_e32 v172, 0
.LBB114_60:
	s_waitcnt lgkmcnt(31)
	v_add_f64 v[158:159], v[6:7], v[158:159]
	v_add_f64 v[160:161], v[8:9], v[160:161]
	s_waitcnt lgkmcnt(30)
	v_add_f64 v[154:155], v[2:3], v[154:155]
	v_add_f64 v[156:157], v[4:5], v[156:157]
	v_cvt_f32_f64_e32 v158, v[158:159]
	v_cvt_f32_f64_e32 v159, v[160:161]
	;; [unrolled: 1-line block ×4, first 2 shown]
	v_min3_f32 v156, v158, v159, v219
	v_min_f32_e32 v154, v154, v155
	v_min3_f32 v154, v172, v154, v156
	v_lshlrev_b64 v[156:157], 3, v[166:167]
	v_cvt_f64_f32_e32 v[154:155], v154
	v_add_co_u32 v156, vcc_lo, v170, v156
	v_add_co_ci_u32_e64 v157, null, v171, v157, vcc_lo
	flat_store_dwordx2 v[156:157], v[154:155]
.LBB114_61:
	s_or_b32 exec_lo, exec_lo, s4
	s_waitcnt lgkmcnt(37)
	v_add_nc_u32_e32 v158, 8, v169
	s_waitcnt lgkmcnt(36)
	v_mad_i64_i32 v[154:155], null, v158, s6, 0
	v_mad_i64_i32 v[156:157], null, v158, s5, 0
	v_cmp_gt_i32_e64 s4, s9, v158
	v_lshlrev_b64 v[154:155], 3, v[154:155]
	s_and_b32 s8, s0, s4
	v_lshlrev_b64 v[158:159], 3, v[156:157]
	v_add_co_u32 v156, vcc_lo, s14, v154
	v_add_co_ci_u32_e64 v157, null, s15, v155, vcc_lo
	v_add_co_u32 v154, vcc_lo, s10, v158
	v_add_co_ci_u32_e64 v155, null, s11, v159, vcc_lo
	s_and_saveexec_b32 s7, s8
	s_cbranch_execnz .LBB114_65
; %bb.62:
	s_or_b32 exec_lo, exec_lo, s7
	s_and_b32 s8, s1, s4
	s_and_saveexec_b32 s7, s8
	s_cbranch_execnz .LBB114_69
.LBB114_63:
	s_or_b32 exec_lo, exec_lo, s7
	s_and_b32 s8, s2, s4
	s_and_saveexec_b32 s7, s8
	s_cbranch_execnz .LBB114_73
.LBB114_64:
	s_or_b32 exec_lo, exec_lo, s7
	s_and_b32 s7, s3, s4
	s_and_saveexec_b32 s4, s7
	s_cbranch_execnz .LBB114_77
	s_branch .LBB114_81
.LBB114_65:
	v_cmp_ne_u32_e32 vcc_lo, 1, v168
	s_cbranch_vccnz .LBB114_67
; %bb.66:
	v_lshlrev_b64 v[158:159], 3, v[0:1]
	v_add_co_u32 v158, vcc_lo, v156, v158
	v_add_co_ci_u32_e64 v159, null, v157, v159, vcc_lo
	flat_load_dwordx2 v[158:159], v[158:159]
	s_waitcnt vmcnt(0) lgkmcnt(0)
	v_mul_f64 v[158:159], s[12:13], v[158:159]
	v_cvt_f32_f64_e32 v158, v[158:159]
	s_branch .LBB114_68
.LBB114_67:
	v_mov_b32_e32 v158, 0
.LBB114_68:
	s_waitcnt lgkmcnt(29)
	v_add_f64 v[159:160], v[38:39], v[150:151]
	v_add_f64 v[170:171], v[40:41], v[152:153]
	s_waitcnt lgkmcnt(28)
	v_add_f64 v[172:173], v[34:35], v[146:147]
	v_add_f64 v[174:175], v[36:37], v[148:149]
	v_cvt_f32_f64_e32 v159, v[159:160]
	v_cvt_f32_f64_e32 v160, v[170:171]
	v_cvt_f32_f64_e32 v161, v[172:173]
	v_cvt_f32_f64_e32 v170, v[174:175]
	v_min3_f32 v159, v159, v160, v244
	v_min_f32_e32 v160, v161, v170
	v_min3_f32 v158, v158, v160, v159
	v_lshlrev_b64 v[160:161], 3, v[0:1]
	v_cvt_f64_f32_e32 v[158:159], v158
	v_add_co_u32 v160, vcc_lo, v154, v160
	v_add_co_ci_u32_e64 v161, null, v155, v161, vcc_lo
	flat_store_dwordx2 v[160:161], v[158:159]
	s_or_b32 exec_lo, exec_lo, s7
	s_and_b32 s8, s1, s4
	s_and_saveexec_b32 s7, s8
	s_cbranch_execz .LBB114_63
.LBB114_69:
	v_cmp_ne_u32_e32 vcc_lo, 1, v168
	s_cbranch_vccnz .LBB114_71
; %bb.70:
	v_lshlrev_b64 v[158:159], 3, v[162:163]
	v_add_co_u32 v158, vcc_lo, v156, v158
	v_add_co_ci_u32_e64 v159, null, v157, v159, vcc_lo
	flat_load_dwordx2 v[158:159], v[158:159]
	s_waitcnt vmcnt(0) lgkmcnt(0)
	v_mul_f64 v[158:159], s[12:13], v[158:159]
	v_cvt_f32_f64_e32 v158, v[158:159]
	s_branch .LBB114_72
.LBB114_71:
	v_mov_b32_e32 v158, 0
.LBB114_72:
	s_waitcnt lgkmcnt(29)
	v_add_f64 v[159:160], v[26:27], v[150:151]
	v_add_f64 v[170:171], v[28:29], v[152:153]
	s_waitcnt lgkmcnt(28)
	v_add_f64 v[172:173], v[30:31], v[146:147]
	v_add_f64 v[174:175], v[32:33], v[148:149]
	v_cvt_f32_f64_e32 v159, v[159:160]
	v_cvt_f32_f64_e32 v160, v[170:171]
	;; [unrolled: 1-line block ×4, first 2 shown]
	v_min3_f32 v159, v159, v160, v243
	v_min_f32_e32 v160, v161, v170
	v_min3_f32 v158, v158, v160, v159
	v_lshlrev_b64 v[160:161], 3, v[162:163]
	v_cvt_f64_f32_e32 v[158:159], v158
	v_add_co_u32 v160, vcc_lo, v154, v160
	v_add_co_ci_u32_e64 v161, null, v155, v161, vcc_lo
	flat_store_dwordx2 v[160:161], v[158:159]
	s_or_b32 exec_lo, exec_lo, s7
	s_and_b32 s8, s2, s4
	s_and_saveexec_b32 s7, s8
	s_cbranch_execz .LBB114_64
.LBB114_73:
	v_cmp_ne_u32_e32 vcc_lo, 1, v168
	s_cbranch_vccnz .LBB114_75
; %bb.74:
	v_lshlrev_b64 v[158:159], 3, v[164:165]
	v_add_co_u32 v158, vcc_lo, v156, v158
	v_add_co_ci_u32_e64 v159, null, v157, v159, vcc_lo
	flat_load_dwordx2 v[158:159], v[158:159]
	s_waitcnt vmcnt(0) lgkmcnt(0)
	v_mul_f64 v[158:159], s[12:13], v[158:159]
	v_cvt_f32_f64_e32 v158, v[158:159]
	s_branch .LBB114_76
.LBB114_75:
	v_mov_b32_e32 v158, 0
.LBB114_76:
	s_waitcnt lgkmcnt(29)
	v_add_f64 v[159:160], v[22:23], v[150:151]
	v_add_f64 v[170:171], v[24:25], v[152:153]
	s_waitcnt lgkmcnt(28)
	v_add_f64 v[172:173], v[18:19], v[146:147]
	v_add_f64 v[174:175], v[20:21], v[148:149]
	v_cvt_f32_f64_e32 v159, v[159:160]
	v_cvt_f32_f64_e32 v160, v[170:171]
	;; [unrolled: 1-line block ×4, first 2 shown]
	v_min3_f32 v159, v159, v160, v242
	v_min_f32_e32 v160, v161, v170
	v_min3_f32 v158, v158, v160, v159
	v_lshlrev_b64 v[160:161], 3, v[164:165]
	v_cvt_f64_f32_e32 v[158:159], v158
	v_add_co_u32 v160, vcc_lo, v154, v160
	v_add_co_ci_u32_e64 v161, null, v155, v161, vcc_lo
	flat_store_dwordx2 v[160:161], v[158:159]
	s_or_b32 exec_lo, exec_lo, s7
	s_and_b32 s7, s3, s4
	s_and_saveexec_b32 s4, s7
	s_cbranch_execz .LBB114_81
.LBB114_77:
	v_cmp_ne_u32_e32 vcc_lo, 1, v168
	s_cbranch_vccnz .LBB114_79
; %bb.78:
	v_lshlrev_b64 v[158:159], 3, v[166:167]
	v_add_co_u32 v156, vcc_lo, v156, v158
	v_add_co_ci_u32_e64 v157, null, v157, v159, vcc_lo
	flat_load_dwordx2 v[156:157], v[156:157]
	s_waitcnt vmcnt(0) lgkmcnt(0)
	v_mul_f64 v[156:157], s[12:13], v[156:157]
	v_cvt_f32_f64_e32 v156, v[156:157]
	s_branch .LBB114_80
.LBB114_79:
	v_mov_b32_e32 v156, 0
.LBB114_80:
	s_waitcnt lgkmcnt(29)
	v_add_f64 v[150:151], v[6:7], v[150:151]
	v_add_f64 v[152:153], v[8:9], v[152:153]
	s_waitcnt lgkmcnt(28)
	v_add_f64 v[146:147], v[2:3], v[146:147]
	v_add_f64 v[148:149], v[4:5], v[148:149]
	v_cvt_f32_f64_e32 v150, v[150:151]
	v_cvt_f32_f64_e32 v151, v[152:153]
	;; [unrolled: 1-line block ×4, first 2 shown]
	v_min3_f32 v148, v150, v151, v241
	v_min_f32_e32 v146, v146, v147
	v_min3_f32 v146, v156, v146, v148
	v_lshlrev_b64 v[148:149], 3, v[166:167]
	v_cvt_f64_f32_e32 v[146:147], v146
	v_add_co_u32 v148, vcc_lo, v154, v148
	v_add_co_ci_u32_e64 v149, null, v155, v149, vcc_lo
	flat_store_dwordx2 v[148:149], v[146:147]
.LBB114_81:
	s_or_b32 exec_lo, exec_lo, s4
	s_waitcnt lgkmcnt(29)
	v_add_nc_u32_e32 v150, 16, v169
	s_waitcnt lgkmcnt(28)
	v_mad_i64_i32 v[146:147], null, v150, s6, 0
	v_mad_i64_i32 v[148:149], null, v150, s5, 0
	v_cmp_gt_i32_e64 s4, s9, v150
	v_lshlrev_b64 v[146:147], 3, v[146:147]
	s_and_b32 s8, s0, s4
	v_lshlrev_b64 v[150:151], 3, v[148:149]
	v_add_co_u32 v148, vcc_lo, s14, v146
	v_add_co_ci_u32_e64 v149, null, s15, v147, vcc_lo
	v_add_co_u32 v146, vcc_lo, s10, v150
	v_add_co_ci_u32_e64 v147, null, s11, v151, vcc_lo
	s_and_saveexec_b32 s7, s8
	s_cbranch_execnz .LBB114_85
; %bb.82:
	s_or_b32 exec_lo, exec_lo, s7
	s_and_b32 s8, s1, s4
	s_and_saveexec_b32 s7, s8
	s_cbranch_execnz .LBB114_89
.LBB114_83:
	s_or_b32 exec_lo, exec_lo, s7
	s_and_b32 s8, s2, s4
	s_and_saveexec_b32 s7, s8
	s_cbranch_execnz .LBB114_93
.LBB114_84:
	s_or_b32 exec_lo, exec_lo, s7
	s_and_b32 s7, s3, s4
	s_and_saveexec_b32 s4, s7
	s_cbranch_execnz .LBB114_97
	s_branch .LBB114_101
.LBB114_85:
	v_cmp_ne_u32_e32 vcc_lo, 1, v168
	s_cbranch_vccnz .LBB114_87
; %bb.86:
	v_lshlrev_b64 v[150:151], 3, v[0:1]
	v_add_co_u32 v150, vcc_lo, v148, v150
	v_add_co_ci_u32_e64 v151, null, v149, v151, vcc_lo
	flat_load_dwordx2 v[150:151], v[150:151]
	s_waitcnt vmcnt(0) lgkmcnt(0)
	v_mul_f64 v[150:151], s[12:13], v[150:151]
	v_cvt_f32_f64_e32 v150, v[150:151]
	s_branch .LBB114_88
.LBB114_87:
	v_mov_b32_e32 v150, 0
.LBB114_88:
	s_waitcnt lgkmcnt(27)
	v_add_f64 v[151:152], v[38:39], v[142:143]
	v_add_f64 v[153:154], v[40:41], v[144:145]
	s_waitcnt lgkmcnt(26)
	v_add_f64 v[155:156], v[34:35], v[138:139]
	v_add_f64 v[157:158], v[36:37], v[140:141]
	v_cvt_f32_f64_e32 v151, v[151:152]
	v_cvt_f32_f64_e32 v152, v[153:154]
	;; [unrolled: 1-line block ×4, first 2 shown]
	v_min3_f32 v151, v151, v152, v240
	v_min_f32_e32 v152, v153, v154
	v_min3_f32 v150, v150, v152, v151
	v_lshlrev_b64 v[152:153], 3, v[0:1]
	v_cvt_f64_f32_e32 v[150:151], v150
	v_add_co_u32 v152, vcc_lo, v146, v152
	v_add_co_ci_u32_e64 v153, null, v147, v153, vcc_lo
	flat_store_dwordx2 v[152:153], v[150:151]
	s_or_b32 exec_lo, exec_lo, s7
	s_and_b32 s8, s1, s4
	s_and_saveexec_b32 s7, s8
	s_cbranch_execz .LBB114_83
.LBB114_89:
	v_cmp_ne_u32_e32 vcc_lo, 1, v168
	s_cbranch_vccnz .LBB114_91
; %bb.90:
	v_lshlrev_b64 v[150:151], 3, v[162:163]
	v_add_co_u32 v150, vcc_lo, v148, v150
	v_add_co_ci_u32_e64 v151, null, v149, v151, vcc_lo
	flat_load_dwordx2 v[150:151], v[150:151]
	s_waitcnt vmcnt(0) lgkmcnt(0)
	v_mul_f64 v[150:151], s[12:13], v[150:151]
	v_cvt_f32_f64_e32 v150, v[150:151]
	s_branch .LBB114_92
.LBB114_91:
	v_mov_b32_e32 v150, 0
.LBB114_92:
	s_waitcnt lgkmcnt(27)
	v_add_f64 v[151:152], v[26:27], v[142:143]
	v_add_f64 v[153:154], v[28:29], v[144:145]
	s_waitcnt lgkmcnt(26)
	v_add_f64 v[155:156], v[30:31], v[138:139]
	v_add_f64 v[157:158], v[32:33], v[140:141]
	v_cvt_f32_f64_e32 v151, v[151:152]
	v_cvt_f32_f64_e32 v152, v[153:154]
	;; [unrolled: 1-line block ×4, first 2 shown]
	v_min3_f32 v151, v151, v152, v239
	v_min_f32_e32 v152, v153, v154
	v_min3_f32 v150, v150, v152, v151
	v_lshlrev_b64 v[152:153], 3, v[162:163]
	v_cvt_f64_f32_e32 v[150:151], v150
	v_add_co_u32 v152, vcc_lo, v146, v152
	v_add_co_ci_u32_e64 v153, null, v147, v153, vcc_lo
	flat_store_dwordx2 v[152:153], v[150:151]
	s_or_b32 exec_lo, exec_lo, s7
	s_and_b32 s8, s2, s4
	s_and_saveexec_b32 s7, s8
	s_cbranch_execz .LBB114_84
.LBB114_93:
	v_cmp_ne_u32_e32 vcc_lo, 1, v168
	s_cbranch_vccnz .LBB114_95
; %bb.94:
	v_lshlrev_b64 v[150:151], 3, v[164:165]
	v_add_co_u32 v150, vcc_lo, v148, v150
	v_add_co_ci_u32_e64 v151, null, v149, v151, vcc_lo
	flat_load_dwordx2 v[150:151], v[150:151]
	s_waitcnt vmcnt(0) lgkmcnt(0)
	v_mul_f64 v[150:151], s[12:13], v[150:151]
	v_cvt_f32_f64_e32 v150, v[150:151]
	s_branch .LBB114_96
.LBB114_95:
	v_mov_b32_e32 v150, 0
.LBB114_96:
	s_waitcnt lgkmcnt(27)
	v_add_f64 v[151:152], v[22:23], v[142:143]
	v_add_f64 v[153:154], v[24:25], v[144:145]
	s_waitcnt lgkmcnt(26)
	v_add_f64 v[155:156], v[18:19], v[138:139]
	v_add_f64 v[157:158], v[20:21], v[140:141]
	v_cvt_f32_f64_e32 v151, v[151:152]
	v_cvt_f32_f64_e32 v152, v[153:154]
	;; [unrolled: 1-line block ×4, first 2 shown]
	v_min3_f32 v151, v151, v152, v238
	v_min_f32_e32 v152, v153, v154
	v_min3_f32 v150, v150, v152, v151
	v_lshlrev_b64 v[152:153], 3, v[164:165]
	v_cvt_f64_f32_e32 v[150:151], v150
	v_add_co_u32 v152, vcc_lo, v146, v152
	v_add_co_ci_u32_e64 v153, null, v147, v153, vcc_lo
	flat_store_dwordx2 v[152:153], v[150:151]
	s_or_b32 exec_lo, exec_lo, s7
	s_and_b32 s7, s3, s4
	s_and_saveexec_b32 s4, s7
	s_cbranch_execz .LBB114_101
.LBB114_97:
	v_cmp_ne_u32_e32 vcc_lo, 1, v168
	s_cbranch_vccnz .LBB114_99
; %bb.98:
	v_lshlrev_b64 v[150:151], 3, v[166:167]
	v_add_co_u32 v148, vcc_lo, v148, v150
	v_add_co_ci_u32_e64 v149, null, v149, v151, vcc_lo
	flat_load_dwordx2 v[148:149], v[148:149]
	s_waitcnt vmcnt(0) lgkmcnt(0)
	v_mul_f64 v[148:149], s[12:13], v[148:149]
	v_cvt_f32_f64_e32 v148, v[148:149]
	s_branch .LBB114_100
.LBB114_99:
	v_mov_b32_e32 v148, 0
.LBB114_100:
	s_waitcnt lgkmcnt(27)
	v_add_f64 v[142:143], v[6:7], v[142:143]
	v_add_f64 v[144:145], v[8:9], v[144:145]
	s_waitcnt lgkmcnt(26)
	v_add_f64 v[138:139], v[2:3], v[138:139]
	v_add_f64 v[140:141], v[4:5], v[140:141]
	v_cvt_f32_f64_e32 v142, v[142:143]
	v_cvt_f32_f64_e32 v143, v[144:145]
	;; [unrolled: 1-line block ×4, first 2 shown]
	v_min3_f32 v140, v142, v143, v224
	v_min_f32_e32 v138, v138, v139
	v_min3_f32 v138, v148, v138, v140
	v_lshlrev_b64 v[140:141], 3, v[166:167]
	v_cvt_f64_f32_e32 v[138:139], v138
	v_add_co_u32 v140, vcc_lo, v146, v140
	v_add_co_ci_u32_e64 v141, null, v147, v141, vcc_lo
	flat_store_dwordx2 v[140:141], v[138:139]
.LBB114_101:
	s_or_b32 exec_lo, exec_lo, s4
	s_waitcnt lgkmcnt(27)
	v_add_nc_u32_e32 v142, 24, v169
	s_waitcnt lgkmcnt(26)
	v_mad_i64_i32 v[138:139], null, v142, s6, 0
	v_mad_i64_i32 v[140:141], null, v142, s5, 0
	v_cmp_gt_i32_e64 s4, s9, v142
	v_lshlrev_b64 v[138:139], 3, v[138:139]
	s_and_b32 s8, s0, s4
	v_lshlrev_b64 v[142:143], 3, v[140:141]
	v_add_co_u32 v140, vcc_lo, s14, v138
	v_add_co_ci_u32_e64 v141, null, s15, v139, vcc_lo
	v_add_co_u32 v138, vcc_lo, s10, v142
	v_add_co_ci_u32_e64 v139, null, s11, v143, vcc_lo
	s_and_saveexec_b32 s7, s8
	s_cbranch_execnz .LBB114_105
; %bb.102:
	s_or_b32 exec_lo, exec_lo, s7
	s_and_b32 s8, s1, s4
	s_and_saveexec_b32 s7, s8
	s_cbranch_execnz .LBB114_109
.LBB114_103:
	s_or_b32 exec_lo, exec_lo, s7
	s_and_b32 s8, s2, s4
	s_and_saveexec_b32 s7, s8
	s_cbranch_execnz .LBB114_113
.LBB114_104:
	s_or_b32 exec_lo, exec_lo, s7
	s_and_b32 s7, s3, s4
	s_and_saveexec_b32 s4, s7
	s_cbranch_execnz .LBB114_117
	s_branch .LBB114_121
.LBB114_105:
	v_cmp_ne_u32_e32 vcc_lo, 1, v168
	s_cbranch_vccnz .LBB114_107
; %bb.106:
	v_lshlrev_b64 v[142:143], 3, v[0:1]
	v_add_co_u32 v142, vcc_lo, v140, v142
	v_add_co_ci_u32_e64 v143, null, v141, v143, vcc_lo
	flat_load_dwordx2 v[142:143], v[142:143]
	s_waitcnt vmcnt(0) lgkmcnt(0)
	v_mul_f64 v[142:143], s[12:13], v[142:143]
	v_cvt_f32_f64_e32 v142, v[142:143]
	s_branch .LBB114_108
.LBB114_107:
	v_mov_b32_e32 v142, 0
.LBB114_108:
	s_waitcnt lgkmcnt(25)
	v_add_f64 v[143:144], v[38:39], v[134:135]
	v_add_f64 v[145:146], v[40:41], v[136:137]
	s_waitcnt lgkmcnt(24)
	v_add_f64 v[147:148], v[34:35], v[130:131]
	v_add_f64 v[149:150], v[36:37], v[132:133]
	v_cvt_f32_f64_e32 v143, v[143:144]
	v_cvt_f32_f64_e32 v144, v[145:146]
	v_cvt_f32_f64_e32 v145, v[147:148]
	v_cvt_f32_f64_e32 v146, v[149:150]
	v_min3_f32 v143, v143, v144, v236
	v_min_f32_e32 v144, v145, v146
	v_min3_f32 v142, v142, v144, v143
	v_lshlrev_b64 v[144:145], 3, v[0:1]
	v_cvt_f64_f32_e32 v[142:143], v142
	v_add_co_u32 v144, vcc_lo, v138, v144
	v_add_co_ci_u32_e64 v145, null, v139, v145, vcc_lo
	flat_store_dwordx2 v[144:145], v[142:143]
	s_or_b32 exec_lo, exec_lo, s7
	s_and_b32 s8, s1, s4
	s_and_saveexec_b32 s7, s8
	s_cbranch_execz .LBB114_103
.LBB114_109:
	v_cmp_ne_u32_e32 vcc_lo, 1, v168
	s_cbranch_vccnz .LBB114_111
; %bb.110:
	v_lshlrev_b64 v[142:143], 3, v[162:163]
	v_add_co_u32 v142, vcc_lo, v140, v142
	v_add_co_ci_u32_e64 v143, null, v141, v143, vcc_lo
	flat_load_dwordx2 v[142:143], v[142:143]
	s_waitcnt vmcnt(0) lgkmcnt(0)
	v_mul_f64 v[142:143], s[12:13], v[142:143]
	v_cvt_f32_f64_e32 v142, v[142:143]
	s_branch .LBB114_112
.LBB114_111:
	v_mov_b32_e32 v142, 0
.LBB114_112:
	s_waitcnt lgkmcnt(25)
	v_add_f64 v[143:144], v[26:27], v[134:135]
	v_add_f64 v[145:146], v[28:29], v[136:137]
	s_waitcnt lgkmcnt(24)
	v_add_f64 v[147:148], v[30:31], v[130:131]
	v_add_f64 v[149:150], v[32:33], v[132:133]
	v_cvt_f32_f64_e32 v143, v[143:144]
	v_cvt_f32_f64_e32 v144, v[145:146]
	;; [unrolled: 1-line block ×4, first 2 shown]
	v_min3_f32 v143, v143, v144, v235
	v_min_f32_e32 v144, v145, v146
	v_min3_f32 v142, v142, v144, v143
	v_lshlrev_b64 v[144:145], 3, v[162:163]
	v_cvt_f64_f32_e32 v[142:143], v142
	v_add_co_u32 v144, vcc_lo, v138, v144
	v_add_co_ci_u32_e64 v145, null, v139, v145, vcc_lo
	flat_store_dwordx2 v[144:145], v[142:143]
	s_or_b32 exec_lo, exec_lo, s7
	s_and_b32 s8, s2, s4
	s_and_saveexec_b32 s7, s8
	s_cbranch_execz .LBB114_104
.LBB114_113:
	v_cmp_ne_u32_e32 vcc_lo, 1, v168
	s_cbranch_vccnz .LBB114_115
; %bb.114:
	v_lshlrev_b64 v[142:143], 3, v[164:165]
	v_add_co_u32 v142, vcc_lo, v140, v142
	v_add_co_ci_u32_e64 v143, null, v141, v143, vcc_lo
	flat_load_dwordx2 v[142:143], v[142:143]
	s_waitcnt vmcnt(0) lgkmcnt(0)
	v_mul_f64 v[142:143], s[12:13], v[142:143]
	v_cvt_f32_f64_e32 v142, v[142:143]
	s_branch .LBB114_116
.LBB114_115:
	v_mov_b32_e32 v142, 0
.LBB114_116:
	s_waitcnt lgkmcnt(25)
	v_add_f64 v[143:144], v[22:23], v[134:135]
	v_add_f64 v[145:146], v[24:25], v[136:137]
	s_waitcnt lgkmcnt(24)
	v_add_f64 v[147:148], v[18:19], v[130:131]
	v_add_f64 v[149:150], v[20:21], v[132:133]
	v_cvt_f32_f64_e32 v143, v[143:144]
	v_cvt_f32_f64_e32 v144, v[145:146]
	;; [unrolled: 1-line block ×4, first 2 shown]
	v_min3_f32 v143, v143, v144, v223
	v_min_f32_e32 v144, v145, v146
	v_min3_f32 v142, v142, v144, v143
	v_lshlrev_b64 v[144:145], 3, v[164:165]
	v_cvt_f64_f32_e32 v[142:143], v142
	v_add_co_u32 v144, vcc_lo, v138, v144
	v_add_co_ci_u32_e64 v145, null, v139, v145, vcc_lo
	flat_store_dwordx2 v[144:145], v[142:143]
	s_or_b32 exec_lo, exec_lo, s7
	s_and_b32 s7, s3, s4
	s_and_saveexec_b32 s4, s7
	s_cbranch_execz .LBB114_121
.LBB114_117:
	v_cmp_ne_u32_e32 vcc_lo, 1, v168
	s_cbranch_vccnz .LBB114_119
; %bb.118:
	v_lshlrev_b64 v[142:143], 3, v[166:167]
	v_add_co_u32 v140, vcc_lo, v140, v142
	v_add_co_ci_u32_e64 v141, null, v141, v143, vcc_lo
	flat_load_dwordx2 v[140:141], v[140:141]
	s_waitcnt vmcnt(0) lgkmcnt(0)
	v_mul_f64 v[140:141], s[12:13], v[140:141]
	v_cvt_f32_f64_e32 v140, v[140:141]
	s_branch .LBB114_120
.LBB114_119:
	v_mov_b32_e32 v140, 0
.LBB114_120:
	s_waitcnt lgkmcnt(25)
	v_add_f64 v[134:135], v[6:7], v[134:135]
	v_add_f64 v[136:137], v[8:9], v[136:137]
	s_waitcnt lgkmcnt(24)
	v_add_f64 v[130:131], v[2:3], v[130:131]
	v_add_f64 v[132:133], v[4:5], v[132:133]
	v_cvt_f32_f64_e32 v134, v[134:135]
	v_cvt_f32_f64_e32 v135, v[136:137]
	;; [unrolled: 1-line block ×4, first 2 shown]
	v_min3_f32 v132, v134, v135, v229
	v_min_f32_e32 v130, v130, v131
	v_min3_f32 v130, v140, v130, v132
	v_lshlrev_b64 v[132:133], 3, v[166:167]
	v_cvt_f64_f32_e32 v[130:131], v130
	v_add_co_u32 v132, vcc_lo, v138, v132
	v_add_co_ci_u32_e64 v133, null, v139, v133, vcc_lo
	flat_store_dwordx2 v[132:133], v[130:131]
.LBB114_121:
	s_or_b32 exec_lo, exec_lo, s4
	s_waitcnt lgkmcnt(25)
	v_add_nc_u32_e32 v134, 32, v169
	s_waitcnt lgkmcnt(24)
	v_mad_i64_i32 v[130:131], null, v134, s6, 0
	v_mad_i64_i32 v[132:133], null, v134, s5, 0
	v_cmp_gt_i32_e64 s4, s9, v134
	v_lshlrev_b64 v[130:131], 3, v[130:131]
	s_and_b32 s8, s0, s4
	v_lshlrev_b64 v[134:135], 3, v[132:133]
	v_add_co_u32 v132, vcc_lo, s14, v130
	v_add_co_ci_u32_e64 v133, null, s15, v131, vcc_lo
	v_add_co_u32 v130, vcc_lo, s10, v134
	v_add_co_ci_u32_e64 v131, null, s11, v135, vcc_lo
	s_and_saveexec_b32 s7, s8
	s_cbranch_execnz .LBB114_125
; %bb.122:
	s_or_b32 exec_lo, exec_lo, s7
	s_and_b32 s8, s1, s4
	s_and_saveexec_b32 s7, s8
	s_cbranch_execnz .LBB114_129
.LBB114_123:
	s_or_b32 exec_lo, exec_lo, s7
	s_and_b32 s8, s2, s4
	s_and_saveexec_b32 s7, s8
	s_cbranch_execnz .LBB114_133
.LBB114_124:
	s_or_b32 exec_lo, exec_lo, s7
	s_and_b32 s7, s3, s4
	s_and_saveexec_b32 s4, s7
	s_cbranch_execnz .LBB114_137
	s_branch .LBB114_141
.LBB114_125:
	v_cmp_ne_u32_e32 vcc_lo, 1, v168
	s_cbranch_vccnz .LBB114_127
; %bb.126:
	v_lshlrev_b64 v[134:135], 3, v[0:1]
	v_add_co_u32 v134, vcc_lo, v132, v134
	v_add_co_ci_u32_e64 v135, null, v133, v135, vcc_lo
	flat_load_dwordx2 v[134:135], v[134:135]
	s_waitcnt vmcnt(0) lgkmcnt(0)
	v_mul_f64 v[134:135], s[12:13], v[134:135]
	v_cvt_f32_f64_e32 v134, v[134:135]
	s_branch .LBB114_128
.LBB114_127:
	v_mov_b32_e32 v134, 0
.LBB114_128:
	s_waitcnt lgkmcnt(23)
	v_add_f64 v[135:136], v[38:39], v[126:127]
	v_add_f64 v[137:138], v[40:41], v[128:129]
	s_waitcnt lgkmcnt(22)
	v_add_f64 v[139:140], v[34:35], v[122:123]
	v_add_f64 v[141:142], v[36:37], v[124:125]
	v_cvt_f32_f64_e32 v135, v[135:136]
	v_cvt_f32_f64_e32 v136, v[137:138]
	;; [unrolled: 1-line block ×4, first 2 shown]
	v_min3_f32 v135, v135, v136, v226
	v_min_f32_e32 v136, v137, v138
	v_min3_f32 v134, v134, v136, v135
	v_lshlrev_b64 v[136:137], 3, v[0:1]
	v_cvt_f64_f32_e32 v[134:135], v134
	v_add_co_u32 v136, vcc_lo, v130, v136
	v_add_co_ci_u32_e64 v137, null, v131, v137, vcc_lo
	flat_store_dwordx2 v[136:137], v[134:135]
	s_or_b32 exec_lo, exec_lo, s7
	s_and_b32 s8, s1, s4
	s_and_saveexec_b32 s7, s8
	s_cbranch_execz .LBB114_123
.LBB114_129:
	v_cmp_ne_u32_e32 vcc_lo, 1, v168
	s_cbranch_vccnz .LBB114_131
; %bb.130:
	v_lshlrev_b64 v[134:135], 3, v[162:163]
	v_add_co_u32 v134, vcc_lo, v132, v134
	v_add_co_ci_u32_e64 v135, null, v133, v135, vcc_lo
	flat_load_dwordx2 v[134:135], v[134:135]
	s_waitcnt vmcnt(0) lgkmcnt(0)
	v_mul_f64 v[134:135], s[12:13], v[134:135]
	v_cvt_f32_f64_e32 v134, v[134:135]
	s_branch .LBB114_132
.LBB114_131:
	v_mov_b32_e32 v134, 0
.LBB114_132:
	s_waitcnt lgkmcnt(23)
	v_add_f64 v[135:136], v[26:27], v[126:127]
	v_add_f64 v[137:138], v[28:29], v[128:129]
	s_waitcnt lgkmcnt(22)
	v_add_f64 v[139:140], v[30:31], v[122:123]
	v_add_f64 v[141:142], v[32:33], v[124:125]
	v_cvt_f32_f64_e32 v135, v[135:136]
	v_cvt_f32_f64_e32 v136, v[137:138]
	;; [unrolled: 1-line block ×4, first 2 shown]
	v_min3_f32 v135, v135, v136, v246
	v_min_f32_e32 v136, v137, v138
	v_min3_f32 v134, v134, v136, v135
	v_lshlrev_b64 v[136:137], 3, v[162:163]
	v_cvt_f64_f32_e32 v[134:135], v134
	v_add_co_u32 v136, vcc_lo, v130, v136
	v_add_co_ci_u32_e64 v137, null, v131, v137, vcc_lo
	flat_store_dwordx2 v[136:137], v[134:135]
	s_or_b32 exec_lo, exec_lo, s7
	s_and_b32 s8, s2, s4
	s_and_saveexec_b32 s7, s8
	s_cbranch_execz .LBB114_124
.LBB114_133:
	v_cmp_ne_u32_e32 vcc_lo, 1, v168
	s_cbranch_vccnz .LBB114_135
; %bb.134:
	v_lshlrev_b64 v[134:135], 3, v[164:165]
	v_add_co_u32 v134, vcc_lo, v132, v134
	v_add_co_ci_u32_e64 v135, null, v133, v135, vcc_lo
	flat_load_dwordx2 v[134:135], v[134:135]
	s_waitcnt vmcnt(0) lgkmcnt(0)
	v_mul_f64 v[134:135], s[12:13], v[134:135]
	v_cvt_f32_f64_e32 v134, v[134:135]
	s_branch .LBB114_136
.LBB114_135:
	v_mov_b32_e32 v134, 0
.LBB114_136:
	s_waitcnt lgkmcnt(23)
	v_add_f64 v[135:136], v[22:23], v[126:127]
	v_add_f64 v[137:138], v[24:25], v[128:129]
	s_waitcnt lgkmcnt(22)
	v_add_f64 v[139:140], v[18:19], v[122:123]
	v_add_f64 v[141:142], v[20:21], v[124:125]
	v_cvt_f32_f64_e32 v135, v[135:136]
	v_cvt_f32_f64_e32 v136, v[137:138]
	;; [unrolled: 1-line block ×4, first 2 shown]
	v_min3_f32 v135, v135, v136, v237
	v_min_f32_e32 v136, v137, v138
	v_min3_f32 v134, v134, v136, v135
	v_lshlrev_b64 v[136:137], 3, v[164:165]
	v_cvt_f64_f32_e32 v[134:135], v134
	v_add_co_u32 v136, vcc_lo, v130, v136
	v_add_co_ci_u32_e64 v137, null, v131, v137, vcc_lo
	flat_store_dwordx2 v[136:137], v[134:135]
	s_or_b32 exec_lo, exec_lo, s7
	s_and_b32 s7, s3, s4
	s_and_saveexec_b32 s4, s7
	s_cbranch_execz .LBB114_141
.LBB114_137:
	v_cmp_ne_u32_e32 vcc_lo, 1, v168
	s_cbranch_vccnz .LBB114_139
; %bb.138:
	v_lshlrev_b64 v[134:135], 3, v[166:167]
	v_add_co_u32 v132, vcc_lo, v132, v134
	v_add_co_ci_u32_e64 v133, null, v133, v135, vcc_lo
	flat_load_dwordx2 v[132:133], v[132:133]
	s_waitcnt vmcnt(0) lgkmcnt(0)
	v_mul_f64 v[132:133], s[12:13], v[132:133]
	v_cvt_f32_f64_e32 v132, v[132:133]
	s_branch .LBB114_140
.LBB114_139:
	v_mov_b32_e32 v132, 0
.LBB114_140:
	s_waitcnt lgkmcnt(23)
	v_add_f64 v[126:127], v[6:7], v[126:127]
	v_add_f64 v[128:129], v[8:9], v[128:129]
	s_waitcnt lgkmcnt(22)
	v_add_f64 v[122:123], v[2:3], v[122:123]
	v_add_f64 v[124:125], v[4:5], v[124:125]
	v_cvt_f32_f64_e32 v126, v[126:127]
	v_cvt_f32_f64_e32 v127, v[128:129]
	;; [unrolled: 1-line block ×4, first 2 shown]
	v_min3_f32 v124, v126, v127, v234
	v_min_f32_e32 v122, v122, v123
	v_min3_f32 v122, v132, v122, v124
	v_lshlrev_b64 v[124:125], 3, v[166:167]
	v_cvt_f64_f32_e32 v[122:123], v122
	v_add_co_u32 v124, vcc_lo, v130, v124
	v_add_co_ci_u32_e64 v125, null, v131, v125, vcc_lo
	flat_store_dwordx2 v[124:125], v[122:123]
.LBB114_141:
	s_or_b32 exec_lo, exec_lo, s4
	s_waitcnt lgkmcnt(23)
	v_add_nc_u32_e32 v126, 40, v169
	s_waitcnt lgkmcnt(22)
	v_mad_i64_i32 v[122:123], null, v126, s6, 0
	v_mad_i64_i32 v[124:125], null, v126, s5, 0
	v_cmp_gt_i32_e64 s4, s9, v126
	v_lshlrev_b64 v[122:123], 3, v[122:123]
	s_and_b32 s8, s0, s4
	v_lshlrev_b64 v[126:127], 3, v[124:125]
	v_add_co_u32 v124, vcc_lo, s14, v122
	v_add_co_ci_u32_e64 v125, null, s15, v123, vcc_lo
	v_add_co_u32 v122, vcc_lo, s10, v126
	v_add_co_ci_u32_e64 v123, null, s11, v127, vcc_lo
	s_and_saveexec_b32 s7, s8
	s_cbranch_execnz .LBB114_145
; %bb.142:
	s_or_b32 exec_lo, exec_lo, s7
	s_and_b32 s8, s1, s4
	s_and_saveexec_b32 s7, s8
	s_cbranch_execnz .LBB114_149
.LBB114_143:
	s_or_b32 exec_lo, exec_lo, s7
	s_and_b32 s8, s2, s4
	s_and_saveexec_b32 s7, s8
	s_cbranch_execnz .LBB114_153
.LBB114_144:
	s_or_b32 exec_lo, exec_lo, s7
	s_and_b32 s7, s3, s4
	s_and_saveexec_b32 s4, s7
	s_cbranch_execnz .LBB114_157
	s_branch .LBB114_161
.LBB114_145:
	v_cmp_ne_u32_e32 vcc_lo, 1, v168
	s_cbranch_vccnz .LBB114_147
; %bb.146:
	v_lshlrev_b64 v[126:127], 3, v[0:1]
	v_add_co_u32 v126, vcc_lo, v124, v126
	v_add_co_ci_u32_e64 v127, null, v125, v127, vcc_lo
	flat_load_dwordx2 v[126:127], v[126:127]
	s_waitcnt vmcnt(0) lgkmcnt(0)
	v_mul_f64 v[126:127], s[12:13], v[126:127]
	v_cvt_f32_f64_e32 v126, v[126:127]
	s_branch .LBB114_148
.LBB114_147:
	v_mov_b32_e32 v126, 0
.LBB114_148:
	s_waitcnt lgkmcnt(21)
	v_add_f64 v[127:128], v[38:39], v[118:119]
	v_add_f64 v[129:130], v[40:41], v[120:121]
	s_waitcnt lgkmcnt(20)
	v_add_f64 v[131:132], v[34:35], v[114:115]
	v_add_f64 v[133:134], v[36:37], v[116:117]
	v_cvt_f32_f64_e32 v127, v[127:128]
	v_cvt_f32_f64_e32 v128, v[129:130]
	;; [unrolled: 1-line block ×4, first 2 shown]
	v_min3_f32 v127, v127, v128, v218
	v_min_f32_e32 v128, v129, v130
	v_min3_f32 v126, v126, v128, v127
	v_lshlrev_b64 v[128:129], 3, v[0:1]
	v_cvt_f64_f32_e32 v[126:127], v126
	v_add_co_u32 v128, vcc_lo, v122, v128
	v_add_co_ci_u32_e64 v129, null, v123, v129, vcc_lo
	flat_store_dwordx2 v[128:129], v[126:127]
	s_or_b32 exec_lo, exec_lo, s7
	s_and_b32 s8, s1, s4
	s_and_saveexec_b32 s7, s8
	s_cbranch_execz .LBB114_143
.LBB114_149:
	v_cmp_ne_u32_e32 vcc_lo, 1, v168
	s_cbranch_vccnz .LBB114_151
; %bb.150:
	v_lshlrev_b64 v[126:127], 3, v[162:163]
	v_add_co_u32 v126, vcc_lo, v124, v126
	v_add_co_ci_u32_e64 v127, null, v125, v127, vcc_lo
	flat_load_dwordx2 v[126:127], v[126:127]
	s_waitcnt vmcnt(0) lgkmcnt(0)
	v_mul_f64 v[126:127], s[12:13], v[126:127]
	v_cvt_f32_f64_e32 v126, v[126:127]
	s_branch .LBB114_152
.LBB114_151:
	v_mov_b32_e32 v126, 0
.LBB114_152:
	s_waitcnt lgkmcnt(21)
	v_add_f64 v[127:128], v[26:27], v[118:119]
	v_add_f64 v[129:130], v[28:29], v[120:121]
	s_waitcnt lgkmcnt(20)
	v_add_f64 v[131:132], v[30:31], v[114:115]
	v_add_f64 v[133:134], v[32:33], v[116:117]
	v_cvt_f32_f64_e32 v127, v[127:128]
	v_cvt_f32_f64_e32 v128, v[129:130]
	;; [unrolled: 1-line block ×4, first 2 shown]
	v_min3_f32 v127, v127, v128, v217
	v_min_f32_e32 v128, v129, v130
	v_min3_f32 v126, v126, v128, v127
	v_lshlrev_b64 v[128:129], 3, v[162:163]
	v_cvt_f64_f32_e32 v[126:127], v126
	v_add_co_u32 v128, vcc_lo, v122, v128
	v_add_co_ci_u32_e64 v129, null, v123, v129, vcc_lo
	flat_store_dwordx2 v[128:129], v[126:127]
	s_or_b32 exec_lo, exec_lo, s7
	s_and_b32 s8, s2, s4
	s_and_saveexec_b32 s7, s8
	s_cbranch_execz .LBB114_144
.LBB114_153:
	v_cmp_ne_u32_e32 vcc_lo, 1, v168
	s_cbranch_vccnz .LBB114_155
; %bb.154:
	v_lshlrev_b64 v[126:127], 3, v[164:165]
	v_add_co_u32 v126, vcc_lo, v124, v126
	v_add_co_ci_u32_e64 v127, null, v125, v127, vcc_lo
	flat_load_dwordx2 v[126:127], v[126:127]
	s_waitcnt vmcnt(0) lgkmcnt(0)
	v_mul_f64 v[126:127], s[12:13], v[126:127]
	v_cvt_f32_f64_e32 v126, v[126:127]
	s_branch .LBB114_156
.LBB114_155:
	v_mov_b32_e32 v126, 0
.LBB114_156:
	s_waitcnt lgkmcnt(21)
	v_add_f64 v[127:128], v[22:23], v[118:119]
	v_add_f64 v[129:130], v[24:25], v[120:121]
	s_waitcnt lgkmcnt(20)
	v_add_f64 v[131:132], v[18:19], v[114:115]
	v_add_f64 v[133:134], v[20:21], v[116:117]
	v_cvt_f32_f64_e32 v127, v[127:128]
	v_cvt_f32_f64_e32 v128, v[129:130]
	;; [unrolled: 1-line block ×4, first 2 shown]
	v_min3_f32 v127, v127, v128, v216
	v_min_f32_e32 v128, v129, v130
	v_min3_f32 v126, v126, v128, v127
	v_lshlrev_b64 v[128:129], 3, v[164:165]
	v_cvt_f64_f32_e32 v[126:127], v126
	v_add_co_u32 v128, vcc_lo, v122, v128
	v_add_co_ci_u32_e64 v129, null, v123, v129, vcc_lo
	flat_store_dwordx2 v[128:129], v[126:127]
	s_or_b32 exec_lo, exec_lo, s7
	s_and_b32 s7, s3, s4
	s_and_saveexec_b32 s4, s7
	s_cbranch_execz .LBB114_161
.LBB114_157:
	v_cmp_ne_u32_e32 vcc_lo, 1, v168
	s_cbranch_vccnz .LBB114_159
; %bb.158:
	v_lshlrev_b64 v[126:127], 3, v[166:167]
	v_add_co_u32 v124, vcc_lo, v124, v126
	v_add_co_ci_u32_e64 v125, null, v125, v127, vcc_lo
	flat_load_dwordx2 v[124:125], v[124:125]
	s_waitcnt vmcnt(0) lgkmcnt(0)
	v_mul_f64 v[124:125], s[12:13], v[124:125]
	v_cvt_f32_f64_e32 v124, v[124:125]
	s_branch .LBB114_160
.LBB114_159:
	v_mov_b32_e32 v124, 0
.LBB114_160:
	s_waitcnt lgkmcnt(21)
	v_add_f64 v[118:119], v[6:7], v[118:119]
	v_add_f64 v[120:121], v[8:9], v[120:121]
	s_waitcnt lgkmcnt(20)
	v_add_f64 v[114:115], v[2:3], v[114:115]
	v_add_f64 v[116:117], v[4:5], v[116:117]
	v_cvt_f32_f64_e32 v118, v[118:119]
	v_cvt_f32_f64_e32 v119, v[120:121]
	;; [unrolled: 1-line block ×4, first 2 shown]
	v_min3_f32 v116, v118, v119, v215
	v_min_f32_e32 v114, v114, v115
	v_min3_f32 v114, v124, v114, v116
	v_lshlrev_b64 v[116:117], 3, v[166:167]
	v_cvt_f64_f32_e32 v[114:115], v114
	v_add_co_u32 v116, vcc_lo, v122, v116
	v_add_co_ci_u32_e64 v117, null, v123, v117, vcc_lo
	flat_store_dwordx2 v[116:117], v[114:115]
.LBB114_161:
	s_or_b32 exec_lo, exec_lo, s4
	s_waitcnt lgkmcnt(21)
	v_add_nc_u32_e32 v118, 48, v169
	s_waitcnt lgkmcnt(20)
	v_mad_i64_i32 v[114:115], null, v118, s6, 0
	v_mad_i64_i32 v[116:117], null, v118, s5, 0
	v_cmp_gt_i32_e64 s4, s9, v118
	v_lshlrev_b64 v[114:115], 3, v[114:115]
	s_and_b32 s8, s0, s4
	v_lshlrev_b64 v[118:119], 3, v[116:117]
	v_add_co_u32 v116, vcc_lo, s14, v114
	v_add_co_ci_u32_e64 v117, null, s15, v115, vcc_lo
	v_add_co_u32 v114, vcc_lo, s10, v118
	v_add_co_ci_u32_e64 v115, null, s11, v119, vcc_lo
	s_and_saveexec_b32 s7, s8
	s_cbranch_execnz .LBB114_165
; %bb.162:
	s_or_b32 exec_lo, exec_lo, s7
	s_and_b32 s8, s1, s4
	s_and_saveexec_b32 s7, s8
	s_cbranch_execnz .LBB114_169
.LBB114_163:
	s_or_b32 exec_lo, exec_lo, s7
	s_and_b32 s8, s2, s4
	s_and_saveexec_b32 s7, s8
	s_cbranch_execnz .LBB114_173
.LBB114_164:
	s_or_b32 exec_lo, exec_lo, s7
	s_and_b32 s7, s3, s4
	s_and_saveexec_b32 s4, s7
	s_cbranch_execnz .LBB114_177
	s_branch .LBB114_181
.LBB114_165:
	v_cmp_ne_u32_e32 vcc_lo, 1, v168
	s_cbranch_vccnz .LBB114_167
; %bb.166:
	v_lshlrev_b64 v[118:119], 3, v[0:1]
	v_add_co_u32 v118, vcc_lo, v116, v118
	v_add_co_ci_u32_e64 v119, null, v117, v119, vcc_lo
	flat_load_dwordx2 v[118:119], v[118:119]
	s_waitcnt vmcnt(0) lgkmcnt(0)
	v_mul_f64 v[118:119], s[12:13], v[118:119]
	v_cvt_f32_f64_e32 v118, v[118:119]
	s_branch .LBB114_168
.LBB114_167:
	v_mov_b32_e32 v118, 0
.LBB114_168:
	s_waitcnt lgkmcnt(19)
	v_add_f64 v[119:120], v[38:39], v[110:111]
	v_add_f64 v[121:122], v[40:41], v[112:113]
	s_waitcnt lgkmcnt(18)
	v_add_f64 v[123:124], v[34:35], v[106:107]
	v_add_f64 v[125:126], v[36:37], v[108:109]
	v_cvt_f32_f64_e32 v119, v[119:120]
	v_cvt_f32_f64_e32 v120, v[121:122]
	;; [unrolled: 1-line block ×4, first 2 shown]
	v_min3_f32 v119, v119, v120, v228
	v_min_f32_e32 v120, v121, v122
	v_min3_f32 v118, v118, v120, v119
	v_lshlrev_b64 v[120:121], 3, v[0:1]
	v_cvt_f64_f32_e32 v[118:119], v118
	v_add_co_u32 v120, vcc_lo, v114, v120
	v_add_co_ci_u32_e64 v121, null, v115, v121, vcc_lo
	flat_store_dwordx2 v[120:121], v[118:119]
	s_or_b32 exec_lo, exec_lo, s7
	s_and_b32 s8, s1, s4
	s_and_saveexec_b32 s7, s8
	s_cbranch_execz .LBB114_163
.LBB114_169:
	v_cmp_ne_u32_e32 vcc_lo, 1, v168
	s_cbranch_vccnz .LBB114_171
; %bb.170:
	v_lshlrev_b64 v[118:119], 3, v[162:163]
	v_add_co_u32 v118, vcc_lo, v116, v118
	v_add_co_ci_u32_e64 v119, null, v117, v119, vcc_lo
	flat_load_dwordx2 v[118:119], v[118:119]
	s_waitcnt vmcnt(0) lgkmcnt(0)
	v_mul_f64 v[118:119], s[12:13], v[118:119]
	v_cvt_f32_f64_e32 v118, v[118:119]
	s_branch .LBB114_172
.LBB114_171:
	v_mov_b32_e32 v118, 0
.LBB114_172:
	s_waitcnt lgkmcnt(19)
	v_add_f64 v[119:120], v[26:27], v[110:111]
	v_add_f64 v[121:122], v[28:29], v[112:113]
	s_waitcnt lgkmcnt(18)
	v_add_f64 v[123:124], v[30:31], v[106:107]
	v_add_f64 v[125:126], v[32:33], v[108:109]
	v_cvt_f32_f64_e32 v119, v[119:120]
	v_cvt_f32_f64_e32 v120, v[121:122]
	;; [unrolled: 1-line block ×4, first 2 shown]
	v_min3_f32 v119, v119, v120, v227
	v_min_f32_e32 v120, v121, v122
	v_min3_f32 v118, v118, v120, v119
	v_lshlrev_b64 v[120:121], 3, v[162:163]
	v_cvt_f64_f32_e32 v[118:119], v118
	v_add_co_u32 v120, vcc_lo, v114, v120
	v_add_co_ci_u32_e64 v121, null, v115, v121, vcc_lo
	flat_store_dwordx2 v[120:121], v[118:119]
	s_or_b32 exec_lo, exec_lo, s7
	s_and_b32 s8, s2, s4
	s_and_saveexec_b32 s7, s8
	s_cbranch_execz .LBB114_164
.LBB114_173:
	v_cmp_ne_u32_e32 vcc_lo, 1, v168
	s_cbranch_vccnz .LBB114_175
; %bb.174:
	v_lshlrev_b64 v[118:119], 3, v[164:165]
	v_add_co_u32 v118, vcc_lo, v116, v118
	v_add_co_ci_u32_e64 v119, null, v117, v119, vcc_lo
	flat_load_dwordx2 v[118:119], v[118:119]
	s_waitcnt vmcnt(0) lgkmcnt(0)
	v_mul_f64 v[118:119], s[12:13], v[118:119]
	v_cvt_f32_f64_e32 v118, v[118:119]
	s_branch .LBB114_176
.LBB114_175:
	v_mov_b32_e32 v118, 0
.LBB114_176:
	s_waitcnt lgkmcnt(19)
	v_add_f64 v[119:120], v[22:23], v[110:111]
	v_add_f64 v[121:122], v[24:25], v[112:113]
	s_waitcnt lgkmcnt(18)
	v_add_f64 v[123:124], v[18:19], v[106:107]
	v_add_f64 v[125:126], v[20:21], v[108:109]
	v_cvt_f32_f64_e32 v119, v[119:120]
	v_cvt_f32_f64_e32 v120, v[121:122]
	;; [unrolled: 1-line block ×4, first 2 shown]
	v_min3_f32 v119, v119, v120, v225
	v_min_f32_e32 v120, v121, v122
	v_min3_f32 v118, v118, v120, v119
	v_lshlrev_b64 v[120:121], 3, v[164:165]
	v_cvt_f64_f32_e32 v[118:119], v118
	v_add_co_u32 v120, vcc_lo, v114, v120
	v_add_co_ci_u32_e64 v121, null, v115, v121, vcc_lo
	flat_store_dwordx2 v[120:121], v[118:119]
	s_or_b32 exec_lo, exec_lo, s7
	s_and_b32 s7, s3, s4
	s_and_saveexec_b32 s4, s7
	s_cbranch_execz .LBB114_181
.LBB114_177:
	v_cmp_ne_u32_e32 vcc_lo, 1, v168
	s_cbranch_vccnz .LBB114_179
; %bb.178:
	v_lshlrev_b64 v[118:119], 3, v[166:167]
	v_add_co_u32 v116, vcc_lo, v116, v118
	v_add_co_ci_u32_e64 v117, null, v117, v119, vcc_lo
	flat_load_dwordx2 v[116:117], v[116:117]
	s_waitcnt vmcnt(0) lgkmcnt(0)
	v_mul_f64 v[116:117], s[12:13], v[116:117]
	v_cvt_f32_f64_e32 v116, v[116:117]
	s_branch .LBB114_180
.LBB114_179:
	v_mov_b32_e32 v116, 0
.LBB114_180:
	s_waitcnt lgkmcnt(19)
	v_add_f64 v[110:111], v[6:7], v[110:111]
	v_add_f64 v[112:113], v[8:9], v[112:113]
	s_waitcnt lgkmcnt(18)
	v_add_f64 v[106:107], v[2:3], v[106:107]
	v_add_f64 v[108:109], v[4:5], v[108:109]
	v_cvt_f32_f64_e32 v110, v[110:111]
	v_cvt_f32_f64_e32 v111, v[112:113]
	;; [unrolled: 1-line block ×4, first 2 shown]
	v_min3_f32 v108, v110, v111, v245
	v_min_f32_e32 v106, v106, v107
	v_min3_f32 v106, v116, v106, v108
	v_lshlrev_b64 v[108:109], 3, v[166:167]
	v_cvt_f64_f32_e32 v[106:107], v106
	v_add_co_u32 v108, vcc_lo, v114, v108
	v_add_co_ci_u32_e64 v109, null, v115, v109, vcc_lo
	flat_store_dwordx2 v[108:109], v[106:107]
.LBB114_181:
	s_or_b32 exec_lo, exec_lo, s4
	s_waitcnt lgkmcnt(19)
	v_add_nc_u32_e32 v110, 56, v169
	s_waitcnt lgkmcnt(18)
	v_mad_i64_i32 v[106:107], null, v110, s6, 0
	v_mad_i64_i32 v[108:109], null, v110, s5, 0
	v_cmp_gt_i32_e64 s4, s9, v110
	v_lshlrev_b64 v[106:107], 3, v[106:107]
	s_and_b32 s8, s0, s4
	v_lshlrev_b64 v[110:111], 3, v[108:109]
	v_add_co_u32 v108, vcc_lo, s14, v106
	v_add_co_ci_u32_e64 v109, null, s15, v107, vcc_lo
	v_add_co_u32 v106, vcc_lo, s10, v110
	v_add_co_ci_u32_e64 v107, null, s11, v111, vcc_lo
	s_and_saveexec_b32 s7, s8
	s_cbranch_execnz .LBB114_185
; %bb.182:
	s_or_b32 exec_lo, exec_lo, s7
	s_and_b32 s8, s1, s4
	s_and_saveexec_b32 s7, s8
	s_cbranch_execnz .LBB114_189
.LBB114_183:
	s_or_b32 exec_lo, exec_lo, s7
	s_and_b32 s8, s2, s4
	s_and_saveexec_b32 s7, s8
	s_cbranch_execnz .LBB114_193
.LBB114_184:
	s_or_b32 exec_lo, exec_lo, s7
	s_and_b32 s7, s3, s4
	s_and_saveexec_b32 s4, s7
	s_cbranch_execnz .LBB114_197
	s_branch .LBB114_201
.LBB114_185:
	v_cmp_ne_u32_e32 vcc_lo, 1, v168
	s_cbranch_vccnz .LBB114_187
; %bb.186:
	v_lshlrev_b64 v[110:111], 3, v[0:1]
	v_add_co_u32 v110, vcc_lo, v108, v110
	v_add_co_ci_u32_e64 v111, null, v109, v111, vcc_lo
	flat_load_dwordx2 v[110:111], v[110:111]
	s_waitcnt vmcnt(0) lgkmcnt(0)
	v_mul_f64 v[110:111], s[12:13], v[110:111]
	v_cvt_f32_f64_e32 v110, v[110:111]
	s_branch .LBB114_188
.LBB114_187:
	v_mov_b32_e32 v110, 0
.LBB114_188:
	s_waitcnt lgkmcnt(17)
	v_add_f64 v[111:112], v[38:39], v[102:103]
	v_add_f64 v[113:114], v[40:41], v[104:105]
	s_waitcnt lgkmcnt(16)
	v_add_f64 v[115:116], v[34:35], v[98:99]
	v_add_f64 v[117:118], v[36:37], v[100:101]
	v_cvt_f32_f64_e32 v111, v[111:112]
	v_cvt_f32_f64_e32 v112, v[113:114]
	;; [unrolled: 1-line block ×4, first 2 shown]
	v_min3_f32 v111, v111, v112, v233
	v_min_f32_e32 v112, v113, v114
	v_min3_f32 v110, v110, v112, v111
	v_lshlrev_b64 v[112:113], 3, v[0:1]
	v_cvt_f64_f32_e32 v[110:111], v110
	v_add_co_u32 v112, vcc_lo, v106, v112
	v_add_co_ci_u32_e64 v113, null, v107, v113, vcc_lo
	flat_store_dwordx2 v[112:113], v[110:111]
	s_or_b32 exec_lo, exec_lo, s7
	s_and_b32 s8, s1, s4
	s_and_saveexec_b32 s7, s8
	s_cbranch_execz .LBB114_183
.LBB114_189:
	v_cmp_ne_u32_e32 vcc_lo, 1, v168
	s_cbranch_vccnz .LBB114_191
; %bb.190:
	v_lshlrev_b64 v[110:111], 3, v[162:163]
	v_add_co_u32 v110, vcc_lo, v108, v110
	v_add_co_ci_u32_e64 v111, null, v109, v111, vcc_lo
	flat_load_dwordx2 v[110:111], v[110:111]
	s_waitcnt vmcnt(0) lgkmcnt(0)
	v_mul_f64 v[110:111], s[12:13], v[110:111]
	v_cvt_f32_f64_e32 v110, v[110:111]
	s_branch .LBB114_192
.LBB114_191:
	v_mov_b32_e32 v110, 0
.LBB114_192:
	s_waitcnt lgkmcnt(17)
	v_add_f64 v[111:112], v[26:27], v[102:103]
	v_add_f64 v[113:114], v[28:29], v[104:105]
	s_waitcnt lgkmcnt(16)
	v_add_f64 v[115:116], v[30:31], v[98:99]
	v_add_f64 v[117:118], v[32:33], v[100:101]
	v_cvt_f32_f64_e32 v111, v[111:112]
	v_cvt_f32_f64_e32 v112, v[113:114]
	;; [unrolled: 1-line block ×4, first 2 shown]
	v_min3_f32 v111, v111, v112, v232
	v_min_f32_e32 v112, v113, v114
	v_min3_f32 v110, v110, v112, v111
	v_lshlrev_b64 v[112:113], 3, v[162:163]
	v_cvt_f64_f32_e32 v[110:111], v110
	v_add_co_u32 v112, vcc_lo, v106, v112
	v_add_co_ci_u32_e64 v113, null, v107, v113, vcc_lo
	flat_store_dwordx2 v[112:113], v[110:111]
	s_or_b32 exec_lo, exec_lo, s7
	s_and_b32 s8, s2, s4
	s_and_saveexec_b32 s7, s8
	s_cbranch_execz .LBB114_184
.LBB114_193:
	v_cmp_ne_u32_e32 vcc_lo, 1, v168
	s_cbranch_vccnz .LBB114_195
; %bb.194:
	v_lshlrev_b64 v[110:111], 3, v[164:165]
	v_add_co_u32 v110, vcc_lo, v108, v110
	v_add_co_ci_u32_e64 v111, null, v109, v111, vcc_lo
	flat_load_dwordx2 v[110:111], v[110:111]
	s_waitcnt vmcnt(0) lgkmcnt(0)
	v_mul_f64 v[110:111], s[12:13], v[110:111]
	v_cvt_f32_f64_e32 v110, v[110:111]
	s_branch .LBB114_196
.LBB114_195:
	v_mov_b32_e32 v110, 0
.LBB114_196:
	s_waitcnt lgkmcnt(17)
	v_add_f64 v[111:112], v[22:23], v[102:103]
	v_add_f64 v[113:114], v[24:25], v[104:105]
	s_waitcnt lgkmcnt(16)
	v_add_f64 v[115:116], v[18:19], v[98:99]
	v_add_f64 v[117:118], v[20:21], v[100:101]
	v_cvt_f32_f64_e32 v111, v[111:112]
	v_cvt_f32_f64_e32 v112, v[113:114]
	;; [unrolled: 1-line block ×4, first 2 shown]
	v_min3_f32 v111, v111, v112, v231
	v_min_f32_e32 v112, v113, v114
	v_min3_f32 v110, v110, v112, v111
	v_lshlrev_b64 v[112:113], 3, v[164:165]
	v_cvt_f64_f32_e32 v[110:111], v110
	v_add_co_u32 v112, vcc_lo, v106, v112
	v_add_co_ci_u32_e64 v113, null, v107, v113, vcc_lo
	flat_store_dwordx2 v[112:113], v[110:111]
	s_or_b32 exec_lo, exec_lo, s7
	s_and_b32 s7, s3, s4
	s_and_saveexec_b32 s4, s7
	s_cbranch_execz .LBB114_201
.LBB114_197:
	v_cmp_ne_u32_e32 vcc_lo, 1, v168
	s_cbranch_vccnz .LBB114_199
; %bb.198:
	v_lshlrev_b64 v[110:111], 3, v[166:167]
	v_add_co_u32 v108, vcc_lo, v108, v110
	v_add_co_ci_u32_e64 v109, null, v109, v111, vcc_lo
	flat_load_dwordx2 v[108:109], v[108:109]
	s_waitcnt vmcnt(0) lgkmcnt(0)
	v_mul_f64 v[108:109], s[12:13], v[108:109]
	v_cvt_f32_f64_e32 v108, v[108:109]
	s_branch .LBB114_200
.LBB114_199:
	v_mov_b32_e32 v108, 0
.LBB114_200:
	s_waitcnt lgkmcnt(17)
	v_add_f64 v[102:103], v[6:7], v[102:103]
	v_add_f64 v[104:105], v[8:9], v[104:105]
	s_waitcnt lgkmcnt(16)
	v_add_f64 v[98:99], v[2:3], v[98:99]
	v_add_f64 v[100:101], v[4:5], v[100:101]
	v_cvt_f32_f64_e32 v102, v[102:103]
	v_cvt_f32_f64_e32 v103, v[104:105]
	;; [unrolled: 1-line block ×4, first 2 shown]
	v_min3_f32 v100, v102, v103, v230
	v_min_f32_e32 v98, v98, v99
	v_min3_f32 v98, v108, v98, v100
	v_lshlrev_b64 v[100:101], 3, v[166:167]
	v_cvt_f64_f32_e32 v[98:99], v98
	v_add_co_u32 v100, vcc_lo, v106, v100
	v_add_co_ci_u32_e64 v101, null, v107, v101, vcc_lo
	flat_store_dwordx2 v[100:101], v[98:99]
.LBB114_201:
	s_or_b32 exec_lo, exec_lo, s4
	s_waitcnt lgkmcnt(17)
	v_add_nc_u32_e32 v102, 64, v169
	s_waitcnt lgkmcnt(16)
	v_mad_i64_i32 v[98:99], null, v102, s6, 0
	v_mad_i64_i32 v[100:101], null, v102, s5, 0
	v_cmp_gt_i32_e64 s4, s9, v102
	v_lshlrev_b64 v[98:99], 3, v[98:99]
	s_and_b32 s8, s0, s4
	v_lshlrev_b64 v[102:103], 3, v[100:101]
	v_add_co_u32 v100, vcc_lo, s14, v98
	v_add_co_ci_u32_e64 v101, null, s15, v99, vcc_lo
	v_add_co_u32 v98, vcc_lo, s10, v102
	v_add_co_ci_u32_e64 v99, null, s11, v103, vcc_lo
	s_and_saveexec_b32 s7, s8
	s_cbranch_execnz .LBB114_205
; %bb.202:
	s_or_b32 exec_lo, exec_lo, s7
	s_and_b32 s8, s1, s4
	s_and_saveexec_b32 s7, s8
	s_cbranch_execnz .LBB114_209
.LBB114_203:
	s_or_b32 exec_lo, exec_lo, s7
	s_and_b32 s8, s2, s4
	s_and_saveexec_b32 s7, s8
	s_cbranch_execnz .LBB114_213
.LBB114_204:
	s_or_b32 exec_lo, exec_lo, s7
	s_and_b32 s7, s3, s4
	s_and_saveexec_b32 s4, s7
	s_cbranch_execnz .LBB114_217
	s_branch .LBB114_221
.LBB114_205:
	v_cmp_ne_u32_e32 vcc_lo, 1, v168
	s_cbranch_vccnz .LBB114_207
; %bb.206:
	v_lshlrev_b64 v[102:103], 3, v[0:1]
	v_add_co_u32 v102, vcc_lo, v100, v102
	v_add_co_ci_u32_e64 v103, null, v101, v103, vcc_lo
	flat_load_dwordx2 v[102:103], v[102:103]
	s_waitcnt vmcnt(0) lgkmcnt(0)
	v_mul_f64 v[102:103], s[12:13], v[102:103]
	v_cvt_f32_f64_e32 v102, v[102:103]
	s_branch .LBB114_208
.LBB114_207:
	v_mov_b32_e32 v102, 0
.LBB114_208:
	s_waitcnt lgkmcnt(15)
	v_add_f64 v[103:104], v[38:39], v[94:95]
	v_add_f64 v[105:106], v[40:41], v[96:97]
	s_waitcnt lgkmcnt(14)
	v_add_f64 v[107:108], v[34:35], v[90:91]
	v_add_f64 v[109:110], v[36:37], v[92:93]
	v_cvt_f32_f64_e32 v103, v[103:104]
	v_cvt_f32_f64_e32 v104, v[105:106]
	;; [unrolled: 1-line block ×4, first 2 shown]
	v_min3_f32 v103, v103, v104, v214
	v_min_f32_e32 v104, v105, v106
	v_min3_f32 v102, v102, v104, v103
	v_lshlrev_b64 v[104:105], 3, v[0:1]
	v_cvt_f64_f32_e32 v[102:103], v102
	v_add_co_u32 v104, vcc_lo, v98, v104
	v_add_co_ci_u32_e64 v105, null, v99, v105, vcc_lo
	flat_store_dwordx2 v[104:105], v[102:103]
	s_or_b32 exec_lo, exec_lo, s7
	s_and_b32 s8, s1, s4
	s_and_saveexec_b32 s7, s8
	s_cbranch_execz .LBB114_203
.LBB114_209:
	v_cmp_ne_u32_e32 vcc_lo, 1, v168
	s_cbranch_vccnz .LBB114_211
; %bb.210:
	v_lshlrev_b64 v[102:103], 3, v[162:163]
	v_add_co_u32 v102, vcc_lo, v100, v102
	v_add_co_ci_u32_e64 v103, null, v101, v103, vcc_lo
	flat_load_dwordx2 v[102:103], v[102:103]
	s_waitcnt vmcnt(0) lgkmcnt(0)
	v_mul_f64 v[102:103], s[12:13], v[102:103]
	v_cvt_f32_f64_e32 v102, v[102:103]
	s_branch .LBB114_212
.LBB114_211:
	v_mov_b32_e32 v102, 0
.LBB114_212:
	s_waitcnt lgkmcnt(15)
	v_add_f64 v[103:104], v[26:27], v[94:95]
	v_add_f64 v[105:106], v[28:29], v[96:97]
	s_waitcnt lgkmcnt(14)
	v_add_f64 v[107:108], v[30:31], v[90:91]
	v_add_f64 v[109:110], v[32:33], v[92:93]
	v_cvt_f32_f64_e32 v103, v[103:104]
	v_cvt_f32_f64_e32 v104, v[105:106]
	;; [unrolled: 1-line block ×4, first 2 shown]
	v_min3_f32 v103, v103, v104, v213
	v_min_f32_e32 v104, v105, v106
	v_min3_f32 v102, v102, v104, v103
	v_lshlrev_b64 v[104:105], 3, v[162:163]
	v_cvt_f64_f32_e32 v[102:103], v102
	v_add_co_u32 v104, vcc_lo, v98, v104
	v_add_co_ci_u32_e64 v105, null, v99, v105, vcc_lo
	flat_store_dwordx2 v[104:105], v[102:103]
	s_or_b32 exec_lo, exec_lo, s7
	s_and_b32 s8, s2, s4
	s_and_saveexec_b32 s7, s8
	s_cbranch_execz .LBB114_204
.LBB114_213:
	v_cmp_ne_u32_e32 vcc_lo, 1, v168
	s_cbranch_vccnz .LBB114_215
; %bb.214:
	v_lshlrev_b64 v[102:103], 3, v[164:165]
	v_add_co_u32 v102, vcc_lo, v100, v102
	v_add_co_ci_u32_e64 v103, null, v101, v103, vcc_lo
	flat_load_dwordx2 v[102:103], v[102:103]
	s_waitcnt vmcnt(0) lgkmcnt(0)
	v_mul_f64 v[102:103], s[12:13], v[102:103]
	v_cvt_f32_f64_e32 v102, v[102:103]
	s_branch .LBB114_216
.LBB114_215:
	v_mov_b32_e32 v102, 0
.LBB114_216:
	s_waitcnt lgkmcnt(15)
	v_add_f64 v[103:104], v[22:23], v[94:95]
	v_add_f64 v[105:106], v[24:25], v[96:97]
	s_waitcnt lgkmcnt(14)
	v_add_f64 v[107:108], v[18:19], v[90:91]
	v_add_f64 v[109:110], v[20:21], v[92:93]
	v_cvt_f32_f64_e32 v103, v[103:104]
	v_cvt_f32_f64_e32 v104, v[105:106]
	v_cvt_f32_f64_e32 v105, v[107:108]
	v_cvt_f32_f64_e32 v106, v[109:110]
	v_min3_f32 v103, v103, v104, v211
	v_min_f32_e32 v104, v105, v106
	v_min3_f32 v102, v102, v104, v103
	v_lshlrev_b64 v[104:105], 3, v[164:165]
	v_cvt_f64_f32_e32 v[102:103], v102
	v_add_co_u32 v104, vcc_lo, v98, v104
	v_add_co_ci_u32_e64 v105, null, v99, v105, vcc_lo
	flat_store_dwordx2 v[104:105], v[102:103]
	s_or_b32 exec_lo, exec_lo, s7
	s_and_b32 s7, s3, s4
	s_and_saveexec_b32 s4, s7
	s_cbranch_execz .LBB114_221
.LBB114_217:
	v_cmp_ne_u32_e32 vcc_lo, 1, v168
	s_cbranch_vccnz .LBB114_219
; %bb.218:
	v_lshlrev_b64 v[102:103], 3, v[166:167]
	v_add_co_u32 v100, vcc_lo, v100, v102
	v_add_co_ci_u32_e64 v101, null, v101, v103, vcc_lo
	flat_load_dwordx2 v[100:101], v[100:101]
	s_waitcnt vmcnt(0) lgkmcnt(0)
	v_mul_f64 v[100:101], s[12:13], v[100:101]
	v_cvt_f32_f64_e32 v100, v[100:101]
	s_branch .LBB114_220
.LBB114_219:
	v_mov_b32_e32 v100, 0
.LBB114_220:
	s_waitcnt lgkmcnt(15)
	v_add_f64 v[94:95], v[6:7], v[94:95]
	v_add_f64 v[96:97], v[8:9], v[96:97]
	s_waitcnt lgkmcnt(14)
	v_add_f64 v[90:91], v[2:3], v[90:91]
	v_add_f64 v[92:93], v[4:5], v[92:93]
	v_cvt_f32_f64_e32 v94, v[94:95]
	v_cvt_f32_f64_e32 v95, v[96:97]
	;; [unrolled: 1-line block ×4, first 2 shown]
	v_min3_f32 v92, v94, v95, v209
	v_min_f32_e32 v90, v90, v91
	v_min3_f32 v90, v100, v90, v92
	v_lshlrev_b64 v[92:93], 3, v[166:167]
	v_cvt_f64_f32_e32 v[90:91], v90
	v_add_co_u32 v92, vcc_lo, v98, v92
	v_add_co_ci_u32_e64 v93, null, v99, v93, vcc_lo
	flat_store_dwordx2 v[92:93], v[90:91]
.LBB114_221:
	s_or_b32 exec_lo, exec_lo, s4
	s_waitcnt lgkmcnt(15)
	v_add_nc_u32_e32 v94, 0x48, v169
	s_waitcnt lgkmcnt(14)
	v_mad_i64_i32 v[90:91], null, v94, s6, 0
	v_mad_i64_i32 v[92:93], null, v94, s5, 0
	v_cmp_gt_i32_e64 s4, s9, v94
	v_lshlrev_b64 v[90:91], 3, v[90:91]
	s_and_b32 s8, s0, s4
	v_lshlrev_b64 v[94:95], 3, v[92:93]
	v_add_co_u32 v92, vcc_lo, s14, v90
	v_add_co_ci_u32_e64 v93, null, s15, v91, vcc_lo
	v_add_co_u32 v90, vcc_lo, s10, v94
	v_add_co_ci_u32_e64 v91, null, s11, v95, vcc_lo
	s_and_saveexec_b32 s7, s8
	s_cbranch_execnz .LBB114_225
; %bb.222:
	s_or_b32 exec_lo, exec_lo, s7
	s_and_b32 s8, s1, s4
	s_and_saveexec_b32 s7, s8
	s_cbranch_execnz .LBB114_229
.LBB114_223:
	s_or_b32 exec_lo, exec_lo, s7
	s_and_b32 s8, s2, s4
	s_and_saveexec_b32 s7, s8
	s_cbranch_execnz .LBB114_233
.LBB114_224:
	s_or_b32 exec_lo, exec_lo, s7
	s_and_b32 s7, s3, s4
	s_and_saveexec_b32 s4, s7
	s_cbranch_execnz .LBB114_237
	s_branch .LBB114_241
.LBB114_225:
	v_cmp_ne_u32_e32 vcc_lo, 1, v168
	s_cbranch_vccnz .LBB114_227
; %bb.226:
	v_lshlrev_b64 v[94:95], 3, v[0:1]
	v_add_co_u32 v94, vcc_lo, v92, v94
	v_add_co_ci_u32_e64 v95, null, v93, v95, vcc_lo
	flat_load_dwordx2 v[94:95], v[94:95]
	s_waitcnt vmcnt(0) lgkmcnt(0)
	v_mul_f64 v[94:95], s[12:13], v[94:95]
	v_cvt_f32_f64_e32 v94, v[94:95]
	s_branch .LBB114_228
.LBB114_227:
	v_mov_b32_e32 v94, 0
.LBB114_228:
	s_waitcnt lgkmcnt(13)
	v_add_f64 v[95:96], v[38:39], v[86:87]
	v_add_f64 v[97:98], v[40:41], v[88:89]
	s_waitcnt lgkmcnt(12)
	v_add_f64 v[99:100], v[34:35], v[82:83]
	v_add_f64 v[101:102], v[36:37], v[84:85]
	v_cvt_f32_f64_e32 v95, v[95:96]
	v_cvt_f32_f64_e32 v96, v[97:98]
	;; [unrolled: 1-line block ×4, first 2 shown]
	v_min3_f32 v95, v95, v96, v208
	v_min_f32_e32 v96, v97, v98
	v_min3_f32 v94, v94, v96, v95
	v_lshlrev_b64 v[96:97], 3, v[0:1]
	v_cvt_f64_f32_e32 v[94:95], v94
	v_add_co_u32 v96, vcc_lo, v90, v96
	v_add_co_ci_u32_e64 v97, null, v91, v97, vcc_lo
	flat_store_dwordx2 v[96:97], v[94:95]
	s_or_b32 exec_lo, exec_lo, s7
	s_and_b32 s8, s1, s4
	s_and_saveexec_b32 s7, s8
	s_cbranch_execz .LBB114_223
.LBB114_229:
	v_cmp_ne_u32_e32 vcc_lo, 1, v168
	s_cbranch_vccnz .LBB114_231
; %bb.230:
	v_lshlrev_b64 v[94:95], 3, v[162:163]
	v_add_co_u32 v94, vcc_lo, v92, v94
	v_add_co_ci_u32_e64 v95, null, v93, v95, vcc_lo
	flat_load_dwordx2 v[94:95], v[94:95]
	s_waitcnt vmcnt(0) lgkmcnt(0)
	v_mul_f64 v[94:95], s[12:13], v[94:95]
	v_cvt_f32_f64_e32 v94, v[94:95]
	s_branch .LBB114_232
.LBB114_231:
	v_mov_b32_e32 v94, 0
.LBB114_232:
	s_waitcnt lgkmcnt(13)
	v_add_f64 v[95:96], v[26:27], v[86:87]
	v_add_f64 v[97:98], v[28:29], v[88:89]
	s_waitcnt lgkmcnt(12)
	v_add_f64 v[99:100], v[30:31], v[82:83]
	v_add_f64 v[101:102], v[32:33], v[84:85]
	v_cvt_f32_f64_e32 v95, v[95:96]
	v_cvt_f32_f64_e32 v96, v[97:98]
	;; [unrolled: 1-line block ×4, first 2 shown]
	v_min3_f32 v95, v95, v96, v207
	v_min_f32_e32 v96, v97, v98
	v_min3_f32 v94, v94, v96, v95
	v_lshlrev_b64 v[96:97], 3, v[162:163]
	v_cvt_f64_f32_e32 v[94:95], v94
	v_add_co_u32 v96, vcc_lo, v90, v96
	v_add_co_ci_u32_e64 v97, null, v91, v97, vcc_lo
	flat_store_dwordx2 v[96:97], v[94:95]
	s_or_b32 exec_lo, exec_lo, s7
	s_and_b32 s8, s2, s4
	s_and_saveexec_b32 s7, s8
	s_cbranch_execz .LBB114_224
.LBB114_233:
	v_cmp_ne_u32_e32 vcc_lo, 1, v168
	s_cbranch_vccnz .LBB114_235
; %bb.234:
	v_lshlrev_b64 v[94:95], 3, v[164:165]
	v_add_co_u32 v94, vcc_lo, v92, v94
	v_add_co_ci_u32_e64 v95, null, v93, v95, vcc_lo
	flat_load_dwordx2 v[94:95], v[94:95]
	s_waitcnt vmcnt(0) lgkmcnt(0)
	v_mul_f64 v[94:95], s[12:13], v[94:95]
	v_cvt_f32_f64_e32 v94, v[94:95]
	s_branch .LBB114_236
.LBB114_235:
	v_mov_b32_e32 v94, 0
.LBB114_236:
	s_waitcnt lgkmcnt(13)
	v_add_f64 v[95:96], v[22:23], v[86:87]
	v_add_f64 v[97:98], v[24:25], v[88:89]
	s_waitcnt lgkmcnt(12)
	v_add_f64 v[99:100], v[18:19], v[82:83]
	v_add_f64 v[101:102], v[20:21], v[84:85]
	v_cvt_f32_f64_e32 v95, v[95:96]
	v_cvt_f32_f64_e32 v96, v[97:98]
	v_cvt_f32_f64_e32 v97, v[99:100]
	v_cvt_f32_f64_e32 v98, v[101:102]
	v_min3_f32 v95, v95, v96, v206
	v_min_f32_e32 v96, v97, v98
	v_min3_f32 v94, v94, v96, v95
	v_lshlrev_b64 v[96:97], 3, v[164:165]
	v_cvt_f64_f32_e32 v[94:95], v94
	v_add_co_u32 v96, vcc_lo, v90, v96
	v_add_co_ci_u32_e64 v97, null, v91, v97, vcc_lo
	flat_store_dwordx2 v[96:97], v[94:95]
	s_or_b32 exec_lo, exec_lo, s7
	s_and_b32 s7, s3, s4
	s_and_saveexec_b32 s4, s7
	s_cbranch_execz .LBB114_241
.LBB114_237:
	v_cmp_ne_u32_e32 vcc_lo, 1, v168
	s_cbranch_vccnz .LBB114_239
; %bb.238:
	v_lshlrev_b64 v[94:95], 3, v[166:167]
	v_add_co_u32 v92, vcc_lo, v92, v94
	v_add_co_ci_u32_e64 v93, null, v93, v95, vcc_lo
	flat_load_dwordx2 v[92:93], v[92:93]
	s_waitcnt vmcnt(0) lgkmcnt(0)
	v_mul_f64 v[92:93], s[12:13], v[92:93]
	v_cvt_f32_f64_e32 v92, v[92:93]
	s_branch .LBB114_240
.LBB114_239:
	v_mov_b32_e32 v92, 0
.LBB114_240:
	s_waitcnt lgkmcnt(13)
	v_add_f64 v[86:87], v[6:7], v[86:87]
	v_add_f64 v[88:89], v[8:9], v[88:89]
	s_waitcnt lgkmcnt(12)
	v_add_f64 v[82:83], v[2:3], v[82:83]
	v_add_f64 v[84:85], v[4:5], v[84:85]
	v_cvt_f32_f64_e32 v86, v[86:87]
	v_cvt_f32_f64_e32 v87, v[88:89]
	;; [unrolled: 1-line block ×4, first 2 shown]
	v_min3_f32 v84, v86, v87, v205
	v_min_f32_e32 v82, v82, v83
	v_min3_f32 v82, v92, v82, v84
	v_lshlrev_b64 v[84:85], 3, v[166:167]
	v_cvt_f64_f32_e32 v[82:83], v82
	v_add_co_u32 v84, vcc_lo, v90, v84
	v_add_co_ci_u32_e64 v85, null, v91, v85, vcc_lo
	flat_store_dwordx2 v[84:85], v[82:83]
.LBB114_241:
	s_or_b32 exec_lo, exec_lo, s4
	s_waitcnt lgkmcnt(13)
	v_add_nc_u32_e32 v86, 0x50, v169
	s_waitcnt lgkmcnt(12)
	v_mad_i64_i32 v[82:83], null, v86, s6, 0
	v_mad_i64_i32 v[84:85], null, v86, s5, 0
	v_cmp_gt_i32_e64 s4, s9, v86
	v_lshlrev_b64 v[82:83], 3, v[82:83]
	s_and_b32 s8, s0, s4
	v_lshlrev_b64 v[86:87], 3, v[84:85]
	v_add_co_u32 v84, vcc_lo, s14, v82
	v_add_co_ci_u32_e64 v85, null, s15, v83, vcc_lo
	v_add_co_u32 v82, vcc_lo, s10, v86
	v_add_co_ci_u32_e64 v83, null, s11, v87, vcc_lo
	s_and_saveexec_b32 s7, s8
	s_cbranch_execnz .LBB114_245
; %bb.242:
	s_or_b32 exec_lo, exec_lo, s7
	s_and_b32 s8, s1, s4
	s_and_saveexec_b32 s7, s8
	s_cbranch_execnz .LBB114_249
.LBB114_243:
	s_or_b32 exec_lo, exec_lo, s7
	s_and_b32 s8, s2, s4
	s_and_saveexec_b32 s7, s8
	s_cbranch_execnz .LBB114_253
.LBB114_244:
	s_or_b32 exec_lo, exec_lo, s7
	s_and_b32 s7, s3, s4
	s_and_saveexec_b32 s4, s7
	s_cbranch_execnz .LBB114_257
	s_branch .LBB114_261
.LBB114_245:
	v_cmp_ne_u32_e32 vcc_lo, 1, v168
	s_cbranch_vccnz .LBB114_247
; %bb.246:
	v_lshlrev_b64 v[86:87], 3, v[0:1]
	v_add_co_u32 v86, vcc_lo, v84, v86
	v_add_co_ci_u32_e64 v87, null, v85, v87, vcc_lo
	flat_load_dwordx2 v[86:87], v[86:87]
	s_waitcnt vmcnt(0) lgkmcnt(0)
	v_mul_f64 v[86:87], s[12:13], v[86:87]
	v_cvt_f32_f64_e32 v86, v[86:87]
	s_branch .LBB114_248
.LBB114_247:
	v_mov_b32_e32 v86, 0
.LBB114_248:
	s_waitcnt lgkmcnt(11)
	v_add_f64 v[87:88], v[38:39], v[78:79]
	v_add_f64 v[89:90], v[40:41], v[80:81]
	s_waitcnt lgkmcnt(10)
	v_add_f64 v[91:92], v[34:35], v[74:75]
	v_add_f64 v[93:94], v[36:37], v[76:77]
	v_cvt_f32_f64_e32 v87, v[87:88]
	v_cvt_f32_f64_e32 v88, v[89:90]
	;; [unrolled: 1-line block ×4, first 2 shown]
	v_min3_f32 v87, v87, v88, v203
	v_min_f32_e32 v88, v89, v90
	v_min3_f32 v86, v86, v88, v87
	v_lshlrev_b64 v[88:89], 3, v[0:1]
	v_cvt_f64_f32_e32 v[86:87], v86
	v_add_co_u32 v88, vcc_lo, v82, v88
	v_add_co_ci_u32_e64 v89, null, v83, v89, vcc_lo
	flat_store_dwordx2 v[88:89], v[86:87]
	s_or_b32 exec_lo, exec_lo, s7
	s_and_b32 s8, s1, s4
	s_and_saveexec_b32 s7, s8
	s_cbranch_execz .LBB114_243
.LBB114_249:
	v_cmp_ne_u32_e32 vcc_lo, 1, v168
	s_cbranch_vccnz .LBB114_251
; %bb.250:
	v_lshlrev_b64 v[86:87], 3, v[162:163]
	v_add_co_u32 v86, vcc_lo, v84, v86
	v_add_co_ci_u32_e64 v87, null, v85, v87, vcc_lo
	flat_load_dwordx2 v[86:87], v[86:87]
	s_waitcnt vmcnt(0) lgkmcnt(0)
	v_mul_f64 v[86:87], s[12:13], v[86:87]
	v_cvt_f32_f64_e32 v86, v[86:87]
	s_branch .LBB114_252
.LBB114_251:
	v_mov_b32_e32 v86, 0
.LBB114_252:
	s_waitcnt lgkmcnt(11)
	v_add_f64 v[87:88], v[26:27], v[78:79]
	v_add_f64 v[89:90], v[28:29], v[80:81]
	s_waitcnt lgkmcnt(10)
	v_add_f64 v[91:92], v[30:31], v[74:75]
	v_add_f64 v[93:94], v[32:33], v[76:77]
	v_cvt_f32_f64_e32 v87, v[87:88]
	v_cvt_f32_f64_e32 v88, v[89:90]
	;; [unrolled: 1-line block ×4, first 2 shown]
	v_min3_f32 v87, v87, v88, v202
	v_min_f32_e32 v88, v89, v90
	v_min3_f32 v86, v86, v88, v87
	v_lshlrev_b64 v[88:89], 3, v[162:163]
	v_cvt_f64_f32_e32 v[86:87], v86
	v_add_co_u32 v88, vcc_lo, v82, v88
	v_add_co_ci_u32_e64 v89, null, v83, v89, vcc_lo
	flat_store_dwordx2 v[88:89], v[86:87]
	s_or_b32 exec_lo, exec_lo, s7
	s_and_b32 s8, s2, s4
	s_and_saveexec_b32 s7, s8
	s_cbranch_execz .LBB114_244
.LBB114_253:
	v_cmp_ne_u32_e32 vcc_lo, 1, v168
	s_cbranch_vccnz .LBB114_255
; %bb.254:
	v_lshlrev_b64 v[86:87], 3, v[164:165]
	v_add_co_u32 v86, vcc_lo, v84, v86
	v_add_co_ci_u32_e64 v87, null, v85, v87, vcc_lo
	flat_load_dwordx2 v[86:87], v[86:87]
	s_waitcnt vmcnt(0) lgkmcnt(0)
	v_mul_f64 v[86:87], s[12:13], v[86:87]
	v_cvt_f32_f64_e32 v86, v[86:87]
	s_branch .LBB114_256
.LBB114_255:
	v_mov_b32_e32 v86, 0
.LBB114_256:
	s_waitcnt lgkmcnt(11)
	v_add_f64 v[87:88], v[22:23], v[78:79]
	v_add_f64 v[89:90], v[24:25], v[80:81]
	s_waitcnt lgkmcnt(10)
	v_add_f64 v[91:92], v[18:19], v[74:75]
	v_add_f64 v[93:94], v[20:21], v[76:77]
	v_cvt_f32_f64_e32 v87, v[87:88]
	v_cvt_f32_f64_e32 v88, v[89:90]
	;; [unrolled: 1-line block ×4, first 2 shown]
	v_min3_f32 v87, v87, v88, v212
	v_min_f32_e32 v88, v89, v90
	v_min3_f32 v86, v86, v88, v87
	v_lshlrev_b64 v[88:89], 3, v[164:165]
	v_cvt_f64_f32_e32 v[86:87], v86
	v_add_co_u32 v88, vcc_lo, v82, v88
	v_add_co_ci_u32_e64 v89, null, v83, v89, vcc_lo
	flat_store_dwordx2 v[88:89], v[86:87]
	s_or_b32 exec_lo, exec_lo, s7
	s_and_b32 s7, s3, s4
	s_and_saveexec_b32 s4, s7
	s_cbranch_execz .LBB114_261
.LBB114_257:
	v_cmp_ne_u32_e32 vcc_lo, 1, v168
	s_cbranch_vccnz .LBB114_259
; %bb.258:
	v_lshlrev_b64 v[86:87], 3, v[166:167]
	v_add_co_u32 v84, vcc_lo, v84, v86
	v_add_co_ci_u32_e64 v85, null, v85, v87, vcc_lo
	flat_load_dwordx2 v[84:85], v[84:85]
	s_waitcnt vmcnt(0) lgkmcnt(0)
	v_mul_f64 v[84:85], s[12:13], v[84:85]
	v_cvt_f32_f64_e32 v84, v[84:85]
	s_branch .LBB114_260
.LBB114_259:
	v_mov_b32_e32 v84, 0
.LBB114_260:
	s_waitcnt lgkmcnt(11)
	v_add_f64 v[78:79], v[6:7], v[78:79]
	v_add_f64 v[80:81], v[8:9], v[80:81]
	s_waitcnt lgkmcnt(10)
	v_add_f64 v[74:75], v[2:3], v[74:75]
	v_add_f64 v[76:77], v[4:5], v[76:77]
	v_cvt_f32_f64_e32 v78, v[78:79]
	v_cvt_f32_f64_e32 v79, v[80:81]
	;; [unrolled: 1-line block ×4, first 2 shown]
	v_min3_f32 v76, v78, v79, v210
	v_min_f32_e32 v74, v74, v75
	v_min3_f32 v74, v84, v74, v76
	v_lshlrev_b64 v[76:77], 3, v[166:167]
	v_cvt_f64_f32_e32 v[74:75], v74
	v_add_co_u32 v76, vcc_lo, v82, v76
	v_add_co_ci_u32_e64 v77, null, v83, v77, vcc_lo
	flat_store_dwordx2 v[76:77], v[74:75]
.LBB114_261:
	s_or_b32 exec_lo, exec_lo, s4
	s_waitcnt lgkmcnt(11)
	v_add_nc_u32_e32 v78, 0x58, v169
	s_waitcnt lgkmcnt(10)
	v_mad_i64_i32 v[74:75], null, v78, s6, 0
	v_mad_i64_i32 v[76:77], null, v78, s5, 0
	v_cmp_gt_i32_e64 s4, s9, v78
	v_lshlrev_b64 v[74:75], 3, v[74:75]
	s_and_b32 s8, s0, s4
	v_lshlrev_b64 v[78:79], 3, v[76:77]
	v_add_co_u32 v76, vcc_lo, s14, v74
	v_add_co_ci_u32_e64 v77, null, s15, v75, vcc_lo
	v_add_co_u32 v74, vcc_lo, s10, v78
	v_add_co_ci_u32_e64 v75, null, s11, v79, vcc_lo
	s_and_saveexec_b32 s7, s8
	s_cbranch_execnz .LBB114_265
; %bb.262:
	s_or_b32 exec_lo, exec_lo, s7
	s_and_b32 s8, s1, s4
	s_and_saveexec_b32 s7, s8
	s_cbranch_execnz .LBB114_269
.LBB114_263:
	s_or_b32 exec_lo, exec_lo, s7
	s_and_b32 s8, s2, s4
	s_and_saveexec_b32 s7, s8
	s_cbranch_execnz .LBB114_273
.LBB114_264:
	s_or_b32 exec_lo, exec_lo, s7
	s_and_b32 s7, s3, s4
	s_and_saveexec_b32 s4, s7
	s_cbranch_execnz .LBB114_277
	s_branch .LBB114_281
.LBB114_265:
	v_cmp_ne_u32_e32 vcc_lo, 1, v168
	s_cbranch_vccnz .LBB114_267
; %bb.266:
	v_lshlrev_b64 v[78:79], 3, v[0:1]
	v_add_co_u32 v78, vcc_lo, v76, v78
	v_add_co_ci_u32_e64 v79, null, v77, v79, vcc_lo
	flat_load_dwordx2 v[78:79], v[78:79]
	s_waitcnt vmcnt(0) lgkmcnt(0)
	v_mul_f64 v[78:79], s[12:13], v[78:79]
	v_cvt_f32_f64_e32 v78, v[78:79]
	s_branch .LBB114_268
.LBB114_267:
	v_mov_b32_e32 v78, 0
.LBB114_268:
	s_waitcnt lgkmcnt(9)
	v_add_f64 v[79:80], v[38:39], v[70:71]
	v_add_f64 v[81:82], v[40:41], v[72:73]
	s_waitcnt lgkmcnt(8)
	v_add_f64 v[83:84], v[34:35], v[66:67]
	v_add_f64 v[85:86], v[36:37], v[68:69]
	v_cvt_f32_f64_e32 v79, v[79:80]
	v_cvt_f32_f64_e32 v80, v[81:82]
	;; [unrolled: 1-line block ×3, first 2 shown]
	buffer_load_dword v83, off, s[36:39], 0 ; 4-byte Folded Reload
	v_cvt_f32_f64_e32 v82, v[85:86]
	s_waitcnt vmcnt(0)
	v_min3_f32 v79, v79, v80, v83
	v_min_f32_e32 v80, v81, v82
	v_min3_f32 v78, v78, v80, v79
	v_lshlrev_b64 v[80:81], 3, v[0:1]
	v_cvt_f64_f32_e32 v[78:79], v78
	v_add_co_u32 v80, vcc_lo, v74, v80
	v_add_co_ci_u32_e64 v81, null, v75, v81, vcc_lo
	flat_store_dwordx2 v[80:81], v[78:79]
	s_or_b32 exec_lo, exec_lo, s7
	s_and_b32 s8, s1, s4
	s_and_saveexec_b32 s7, s8
	s_cbranch_execz .LBB114_263
.LBB114_269:
	v_cmp_ne_u32_e32 vcc_lo, 1, v168
	s_cbranch_vccnz .LBB114_271
; %bb.270:
	v_lshlrev_b64 v[78:79], 3, v[162:163]
	v_add_co_u32 v78, vcc_lo, v76, v78
	v_add_co_ci_u32_e64 v79, null, v77, v79, vcc_lo
	flat_load_dwordx2 v[78:79], v[78:79]
	s_waitcnt vmcnt(0) lgkmcnt(0)
	v_mul_f64 v[78:79], s[12:13], v[78:79]
	v_cvt_f32_f64_e32 v78, v[78:79]
	s_branch .LBB114_272
.LBB114_271:
	v_mov_b32_e32 v78, 0
.LBB114_272:
	s_waitcnt lgkmcnt(9)
	v_add_f64 v[79:80], v[26:27], v[70:71]
	v_add_f64 v[81:82], v[28:29], v[72:73]
	s_waitcnt lgkmcnt(8)
	v_add_f64 v[83:84], v[30:31], v[66:67]
	v_add_f64 v[85:86], v[32:33], v[68:69]
	v_cvt_f32_f64_e32 v79, v[79:80]
	v_cvt_f32_f64_e32 v80, v[81:82]
	;; [unrolled: 1-line block ×4, first 2 shown]
	v_min3_f32 v79, v79, v80, v200
	v_min_f32_e32 v80, v81, v82
	v_min3_f32 v78, v78, v80, v79
	v_lshlrev_b64 v[80:81], 3, v[162:163]
	v_cvt_f64_f32_e32 v[78:79], v78
	v_add_co_u32 v80, vcc_lo, v74, v80
	v_add_co_ci_u32_e64 v81, null, v75, v81, vcc_lo
	flat_store_dwordx2 v[80:81], v[78:79]
	s_or_b32 exec_lo, exec_lo, s7
	s_and_b32 s8, s2, s4
	s_and_saveexec_b32 s7, s8
	s_cbranch_execz .LBB114_264
.LBB114_273:
	v_cmp_ne_u32_e32 vcc_lo, 1, v168
	s_cbranch_vccnz .LBB114_275
; %bb.274:
	v_lshlrev_b64 v[78:79], 3, v[164:165]
	v_add_co_u32 v78, vcc_lo, v76, v78
	v_add_co_ci_u32_e64 v79, null, v77, v79, vcc_lo
	flat_load_dwordx2 v[78:79], v[78:79]
	s_waitcnt vmcnt(0) lgkmcnt(0)
	v_mul_f64 v[78:79], s[12:13], v[78:79]
	v_cvt_f32_f64_e32 v78, v[78:79]
	s_branch .LBB114_276
.LBB114_275:
	v_mov_b32_e32 v78, 0
.LBB114_276:
	s_waitcnt lgkmcnt(9)
	v_add_f64 v[79:80], v[22:23], v[70:71]
	v_add_f64 v[81:82], v[24:25], v[72:73]
	s_waitcnt lgkmcnt(8)
	v_add_f64 v[83:84], v[18:19], v[66:67]
	v_add_f64 v[85:86], v[20:21], v[68:69]
	v_cvt_f32_f64_e32 v79, v[79:80]
	v_cvt_f32_f64_e32 v80, v[81:82]
	;; [unrolled: 1-line block ×4, first 2 shown]
	v_min3_f32 v79, v79, v80, v199
	v_min_f32_e32 v80, v81, v82
	v_min3_f32 v78, v78, v80, v79
	v_lshlrev_b64 v[80:81], 3, v[164:165]
	v_cvt_f64_f32_e32 v[78:79], v78
	v_add_co_u32 v80, vcc_lo, v74, v80
	v_add_co_ci_u32_e64 v81, null, v75, v81, vcc_lo
	flat_store_dwordx2 v[80:81], v[78:79]
	s_or_b32 exec_lo, exec_lo, s7
	s_and_b32 s7, s3, s4
	s_and_saveexec_b32 s4, s7
	s_cbranch_execz .LBB114_281
.LBB114_277:
	v_cmp_ne_u32_e32 vcc_lo, 1, v168
	s_cbranch_vccnz .LBB114_279
; %bb.278:
	v_lshlrev_b64 v[78:79], 3, v[166:167]
	v_add_co_u32 v76, vcc_lo, v76, v78
	v_add_co_ci_u32_e64 v77, null, v77, v79, vcc_lo
	flat_load_dwordx2 v[76:77], v[76:77]
	s_waitcnt vmcnt(0) lgkmcnt(0)
	v_mul_f64 v[76:77], s[12:13], v[76:77]
	v_cvt_f32_f64_e32 v76, v[76:77]
	s_branch .LBB114_280
.LBB114_279:
	v_mov_b32_e32 v76, 0
.LBB114_280:
	s_waitcnt lgkmcnt(9)
	v_add_f64 v[70:71], v[6:7], v[70:71]
	v_add_f64 v[72:73], v[8:9], v[72:73]
	s_waitcnt lgkmcnt(8)
	v_add_f64 v[66:67], v[2:3], v[66:67]
	v_add_f64 v[68:69], v[4:5], v[68:69]
	v_cvt_f32_f64_e32 v70, v[70:71]
	v_cvt_f32_f64_e32 v71, v[72:73]
	;; [unrolled: 1-line block ×4, first 2 shown]
	v_min3_f32 v68, v70, v71, v198
	v_min_f32_e32 v66, v66, v67
	v_min3_f32 v66, v76, v66, v68
	v_lshlrev_b64 v[68:69], 3, v[166:167]
	v_cvt_f64_f32_e32 v[66:67], v66
	v_add_co_u32 v68, vcc_lo, v74, v68
	v_add_co_ci_u32_e64 v69, null, v75, v69, vcc_lo
	flat_store_dwordx2 v[68:69], v[66:67]
.LBB114_281:
	s_or_b32 exec_lo, exec_lo, s4
	s_waitcnt lgkmcnt(9)
	v_add_nc_u32_e32 v70, 0x60, v169
	s_waitcnt lgkmcnt(8)
	v_mad_i64_i32 v[66:67], null, v70, s6, 0
	v_mad_i64_i32 v[68:69], null, v70, s5, 0
	v_cmp_gt_i32_e64 s4, s9, v70
	v_lshlrev_b64 v[66:67], 3, v[66:67]
	s_and_b32 s8, s0, s4
	v_lshlrev_b64 v[70:71], 3, v[68:69]
	v_add_co_u32 v68, vcc_lo, s14, v66
	v_add_co_ci_u32_e64 v69, null, s15, v67, vcc_lo
	v_add_co_u32 v66, vcc_lo, s10, v70
	v_add_co_ci_u32_e64 v67, null, s11, v71, vcc_lo
	s_and_saveexec_b32 s7, s8
	s_cbranch_execnz .LBB114_285
; %bb.282:
	s_or_b32 exec_lo, exec_lo, s7
	s_and_b32 s8, s1, s4
	s_and_saveexec_b32 s7, s8
	s_cbranch_execnz .LBB114_289
.LBB114_283:
	s_or_b32 exec_lo, exec_lo, s7
	s_and_b32 s8, s2, s4
	s_and_saveexec_b32 s7, s8
	s_cbranch_execnz .LBB114_293
.LBB114_284:
	s_or_b32 exec_lo, exec_lo, s7
	s_and_b32 s7, s3, s4
	s_and_saveexec_b32 s4, s7
	s_cbranch_execnz .LBB114_297
	s_branch .LBB114_301
.LBB114_285:
	v_cmp_ne_u32_e32 vcc_lo, 1, v168
	s_cbranch_vccnz .LBB114_287
; %bb.286:
	v_lshlrev_b64 v[70:71], 3, v[0:1]
	v_add_co_u32 v70, vcc_lo, v68, v70
	v_add_co_ci_u32_e64 v71, null, v69, v71, vcc_lo
	flat_load_dwordx2 v[70:71], v[70:71]
	s_waitcnt vmcnt(0) lgkmcnt(0)
	v_mul_f64 v[70:71], s[12:13], v[70:71]
	v_cvt_f32_f64_e32 v70, v[70:71]
	s_branch .LBB114_288
.LBB114_287:
	v_mov_b32_e32 v70, 0
.LBB114_288:
	s_waitcnt lgkmcnt(7)
	v_add_f64 v[71:72], v[38:39], v[62:63]
	v_add_f64 v[73:74], v[40:41], v[64:65]
	s_waitcnt lgkmcnt(6)
	v_add_f64 v[75:76], v[34:35], v[58:59]
	v_add_f64 v[77:78], v[36:37], v[60:61]
	v_cvt_f32_f64_e32 v71, v[71:72]
	v_cvt_f32_f64_e32 v72, v[73:74]
	;; [unrolled: 1-line block ×4, first 2 shown]
	v_min3_f32 v71, v71, v72, v255
	v_min_f32_e32 v72, v73, v74
	v_min3_f32 v70, v70, v72, v71
	v_lshlrev_b64 v[72:73], 3, v[0:1]
	v_cvt_f64_f32_e32 v[70:71], v70
	v_add_co_u32 v72, vcc_lo, v66, v72
	v_add_co_ci_u32_e64 v73, null, v67, v73, vcc_lo
	flat_store_dwordx2 v[72:73], v[70:71]
	s_or_b32 exec_lo, exec_lo, s7
	s_and_b32 s8, s1, s4
	s_and_saveexec_b32 s7, s8
	s_cbranch_execz .LBB114_283
.LBB114_289:
	v_cmp_ne_u32_e32 vcc_lo, 1, v168
	s_cbranch_vccnz .LBB114_291
; %bb.290:
	v_lshlrev_b64 v[70:71], 3, v[162:163]
	v_add_co_u32 v70, vcc_lo, v68, v70
	v_add_co_ci_u32_e64 v71, null, v69, v71, vcc_lo
	flat_load_dwordx2 v[70:71], v[70:71]
	s_waitcnt vmcnt(0) lgkmcnt(0)
	v_mul_f64 v[70:71], s[12:13], v[70:71]
	v_cvt_f32_f64_e32 v70, v[70:71]
	s_branch .LBB114_292
.LBB114_291:
	v_mov_b32_e32 v70, 0
.LBB114_292:
	s_waitcnt lgkmcnt(7)
	v_add_f64 v[71:72], v[26:27], v[62:63]
	v_add_f64 v[73:74], v[28:29], v[64:65]
	s_waitcnt lgkmcnt(6)
	v_add_f64 v[75:76], v[30:31], v[58:59]
	v_add_f64 v[77:78], v[32:33], v[60:61]
	v_cvt_f32_f64_e32 v71, v[71:72]
	v_cvt_f32_f64_e32 v72, v[73:74]
	;; [unrolled: 1-line block ×4, first 2 shown]
	v_min3_f32 v71, v71, v72, v196
	v_min_f32_e32 v72, v73, v74
	v_min3_f32 v70, v70, v72, v71
	v_lshlrev_b64 v[72:73], 3, v[162:163]
	v_cvt_f64_f32_e32 v[70:71], v70
	v_add_co_u32 v72, vcc_lo, v66, v72
	v_add_co_ci_u32_e64 v73, null, v67, v73, vcc_lo
	flat_store_dwordx2 v[72:73], v[70:71]
	s_or_b32 exec_lo, exec_lo, s7
	s_and_b32 s8, s2, s4
	s_and_saveexec_b32 s7, s8
	s_cbranch_execz .LBB114_284
.LBB114_293:
	v_cmp_ne_u32_e32 vcc_lo, 1, v168
	s_cbranch_vccnz .LBB114_295
; %bb.294:
	v_lshlrev_b64 v[70:71], 3, v[164:165]
	v_add_co_u32 v70, vcc_lo, v68, v70
	v_add_co_ci_u32_e64 v71, null, v69, v71, vcc_lo
	flat_load_dwordx2 v[70:71], v[70:71]
	s_waitcnt vmcnt(0) lgkmcnt(0)
	v_mul_f64 v[70:71], s[12:13], v[70:71]
	v_cvt_f32_f64_e32 v70, v[70:71]
	s_branch .LBB114_296
.LBB114_295:
	v_mov_b32_e32 v70, 0
.LBB114_296:
	s_waitcnt lgkmcnt(7)
	v_add_f64 v[71:72], v[22:23], v[62:63]
	v_add_f64 v[73:74], v[24:25], v[64:65]
	s_waitcnt lgkmcnt(6)
	v_add_f64 v[75:76], v[18:19], v[58:59]
	v_add_f64 v[77:78], v[20:21], v[60:61]
	v_cvt_f32_f64_e32 v71, v[71:72]
	v_cvt_f32_f64_e32 v72, v[73:74]
	;; [unrolled: 1-line block ×4, first 2 shown]
	v_min3_f32 v71, v71, v72, v248
	v_min_f32_e32 v72, v73, v74
	v_min3_f32 v70, v70, v72, v71
	v_lshlrev_b64 v[72:73], 3, v[164:165]
	v_cvt_f64_f32_e32 v[70:71], v70
	v_add_co_u32 v72, vcc_lo, v66, v72
	v_add_co_ci_u32_e64 v73, null, v67, v73, vcc_lo
	flat_store_dwordx2 v[72:73], v[70:71]
	s_or_b32 exec_lo, exec_lo, s7
	s_and_b32 s7, s3, s4
	s_and_saveexec_b32 s4, s7
	s_cbranch_execz .LBB114_301
.LBB114_297:
	v_cmp_ne_u32_e32 vcc_lo, 1, v168
	s_cbranch_vccnz .LBB114_299
; %bb.298:
	v_lshlrev_b64 v[70:71], 3, v[166:167]
	v_add_co_u32 v68, vcc_lo, v68, v70
	v_add_co_ci_u32_e64 v69, null, v69, v71, vcc_lo
	flat_load_dwordx2 v[68:69], v[68:69]
	s_waitcnt vmcnt(0) lgkmcnt(0)
	v_mul_f64 v[68:69], s[12:13], v[68:69]
	v_cvt_f32_f64_e32 v68, v[68:69]
	s_branch .LBB114_300
.LBB114_299:
	v_mov_b32_e32 v68, 0
.LBB114_300:
	s_waitcnt lgkmcnt(7)
	v_add_f64 v[62:63], v[6:7], v[62:63]
	v_add_f64 v[64:65], v[8:9], v[64:65]
	s_waitcnt lgkmcnt(6)
	v_add_f64 v[58:59], v[2:3], v[58:59]
	v_add_f64 v[60:61], v[4:5], v[60:61]
	v_cvt_f32_f64_e32 v62, v[62:63]
	v_cvt_f32_f64_e32 v63, v[64:65]
	;; [unrolled: 1-line block ×4, first 2 shown]
	v_min3_f32 v60, v62, v63, v247
	v_min_f32_e32 v58, v58, v59
	v_min3_f32 v58, v68, v58, v60
	v_lshlrev_b64 v[60:61], 3, v[166:167]
	v_cvt_f64_f32_e32 v[58:59], v58
	v_add_co_u32 v60, vcc_lo, v66, v60
	v_add_co_ci_u32_e64 v61, null, v67, v61, vcc_lo
	flat_store_dwordx2 v[60:61], v[58:59]
.LBB114_301:
	s_or_b32 exec_lo, exec_lo, s4
	s_waitcnt lgkmcnt(7)
	v_add_nc_u32_e32 v62, 0x68, v169
	s_waitcnt lgkmcnt(6)
	v_mad_i64_i32 v[58:59], null, v62, s6, 0
	v_mad_i64_i32 v[60:61], null, v62, s5, 0
	v_cmp_gt_i32_e64 s4, s9, v62
	v_lshlrev_b64 v[58:59], 3, v[58:59]
	s_and_b32 s8, s0, s4
	v_lshlrev_b64 v[62:63], 3, v[60:61]
	v_add_co_u32 v60, vcc_lo, s14, v58
	v_add_co_ci_u32_e64 v61, null, s15, v59, vcc_lo
	v_add_co_u32 v58, vcc_lo, s10, v62
	v_add_co_ci_u32_e64 v59, null, s11, v63, vcc_lo
	s_and_saveexec_b32 s7, s8
	s_cbranch_execnz .LBB114_305
; %bb.302:
	s_or_b32 exec_lo, exec_lo, s7
	s_and_b32 s8, s1, s4
	s_and_saveexec_b32 s7, s8
	s_cbranch_execnz .LBB114_309
.LBB114_303:
	s_or_b32 exec_lo, exec_lo, s7
	s_and_b32 s8, s2, s4
	s_and_saveexec_b32 s7, s8
	s_cbranch_execnz .LBB114_313
.LBB114_304:
	s_or_b32 exec_lo, exec_lo, s7
	s_and_b32 s7, s3, s4
	s_and_saveexec_b32 s4, s7
	s_cbranch_execnz .LBB114_317
	s_branch .LBB114_321
.LBB114_305:
	v_cmp_ne_u32_e32 vcc_lo, 1, v168
	s_cbranch_vccnz .LBB114_307
; %bb.306:
	v_lshlrev_b64 v[62:63], 3, v[0:1]
	v_add_co_u32 v62, vcc_lo, v60, v62
	v_add_co_ci_u32_e64 v63, null, v61, v63, vcc_lo
	flat_load_dwordx2 v[62:63], v[62:63]
	s_waitcnt vmcnt(0) lgkmcnt(0)
	v_mul_f64 v[62:63], s[12:13], v[62:63]
	v_cvt_f32_f64_e32 v62, v[62:63]
	s_branch .LBB114_308
.LBB114_307:
	v_mov_b32_e32 v62, 0
.LBB114_308:
	s_waitcnt lgkmcnt(5)
	v_add_f64 v[63:64], v[38:39], v[54:55]
	v_add_f64 v[65:66], v[40:41], v[56:57]
	s_waitcnt lgkmcnt(4)
	v_add_f64 v[67:68], v[34:35], v[50:51]
	v_add_f64 v[69:70], v[36:37], v[52:53]
	v_cvt_f32_f64_e32 v63, v[63:64]
	v_cvt_f32_f64_e32 v64, v[65:66]
	;; [unrolled: 1-line block ×4, first 2 shown]
	v_min3_f32 v63, v63, v64, v193
	v_min_f32_e32 v64, v65, v66
	v_min3_f32 v62, v62, v64, v63
	v_lshlrev_b64 v[64:65], 3, v[0:1]
	v_cvt_f64_f32_e32 v[62:63], v62
	v_add_co_u32 v64, vcc_lo, v58, v64
	v_add_co_ci_u32_e64 v65, null, v59, v65, vcc_lo
	flat_store_dwordx2 v[64:65], v[62:63]
	s_or_b32 exec_lo, exec_lo, s7
	s_and_b32 s8, s1, s4
	s_and_saveexec_b32 s7, s8
	s_cbranch_execz .LBB114_303
.LBB114_309:
	v_cmp_ne_u32_e32 vcc_lo, 1, v168
	s_cbranch_vccnz .LBB114_311
; %bb.310:
	v_lshlrev_b64 v[62:63], 3, v[162:163]
	v_add_co_u32 v62, vcc_lo, v60, v62
	v_add_co_ci_u32_e64 v63, null, v61, v63, vcc_lo
	flat_load_dwordx2 v[62:63], v[62:63]
	s_waitcnt vmcnt(0) lgkmcnt(0)
	v_mul_f64 v[62:63], s[12:13], v[62:63]
	v_cvt_f32_f64_e32 v62, v[62:63]
	s_branch .LBB114_312
.LBB114_311:
	v_mov_b32_e32 v62, 0
.LBB114_312:
	s_waitcnt lgkmcnt(5)
	v_add_f64 v[63:64], v[26:27], v[54:55]
	v_add_f64 v[65:66], v[28:29], v[56:57]
	s_waitcnt lgkmcnt(4)
	v_add_f64 v[67:68], v[30:31], v[50:51]
	v_add_f64 v[69:70], v[32:33], v[52:53]
	v_cvt_f32_f64_e32 v63, v[63:64]
	v_cvt_f32_f64_e32 v64, v[65:66]
	;; [unrolled: 1-line block ×4, first 2 shown]
	v_min3_f32 v63, v63, v64, v192
	v_min_f32_e32 v64, v65, v66
	v_min3_f32 v62, v62, v64, v63
	v_lshlrev_b64 v[64:65], 3, v[162:163]
	v_cvt_f64_f32_e32 v[62:63], v62
	v_add_co_u32 v64, vcc_lo, v58, v64
	v_add_co_ci_u32_e64 v65, null, v59, v65, vcc_lo
	flat_store_dwordx2 v[64:65], v[62:63]
	s_or_b32 exec_lo, exec_lo, s7
	s_and_b32 s8, s2, s4
	s_and_saveexec_b32 s7, s8
	s_cbranch_execz .LBB114_304
.LBB114_313:
	v_cmp_ne_u32_e32 vcc_lo, 1, v168
	s_cbranch_vccnz .LBB114_315
; %bb.314:
	v_lshlrev_b64 v[62:63], 3, v[164:165]
	v_add_co_u32 v62, vcc_lo, v60, v62
	v_add_co_ci_u32_e64 v63, null, v61, v63, vcc_lo
	flat_load_dwordx2 v[62:63], v[62:63]
	s_waitcnt vmcnt(0) lgkmcnt(0)
	v_mul_f64 v[62:63], s[12:13], v[62:63]
	v_cvt_f32_f64_e32 v62, v[62:63]
	s_branch .LBB114_316
.LBB114_315:
	v_mov_b32_e32 v62, 0
.LBB114_316:
	s_waitcnt lgkmcnt(5)
	v_add_f64 v[63:64], v[22:23], v[54:55]
	v_add_f64 v[65:66], v[24:25], v[56:57]
	s_waitcnt lgkmcnt(4)
	v_add_f64 v[67:68], v[18:19], v[50:51]
	v_add_f64 v[69:70], v[20:21], v[52:53]
	v_cvt_f32_f64_e32 v63, v[63:64]
	v_cvt_f32_f64_e32 v64, v[65:66]
	;; [unrolled: 1-line block ×4, first 2 shown]
	v_min3_f32 v63, v63, v64, v191
	v_min_f32_e32 v64, v65, v66
	v_min3_f32 v62, v62, v64, v63
	v_lshlrev_b64 v[64:65], 3, v[164:165]
	v_cvt_f64_f32_e32 v[62:63], v62
	v_add_co_u32 v64, vcc_lo, v58, v64
	v_add_co_ci_u32_e64 v65, null, v59, v65, vcc_lo
	flat_store_dwordx2 v[64:65], v[62:63]
	s_or_b32 exec_lo, exec_lo, s7
	s_and_b32 s7, s3, s4
	s_and_saveexec_b32 s4, s7
	s_cbranch_execz .LBB114_321
.LBB114_317:
	v_cmp_ne_u32_e32 vcc_lo, 1, v168
	s_cbranch_vccnz .LBB114_319
; %bb.318:
	v_lshlrev_b64 v[62:63], 3, v[166:167]
	v_add_co_u32 v60, vcc_lo, v60, v62
	v_add_co_ci_u32_e64 v61, null, v61, v63, vcc_lo
	flat_load_dwordx2 v[60:61], v[60:61]
	s_waitcnt vmcnt(0) lgkmcnt(0)
	v_mul_f64 v[60:61], s[12:13], v[60:61]
	v_cvt_f32_f64_e32 v60, v[60:61]
	s_branch .LBB114_320
.LBB114_319:
	v_mov_b32_e32 v60, 0
.LBB114_320:
	s_waitcnt lgkmcnt(5)
	v_add_f64 v[54:55], v[6:7], v[54:55]
	v_add_f64 v[56:57], v[8:9], v[56:57]
	s_waitcnt lgkmcnt(4)
	v_add_f64 v[50:51], v[2:3], v[50:51]
	v_add_f64 v[52:53], v[4:5], v[52:53]
	v_cvt_f32_f64_e32 v54, v[54:55]
	v_cvt_f32_f64_e32 v55, v[56:57]
	;; [unrolled: 1-line block ×4, first 2 shown]
	v_min3_f32 v52, v54, v55, v190
	v_min_f32_e32 v50, v50, v51
	v_min3_f32 v50, v60, v50, v52
	v_lshlrev_b64 v[52:53], 3, v[166:167]
	v_cvt_f64_f32_e32 v[50:51], v50
	v_add_co_u32 v52, vcc_lo, v58, v52
	v_add_co_ci_u32_e64 v53, null, v59, v53, vcc_lo
	flat_store_dwordx2 v[52:53], v[50:51]
.LBB114_321:
	s_or_b32 exec_lo, exec_lo, s4
	s_waitcnt lgkmcnt(5)
	v_add_nc_u32_e32 v54, 0x70, v169
	s_waitcnt lgkmcnt(4)
	v_mad_i64_i32 v[50:51], null, v54, s6, 0
	v_mad_i64_i32 v[52:53], null, v54, s5, 0
	v_cmp_gt_i32_e64 s4, s9, v54
	v_lshlrev_b64 v[50:51], 3, v[50:51]
	s_and_b32 s8, s0, s4
	v_lshlrev_b64 v[54:55], 3, v[52:53]
	v_add_co_u32 v52, vcc_lo, s14, v50
	v_add_co_ci_u32_e64 v53, null, s15, v51, vcc_lo
	v_add_co_u32 v50, vcc_lo, s10, v54
	v_add_co_ci_u32_e64 v51, null, s11, v55, vcc_lo
	s_and_saveexec_b32 s7, s8
	s_cbranch_execnz .LBB114_325
; %bb.322:
	s_or_b32 exec_lo, exec_lo, s7
	s_and_b32 s8, s1, s4
	s_and_saveexec_b32 s7, s8
	s_cbranch_execnz .LBB114_329
.LBB114_323:
	s_or_b32 exec_lo, exec_lo, s7
	s_and_b32 s8, s2, s4
	s_and_saveexec_b32 s7, s8
	s_cbranch_execnz .LBB114_333
.LBB114_324:
	s_or_b32 exec_lo, exec_lo, s7
	s_and_b32 s7, s3, s4
	s_and_saveexec_b32 s4, s7
	s_cbranch_execnz .LBB114_337
	s_branch .LBB114_341
.LBB114_325:
	v_cmp_ne_u32_e32 vcc_lo, 1, v168
	s_cbranch_vccnz .LBB114_327
; %bb.326:
	v_lshlrev_b64 v[54:55], 3, v[0:1]
	v_add_co_u32 v54, vcc_lo, v52, v54
	v_add_co_ci_u32_e64 v55, null, v53, v55, vcc_lo
	flat_load_dwordx2 v[54:55], v[54:55]
	s_waitcnt vmcnt(0) lgkmcnt(0)
	v_mul_f64 v[54:55], s[12:13], v[54:55]
	v_cvt_f32_f64_e32 v54, v[54:55]
	s_branch .LBB114_328
.LBB114_327:
	v_mov_b32_e32 v54, 0
.LBB114_328:
	s_waitcnt lgkmcnt(3)
	v_add_f64 v[55:56], v[38:39], v[46:47]
	v_add_f64 v[57:58], v[40:41], v[48:49]
	s_waitcnt lgkmcnt(2)
	v_add_f64 v[59:60], v[34:35], v[42:43]
	v_add_f64 v[61:62], v[36:37], v[44:45]
	v_cvt_f32_f64_e32 v55, v[55:56]
	v_cvt_f32_f64_e32 v56, v[57:58]
	;; [unrolled: 1-line block ×4, first 2 shown]
	v_min3_f32 v55, v55, v56, v189
	v_min_f32_e32 v56, v57, v58
	v_min3_f32 v54, v54, v56, v55
	v_lshlrev_b64 v[56:57], 3, v[0:1]
	v_cvt_f64_f32_e32 v[54:55], v54
	v_add_co_u32 v56, vcc_lo, v50, v56
	v_add_co_ci_u32_e64 v57, null, v51, v57, vcc_lo
	flat_store_dwordx2 v[56:57], v[54:55]
	s_or_b32 exec_lo, exec_lo, s7
	s_and_b32 s8, s1, s4
	s_and_saveexec_b32 s7, s8
	s_cbranch_execz .LBB114_323
.LBB114_329:
	v_cmp_ne_u32_e32 vcc_lo, 1, v168
	s_cbranch_vccnz .LBB114_331
; %bb.330:
	v_lshlrev_b64 v[54:55], 3, v[162:163]
	v_add_co_u32 v54, vcc_lo, v52, v54
	v_add_co_ci_u32_e64 v55, null, v53, v55, vcc_lo
	flat_load_dwordx2 v[54:55], v[54:55]
	s_waitcnt vmcnt(0) lgkmcnt(0)
	v_mul_f64 v[54:55], s[12:13], v[54:55]
	v_cvt_f32_f64_e32 v54, v[54:55]
	s_branch .LBB114_332
.LBB114_331:
	v_mov_b32_e32 v54, 0
.LBB114_332:
	s_waitcnt lgkmcnt(3)
	v_add_f64 v[55:56], v[26:27], v[46:47]
	v_add_f64 v[57:58], v[28:29], v[48:49]
	s_waitcnt lgkmcnt(2)
	v_add_f64 v[59:60], v[30:31], v[42:43]
	v_add_f64 v[61:62], v[32:33], v[44:45]
	v_cvt_f32_f64_e32 v55, v[55:56]
	v_cvt_f32_f64_e32 v56, v[57:58]
	;; [unrolled: 1-line block ×4, first 2 shown]
	v_min3_f32 v55, v55, v56, v188
	v_min_f32_e32 v56, v57, v58
	v_min3_f32 v54, v54, v56, v55
	v_lshlrev_b64 v[56:57], 3, v[162:163]
	v_cvt_f64_f32_e32 v[54:55], v54
	v_add_co_u32 v56, vcc_lo, v50, v56
	v_add_co_ci_u32_e64 v57, null, v51, v57, vcc_lo
	flat_store_dwordx2 v[56:57], v[54:55]
	s_or_b32 exec_lo, exec_lo, s7
	s_and_b32 s8, s2, s4
	s_and_saveexec_b32 s7, s8
	s_cbranch_execz .LBB114_324
.LBB114_333:
	v_cmp_ne_u32_e32 vcc_lo, 1, v168
	s_cbranch_vccnz .LBB114_335
; %bb.334:
	v_lshlrev_b64 v[54:55], 3, v[164:165]
	v_add_co_u32 v54, vcc_lo, v52, v54
	v_add_co_ci_u32_e64 v55, null, v53, v55, vcc_lo
	flat_load_dwordx2 v[54:55], v[54:55]
	s_waitcnt vmcnt(0) lgkmcnt(0)
	v_mul_f64 v[54:55], s[12:13], v[54:55]
	v_cvt_f32_f64_e32 v54, v[54:55]
	s_branch .LBB114_336
.LBB114_335:
	v_mov_b32_e32 v54, 0
.LBB114_336:
	s_waitcnt lgkmcnt(3)
	v_add_f64 v[55:56], v[22:23], v[46:47]
	v_add_f64 v[57:58], v[24:25], v[48:49]
	s_waitcnt lgkmcnt(2)
	v_add_f64 v[59:60], v[18:19], v[42:43]
	v_add_f64 v[61:62], v[20:21], v[44:45]
	v_cvt_f32_f64_e32 v55, v[55:56]
	v_cvt_f32_f64_e32 v56, v[57:58]
	;; [unrolled: 1-line block ×4, first 2 shown]
	v_min3_f32 v55, v55, v56, v187
	v_min_f32_e32 v56, v57, v58
	v_min3_f32 v54, v54, v56, v55
	v_lshlrev_b64 v[56:57], 3, v[164:165]
	v_cvt_f64_f32_e32 v[54:55], v54
	v_add_co_u32 v56, vcc_lo, v50, v56
	v_add_co_ci_u32_e64 v57, null, v51, v57, vcc_lo
	flat_store_dwordx2 v[56:57], v[54:55]
	s_or_b32 exec_lo, exec_lo, s7
	s_and_b32 s7, s3, s4
	s_and_saveexec_b32 s4, s7
	s_cbranch_execz .LBB114_341
.LBB114_337:
	v_cmp_ne_u32_e32 vcc_lo, 1, v168
	s_cbranch_vccnz .LBB114_339
; %bb.338:
	v_lshlrev_b64 v[54:55], 3, v[166:167]
	v_add_co_u32 v52, vcc_lo, v52, v54
	v_add_co_ci_u32_e64 v53, null, v53, v55, vcc_lo
	flat_load_dwordx2 v[52:53], v[52:53]
	s_waitcnt vmcnt(0) lgkmcnt(0)
	v_mul_f64 v[52:53], s[12:13], v[52:53]
	v_cvt_f32_f64_e32 v52, v[52:53]
	s_branch .LBB114_340
.LBB114_339:
	v_mov_b32_e32 v52, 0
.LBB114_340:
	s_waitcnt lgkmcnt(3)
	v_add_f64 v[46:47], v[6:7], v[46:47]
	v_add_f64 v[48:49], v[8:9], v[48:49]
	s_waitcnt lgkmcnt(2)
	v_add_f64 v[42:43], v[2:3], v[42:43]
	v_add_f64 v[44:45], v[4:5], v[44:45]
	v_cvt_f32_f64_e32 v46, v[46:47]
	v_cvt_f32_f64_e32 v47, v[48:49]
	;; [unrolled: 1-line block ×4, first 2 shown]
	v_min3_f32 v44, v46, v47, v186
	v_min_f32_e32 v42, v42, v43
	v_min3_f32 v42, v52, v42, v44
	v_lshlrev_b64 v[44:45], 3, v[166:167]
	v_cvt_f64_f32_e32 v[42:43], v42
	v_add_co_u32 v44, vcc_lo, v50, v44
	v_add_co_ci_u32_e64 v45, null, v51, v45, vcc_lo
	flat_store_dwordx2 v[44:45], v[42:43]
.LBB114_341:
	s_or_b32 exec_lo, exec_lo, s4
	s_waitcnt lgkmcnt(3)
	v_add_nc_u32_e32 v46, 0x78, v169
	s_waitcnt lgkmcnt(2)
	v_mad_i64_i32 v[42:43], null, v46, s6, 0
	v_mad_i64_i32 v[44:45], null, v46, s5, 0
	v_cmp_gt_i32_e64 s4, s9, v46
	v_lshlrev_b64 v[42:43], 3, v[42:43]
	s_and_b32 s5, s0, s4
	v_lshlrev_b64 v[46:47], 3, v[44:45]
	v_add_co_u32 v44, vcc_lo, s14, v42
	v_add_co_ci_u32_e64 v45, null, s15, v43, vcc_lo
	v_add_co_u32 v42, vcc_lo, s10, v46
	v_add_co_ci_u32_e64 v43, null, s11, v47, vcc_lo
	s_and_saveexec_b32 s0, s5
	s_cbranch_execnz .LBB114_346
; %bb.342:
	s_or_b32 exec_lo, exec_lo, s0
	s_and_b32 s1, s1, s4
	s_and_saveexec_b32 s0, s1
	s_cbranch_execnz .LBB114_350
.LBB114_343:
	s_or_b32 exec_lo, exec_lo, s0
	s_and_b32 s1, s2, s4
	s_and_saveexec_b32 s0, s1
	s_cbranch_execnz .LBB114_354
.LBB114_344:
	s_or_b32 exec_lo, exec_lo, s0
	s_and_b32 s0, s3, s4
	s_and_saveexec_b32 s1, s0
	s_cbranch_execnz .LBB114_358
.LBB114_345:
	s_endpgm
.LBB114_346:
	v_cmp_ne_u32_e32 vcc_lo, 1, v168
	v_lshlrev_b64 v[0:1], 3, v[0:1]
	s_cbranch_vccnz .LBB114_348
; %bb.347:
	v_add_co_u32 v46, vcc_lo, v44, v0
	v_add_co_ci_u32_e64 v47, null, v45, v1, vcc_lo
	flat_load_dwordx2 v[46:47], v[46:47]
	s_waitcnt vmcnt(0) lgkmcnt(0)
	v_mul_f64 v[46:47], s[12:13], v[46:47]
	v_cvt_f32_f64_e32 v46, v[46:47]
	s_branch .LBB114_349
.LBB114_348:
	v_mov_b32_e32 v46, 0
.LBB114_349:
	s_waitcnt lgkmcnt(1)
	v_add_f64 v[38:39], v[38:39], v[14:15]
	v_add_f64 v[40:41], v[40:41], v[16:17]
	s_waitcnt lgkmcnt(0)
	v_add_f64 v[34:35], v[34:35], v[10:11]
	v_add_f64 v[36:37], v[36:37], v[12:13]
	v_add_co_u32 v0, vcc_lo, v42, v0
	v_add_co_ci_u32_e64 v1, null, v43, v1, vcc_lo
	v_cvt_f32_f64_e32 v38, v[38:39]
	v_cvt_f32_f64_e32 v39, v[40:41]
	;; [unrolled: 1-line block ×4, first 2 shown]
	v_min3_f32 v36, v38, v39, v185
	v_min_f32_e32 v34, v34, v35
	v_min3_f32 v34, v46, v34, v36
	v_cvt_f64_f32_e32 v[34:35], v34
	flat_store_dwordx2 v[0:1], v[34:35]
	s_or_b32 exec_lo, exec_lo, s0
	s_and_b32 s1, s1, s4
	s_and_saveexec_b32 s0, s1
	s_cbranch_execz .LBB114_343
.LBB114_350:
	v_cmp_ne_u32_e32 vcc_lo, 1, v168
	v_lshlrev_b64 v[0:1], 3, v[162:163]
	s_cbranch_vccnz .LBB114_352
; %bb.351:
	v_add_co_u32 v34, vcc_lo, v44, v0
	v_add_co_ci_u32_e64 v35, null, v45, v1, vcc_lo
	flat_load_dwordx2 v[34:35], v[34:35]
	s_waitcnt vmcnt(0) lgkmcnt(0)
	v_mul_f64 v[34:35], s[12:13], v[34:35]
	v_cvt_f32_f64_e32 v34, v[34:35]
	s_branch .LBB114_353
.LBB114_352:
	v_mov_b32_e32 v34, 0
.LBB114_353:
	s_waitcnt lgkmcnt(1)
	v_add_f64 v[26:27], v[26:27], v[14:15]
	v_add_f64 v[28:29], v[28:29], v[16:17]
	s_waitcnt lgkmcnt(0)
	v_add_f64 v[30:31], v[30:31], v[10:11]
	v_add_f64 v[32:33], v[32:33], v[12:13]
	v_add_co_u32 v0, vcc_lo, v42, v0
	v_add_co_ci_u32_e64 v1, null, v43, v1, vcc_lo
	v_cvt_f32_f64_e32 v26, v[26:27]
	v_cvt_f32_f64_e32 v27, v[28:29]
	;; [unrolled: 1-line block ×4, first 2 shown]
	v_min3_f32 v26, v26, v27, v184
	v_min_f32_e32 v27, v28, v29
	v_min3_f32 v26, v34, v27, v26
	v_cvt_f64_f32_e32 v[26:27], v26
	flat_store_dwordx2 v[0:1], v[26:27]
	s_or_b32 exec_lo, exec_lo, s0
	s_and_b32 s1, s2, s4
	s_and_saveexec_b32 s0, s1
	s_cbranch_execz .LBB114_344
.LBB114_354:
	v_cmp_ne_u32_e32 vcc_lo, 1, v168
	v_lshlrev_b64 v[0:1], 3, v[164:165]
	s_cbranch_vccnz .LBB114_356
; %bb.355:
	v_add_co_u32 v26, vcc_lo, v44, v0
	v_add_co_ci_u32_e64 v27, null, v45, v1, vcc_lo
	flat_load_dwordx2 v[26:27], v[26:27]
	s_waitcnt vmcnt(0) lgkmcnt(0)
	v_mul_f64 v[26:27], s[12:13], v[26:27]
	v_cvt_f32_f64_e32 v26, v[26:27]
	s_branch .LBB114_357
.LBB114_356:
	v_mov_b32_e32 v26, 0
.LBB114_357:
	s_waitcnt lgkmcnt(1)
	v_add_f64 v[22:23], v[22:23], v[14:15]
	v_add_f64 v[24:25], v[24:25], v[16:17]
	s_waitcnt lgkmcnt(0)
	v_add_f64 v[18:19], v[18:19], v[10:11]
	v_add_f64 v[20:21], v[20:21], v[12:13]
	v_add_co_u32 v0, vcc_lo, v42, v0
	v_add_co_ci_u32_e64 v1, null, v43, v1, vcc_lo
	v_cvt_f32_f64_e32 v22, v[22:23]
	v_cvt_f32_f64_e32 v23, v[24:25]
	;; [unrolled: 1-line block ×4, first 2 shown]
	v_min3_f32 v20, v22, v23, v183
	v_min_f32_e32 v18, v18, v19
	v_min3_f32 v18, v26, v18, v20
	v_cvt_f64_f32_e32 v[18:19], v18
	flat_store_dwordx2 v[0:1], v[18:19]
	s_or_b32 exec_lo, exec_lo, s0
	s_and_b32 s0, s3, s4
	s_and_saveexec_b32 s1, s0
	s_cbranch_execz .LBB114_345
.LBB114_358:
	v_cmp_ne_u32_e32 vcc_lo, 1, v168
	v_lshlrev_b64 v[0:1], 3, v[166:167]
	s_cbranch_vccnz .LBB114_360
; %bb.359:
	v_add_co_u32 v18, vcc_lo, v44, v0
	v_add_co_ci_u32_e64 v19, null, v45, v1, vcc_lo
	flat_load_dwordx2 v[18:19], v[18:19]
	s_waitcnt vmcnt(0) lgkmcnt(0)
	v_mul_f64 v[18:19], s[12:13], v[18:19]
	v_cvt_f32_f64_e32 v18, v[18:19]
	s_branch .LBB114_361
.LBB114_360:
	v_mov_b32_e32 v18, 0
.LBB114_361:
	s_waitcnt lgkmcnt(1)
	v_add_f64 v[6:7], v[6:7], v[14:15]
	v_add_f64 v[8:9], v[8:9], v[16:17]
	s_waitcnt lgkmcnt(0)
	v_add_f64 v[2:3], v[2:3], v[10:11]
	v_add_f64 v[4:5], v[4:5], v[12:13]
	v_add_co_u32 v0, vcc_lo, v42, v0
	v_add_co_ci_u32_e64 v1, null, v43, v1, vcc_lo
	v_cvt_f32_f64_e32 v6, v[6:7]
	v_cvt_f32_f64_e32 v7, v[8:9]
	;; [unrolled: 1-line block ×4, first 2 shown]
	v_min3_f32 v4, v6, v7, v182
	v_min_f32_e32 v2, v2, v3
	v_min3_f32 v2, v18, v2, v4
	v_cvt_f64_f32_e32 v[2:3], v2
	flat_store_dwordx2 v[0:1], v[2:3]
	s_endpgm
	.section	.rodata,"a",@progbits
	.p2align	6, 0x0
	.amdhsa_kernel _ZN12_GLOBAL__N_120geam_min_plus_kernelId15HIP_vector_typeIdLj2EEdLi32ELi8ELi128ELi128ELi4ELi4ELi64ELi4ELi64ELc84ELc78ELb0ELb1ELb1EPKdKS4_KPdEEviiiT16_PT17_ilSA_ilS8_SA_ilPT18_ili26rocblas_geam_ex_operation_
		.amdhsa_group_segment_fixed_size 16384
		.amdhsa_private_segment_fixed_size 120
		.amdhsa_kernarg_size 136
		.amdhsa_user_sgpr_count 6
		.amdhsa_user_sgpr_private_segment_buffer 1
		.amdhsa_user_sgpr_dispatch_ptr 0
		.amdhsa_user_sgpr_queue_ptr 0
		.amdhsa_user_sgpr_kernarg_segment_ptr 1
		.amdhsa_user_sgpr_dispatch_id 0
		.amdhsa_user_sgpr_flat_scratch_init 0
		.amdhsa_user_sgpr_private_segment_size 0
		.amdhsa_wavefront_size32 1
		.amdhsa_uses_dynamic_stack 0
		.amdhsa_system_sgpr_private_segment_wavefront_offset 1
		.amdhsa_system_sgpr_workgroup_id_x 1
		.amdhsa_system_sgpr_workgroup_id_y 0
		.amdhsa_system_sgpr_workgroup_id_z 1
		.amdhsa_system_sgpr_workgroup_info 0
		.amdhsa_system_vgpr_workitem_id 1
		.amdhsa_next_free_vgpr 256
		.amdhsa_next_free_sgpr 40
		.amdhsa_reserve_vcc 1
		.amdhsa_reserve_flat_scratch 0
		.amdhsa_float_round_mode_32 0
		.amdhsa_float_round_mode_16_64 0
		.amdhsa_float_denorm_mode_32 3
		.amdhsa_float_denorm_mode_16_64 3
		.amdhsa_dx10_clamp 1
		.amdhsa_ieee_mode 1
		.amdhsa_fp16_overflow 0
		.amdhsa_workgroup_processor_mode 1
		.amdhsa_memory_ordered 1
		.amdhsa_forward_progress 1
		.amdhsa_shared_vgpr_count 0
		.amdhsa_exception_fp_ieee_invalid_op 0
		.amdhsa_exception_fp_denorm_src 0
		.amdhsa_exception_fp_ieee_div_zero 0
		.amdhsa_exception_fp_ieee_overflow 0
		.amdhsa_exception_fp_ieee_underflow 0
		.amdhsa_exception_fp_ieee_inexact 0
		.amdhsa_exception_int_div_zero 0
	.end_amdhsa_kernel
	.section	.text._ZN12_GLOBAL__N_120geam_min_plus_kernelId15HIP_vector_typeIdLj2EEdLi32ELi8ELi128ELi128ELi4ELi4ELi64ELi4ELi64ELc84ELc78ELb0ELb1ELb1EPKdKS4_KPdEEviiiT16_PT17_ilSA_ilS8_SA_ilPT18_ili26rocblas_geam_ex_operation_,"axG",@progbits,_ZN12_GLOBAL__N_120geam_min_plus_kernelId15HIP_vector_typeIdLj2EEdLi32ELi8ELi128ELi128ELi4ELi4ELi64ELi4ELi64ELc84ELc78ELb0ELb1ELb1EPKdKS4_KPdEEviiiT16_PT17_ilSA_ilS8_SA_ilPT18_ili26rocblas_geam_ex_operation_,comdat
.Lfunc_end114:
	.size	_ZN12_GLOBAL__N_120geam_min_plus_kernelId15HIP_vector_typeIdLj2EEdLi32ELi8ELi128ELi128ELi4ELi4ELi64ELi4ELi64ELc84ELc78ELb0ELb1ELb1EPKdKS4_KPdEEviiiT16_PT17_ilSA_ilS8_SA_ilPT18_ili26rocblas_geam_ex_operation_, .Lfunc_end114-_ZN12_GLOBAL__N_120geam_min_plus_kernelId15HIP_vector_typeIdLj2EEdLi32ELi8ELi128ELi128ELi4ELi4ELi64ELi4ELi64ELc84ELc78ELb0ELb1ELb1EPKdKS4_KPdEEviiiT16_PT17_ilSA_ilS8_SA_ilPT18_ili26rocblas_geam_ex_operation_
                                        ; -- End function
	.set _ZN12_GLOBAL__N_120geam_min_plus_kernelId15HIP_vector_typeIdLj2EEdLi32ELi8ELi128ELi128ELi4ELi4ELi64ELi4ELi64ELc84ELc78ELb0ELb1ELb1EPKdKS4_KPdEEviiiT16_PT17_ilSA_ilS8_SA_ilPT18_ili26rocblas_geam_ex_operation_.num_vgpr, 256
	.set _ZN12_GLOBAL__N_120geam_min_plus_kernelId15HIP_vector_typeIdLj2EEdLi32ELi8ELi128ELi128ELi4ELi4ELi64ELi4ELi64ELc84ELc78ELb0ELb1ELb1EPKdKS4_KPdEEviiiT16_PT17_ilSA_ilS8_SA_ilPT18_ili26rocblas_geam_ex_operation_.num_agpr, 0
	.set _ZN12_GLOBAL__N_120geam_min_plus_kernelId15HIP_vector_typeIdLj2EEdLi32ELi8ELi128ELi128ELi4ELi4ELi64ELi4ELi64ELc84ELc78ELb0ELb1ELb1EPKdKS4_KPdEEviiiT16_PT17_ilSA_ilS8_SA_ilPT18_ili26rocblas_geam_ex_operation_.numbered_sgpr, 40
	.set _ZN12_GLOBAL__N_120geam_min_plus_kernelId15HIP_vector_typeIdLj2EEdLi32ELi8ELi128ELi128ELi4ELi4ELi64ELi4ELi64ELc84ELc78ELb0ELb1ELb1EPKdKS4_KPdEEviiiT16_PT17_ilSA_ilS8_SA_ilPT18_ili26rocblas_geam_ex_operation_.num_named_barrier, 0
	.set _ZN12_GLOBAL__N_120geam_min_plus_kernelId15HIP_vector_typeIdLj2EEdLi32ELi8ELi128ELi128ELi4ELi4ELi64ELi4ELi64ELc84ELc78ELb0ELb1ELb1EPKdKS4_KPdEEviiiT16_PT17_ilSA_ilS8_SA_ilPT18_ili26rocblas_geam_ex_operation_.private_seg_size, 120
	.set _ZN12_GLOBAL__N_120geam_min_plus_kernelId15HIP_vector_typeIdLj2EEdLi32ELi8ELi128ELi128ELi4ELi4ELi64ELi4ELi64ELc84ELc78ELb0ELb1ELb1EPKdKS4_KPdEEviiiT16_PT17_ilSA_ilS8_SA_ilPT18_ili26rocblas_geam_ex_operation_.uses_vcc, 1
	.set _ZN12_GLOBAL__N_120geam_min_plus_kernelId15HIP_vector_typeIdLj2EEdLi32ELi8ELi128ELi128ELi4ELi4ELi64ELi4ELi64ELc84ELc78ELb0ELb1ELb1EPKdKS4_KPdEEviiiT16_PT17_ilSA_ilS8_SA_ilPT18_ili26rocblas_geam_ex_operation_.uses_flat_scratch, 0
	.set _ZN12_GLOBAL__N_120geam_min_plus_kernelId15HIP_vector_typeIdLj2EEdLi32ELi8ELi128ELi128ELi4ELi4ELi64ELi4ELi64ELc84ELc78ELb0ELb1ELb1EPKdKS4_KPdEEviiiT16_PT17_ilSA_ilS8_SA_ilPT18_ili26rocblas_geam_ex_operation_.has_dyn_sized_stack, 0
	.set _ZN12_GLOBAL__N_120geam_min_plus_kernelId15HIP_vector_typeIdLj2EEdLi32ELi8ELi128ELi128ELi4ELi4ELi64ELi4ELi64ELc84ELc78ELb0ELb1ELb1EPKdKS4_KPdEEviiiT16_PT17_ilSA_ilS8_SA_ilPT18_ili26rocblas_geam_ex_operation_.has_recursion, 0
	.set _ZN12_GLOBAL__N_120geam_min_plus_kernelId15HIP_vector_typeIdLj2EEdLi32ELi8ELi128ELi128ELi4ELi4ELi64ELi4ELi64ELc84ELc78ELb0ELb1ELb1EPKdKS4_KPdEEviiiT16_PT17_ilSA_ilS8_SA_ilPT18_ili26rocblas_geam_ex_operation_.has_indirect_call, 0
	.section	.AMDGPU.csdata,"",@progbits
; Kernel info:
; codeLenInByte = 31840
; TotalNumSgprs: 42
; NumVgprs: 256
; ScratchSize: 120
; MemoryBound: 0
; FloatMode: 240
; IeeeMode: 1
; LDSByteSize: 16384 bytes/workgroup (compile time only)
; SGPRBlocks: 0
; VGPRBlocks: 31
; NumSGPRsForWavesPerEU: 42
; NumVGPRsForWavesPerEU: 256
; Occupancy: 4
; WaveLimiterHint : 1
; COMPUTE_PGM_RSRC2:SCRATCH_EN: 1
; COMPUTE_PGM_RSRC2:USER_SGPR: 6
; COMPUTE_PGM_RSRC2:TRAP_HANDLER: 0
; COMPUTE_PGM_RSRC2:TGID_X_EN: 1
; COMPUTE_PGM_RSRC2:TGID_Y_EN: 0
; COMPUTE_PGM_RSRC2:TGID_Z_EN: 1
; COMPUTE_PGM_RSRC2:TIDIG_COMP_CNT: 1
	.section	.text._ZN12_GLOBAL__N_120geam_min_plus_kernelId15HIP_vector_typeIdLj2EEdLi32ELi8ELi128ELi128ELi4ELi4ELi64ELi4ELi64ELc84ELc78ELb1ELb1ELb1EdKPKdKPdEEviiiT16_PT17_ilSA_ilS8_SA_ilPT18_ili26rocblas_geam_ex_operation_,"axG",@progbits,_ZN12_GLOBAL__N_120geam_min_plus_kernelId15HIP_vector_typeIdLj2EEdLi32ELi8ELi128ELi128ELi4ELi4ELi64ELi4ELi64ELc84ELc78ELb1ELb1ELb1EdKPKdKPdEEviiiT16_PT17_ilSA_ilS8_SA_ilPT18_ili26rocblas_geam_ex_operation_,comdat
	.globl	_ZN12_GLOBAL__N_120geam_min_plus_kernelId15HIP_vector_typeIdLj2EEdLi32ELi8ELi128ELi128ELi4ELi4ELi64ELi4ELi64ELc84ELc78ELb1ELb1ELb1EdKPKdKPdEEviiiT16_PT17_ilSA_ilS8_SA_ilPT18_ili26rocblas_geam_ex_operation_ ; -- Begin function _ZN12_GLOBAL__N_120geam_min_plus_kernelId15HIP_vector_typeIdLj2EEdLi32ELi8ELi128ELi128ELi4ELi4ELi64ELi4ELi64ELc84ELc78ELb1ELb1ELb1EdKPKdKPdEEviiiT16_PT17_ilSA_ilS8_SA_ilPT18_ili26rocblas_geam_ex_operation_
	.p2align	8
	.type	_ZN12_GLOBAL__N_120geam_min_plus_kernelId15HIP_vector_typeIdLj2EEdLi32ELi8ELi128ELi128ELi4ELi4ELi64ELi4ELi64ELc84ELc78ELb1ELb1ELb1EdKPKdKPdEEviiiT16_PT17_ilSA_ilS8_SA_ilPT18_ili26rocblas_geam_ex_operation_,@function
_ZN12_GLOBAL__N_120geam_min_plus_kernelId15HIP_vector_typeIdLj2EEdLi32ELi8ELi128ELi128ELi4ELi4ELi64ELi4ELi64ELc84ELc78ELb1ELb1ELb1EdKPKdKPdEEviiiT16_PT17_ilSA_ilS8_SA_ilPT18_ili26rocblas_geam_ex_operation_: ; @_ZN12_GLOBAL__N_120geam_min_plus_kernelId15HIP_vector_typeIdLj2EEdLi32ELi8ELi128ELi128ELi4ELi4ELi64ELi4ELi64ELc84ELc78ELb1ELb1ELb1EdKPKdKPdEEviiiT16_PT17_ilSA_ilS8_SA_ilPT18_ili26rocblas_geam_ex_operation_
; %bb.0:
	s_mov_b64 s[30:31], s[2:3]
	s_mov_b64 s[28:29], s[0:1]
	s_mov_b32 s22, s7
	s_add_u32 s28, s28, s8
	s_clause 0x1
	s_load_dwordx4 s[8:11], s[4:5], 0x10
	s_load_dwordx4 s[0:3], s[4:5], 0x28
	v_mov_b32_e32 v163, v1
	v_mov_b32_e32 v162, v0
	s_addc_u32 s29, s29, 0
	s_mov_b64 s[18:19], 0
	s_waitcnt lgkmcnt(0)
	v_cmp_eq_f64_e64 s7, s[8:9], 0
	s_and_b32 vcc_lo, exec_lo, s7
	s_cbranch_vccnz .LBB115_2
; %bb.1:
	s_mov_b32 s23, 0
	s_lshl_b64 s[8:9], s[22:23], 3
	s_add_u32 s8, s10, s8
	s_addc_u32 s9, s11, s9
	s_lshl_b64 s[0:1], s[0:1], 3
	s_load_dwordx2 s[8:9], s[8:9], 0x0
	s_waitcnt lgkmcnt(0)
	s_add_u32 s18, s8, s0
	s_addc_u32 s19, s9, s1
.LBB115_2:
	s_clause 0x1
	s_load_dwordx4 s[8:11], s[4:5], 0x40
	s_load_dwordx2 s[12:13], s[4:5], 0x50
	s_andn2_b32 vcc_lo, exec_lo, s7
	s_mov_b32 s23, 0
	s_cbranch_vccnz .LBB115_4
; %bb.3:
	s_mov_b32 s0, s23
	s_mov_b64 s[16:17], 0
	s_andn2_b32 vcc_lo, exec_lo, s0
	s_mov_b64 s[20:21], 0
	s_cbranch_vccz .LBB115_5
	s_branch .LBB115_6
.LBB115_4:
	s_mov_b64 s[16:17], 0
	s_mov_b64 s[20:21], 0
.LBB115_5:
	s_lshl_b64 s[0:1], s[22:23], 3
	s_add_u32 s0, s2, s0
	s_addc_u32 s1, s3, s1
	s_waitcnt lgkmcnt(0)
	s_lshl_b64 s[2:3], s[8:9], 3
	s_load_dwordx2 s[0:1], s[0:1], 0x0
	s_waitcnt lgkmcnt(0)
	s_add_u32 s20, s0, s2
	s_addc_u32 s21, s1, s3
.LBB115_6:
	s_waitcnt lgkmcnt(0)
	v_cmp_eq_f64_e64 s8, s[10:11], 0
	v_cmp_neq_f64_e64 s7, s[10:11], 0
	s_load_dwordx4 s[0:3], s[4:5], 0x60
	s_and_b32 vcc_lo, exec_lo, s8
	s_cbranch_vccnz .LBB115_8
; %bb.7:
	s_lshl_b64 s[8:9], s[22:23], 3
	s_add_u32 s8, s12, s8
	s_addc_u32 s9, s13, s9
	s_waitcnt lgkmcnt(0)
	s_lshl_b64 s[0:1], s[0:1], 3
	s_load_dwordx2 s[8:9], s[8:9], 0x0
	s_waitcnt lgkmcnt(0)
	s_add_u32 s16, s8, s0
	s_addc_u32 s17, s9, s1
.LBB115_8:
	s_load_dwordx4 s[12:15], s[4:5], 0x0
	s_waitcnt lgkmcnt(0)
	s_lshl_b64 s[0:1], s[22:23], 3
	s_load_dword s23, s[4:5], 0x20
	s_add_u32 s8, s2, s0
	s_addc_u32 s9, s3, s1
	v_mov_b32_e32 v3, 0x7fefffff
	v_mov_b32_e32 v2, -1
	v_mov_b32_e32 v5, v3
	v_mov_b32_e32 v4, v2
	s_add_i32 s0, s12, -1
	s_ashr_i32 s1, s0, 31
	s_lshr_b32 s1, s1, 25
	s_add_i32 s0, s0, s1
	s_ashr_i32 s0, s0, 7
	s_add_i32 s1, s0, 1
	s_not_b32 s0, s0
	v_cvt_f32_u32_e32 v0, s1
	v_rcp_iflag_f32_e32 v0, v0
	v_mul_f32_e32 v0, 0x4f7ffffe, v0
	v_cvt_u32_f32_e32 v0, v0
	v_readfirstlane_b32 s2, v0
	v_lshl_add_u32 v0, v163, 5, v162
	s_mul_i32 s0, s0, s2
	v_lshrrev_b32_e32 v10, 2, v0
	s_mul_hi_u32 s0, s2, s0
	v_and_b32_e32 v0, 3, v162
	s_add_i32 s2, s2, s0
	s_mul_hi_u32 s0, s6, s2
	v_lshlrev_b32_e32 v1, 3, v0
	s_mul_i32 s2, s0, s1
	s_add_i32 s3, s0, 1
	s_sub_i32 s2, s6, s2
	buffer_store_dword v0, off, s[28:31], 0 offset:160 ; 4-byte Folded Spill
	s_sub_i32 s15, s2, s1
	s_cmp_ge_u32 s2, s1
	buffer_store_dword v1, off, s[28:31], 0 offset:8 ; 4-byte Folded Spill
	s_cselect_b32 s0, s3, s0
	s_cselect_b32 s2, s15, s2
	s_add_i32 s3, s0, 1
	s_cmp_ge_u32 s2, s1
	s_cselect_b32 s2, s3, s0
	v_cmp_le_i32_e64 s3, s14, v0
	s_mul_i32 s0, s2, s1
	s_sub_i32 s0, s6, s0
	s_lshl_b32 s15, s0, 7
	v_add_co_u32 v11, s0, s18, v1
	v_add_nc_u32_e32 v90, s15, v10
	v_add_co_ci_u32_e64 v12, null, s19, 0, s0
	v_cmp_le_i32_e32 vcc_lo, s12, v90
	s_nor_b32 s0, s3, vcc_lo
	s_and_saveexec_b32 s1, s0
	s_cbranch_execz .LBB115_10
; %bb.9:
	s_waitcnt lgkmcnt(0)
	v_mad_i64_i32 v[4:5], null, v90, s23, 0
	v_lshlrev_b64 v[4:5], 3, v[4:5]
	v_add_co_u32 v4, s0, v11, v4
	v_add_co_ci_u32_e64 v5, null, v12, v5, s0
	flat_load_dwordx2 v[4:5], v[4:5]
.LBB115_10:
	s_or_b32 exec_lo, exec_lo, s1
	v_add_nc_u32_e32 v91, 64, v90
	v_cmp_le_i32_e64 s0, s12, v91
	s_nor_b32 s1, s3, s0
	s_and_saveexec_b32 s6, s1
	s_cbranch_execz .LBB115_12
; %bb.11:
	s_waitcnt lgkmcnt(0)
	v_mad_i64_i32 v[2:3], null, v91, s23, 0
	v_lshlrev_b64 v[2:3], 3, v[2:3]
	v_add_co_u32 v2, s1, v11, v2
	v_add_co_ci_u32_e64 v3, null, v12, v3, s1
	flat_load_dwordx2 v[2:3], v[2:3]
.LBB115_12:
	s_or_b32 exec_lo, exec_lo, s6
	buffer_load_dword v0, off, s[28:31], 0 offset:8 ; 4-byte Folded Reload
	s_load_dword s24, s[4:5], 0x38
	s_lshl_b32 s22, s2, 7
	v_mov_b32_e32 v7, 0x7fefffff
	v_add_nc_u32_e32 v92, s22, v10
	v_mov_b32_e32 v6, -1
	v_mov_b32_e32 v9, v7
	v_cmp_le_i32_e64 s1, s13, v92
	v_mov_b32_e32 v8, v6
	s_waitcnt vmcnt(0)
	v_add_co_u32 v13, s2, s20, v0
	v_add_co_ci_u32_e64 v14, null, s21, 0, s2
	s_nor_b32 s2, s3, s1
	s_and_saveexec_b32 s6, s2
	s_cbranch_execz .LBB115_14
; %bb.13:
	s_waitcnt lgkmcnt(0)
	v_mad_i64_i32 v[8:9], null, v92, s24, 0
	v_lshlrev_b64 v[8:9], 3, v[8:9]
	v_add_co_u32 v8, s2, v13, v8
	v_add_co_ci_u32_e64 v9, null, v14, v9, s2
	flat_load_dwordx2 v[8:9], v[8:9]
.LBB115_14:
	s_or_b32 exec_lo, exec_lo, s6
	v_add_nc_u32_e32 v93, 64, v92
	v_cmp_le_i32_e64 s2, s13, v93
	s_nor_b32 s3, s3, s2
	s_and_saveexec_b32 s6, s3
	s_cbranch_execz .LBB115_16
; %bb.15:
	s_waitcnt lgkmcnt(0)
	v_mad_i64_i32 v[6:7], null, v93, s24, 0
	v_lshlrev_b64 v[6:7], 3, v[6:7]
	v_add_co_u32 v6, s3, v13, v6
	v_add_co_ci_u32_e64 v7, null, v14, v7, s3
	flat_load_dwordx2 v[6:7], v[6:7]
.LBB115_16:
	s_or_b32 exec_lo, exec_lo, s6
	v_and_b32_e32 v0, 3, v162
	v_mov_b32_e32 v87, 0x7fefffff
	v_mov_b32_e32 v86, -1
	v_or_b32_e32 v0, 4, v0
	v_mov_b32_e32 v89, v87
	v_mov_b32_e32 v88, v86
	v_cmp_le_i32_e64 s3, s14, v0
	s_nor_b32 s6, s3, vcc_lo
	s_and_saveexec_b32 s25, s6
	s_cbranch_execz .LBB115_18
; %bb.17:
	s_waitcnt lgkmcnt(0)
	v_mad_i64_i32 v[15:16], null, v90, s23, 0
	v_lshlrev_b64 v[15:16], 3, v[15:16]
	v_add_co_u32 v15, s6, v11, v15
	v_add_co_ci_u32_e64 v16, null, v12, v16, s6
	flat_load_dwordx2 v[88:89], v[15:16] offset:32
.LBB115_18:
	s_or_b32 exec_lo, exec_lo, s25
	s_nor_b32 s6, s3, s0
	s_and_saveexec_b32 s25, s6
	s_cbranch_execz .LBB115_20
; %bb.19:
	s_waitcnt lgkmcnt(0)
	v_mad_i64_i32 v[15:16], null, v91, s23, 0
	v_lshlrev_b64 v[15:16], 3, v[15:16]
	v_add_co_u32 v11, s6, v11, v15
	v_add_co_ci_u32_e64 v12, null, v12, v16, s6
	flat_load_dwordx2 v[86:87], v[11:12] offset:32
.LBB115_20:
	s_or_b32 exec_lo, exec_lo, s25
	v_mov_b32_e32 v83, 0x7fefffff
	v_mov_b32_e32 v82, -1
	s_nor_b32 s6, s3, s1
	v_mov_b32_e32 v85, v83
	v_mov_b32_e32 v84, v82
	s_and_saveexec_b32 s25, s6
	s_cbranch_execz .LBB115_22
; %bb.21:
	s_waitcnt lgkmcnt(0)
	v_mad_i64_i32 v[11:12], null, v92, s24, 0
	v_lshlrev_b64 v[11:12], 3, v[11:12]
	v_add_co_u32 v11, s6, v13, v11
	v_add_co_ci_u32_e64 v12, null, v14, v12, s6
	flat_load_dwordx2 v[84:85], v[11:12] offset:32
.LBB115_22:
	s_or_b32 exec_lo, exec_lo, s25
	s_nor_b32 s3, s3, s2
	s_and_saveexec_b32 s6, s3
	s_cbranch_execz .LBB115_24
; %bb.23:
	s_waitcnt lgkmcnt(0)
	v_mad_i64_i32 v[11:12], null, v93, s24, 0
	v_lshlrev_b64 v[11:12], 3, v[11:12]
	v_add_co_u32 v11, s3, v13, v11
	v_add_co_ci_u32_e64 v12, null, v14, v12, s3
	flat_load_dwordx2 v[82:83], v[11:12] offset:32
.LBB115_24:
	s_or_b32 exec_lo, exec_lo, s6
	v_lshlrev_b32_e32 v0, 5, v10
	v_and_b32_e32 v1, 3, v162
	v_lshlrev_b32_e32 v158, 5, v162
	v_lshlrev_b32_e32 v164, 5, v163
	s_load_dwordx2 s[8:9], s[8:9], 0x0
	s_cmp_lt_i32 s14, 9
	v_lshl_or_b32 v168, v1, 3, v0
	s_waitcnt lgkmcnt(0)
	ds_write2st64_b64 v168, v[4:5], v[2:3] offset1:4
	s_waitcnt vmcnt(0)
	ds_write2st64_b64 v168, v[8:9], v[6:7] offset0:16 offset1:20
	s_waitcnt lgkmcnt(0)
	s_waitcnt_vscnt null, 0x0
	s_barrier
	buffer_gl0_inv
	ds_read_b128 v[6:9], v158 offset:1024
	ds_read_b128 v[10:13], v158 offset:2048
	;; [unrolled: 1-line block ×18, first 2 shown]
	ds_read_b128 v[94:97], v158
	ds_read_b128 v[2:5], v158 offset:16
	ds_read_b128 v[98:101], v164 offset:8192
	;; [unrolled: 1-line block ×3, first 2 shown]
	s_waitcnt lgkmcnt(1)
	v_add_f64 v[102:103], v[96:97], v[100:101]
	v_add_f64 v[104:105], v[94:95], v[98:99]
	s_waitcnt lgkmcnt(0)
	v_add_f64 v[160:161], v[2:3], v[18:19]
	v_cvt_f32_f64_e32 v1, v[102:103]
	v_cvt_f32_f64_e32 v0, v[104:105]
	v_add_f64 v[102:103], v[8:9], v[100:101]
	v_add_f64 v[104:105], v[6:7], v[98:99]
	v_min3_f32 v157, v0, v1, 0x7f800000
	v_cvt_f32_f64_e32 v1, v[102:103]
	v_cvt_f32_f64_e32 v0, v[104:105]
	v_add_f64 v[102:103], v[12:13], v[100:101]
	v_add_f64 v[104:105], v[10:11], v[98:99]
	;; [unrolled: 1-line block ×4, first 2 shown]
	v_min3_f32 v156, v0, v1, 0x7f800000
	v_cvt_f32_f64_e32 v1, v[102:103]
	v_cvt_f32_f64_e32 v0, v[104:105]
	v_min3_f32 v155, v0, v1, 0x7f800000
	v_cvt_f32_f64_e32 v0, v[98:99]
	v_cvt_f32_f64_e32 v1, v[100:101]
	v_add_f64 v[98:99], v[96:97], v[24:25]
	v_add_f64 v[100:101], v[94:95], v[22:23]
	v_min3_f32 v154, v0, v1, 0x7f800000
	v_cvt_f32_f64_e32 v1, v[98:99]
	v_cvt_f32_f64_e32 v0, v[100:101]
	v_add_f64 v[98:99], v[8:9], v[24:25]
	v_add_f64 v[100:101], v[6:7], v[22:23]
	;; [unrolled: 5-line block ×3, first 2 shown]
	v_add_f64 v[24:25], v[16:17], v[24:25]
	v_add_f64 v[22:23], v[14:15], v[22:23]
	v_min3_f32 v152, v0, v1, 0x7f800000
	v_cvt_f32_f64_e32 v1, v[98:99]
	v_cvt_f32_f64_e32 v0, v[100:101]
	v_min3_f32 v151, v0, v1, 0x7f800000
	v_cvt_f32_f64_e32 v0, v[22:23]
	v_cvt_f32_f64_e32 v1, v[24:25]
	v_add_f64 v[22:23], v[96:97], v[28:29]
	v_add_f64 v[24:25], v[94:95], v[26:27]
	v_min3_f32 v150, v0, v1, 0x7f800000
	v_cvt_f32_f64_e32 v1, v[22:23]
	v_cvt_f32_f64_e32 v0, v[24:25]
	v_add_f64 v[22:23], v[8:9], v[28:29]
	v_add_f64 v[24:25], v[6:7], v[26:27]
	;; [unrolled: 5-line block ×50, first 2 shown]
	v_add_f64 v[8:9], v[8:9], v[80:81]
	v_add_f64 v[6:7], v[6:7], v[78:79]
	v_min3_f32 v101, v0, v1, 0x7f800000
	v_cvt_f32_f64_e32 v1, v[22:23]
	v_cvt_f32_f64_e32 v0, v[24:25]
	v_add_f64 v[22:23], v[12:13], v[76:77]
	v_add_f64 v[24:25], v[10:11], v[74:75]
	v_min3_f32 v100, v0, v1, 0x7f800000
	v_cvt_f32_f64_e32 v1, v[22:23]
	v_cvt_f32_f64_e32 v0, v[24:25]
	v_add_f64 v[22:23], v[16:17], v[76:77]
	v_add_f64 v[24:25], v[14:15], v[74:75]
	v_min3_f32 v99, v0, v1, 0x7f800000
	v_cvt_f32_f64_e32 v1, v[22:23]
	v_cvt_f32_f64_e32 v0, v[24:25]
	v_add_f64 v[22:23], v[96:97], v[80:81]
	v_add_f64 v[24:25], v[94:95], v[78:79]
	v_min3_f32 v98, v0, v1, 0x7f800000
	v_cvt_f32_f64_e32 v1, v[22:23]
	v_cvt_f32_f64_e32 v0, v[24:25]
	v_min3_f32 v97, v0, v1, 0x7f800000
	v_cvt_f32_f64_e32 v0, v[6:7]
	v_cvt_f32_f64_e32 v1, v[8:9]
	v_add_f64 v[6:7], v[12:13], v[80:81]
	v_add_f64 v[8:9], v[10:11], v[78:79]
	v_min3_f32 v96, v0, v1, 0x7f800000
	v_cvt_f32_f64_e32 v1, v[6:7]
	v_cvt_f32_f64_e32 v0, v[8:9]
	v_add_f64 v[6:7], v[16:17], v[80:81]
	v_add_f64 v[8:9], v[14:15], v[78:79]
	ds_read_b128 v[14:17], v158 offset:1040
	ds_read_b128 v[10:13], v158 offset:2064
	buffer_store_dword v158, off, s[28:31], 0 offset:156 ; 4-byte Folded Spill
	v_min3_f32 v95, v0, v1, 0x7f800000
	v_cvt_f32_f64_e32 v1, v[6:7]
	v_cvt_f32_f64_e32 v0, v[8:9]
	ds_read_b128 v[6:9], v158 offset:3088
	ds_read_b128 v[78:81], v164 offset:8464
	;; [unrolled: 1-line block ×16, first 2 shown]
	v_add_f64 v[158:159], v[4:5], v[20:21]
	ds_write2st64_b64 v168, v[88:89], v[86:87] offset0:8 offset1:12
	ds_write2st64_b64 v168, v[84:85], v[82:83] offset0:24 offset1:28
	s_waitcnt lgkmcnt(0)
	s_waitcnt_vscnt null, 0x0
	s_barrier
	buffer_gl0_inv
	buffer_store_dword v162, off, s[28:31], 0 offset:180 ; 4-byte Folded Spill
	buffer_store_dword v163, off, s[28:31], 0 offset:184 ; 4-byte Folded Spill
	;; [unrolled: 1-line block ×3, first 2 shown]
	v_min3_f32 v94, v0, v1, 0x7f800000
	v_cvt_f32_f64_e32 v0, v[160:161]
	v_cvt_f32_f64_e32 v1, v[158:159]
	v_add_f64 v[159:160], v[14:15], v[18:19]
	v_min3_f32 v245, v0, v1, v157
	v_add_f64 v[157:158], v[16:17], v[20:21]
	v_cvt_f32_f64_e32 v0, v[159:160]
	v_cvt_f32_f64_e32 v1, v[157:158]
	v_add_f64 v[158:159], v[10:11], v[18:19]
	v_add_f64 v[18:19], v[6:7], v[18:19]
	v_min3_f32 v198, v0, v1, v156
	v_add_f64 v[156:157], v[12:13], v[20:21]
	v_cvt_f32_f64_e32 v0, v[158:159]
	v_add_f64 v[20:21], v[8:9], v[20:21]
	v_cvt_f32_f64_e32 v1, v[156:157]
	v_min3_f32 v196, v0, v1, v155
	v_cvt_f32_f64_e32 v0, v[18:19]
	v_cvt_f32_f64_e32 v1, v[20:21]
	v_add_f64 v[18:19], v[4:5], v[80:81]
	v_add_f64 v[20:21], v[2:3], v[78:79]
	v_min3_f32 v244, v0, v1, v154
	v_cvt_f32_f64_e32 v1, v[18:19]
	v_cvt_f32_f64_e32 v0, v[20:21]
	v_add_f64 v[18:19], v[16:17], v[80:81]
	v_add_f64 v[20:21], v[14:15], v[78:79]
	v_min3_f32 v243, v0, v1, v153
	v_cvt_f32_f64_e32 v1, v[18:19]
	v_cvt_f32_f64_e32 v0, v[20:21]
	v_add_f64 v[18:19], v[12:13], v[80:81]
	v_add_f64 v[20:21], v[10:11], v[78:79]
	v_min3_f32 v242, v0, v1, v152
	v_cvt_f32_f64_e32 v1, v[18:19]
	v_cvt_f32_f64_e32 v0, v[20:21]
	v_add_f64 v[18:19], v[8:9], v[80:81]
	v_add_f64 v[20:21], v[6:7], v[78:79]
	v_min3_f32 v241, v0, v1, v151
	v_cvt_f32_f64_e32 v1, v[18:19]
	v_cvt_f32_f64_e32 v0, v[20:21]
	v_add_f64 v[18:19], v[4:5], v[76:77]
	v_add_f64 v[20:21], v[2:3], v[74:75]
	v_min3_f32 v240, v0, v1, v150
	v_cvt_f32_f64_e32 v1, v[18:19]
	v_cvt_f32_f64_e32 v0, v[20:21]
	v_add_f64 v[18:19], v[16:17], v[76:77]
	v_add_f64 v[20:21], v[14:15], v[74:75]
	v_min3_f32 v239, v0, v1, v149
	v_cvt_f32_f64_e32 v1, v[18:19]
	v_cvt_f32_f64_e32 v0, v[20:21]
	v_add_f64 v[18:19], v[12:13], v[76:77]
	v_add_f64 v[20:21], v[10:11], v[74:75]
	v_min3_f32 v238, v0, v1, v148
	v_cvt_f32_f64_e32 v1, v[18:19]
	v_cvt_f32_f64_e32 v0, v[20:21]
	v_add_f64 v[18:19], v[8:9], v[76:77]
	v_add_f64 v[20:21], v[6:7], v[74:75]
	v_min3_f32 v237, v0, v1, v147
	v_cvt_f32_f64_e32 v1, v[18:19]
	v_cvt_f32_f64_e32 v0, v[20:21]
	v_add_f64 v[18:19], v[4:5], v[72:73]
	v_add_f64 v[20:21], v[2:3], v[70:71]
	v_min3_f32 v236, v0, v1, v146
	v_cvt_f32_f64_e32 v1, v[18:19]
	v_cvt_f32_f64_e32 v0, v[20:21]
	v_add_f64 v[18:19], v[16:17], v[72:73]
	v_add_f64 v[20:21], v[14:15], v[70:71]
	v_min3_f32 v235, v0, v1, v145
	v_cvt_f32_f64_e32 v1, v[18:19]
	v_cvt_f32_f64_e32 v0, v[20:21]
	v_add_f64 v[18:19], v[12:13], v[72:73]
	v_add_f64 v[20:21], v[10:11], v[70:71]
	v_min3_f32 v234, v0, v1, v144
	v_cvt_f32_f64_e32 v1, v[18:19]
	v_cvt_f32_f64_e32 v0, v[20:21]
	v_add_f64 v[18:19], v[8:9], v[72:73]
	v_add_f64 v[20:21], v[6:7], v[70:71]
	v_min3_f32 v233, v0, v1, v143
	v_cvt_f32_f64_e32 v1, v[18:19]
	v_cvt_f32_f64_e32 v0, v[20:21]
	v_add_f64 v[18:19], v[4:5], v[68:69]
	v_add_f64 v[20:21], v[2:3], v[66:67]
	v_min3_f32 v232, v0, v1, v142
	v_cvt_f32_f64_e32 v1, v[18:19]
	v_cvt_f32_f64_e32 v0, v[20:21]
	v_add_f64 v[18:19], v[16:17], v[68:69]
	v_add_f64 v[20:21], v[14:15], v[66:67]
	v_min3_f32 v226, v0, v1, v141
	v_cvt_f32_f64_e32 v1, v[18:19]
	v_cvt_f32_f64_e32 v0, v[20:21]
	v_add_f64 v[18:19], v[12:13], v[68:69]
	v_add_f64 v[20:21], v[10:11], v[66:67]
	v_min3_f32 v223, v0, v1, v140
	v_cvt_f32_f64_e32 v1, v[18:19]
	v_cvt_f32_f64_e32 v0, v[20:21]
	v_add_f64 v[18:19], v[8:9], v[68:69]
	v_add_f64 v[20:21], v[6:7], v[66:67]
	v_min3_f32 v197, v0, v1, v139
	v_cvt_f32_f64_e32 v1, v[18:19]
	v_cvt_f32_f64_e32 v0, v[20:21]
	v_add_f64 v[18:19], v[4:5], v[64:65]
	v_add_f64 v[20:21], v[2:3], v[62:63]
	v_min3_f32 v195, v0, v1, v138
	v_cvt_f32_f64_e32 v1, v[18:19]
	v_cvt_f32_f64_e32 v0, v[20:21]
	v_add_f64 v[18:19], v[16:17], v[64:65]
	v_add_f64 v[20:21], v[14:15], v[62:63]
	v_min3_f32 v231, v0, v1, v137
	v_cvt_f32_f64_e32 v1, v[18:19]
	v_cvt_f32_f64_e32 v0, v[20:21]
	v_add_f64 v[18:19], v[12:13], v[64:65]
	v_add_f64 v[20:21], v[10:11], v[62:63]
	v_min3_f32 v230, v0, v1, v136
	v_cvt_f32_f64_e32 v1, v[18:19]
	v_cvt_f32_f64_e32 v0, v[20:21]
	v_add_f64 v[18:19], v[8:9], v[64:65]
	v_add_f64 v[20:21], v[6:7], v[62:63]
	v_min3_f32 v229, v0, v1, v135
	v_cvt_f32_f64_e32 v1, v[18:19]
	v_cvt_f32_f64_e32 v0, v[20:21]
	v_add_f64 v[18:19], v[4:5], v[60:61]
	v_add_f64 v[20:21], v[2:3], v[58:59]
	v_min3_f32 v225, v0, v1, v134
	v_cvt_f32_f64_e32 v1, v[18:19]
	v_cvt_f32_f64_e32 v0, v[20:21]
	v_add_f64 v[18:19], v[16:17], v[60:61]
	v_add_f64 v[20:21], v[14:15], v[58:59]
	v_min3_f32 v224, v0, v1, v133
	v_cvt_f32_f64_e32 v1, v[18:19]
	v_cvt_f32_f64_e32 v0, v[20:21]
	v_add_f64 v[18:19], v[12:13], v[60:61]
	v_add_f64 v[20:21], v[10:11], v[58:59]
	v_min3_f32 v228, v0, v1, v132
	v_cvt_f32_f64_e32 v1, v[18:19]
	v_cvt_f32_f64_e32 v0, v[20:21]
	v_add_f64 v[18:19], v[8:9], v[60:61]
	v_add_f64 v[20:21], v[6:7], v[58:59]
	v_min3_f32 v250, v0, v1, v131
	v_cvt_f32_f64_e32 v1, v[18:19]
	v_cvt_f32_f64_e32 v0, v[20:21]
	v_add_f64 v[18:19], v[4:5], v[56:57]
	v_add_f64 v[20:21], v[2:3], v[54:55]
	v_min3_f32 v201, v0, v1, v130
	v_cvt_f32_f64_e32 v1, v[18:19]
	v_cvt_f32_f64_e32 v0, v[20:21]
	v_add_f64 v[18:19], v[16:17], v[56:57]
	v_add_f64 v[20:21], v[14:15], v[54:55]
	v_min3_f32 v222, v0, v1, v129
	v_cvt_f32_f64_e32 v1, v[18:19]
	v_cvt_f32_f64_e32 v0, v[20:21]
	v_add_f64 v[18:19], v[12:13], v[56:57]
	v_add_f64 v[20:21], v[10:11], v[54:55]
	v_min3_f32 v221, v0, v1, v128
	v_cvt_f32_f64_e32 v1, v[18:19]
	v_cvt_f32_f64_e32 v0, v[20:21]
	v_add_f64 v[18:19], v[8:9], v[56:57]
	v_add_f64 v[20:21], v[6:7], v[54:55]
	v_min3_f32 v207, v0, v1, v127
	v_cvt_f32_f64_e32 v1, v[18:19]
	v_cvt_f32_f64_e32 v0, v[20:21]
	v_add_f64 v[18:19], v[4:5], v[52:53]
	v_add_f64 v[20:21], v[2:3], v[50:51]
	v_min3_f32 v206, v0, v1, v126
	v_cvt_f32_f64_e32 v1, v[18:19]
	v_cvt_f32_f64_e32 v0, v[20:21]
	v_add_f64 v[18:19], v[16:17], v[52:53]
	v_add_f64 v[20:21], v[14:15], v[50:51]
	v_min3_f32 v205, v0, v1, v125
	v_cvt_f32_f64_e32 v1, v[18:19]
	v_cvt_f32_f64_e32 v0, v[20:21]
	v_add_f64 v[18:19], v[12:13], v[52:53]
	v_add_f64 v[20:21], v[10:11], v[50:51]
	v_min3_f32 v204, v0, v1, v124
	v_cvt_f32_f64_e32 v1, v[18:19]
	v_cvt_f32_f64_e32 v0, v[20:21]
	v_add_f64 v[18:19], v[8:9], v[52:53]
	v_add_f64 v[20:21], v[6:7], v[50:51]
	v_min3_f32 v202, v0, v1, v123
	v_cvt_f32_f64_e32 v1, v[18:19]
	v_cvt_f32_f64_e32 v0, v[20:21]
	v_add_f64 v[18:19], v[4:5], v[48:49]
	v_add_f64 v[20:21], v[2:3], v[46:47]
	v_min3_f32 v199, v0, v1, v122
	v_cvt_f32_f64_e32 v1, v[18:19]
	v_cvt_f32_f64_e32 v0, v[20:21]
	v_add_f64 v[18:19], v[16:17], v[48:49]
	v_add_f64 v[20:21], v[14:15], v[46:47]
	v_min3_f32 v251, v0, v1, v121
	v_cvt_f32_f64_e32 v1, v[18:19]
	v_cvt_f32_f64_e32 v0, v[20:21]
	v_add_f64 v[18:19], v[12:13], v[48:49]
	v_add_f64 v[20:21], v[10:11], v[46:47]
	v_min3_f32 v249, v0, v1, v120
	v_cvt_f32_f64_e32 v1, v[18:19]
	v_cvt_f32_f64_e32 v0, v[20:21]
	v_add_f64 v[18:19], v[8:9], v[48:49]
	v_add_f64 v[20:21], v[6:7], v[46:47]
	v_min3_f32 v248, v0, v1, v119
	v_cvt_f32_f64_e32 v1, v[18:19]
	v_cvt_f32_f64_e32 v0, v[20:21]
	v_add_f64 v[18:19], v[4:5], v[44:45]
	v_add_f64 v[20:21], v[2:3], v[42:43]
	v_min3_f32 v247, v0, v1, v118
	v_cvt_f32_f64_e32 v1, v[18:19]
	v_cvt_f32_f64_e32 v0, v[20:21]
	v_add_f64 v[18:19], v[16:17], v[44:45]
	v_add_f64 v[20:21], v[14:15], v[42:43]
	v_min3_f32 v246, v0, v1, v117
	v_cvt_f32_f64_e32 v1, v[18:19]
	v_cvt_f32_f64_e32 v0, v[20:21]
	v_add_f64 v[18:19], v[12:13], v[44:45]
	v_add_f64 v[20:21], v[10:11], v[42:43]
	v_min3_f32 v213, v0, v1, v116
	v_cvt_f32_f64_e32 v1, v[18:19]
	v_cvt_f32_f64_e32 v0, v[20:21]
	v_add_f64 v[18:19], v[8:9], v[44:45]
	v_add_f64 v[20:21], v[6:7], v[42:43]
	v_min3_f32 v203, v0, v1, v115
	v_cvt_f32_f64_e32 v1, v[18:19]
	v_cvt_f32_f64_e32 v0, v[20:21]
	v_add_f64 v[18:19], v[4:5], v[40:41]
	v_add_f64 v[20:21], v[2:3], v[38:39]
	v_min3_f32 v200, v0, v1, v114
	v_cvt_f32_f64_e32 v1, v[18:19]
	v_cvt_f32_f64_e32 v0, v[20:21]
	v_add_f64 v[18:19], v[16:17], v[40:41]
	v_add_f64 v[20:21], v[14:15], v[38:39]
	v_min3_f32 v220, v0, v1, v113
	v_cvt_f32_f64_e32 v1, v[18:19]
	v_cvt_f32_f64_e32 v0, v[20:21]
	v_add_f64 v[18:19], v[12:13], v[40:41]
	v_add_f64 v[20:21], v[10:11], v[38:39]
	v_min3_f32 v218, v0, v1, v112
	v_cvt_f32_f64_e32 v1, v[18:19]
	v_cvt_f32_f64_e32 v0, v[20:21]
	v_add_f64 v[18:19], v[8:9], v[40:41]
	v_add_f64 v[20:21], v[6:7], v[38:39]
	v_min3_f32 v212, v0, v1, v111
	v_cvt_f32_f64_e32 v1, v[18:19]
	v_cvt_f32_f64_e32 v0, v[20:21]
	v_add_f64 v[18:19], v[4:5], v[36:37]
	v_add_f64 v[20:21], v[2:3], v[34:35]
	v_min3_f32 v211, v0, v1, v110
	v_cvt_f32_f64_e32 v1, v[18:19]
	v_cvt_f32_f64_e32 v0, v[20:21]
	v_add_f64 v[18:19], v[16:17], v[36:37]
	v_add_f64 v[20:21], v[14:15], v[34:35]
	v_min3_f32 v210, v0, v1, v109
	v_cvt_f32_f64_e32 v1, v[18:19]
	v_cvt_f32_f64_e32 v0, v[20:21]
	v_add_f64 v[18:19], v[12:13], v[36:37]
	v_add_f64 v[20:21], v[10:11], v[34:35]
	v_min3_f32 v209, v0, v1, v108
	v_cvt_f32_f64_e32 v1, v[18:19]
	v_cvt_f32_f64_e32 v0, v[20:21]
	v_add_f64 v[18:19], v[8:9], v[36:37]
	v_add_f64 v[20:21], v[6:7], v[34:35]
	v_min3_f32 v208, v0, v1, v107
	v_cvt_f32_f64_e32 v1, v[18:19]
	v_cvt_f32_f64_e32 v0, v[20:21]
	v_add_f64 v[18:19], v[4:5], v[32:33]
	v_add_f64 v[20:21], v[2:3], v[30:31]
	v_min3_f32 v194, v0, v1, v106
	v_cvt_f32_f64_e32 v1, v[18:19]
	v_cvt_f32_f64_e32 v0, v[20:21]
	v_add_f64 v[18:19], v[16:17], v[32:33]
	v_add_f64 v[20:21], v[14:15], v[30:31]
	v_min3_f32 v193, v0, v1, v105
	v_cvt_f32_f64_e32 v1, v[18:19]
	v_cvt_f32_f64_e32 v0, v[20:21]
	v_add_f64 v[18:19], v[12:13], v[32:33]
	v_add_f64 v[20:21], v[10:11], v[30:31]
	v_min3_f32 v192, v0, v1, v104
	v_cvt_f32_f64_e32 v1, v[18:19]
	v_cvt_f32_f64_e32 v0, v[20:21]
	v_add_f64 v[18:19], v[8:9], v[32:33]
	v_add_f64 v[20:21], v[6:7], v[30:31]
	v_min3_f32 v191, v0, v1, v103
	v_cvt_f32_f64_e32 v1, v[18:19]
	v_cvt_f32_f64_e32 v0, v[20:21]
	v_add_f64 v[18:19], v[4:5], v[28:29]
	v_add_f64 v[20:21], v[2:3], v[26:27]
	v_add_f64 v[4:5], v[4:5], v[24:25]
	v_add_f64 v[2:3], v[2:3], v[22:23]
	v_min3_f32 v190, v0, v1, v102
	v_cvt_f32_f64_e32 v1, v[18:19]
	v_cvt_f32_f64_e32 v0, v[20:21]
	v_add_f64 v[18:19], v[16:17], v[28:29]
	v_add_f64 v[20:21], v[14:15], v[26:27]
	v_min3_f32 v189, v0, v1, v101
	v_cvt_f32_f64_e32 v1, v[18:19]
	v_cvt_f32_f64_e32 v0, v[20:21]
	;; [unrolled: 5-line block ×4, first 2 shown]
	v_min3_f32 v186, v0, v1, v98
	v_cvt_f32_f64_e32 v0, v[2:3]
	v_cvt_f32_f64_e32 v1, v[4:5]
	v_add_f64 v[2:3], v[16:17], v[24:25]
	v_add_f64 v[4:5], v[14:15], v[22:23]
	v_min3_f32 v185, v0, v1, v97
	v_cvt_f32_f64_e32 v1, v[2:3]
	v_cvt_f32_f64_e32 v0, v[4:5]
	v_add_f64 v[2:3], v[12:13], v[24:25]
	v_add_f64 v[4:5], v[10:11], v[22:23]
	;; [unrolled: 5-line block ×3, first 2 shown]
	v_min3_f32 v183, v0, v1, v95
	v_cvt_f32_f64_e32 v1, v[2:3]
	v_cvt_f32_f64_e32 v0, v[4:5]
	v_min3_f32 v182, v0, v1, v94
	s_cbranch_scc1 .LBB115_44
; %bb.25:
	v_mad_i64_i32 v[2:3], null, s24, v92, 0
	v_mad_i64_i32 v[4:5], null, s24, v93, 0
	;; [unrolled: 1-line block ×4, first 2 shown]
	v_lshlrev_b64 v[2:3], 3, v[2:3]
	v_or_b32_e32 v0, 0x2000, v164
	v_lshlrev_b64 v[4:5], 3, v[4:5]
	v_mov_b32_e32 v1, 0x7fefffff
	buffer_store_dword v0, off, s[28:31], 0 offset:172 ; 4-byte Folded Spill
	v_add_co_u32 v170, s3, s20, v2
	v_lshl_add_u32 v0, v162, 5, 0x1000
	v_add_co_ci_u32_e64 v171, null, s21, v3, s3
	v_lshlrev_b64 v[2:3], 3, v[6:7]
	v_add_co_u32 v173, s3, s20, v4
	v_add_co_ci_u32_e64 v174, null, s21, v5, s3
	v_lshlrev_b64 v[4:5], 3, v[8:9]
	buffer_store_dword v0, off, s[28:31], 0 offset:168 ; 4-byte Folded Spill
	v_lshl_add_u32 v0, v163, 5, 0x3000
	v_add_co_u32 v169, s3, s18, v2
	v_add_co_ci_u32_e64 v172, null, s19, v3, s3
	v_add_co_u32 v175, s3, s18, v4
	buffer_store_dword v0, off, s[28:31], 0 offset:176 ; 4-byte Folded Spill
	v_add_co_ci_u32_e64 v176, null, s19, v5, s3
	v_mov_b32_e32 v0, -1
	v_mov_b32_e32 v162, v221
	s_add_i32 s18, s14, -8
	s_mov_b32 s19, 0
	buffer_store_dword v0, off, s[28:31], 0 ; 4-byte Folded Spill
	buffer_store_dword v1, off, s[28:31], 0 offset:4 ; 4-byte Folded Spill
	buffer_store_dword v168, off, s[28:31], 0 offset:164 ; 4-byte Folded Spill
	s_branch .LBB115_27
.LBB115_26:                             ;   in Loop: Header=BB115_27 Depth=1
	s_or_b32 exec_lo, exec_lo, s6
	s_waitcnt vmcnt(0) lgkmcnt(0)
	buffer_store_dword v0, off, s[28:31], 0 offset:124 ; 4-byte Folded Spill
	buffer_store_dword v1, off, s[28:31], 0 offset:128 ; 4-byte Folded Spill
	v_add_f64 v[252:253], v[100:101], v[160:161]
	v_add_f64 v[254:255], v[98:99], v[158:159]
	buffer_store_dword v173, off, s[28:31], 0 offset:20 ; 4-byte Folded Spill
	buffer_store_dword v174, off, s[28:31], 0 offset:24 ; 4-byte Folded Spill
	v_add_f64 v[173:174], v[96:97], v[160:161]
	v_add_f64 v[0:1], v[94:95], v[158:159]
	;; [unrolled: 1-line block ×19, first 2 shown]
	v_cvt_f32_f64_e32 v147, v[252:253]
	v_cvt_f32_f64_e32 v146, v[254:255]
	v_add_f64 v[185:186], v[98:99], v[150:151]
	v_add_f64 v[187:188], v[96:97], v[152:153]
	v_cvt_f32_f64_e32 v0, v[0:1]
	v_cvt_f32_f64_e32 v1, v[173:174]
	v_add_f64 v[191:192], v[88:89], v[152:153]
	v_add_f64 v[208:209], v[84:85], v[152:153]
	;; [unrolled: 1-line block ×9, first 2 shown]
	v_cvt_f32_f64_e32 v174, v[216:217]
	v_add_f64 v[216:217], v[96:97], v[132:133]
	s_add_i32 s19, s19, 8
	v_cvt_f32_f64_e32 v157, v[156:157]
	s_cmp_ge_i32 s19, s18
	v_min3_f32 v146, v146, v147, v245
	v_min3_f32 v147, v0, v1, v198
	v_cvt_f32_f64_e32 v0, v[164:165]
	v_cvt_f32_f64_e32 v1, v[175:176]
	;; [unrolled: 1-line block ×9, first 2 shown]
	v_add_f64 v[185:186], v[86:87], v[138:139]
	v_add_f64 v[210:211], v[86:87], v[134:135]
	;; [unrolled: 1-line block ×5, first 2 shown]
	v_min3_f32 v152, v0, v1, v196
	v_cvt_f32_f64_e32 v0, v[158:159]
	v_cvt_f32_f64_e32 v1, v[160:161]
	;; [unrolled: 1-line block ×11, first 2 shown]
	v_min3_f32 v157, v164, v157, v240
	v_min3_f32 v149, v174, v175, v234
	v_add_f64 v[181:182], v[94:95], v[138:139]
	v_add_f64 v[191:192], v[96:97], v[136:137]
	;; [unrolled: 1-line block ×7, first 2 shown]
	v_min3_f32 v153, v0, v1, v244
	v_cvt_f32_f64_e32 v0, v[168:169]
	v_cvt_f32_f64_e32 v1, v[166:167]
	;; [unrolled: 1-line block ×6, first 2 shown]
	v_min3_f32 v155, v158, v159, v242
	v_min3_f32 v156, v160, v161, v241
	;; [unrolled: 1-line block ×6, first 2 shown]
	v_add_f64 v[173:174], v[86:87], v[142:143]
	v_add_f64 v[175:176], v[100:101], v[140:141]
	;; [unrolled: 1-line block ×11, first 2 shown]
	v_min3_f32 v154, v0, v1, v243
	v_min3_f32 v158, v165, v166, v239
	v_add_f64 v[0:1], v[100:101], v[144:145]
	v_add_f64 v[164:165], v[98:99], v[142:143]
	v_min3_f32 v159, v167, v168, v238
	v_min3_f32 v160, v169, v170, v237
	v_add_f64 v[166:167], v[96:97], v[144:145]
	v_add_f64 v[168:169], v[94:95], v[142:143]
	v_add_f64 v[170:171], v[88:89], v[144:145]
	v_add_f64 v[144:145], v[84:85], v[144:145]
	v_add_f64 v[142:143], v[82:83], v[142:143]
	v_add_f64 v[136:137], v[84:85], v[136:137]
	v_cvt_f32_f64_e32 v140, v[140:141]
	v_cvt_f32_f64_e32 v141, v[189:190]
	;; [unrolled: 1-line block ×4, first 2 shown]
	v_add_f64 v[130:131], v[100:101], v[128:129]
	v_add_f64 v[132:133], v[94:95], v[126:127]
	v_cvt_f32_f64_e32 v164, v[164:165]
	v_cvt_f32_f64_e32 v165, v[0:1]
	v_add_f64 v[0:1], v[98:99], v[126:127]
	v_cvt_f32_f64_e32 v166, v[166:167]
	v_cvt_f32_f64_e32 v168, v[168:169]
	;; [unrolled: 1-line block ×14, first 2 shown]
	v_add_f64 v[134:135], v[96:97], v[128:129]
	v_add_f64 v[138:139], v[88:89], v[128:129]
	v_cvt_f32_f64_e32 v171, v[179:180]
	v_cvt_f32_f64_e32 v177, v[193:194]
	;; [unrolled: 1-line block ×6, first 2 shown]
	v_add_f64 v[0:1], v[86:87], v[126:127]
	v_cvt_f32_f64_e32 v193, v[132:133]
	v_min3_f32 v130, v164, v165, v226
	v_add_f64 v[164:165], v[88:89], v[124:125]
	v_cvt_f32_f64_e32 v167, v[173:174]
	v_min3_f32 v133, v142, v143, v195
	;; [unrolled: 3-line block ×3, first 2 shown]
	v_min3_f32 v209, v141, v176, v224
	v_add_f64 v[140:141], v[94:95], v[122:123]
	v_cvt_f32_f64_e32 v185, v[218:219]
	v_cvt_f32_f64_e32 v186, v[216:217]
	v_min3_f32 v221, v187, v188, v207
	v_cvt_f32_f64_e32 v194, v[134:135]
	v_min3_f32 v134, v144, v145, v231
	v_cvt_f32_f64_e32 v188, v[138:139]
	v_add_f64 v[138:139], v[100:101], v[124:125]
	v_add_f64 v[144:145], v[86:87], v[122:123]
	;; [unrolled: 1-line block ×3, first 2 shown]
	v_min3_f32 v226, v181, v182, v201
	v_min3_f32 v220, v189, v190, v206
	v_cvt_f32_f64_e32 v187, v[0:1]
	v_add_f64 v[0:1], v[82:83], v[126:127]
	v_add_f64 v[126:127], v[84:85], v[128:129]
	;; [unrolled: 1-line block ×4, first 2 shown]
	v_min3_f32 v219, v191, v192, v205
	v_add_f64 v[181:182], v[100:101], v[116:117]
	v_cvt_f32_f64_e32 v174, v[183:184]
	v_cvt_f32_f64_e32 v179, v[210:211]
	v_cvt_f32_f64_e32 v183, v[214:215]
	v_cvt_f32_f64_e32 v184, v[212:213]
	v_min3_f32 v131, v168, v166, v227
	v_min3_f32 v222, v185, v186, v162
	v_add_f64 v[185:186], v[96:97], v[116:117]
	v_min3_f32 v132, v167, v169, v197
	v_min3_f32 v135, v170, v171, v230
	;; [unrolled: 1-line block ×3, first 2 shown]
	v_cvt_f32_f64_e32 v192, v[138:139]
	v_add_f64 v[138:139], v[84:85], v[116:117]
	v_add_f64 v[166:167], v[98:99], v[118:119]
	;; [unrolled: 1-line block ×6, first 2 shown]
	v_cvt_f32_f64_e32 v190, v[126:127]
	v_add_f64 v[126:127], v[88:89], v[116:117]
	v_cvt_f32_f64_e32 v122, v[122:123]
	v_cvt_f32_f64_e32 v123, v[124:125]
	v_add_f64 v[118:119], v[82:83], v[118:119]
	v_min3_f32 v136, v173, v174, v229
	v_min3_f32 v227, v179, v180, v250
	v_add_f64 v[173:174], v[96:97], v[120:121]
	v_min3_f32 v223, v183, v184, v163
	v_add_f64 v[120:121], v[84:85], v[120:121]
	v_add_f64 v[179:180], v[98:99], v[114:115]
	;; [unrolled: 1-line block ×3, first 2 shown]
	v_cvt_f32_f64_e32 v189, v[0:1]
	v_cvt_f32_f64_e32 v197, v[164:165]
	v_add_f64 v[0:1], v[86:87], v[114:115]
	v_add_f64 v[164:165], v[96:97], v[112:113]
	v_min3_f32 v218, v193, v194, v204
	v_cvt_f32_f64_e32 v191, v[128:129]
	v_cvt_f32_f64_e32 v193, v[140:141]
	;; [unrolled: 1-line block ×7, first 2 shown]
	v_add_f64 v[128:129], v[82:83], v[114:115]
	v_min3_f32 v117, v122, v123, v247
	s_clause 0x1
	buffer_load_dword v122, off, s[28:31], 0 offset:152
	buffer_load_dword v123, off, s[28:31], 0 offset:148
	v_add_f64 v[140:141], v[98:99], v[110:111]
	v_cvt_f32_f64_e32 v171, v[173:174]
	v_cvt_f32_f64_e32 v173, v[175:176]
	;; [unrolled: 1-line block ×9, first 2 shown]
	v_add_f64 v[142:143], v[100:101], v[112:113]
	v_add_f64 v[144:145], v[94:95], v[110:111]
	;; [unrolled: 1-line block ×4, first 2 shown]
	v_cvt_f32_f64_e32 v182, v[164:165]
	v_add_f64 v[164:165], v[100:101], v[104:105]
	v_min3_f32 v124, v187, v188, v202
	v_min3_f32 v125, v189, v190, v199
	;; [unrolled: 1-line block ×6, first 2 shown]
	buffer_load_dword v162, off, s[28:31], 0 offset:172 ; 4-byte Folded Reload
	v_min3_f32 v119, v170, v171, v172
	v_add_f64 v[170:171], v[86:87], v[102:103]
	v_min3_f32 v120, v173, v174, v203
	v_add_f64 v[173:174], v[88:89], v[104:105]
	v_min3_f32 v121, v175, v121, v200
	v_cvt_f32_f64_e32 v175, v[0:1]
	v_add_f64 v[0:1], v[82:83], v[110:111]
	v_add_f64 v[110:111], v[84:85], v[112:113]
	;; [unrolled: 1-line block ×3, first 2 shown]
	v_cvt_f32_f64_e32 v180, v[142:143]
	v_cvt_f32_f64_e32 v181, v[144:145]
	;; [unrolled: 1-line block ×3, first 2 shown]
	v_add_f64 v[144:145], v[98:99], v[102:103]
	v_add_f64 v[166:167], v[94:95], v[102:103]
	;; [unrolled: 1-line block ×3, first 2 shown]
	v_cvt_f32_f64_e32 v184, v[168:169]
	v_add_f64 v[168:169], v[96:97], v[104:105]
	v_add_f64 v[98:99], v[98:99], v[90:91]
	;; [unrolled: 1-line block ×4, first 2 shown]
	v_cvt_f32_f64_e32 v185, v[0:1]
	v_cvt_f32_f64_e32 v110, v[110:111]
	;; [unrolled: 1-line block ×3, first 2 shown]
	v_add_f64 v[0:1], v[86:87], v[90:91]
	s_waitcnt vmcnt(2)
	v_min3_f32 v122, v176, v177, v122
	s_waitcnt vmcnt(1)
	v_min3_f32 v123, v178, v179, v123
	v_cvt_f32_f64_e32 v176, v[126:127]
	v_cvt_f32_f64_e32 v178, v[138:139]
	v_add_f64 v[126:127], v[100:101], v[108:109]
	v_add_f64 v[138:139], v[96:97], v[108:109]
	;; [unrolled: 1-line block ×3, first 2 shown]
	v_cvt_f32_f64_e32 v177, v[128:129]
	v_cvt_f32_f64_e32 v179, v[140:141]
	v_add_f64 v[128:129], v[94:95], v[106:107]
	v_add_f64 v[140:141], v[86:87], v[106:107]
	;; [unrolled: 1-line block ×6, first 2 shown]
	v_cvt_f32_f64_e32 v112, v[126:127]
	v_cvt_f32_f64_e32 v126, v[138:139]
	;; [unrolled: 1-line block ×4, first 2 shown]
	v_add_f64 v[100:101], v[82:83], v[90:91]
	buffer_load_dword v82, off, s[28:31], 0 offset:144 ; 4-byte Folded Reload
	v_cvt_f32_f64_e32 v139, v[166:167]
	v_cvt_f32_f64_e32 v113, v[128:129]
	v_cvt_f32_f64_e32 v166, v[96:97]
	v_cvt_f32_f64_e32 v128, v[142:143]
	v_cvt_f32_f64_e32 v108, v[108:109]
	v_cvt_f32_f64_e32 v109, v[144:145]
	v_cvt_f32_f64_e32 v143, v[102:103]
	v_cvt_f32_f64_e32 v145, v[98:99]
	v_add_f64 v[98:99], v[88:89], v[92:93]
	v_add_f64 v[102:103], v[84:85], v[92:93]
	v_cvt_f32_f64_e32 v165, v[94:95]
	v_cvt_f32_f64_e32 v127, v[140:141]
	;; [unrolled: 1-line block ×7, first 2 shown]
	v_add_f64 v[104:105], v[2:3], v[78:79]
	v_add_f64 v[106:107], v[4:5], v[80:81]
	v_cvt_f32_f64_e32 v168, v[100:101]
	v_add_f64 v[100:101], v[10:11], v[78:79]
	v_cvt_f32_f64_e32 v167, v[98:99]
	v_cvt_f32_f64_e32 v169, v[102:103]
	v_add_f64 v[98:99], v[8:9], v[80:81]
	v_add_f64 v[102:103], v[12:13], v[80:81]
	;; [unrolled: 1-line block ×3, first 2 shown]
	v_cvt_f32_f64_e32 v170, v[104:105]
	v_cvt_f32_f64_e32 v171, v[106:107]
	v_add_f64 v[104:105], v[2:3], v[74:75]
	v_add_f64 v[106:107], v[4:5], v[76:77]
	v_cvt_f32_f64_e32 v98, v[98:99]
	v_cvt_f32_f64_e32 v99, v[100:101]
	;; [unrolled: 1-line block ×4, first 2 shown]
	v_add_f64 v[80:81], v[14:15], v[66:67]
	v_cvt_f32_f64_e32 v103, v[104:105]
	v_cvt_f32_f64_e32 v104, v[106:107]
	s_waitcnt vmcnt(0)
	v_min3_f32 v96, v175, v176, v82
	buffer_load_dword v82, off, s[28:31], 0 offset:140 ; 4-byte Folded Reload
	s_waitcnt vmcnt(0)
	v_min3_f32 v97, v177, v178, v82
	buffer_load_dword v82, off, s[28:31], 0 offset:136 ; 4-byte Folded Reload
	;; [unrolled: 3-line block ×7, first 2 shown]
	v_add_f64 v[110:111], v[8:9], v[76:77]
	v_cvt_f32_f64_e32 v106, v[110:111]
	s_waitcnt vmcnt(0)
	v_min3_f32 v89, v113, v126, v82
	buffer_load_dword v82, off, s[28:31], 0 offset:80 ; 4-byte Folded Reload
	v_add_f64 v[112:113], v[10:11], v[74:75]
	v_cvt_f32_f64_e32 v107, v[112:113]
	s_waitcnt vmcnt(0)
	v_min3_f32 v90, v127, v128, v82
	buffer_load_dword v82, off, s[28:31], 0 offset:76 ; 4-byte Folded Reload
	v_add_f64 v[126:127], v[12:13], v[76:77]
	v_add_f64 v[76:77], v[16:17], v[76:77]
	v_cvt_f32_f64_e32 v110, v[76:77]
	v_add_f64 v[76:77], v[10:11], v[66:67]
	s_waitcnt vmcnt(0)
	v_min3_f32 v87, v129, v108, v82
	buffer_load_dword v82, off, s[28:31], 0 offset:72 ; 4-byte Folded Reload
	v_add_f64 v[128:129], v[2:3], v[70:71]
	v_cvt_f32_f64_e32 v111, v[128:129]
	s_waitcnt vmcnt(0)
	v_min3_f32 v88, v109, v138, v82
	buffer_load_dword v82, off, s[28:31], 0 offset:68 ; 4-byte Folded Reload
	v_add_f64 v[108:109], v[6:7], v[74:75]
	v_add_f64 v[74:75], v[14:15], v[74:75]
	v_cvt_f32_f64_e32 v105, v[108:109]
	v_cvt_f32_f64_e32 v108, v[126:127]
	;; [unrolled: 1-line block ×3, first 2 shown]
	v_add_f64 v[74:75], v[8:9], v[68:69]
	s_waitcnt vmcnt(0)
	v_min3_f32 v85, v139, v140, v82
	buffer_load_dword v82, off, s[28:31], 0 offset:64 ; 4-byte Folded Reload
	v_add_f64 v[138:139], v[4:5], v[72:73]
	v_cvt_f32_f64_e32 v112, v[138:139]
	v_min3_f32 v138, v170, v171, v146
	v_min3_f32 v146, v111, v112, v158
	s_waitcnt vmcnt(0)
	v_min3_f32 v86, v141, v142, v82
	buffer_load_dword v82, off, s[28:31], 0 offset:60 ; 4-byte Folded Reload
	v_add_f64 v[140:141], v[6:7], v[70:71]
	v_cvt_f32_f64_e32 v113, v[140:141]
	v_min3_f32 v140, v99, v100, v152
	s_waitcnt vmcnt(0)
	v_min3_f32 v83, v143, v144, v82
	buffer_load_dword v82, off, s[28:31], 0 offset:56 ; 4-byte Folded Reload
	v_add_f64 v[142:143], v[8:9], v[72:73]
	v_cvt_f32_f64_e32 v126, v[142:143]
	v_min3_f32 v142, v103, v104, v154
	v_min3_f32 v143, v105, v106, v155
	v_add_f64 v[104:105], v[12:13], v[60:61]
	v_cvt_f32_f64_e32 v155, v[104:105]
	v_add_f64 v[104:105], v[12:13], v[48:49]
	s_waitcnt vmcnt(0)
	v_min3_f32 v84, v145, v164, v82
	buffer_load_dword v82, off, s[28:31], 0 offset:52 ; 4-byte Folded Reload
	v_add_f64 v[144:145], v[10:11], v[70:71]
	v_add_f64 v[70:71], v[14:15], v[70:71]
	v_cvt_f32_f64_e32 v127, v[144:145]
	v_cvt_f32_f64_e32 v129, v[70:71]
	v_add_f64 v[70:71], v[4:5], v[68:69]
	v_min3_f32 v145, v109, v110, v157
	v_min3_f32 v144, v107, v108, v156
	v_add_f64 v[106:107], v[2:3], v[54:55]
	v_add_f64 v[108:109], v[4:5], v[56:57]
	v_cvt_f32_f64_e32 v111, v[70:71]
	v_add_f64 v[70:71], v[6:7], v[62:63]
	v_cvt_f32_f64_e32 v106, v[106:107]
	v_cvt_f32_f64_e32 v107, v[108:109]
	s_waitcnt vmcnt(0)
	v_min3_f32 v82, v165, v166, v82
	v_cvt_f32_f64_e32 v166, v[0:1]
	v_add_f64 v[0:1], v[6:7], v[78:79]
	v_add_f64 v[78:79], v[14:15], v[78:79]
	;; [unrolled: 1-line block ×4, first 2 shown]
	v_cvt_f32_f64_e32 v173, v[0:1]
	v_cvt_f32_f64_e32 v101, v[78:79]
	;; [unrolled: 1-line block ×4, first 2 shown]
	v_add_f64 v[0:1], v[2:3], v[66:67]
	v_add_f64 v[72:73], v[6:7], v[66:67]
	;; [unrolled: 1-line block ×4, first 2 shown]
	buffer_load_dword v66, off, s[28:31], 0 offset:48 ; 4-byte Folded Reload
	v_min3_f32 v139, v173, v98, v147
	v_min3_f32 v141, v101, v102, v153
	;; [unrolled: 1-line block ×5, first 2 shown]
	v_cvt_f32_f64_e32 v110, v[0:1]
	v_cvt_f32_f64_e32 v112, v[72:73]
	;; [unrolled: 1-line block ×7, first 2 shown]
	v_add_f64 v[0:1], v[2:3], v[62:63]
	v_add_f64 v[68:69], v[4:5], v[64:65]
	;; [unrolled: 1-line block ×14, first 2 shown]
	v_min3_f32 v187, v110, v111, v148
	v_min3_f32 v188, v112, v113, v149
	v_cvt_f32_f64_e32 v112, v[70:71]
	v_min3_f32 v189, v126, v127, v150
	v_add_f64 v[70:71], v[6:7], v[50:51]
	v_min3_f32 v190, v128, v129, v151
	v_cvt_f32_f64_e32 v110, v[0:1]
	v_cvt_f32_f64_e32 v111, v[68:69]
	;; [unrolled: 1-line block ×14, first 2 shown]
	v_add_f64 v[0:1], v[6:7], v[54:55]
	v_add_f64 v[58:59], v[8:9], v[56:57]
	;; [unrolled: 1-line block ×20, first 2 shown]
	v_min3_f32 v150, v150, v151, v134
	v_min3_f32 v151, v152, v153, v135
	v_cvt_f32_f64_e32 v108, v[0:1]
	v_cvt_f32_f64_e32 v58, v[58:59]
	;; [unrolled: 1-line block ×16, first 2 shown]
	v_add_f64 v[0:1], v[2:3], v[42:43]
	v_min3_f32 v153, v156, v157, v137
	v_cvt_f32_f64_e32 v71, v[46:47]
	v_cvt_f32_f64_e32 v48, v[48:49]
	v_add_f64 v[46:47], v[4:5], v[44:45]
	v_cvt_f32_f64_e32 v65, v[98:99]
	v_cvt_f32_f64_e32 v68, v[100:101]
	;; [unrolled: 1-line block ×4, first 2 shown]
	v_min3_f32 v156, v59, v60, v227
	v_min3_f32 v152, v154, v155, v136
	;; [unrolled: 1-line block ×3, first 2 shown]
	v_add_f64 v[54:55], v[4:5], v[40:41]
	v_min3_f32 v158, v56, v57, v223
	v_add_f64 v[56:57], v[6:7], v[38:39]
	v_min3_f32 v159, v61, v62, v222
	;; [unrolled: 2-line block ×5, first 2 shown]
	v_cvt_f32_f64_e32 v78, v[0:1]
	v_add_f64 v[0:1], v[6:7], v[42:43]
	v_add_f64 v[52:53], v[2:3], v[38:39]
	v_min3_f32 v180, v71, v48, v125
	v_cvt_f32_f64_e32 v79, v[46:47]
	v_add_f64 v[46:47], v[8:9], v[44:45]
	v_add_f64 v[48:49], v[10:11], v[42:43]
	;; [unrolled: 1-line block ×4, first 2 shown]
	v_min3_f32 v155, v108, v58, v210
	v_min3_f32 v178, v65, v68, v218
	v_min3_f32 v179, v69, v70, v124
	v_add_f64 v[58:59], v[8:9], v[40:41]
	v_add_f64 v[38:39], v[14:15], v[38:39]
	;; [unrolled: 1-line block ×11, first 2 shown]
	v_cvt_f32_f64_e32 v80, v[0:1]
	v_cvt_f32_f64_e32 v52, v[52:53]
	;; [unrolled: 1-line block ×10, first 2 shown]
	v_add_f64 v[42:43], v[12:13], v[32:33]
	v_add_f64 v[44:45], v[2:3], v[26:27]
	v_cvt_f32_f64_e32 v55, v[58:59]
	v_cvt_f32_f64_e32 v58, v[38:39]
	;; [unrolled: 1-line block ×4, first 2 shown]
	v_add_f64 v[0:1], v[2:3], v[30:31]
	v_add_f64 v[38:39], v[8:9], v[32:33]
	;; [unrolled: 1-line block ×3, first 2 shown]
	v_cvt_f32_f64_e32 v81, v[46:47]
	v_cvt_f32_f64_e32 v68, v[34:35]
	;; [unrolled: 1-line block ×3, first 2 shown]
	v_add_f64 v[34:35], v[4:5], v[32:33]
	v_add_f64 v[36:37], v[6:7], v[30:31]
	;; [unrolled: 1-line block ×5, first 2 shown]
	v_cvt_f32_f64_e32 v60, v[64:65]
	v_min3_f32 v185, v48, v49, v116
	v_min3_f32 v116, v52, v53, v118
	;; [unrolled: 1-line block ×4, first 2 shown]
	v_cvt_f32_f64_e32 v53, v[42:43]
	v_cvt_f32_f64_e32 v56, v[44:45]
	v_add_f64 v[42:43], v[8:9], v[24:25]
	v_add_f64 v[44:45], v[10:11], v[22:23]
	v_min3_f32 v117, v54, v55, v119
	v_cvt_f32_f64_e32 v62, v[70:71]
	v_cvt_f32_f64_e32 v48, v[0:1]
	;; [unrolled: 1-line block ×3, first 2 shown]
	v_add_f64 v[0:1], v[6:7], v[26:27]
	v_add_f64 v[38:39], v[4:5], v[24:25]
	v_cvt_f32_f64_e32 v52, v[40:41]
	v_add_f64 v[40:41], v[6:7], v[22:23]
	v_cvt_f32_f64_e32 v49, v[34:35]
	v_cvt_f32_f64_e32 v50, v[36:37]
	;; [unrolled: 1-line block ×4, first 2 shown]
	v_add_f64 v[30:31], v[8:9], v[28:29]
	v_add_f64 v[32:33], v[10:11], v[26:27]
	;; [unrolled: 1-line block ×6, first 2 shown]
	v_cvt_f32_f64_e32 v57, v[46:47]
	v_add_f64 v[46:47], v[12:13], v[24:25]
	v_cvt_f32_f64_e32 v42, v[42:43]
	v_cvt_f32_f64_e32 v43, v[44:45]
	s_clause 0x1
	buffer_load_dword v45, off, s[28:31], 0 offset:156
	buffer_load_dword v67, off, s[28:31], 0 offset:44
	v_add_f64 v[22:23], v[14:15], v[22:23]
	v_add_f64 v[24:25], v[16:17], v[24:25]
	;; [unrolled: 1-line block ×6, first 2 shown]
	v_cvt_f32_f64_e32 v63, v[72:73]
	v_cvt_f32_f64_e32 v64, v[74:75]
	;; [unrolled: 1-line block ×11, first 2 shown]
	v_add_f64 v[10:11], v[10:11], v[18:19]
	v_add_f64 v[12:13], v[12:13], v[20:21]
	;; [unrolled: 1-line block ×4, first 2 shown]
	v_min3_f32 v119, v58, v59, v121
	v_cvt_f32_f64_e32 v58, v[40:41]
	v_cvt_f32_f64_e32 v44, v[46:47]
	;; [unrolled: 1-line block ×8, first 2 shown]
	v_min3_f32 v191, v110, v111, v130
	v_min3_f32 v192, v112, v113, v131
	;; [unrolled: 1-line block ×6, first 2 shown]
	ds_read_b128 v[18:21], v162
	ds_read_b128 v[62:65], v162 offset:256
	v_min3_f32 v130, v30, v31, v90
	v_min3_f32 v131, v26, v27, v87
	;; [unrolled: 1-line block ×3, first 2 shown]
	v_cvt_f32_f64_e32 v6, v[10:11]
	v_cvt_f32_f64_e32 v7, v[12:13]
	;; [unrolled: 1-line block ×4, first 2 shown]
	v_min3_f32 v149, v128, v129, v133
	v_min3_f32 v154, v106, v107, v209
	;; [unrolled: 1-line block ×16, first 2 shown]
	s_waitcnt vmcnt(2)
	v_min3_f32 v66, v166, v167, v66
	v_min3_f32 v114, v6, v7, v66
	s_waitcnt vmcnt(1)
	ds_read_b128 v[38:41], v45
	ds_read_b128 v[34:37], v45 offset:1024
	ds_read_b128 v[30:33], v45 offset:2048
	;; [unrolled: 1-line block ×3, first 2 shown]
	s_waitcnt vmcnt(0)
	v_min3_f32 v67, v168, v169, v67
	ds_read_b128 v[58:61], v162 offset:512
	ds_read_b128 v[54:57], v162 offset:768
	;; [unrolled: 1-line block ×6, first 2 shown]
	v_min3_f32 v115, v8, v9, v67
	ds_read_b128 v[6:9], v45 offset:2064
	s_waitcnt lgkmcnt(10)
	v_add_f64 v[78:79], v[38:39], v[18:19]
	s_waitcnt lgkmcnt(9)
	v_add_f64 v[82:83], v[34:35], v[18:19]
	s_waitcnt lgkmcnt(8)
	v_add_f64 v[80:81], v[32:33], v[20:21]
	v_add_f64 v[86:87], v[30:31], v[18:19]
	s_waitcnt lgkmcnt(7)
	v_add_f64 v[84:85], v[28:29], v[20:21]
	v_add_f64 v[88:89], v[26:27], v[18:19]
	;; [unrolled: 1-line block ×10, first 2 shown]
	ds_read_b128 v[18:21], v162 offset:272
	ds_read_b128 v[46:49], v162 offset:1024
	;; [unrolled: 1-line block ×9, first 2 shown]
	v_add_f64 v[0:1], v[28:29], v[64:65]
	s_waitcnt lgkmcnt(14)
	v_add_f64 v[164:165], v[30:31], v[54:55]
	v_add_f64 v[166:167], v[28:29], v[56:57]
	;; [unrolled: 1-line block ×3, first 2 shown]
	v_cvt_f32_f64_e32 v195, v[78:79]
	v_cvt_f32_f64_e32 v201, v[82:83]
	v_cvt_f32_f64_e32 v210, v[80:81]
	v_cvt_f32_f64_e32 v209, v[86:87]
	v_cvt_f32_f64_e32 v212, v[84:85]
	v_cvt_f32_f64_e32 v211, v[88:89]
	v_cvt_f32_f64_e32 v213, v[92:93]
	v_cvt_f32_f64_e32 v214, v[90:91]
	v_cvt_f32_f64_e32 v215, v[108:109]
	v_cvt_f32_f64_e32 v216, v[106:107]
	v_cvt_f32_f64_e32 v217, v[112:113]
	v_cvt_f32_f64_e32 v218, v[110:111]
	v_add_f64 v[78:79], v[26:27], v[62:63]
	v_add_f64 v[80:81], v[40:41], v[60:61]
	;; [unrolled: 1-line block ×14, first 2 shown]
	s_waitcnt lgkmcnt(7)
	v_add_f64 v[170:171], v[38:39], v[46:47]
	v_add_f64 v[173:174], v[40:41], v[48:49]
	;; [unrolled: 1-line block ×4, first 2 shown]
	v_cvt_f32_f64_e32 v197, v[70:71]
	v_cvt_f32_f64_e32 v208, v[72:73]
	;; [unrolled: 1-line block ×24, first 2 shown]
	v_min3_f32 v106, v195, v197, v138
	v_min3_f32 v107, v201, v208, v139
	;; [unrolled: 1-line block ×12, first 2 shown]
	v_add_f64 v[0:1], v[32:33], v[48:49]
	v_min3_f32 v142, v60, v61, v187
	s_waitcnt lgkmcnt(6)
	v_add_f64 v[173:174], v[34:35], v[42:43]
	v_min3_f32 v143, v225, v226, v188
	v_min3_f32 v144, v164, v165, v189
	;; [unrolled: 1-line block ×3, first 2 shown]
	v_add_f64 v[164:165], v[26:27], v[46:47]
	v_min3_f32 v146, v167, v169, v191
	v_add_f64 v[166:167], v[40:41], v[44:45]
	v_min3_f32 v147, v170, v171, v192
	v_add_f64 v[168:169], v[38:39], v[42:43]
	v_add_f64 v[170:171], v[36:37], v[44:45]
	;; [unrolled: 1-line block ×6, first 2 shown]
	s_waitcnt lgkmcnt(5)
	v_add_f64 v[191:192], v[40:41], v[52:53]
	v_add_f64 v[193:194], v[38:39], v[50:51]
	;; [unrolled: 1-line block ×10, first 2 shown]
	s_waitcnt lgkmcnt(4)
	v_add_f64 v[220:221], v[38:39], v[66:67]
	v_add_f64 v[222:223], v[40:41], v[68:69]
	v_cvt_f32_f64_e32 v197, v[0:1]
	v_cvt_f32_f64_e32 v201, v[164:165]
	;; [unrolled: 1-line block ×18, first 2 shown]
	v_add_f64 v[0:1], v[36:37], v[68:69]
	v_add_f64 v[164:165], v[34:35], v[66:67]
	;; [unrolled: 1-line block ×6, first 2 shown]
	s_waitcnt lgkmcnt(3)
	v_add_f64 v[175:176], v[40:41], v[104:105]
	v_add_f64 v[181:182], v[38:39], v[102:103]
	;; [unrolled: 1-line block ×8, first 2 shown]
	s_waitcnt lgkmcnt(2)
	v_add_f64 v[208:209], v[38:39], v[74:75]
	v_add_f64 v[210:211], v[40:41], v[76:77]
	;; [unrolled: 1-line block ×8, first 2 shown]
	v_cvt_f32_f64_e32 v195, v[58:59]
	v_cvt_f32_f64_e32 v224, v[60:61]
	;; [unrolled: 1-line block ×26, first 2 shown]
	ds_read_b128 v[70:73], v162 offset:528
	ds_read_b128 v[62:65], v162 offset:784
	;; [unrolled: 1-line block ×7, first 2 shown]
	v_min3_f32 v181, v195, v197, v148
	v_min3_f32 v182, v201, v224, v149
	;; [unrolled: 1-line block ×22, first 2 shown]
	s_waitcnt lgkmcnt(8)
	v_add_f64 v[0:1], v[40:41], v[100:101]
	v_add_f64 v[164:165], v[38:39], v[98:99]
	;; [unrolled: 1-line block ×8, first 2 shown]
	s_waitcnt lgkmcnt(7)
	v_add_f64 v[183:184], v[40:41], v[96:97]
	v_add_f64 v[185:186], v[38:39], v[94:95]
	;; [unrolled: 1-line block ×8, first 2 shown]
	s_waitcnt lgkmcnt(3)
	v_add_f64 v[212:213], v[38:39], v[90:91]
	v_add_f64 v[214:215], v[40:41], v[92:93]
	;; [unrolled: 1-line block ×6, first 2 shown]
	v_cvt_f32_f64_e32 v197, v[0:1]
	v_cvt_f32_f64_e32 v195, v[164:165]
	;; [unrolled: 1-line block ×18, first 2 shown]
	v_add_f64 v[0:1], v[28:29], v[92:93]
	v_add_f64 v[164:165], v[26:27], v[90:91]
	s_waitcnt lgkmcnt(2)
	v_add_f64 v[166:167], v[40:41], v[88:89]
	v_add_f64 v[168:169], v[38:39], v[86:87]
	;; [unrolled: 1-line block ×8, first 2 shown]
	s_waitcnt lgkmcnt(1)
	v_add_f64 v[187:188], v[40:41], v[84:85]
	v_add_f64 v[189:190], v[38:39], v[82:83]
	;; [unrolled: 1-line block ×8, first 2 shown]
	s_waitcnt lgkmcnt(0)
	v_add_f64 v[38:39], v[38:39], v[78:79]
	v_add_f64 v[40:41], v[40:41], v[80:81]
	v_add_f64 v[34:35], v[34:35], v[78:79]
	v_add_f64 v[36:37], v[36:37], v[80:81]
	v_cvt_f32_f64_e32 v216, v[216:217]
	v_cvt_f32_f64_e32 v217, v[218:219]
	;; [unrolled: 1-line block ×26, first 2 shown]
	v_min3_f32 v179, v195, v197, v116
	v_min3_f32 v180, v201, v224, v117
	;; [unrolled: 1-line block ×22, first 2 shown]
	v_add_f64 v[0:1], v[30:31], v[78:79]
	v_add_f64 v[30:31], v[32:33], v[80:81]
	;; [unrolled: 1-line block ×22, first 2 shown]
	v_cvt_f32_f64_e32 v183, v[0:1]
	v_cvt_f32_f64_e32 v184, v[30:31]
	v_cvt_f32_f64_e32 v185, v[26:27]
	v_cvt_f32_f64_e32 v186, v[28:29]
	v_cvt_f32_f64_e32 v187, v[32:33]
	v_cvt_f32_f64_e32 v188, v[78:79]
	v_cvt_f32_f64_e32 v189, v[80:81]
	v_cvt_f32_f64_e32 v190, v[128:129]
	v_cvt_f32_f64_e32 v191, v[130:131]
	v_cvt_f32_f64_e32 v192, v[132:133]
	v_cvt_f32_f64_e32 v193, v[22:23]
	v_cvt_f32_f64_e32 v194, v[24:25]
	v_cvt_f32_f64_e32 v195, v[134:135]
	v_cvt_f32_f64_e32 v197, v[136:137]
	v_cvt_f32_f64_e32 v164, v[164:165]
	v_cvt_f32_f64_e32 v165, v[166:167]
	v_cvt_f32_f64_e32 v166, v[168:169]
	v_add_f64 v[0:1], v[10:11], v[70:71]
	v_cvt_f32_f64_e32 v168, v[18:19]
	v_cvt_f32_f64_e32 v169, v[20:21]
	v_add_f64 v[18:19], v[12:13], v[72:73]
	v_add_f64 v[20:21], v[6:7], v[70:71]
	;; [unrolled: 1-line block ×21, first 2 shown]
	v_cvt_f32_f64_e32 v0, v[0:1]
	v_cvt_f32_f64_e32 v1, v[18:19]
	;; [unrolled: 1-line block ×22, first 2 shown]
	ds_read_b128 v[46:49], v162 offset:1296
	ds_read_b128 v[42:45], v162 offset:1552
	v_cvt_f32_f64_e32 v167, v[170:171]
	v_min3_f32 v243, v195, v197, v110
	v_min3_f32 v238, v0, v1, v139
	;; [unrolled: 1-line block ×5, first 2 shown]
	ds_read_b128 v[50:53], v162 offset:1808
	ds_read_b128 v[66:69], v162 offset:2064
	v_min3_f32 v234, v26, v27, v143
	v_min3_f32 v233, v28, v29, v144
	ds_read_b128 v[58:61], v162 offset:2320
	ds_read_b128 v[74:77], v162 offset:2576
	v_min3_f32 v232, v30, v31, v145
	v_min3_f32 v226, v32, v33, v146
	;; [unrolled: 1-line block ×6, first 2 shown]
	s_waitcnt lgkmcnt(5)
	v_add_f64 v[0:1], v[14:15], v[46:47]
	v_min3_f32 v195, v54, v55, v182
	v_add_f64 v[20:21], v[16:17], v[48:49]
	v_add_f64 v[22:23], v[10:11], v[46:47]
	;; [unrolled: 1-line block ×7, first 2 shown]
	s_waitcnt lgkmcnt(4)
	v_add_f64 v[46:47], v[14:15], v[42:43]
	v_add_f64 v[48:49], v[16:17], v[44:45]
	;; [unrolled: 1-line block ×8, first 2 shown]
	v_min3_f32 v242, v164, v165, v111
	v_min3_f32 v241, v166, v167, v112
	;; [unrolled: 1-line block ×5, first 2 shown]
	v_cvt_f32_f64_e32 v110, v[0:1]
	s_waitcnt lgkmcnt(3)
	v_add_f64 v[0:1], v[2:3], v[50:51]
	v_cvt_f32_f64_e32 v111, v[20:21]
	v_cvt_f32_f64_e32 v112, v[22:23]
	;; [unrolled: 1-line block ×5, first 2 shown]
	v_add_f64 v[20:21], v[4:5], v[52:53]
	s_waitcnt lgkmcnt(2)
	v_add_f64 v[22:23], v[14:15], v[66:67]
	v_cvt_f32_f64_e32 v130, v[46:47]
	v_cvt_f32_f64_e32 v131, v[48:49]
	v_add_f64 v[24:25], v[16:17], v[68:69]
	v_add_f64 v[26:27], v[10:11], v[66:67]
	;; [unrolled: 1-line block ×3, first 2 shown]
	s_waitcnt lgkmcnt(1)
	v_add_f64 v[46:47], v[14:15], v[58:59]
	v_cvt_f32_f64_e32 v136, v[42:43]
	v_cvt_f32_f64_e32 v137, v[44:45]
	v_add_f64 v[42:43], v[2:3], v[66:67]
	v_add_f64 v[44:45], v[4:5], v[68:69]
	;; [unrolled: 1-line block ×3, first 2 shown]
	v_min3_f32 v196, v191, v192, v108
	v_min3_f32 v244, v193, v194, v109
	v_add_f64 v[70:71], v[14:15], v[50:51]
	v_add_f64 v[72:73], v[16:17], v[52:53]
	;; [unrolled: 1-line block ×6, first 2 shown]
	v_cvt_f32_f64_e32 v128, v[30:31]
	v_cvt_f32_f64_e32 v129, v[32:33]
	v_add_f64 v[30:31], v[6:7], v[66:67]
	v_add_f64 v[32:33], v[8:9], v[68:69]
	v_add_f64 v[50:51], v[10:11], v[58:59]
	v_add_f64 v[52:53], v[12:13], v[60:61]
	s_waitcnt lgkmcnt(0)
	v_add_f64 v[66:67], v[10:11], v[74:75]
	v_add_f64 v[68:69], v[12:13], v[76:77]
	v_cvt_f32_f64_e32 v0, v[0:1]
	v_cvt_f32_f64_e32 v1, v[20:21]
	;; [unrolled: 1-line block ×10, first 2 shown]
	ds_read_b128 v[98:101], v162 offset:2832
	ds_read_b128 v[94:97], v162 offset:3088
	v_cvt_f32_f64_e32 v132, v[54:55]
	v_cvt_f32_f64_e32 v134, v[62:63]
	v_cvt_f32_f64_e32 v135, v[64:65]
	v_cvt_f32_f64_e32 v70, v[70:71]
	v_cvt_f32_f64_e32 v71, v[72:73]
	v_add_f64 v[54:55], v[6:7], v[58:59]
	v_add_f64 v[58:59], v[2:3], v[58:59]
	;; [unrolled: 1-line block ×4, first 2 shown]
	v_cvt_f32_f64_e32 v24, v[30:31]
	v_cvt_f32_f64_e32 v25, v[32:33]
	;; [unrolled: 1-line block ×6, first 2 shown]
	v_min3_f32 v206, v0, v1, v155
	v_min3_f32 v205, v20, v21, v156
	;; [unrolled: 1-line block ×3, first 2 shown]
	v_add_f64 v[0:1], v[6:7], v[74:75]
	v_min3_f32 v251, v28, v29, v160
	v_add_f64 v[20:21], v[8:9], v[76:77]
	s_waitcnt lgkmcnt(1)
	v_add_f64 v[26:27], v[14:15], v[98:99]
	v_add_f64 v[28:29], v[16:17], v[100:101]
	s_waitcnt lgkmcnt(0)
	v_add_f64 v[50:51], v[14:15], v[94:95]
	v_add_f64 v[52:53], v[16:17], v[96:97]
	ds_read_b128 v[90:93], v162 offset:3344
	ds_read_b128 v[86:89], v162 offset:3600
	;; [unrolled: 1-line block ×3, first 2 shown]
	v_cvt_f32_f64_e32 v133, v[56:57]
	v_add_f64 v[56:57], v[8:9], v[60:61]
	v_add_f64 v[60:61], v[4:5], v[60:61]
	v_cvt_f32_f64_e32 v32, v[54:55]
	v_cvt_f32_f64_e32 v42, v[58:59]
	;; [unrolled: 1-line block ×4, first 2 shown]
	v_min3_f32 v222, v70, v71, v152
	v_min3_f32 v204, v22, v23, v157
	;; [unrolled: 1-line block ×4, first 2 shown]
	v_add_f64 v[22:23], v[2:3], v[74:75]
	v_add_f64 v[24:25], v[4:5], v[76:77]
	;; [unrolled: 1-line block ×8, first 2 shown]
	v_cvt_f32_f64_e32 v70, v[0:1]
	v_cvt_f32_f64_e32 v71, v[20:21]
	;; [unrolled: 1-line block ×6, first 2 shown]
	s_waitcnt lgkmcnt(2)
	v_add_f64 v[0:1], v[10:11], v[90:91]
	v_add_f64 v[20:21], v[12:13], v[92:93]
	;; [unrolled: 1-line block ×4, first 2 shown]
	s_waitcnt lgkmcnt(1)
	v_add_f64 v[50:51], v[2:3], v[86:87]
	v_add_f64 v[52:53], v[4:5], v[88:89]
	s_waitcnt lgkmcnt(0)
	v_add_f64 v[2:3], v[2:3], v[82:83]
	v_add_f64 v[4:5], v[4:5], v[84:85]
	v_cvt_f32_f64_e32 v170, v[173:174]
	s_clause 0x2
	buffer_load_dword v174, off, s[28:31], 0 offset:24
	buffer_load_dword v173, off, s[28:31], 0 offset:20
	;; [unrolled: 1-line block ×3, first 2 shown]
	v_cvt_f32_f64_e32 v171, v[175:176]
	v_cvt_f32_f64_e32 v33, v[56:57]
	;; [unrolled: 1-line block ×7, first 2 shown]
	v_min3_f32 v249, v30, v31, v161
	v_min3_f32 v246, v44, v45, v179
	v_add_f64 v[30:31], v[10:11], v[98:99]
	v_add_f64 v[44:45], v[8:9], v[100:101]
	v_cvt_f32_f64_e32 v0, v[0:1]
	v_cvt_f32_f64_e32 v1, v[20:21]
	v_add_f64 v[56:57], v[12:13], v[96:97]
	v_add_f64 v[60:61], v[8:9], v[96:97]
	;; [unrolled: 1-line block ×4, first 2 shown]
	v_cvt_f32_f64_e32 v2, v[2:3]
	v_cvt_f32_f64_e32 v3, v[4:5]
	;; [unrolled: 1-line block ×4, first 2 shown]
	v_add_f64 v[46:47], v[6:7], v[86:87]
	v_min3_f32 v239, v170, v171, v138
	v_min3_f32 v248, v32, v33, v177
	;; [unrolled: 1-line block ×3, first 2 shown]
	v_add_f64 v[32:33], v[12:13], v[100:101]
	v_add_f64 v[42:43], v[6:7], v[98:99]
	v_min3_f32 v162, v72, v73, v153
	v_min3_f32 v207, v78, v79, v154
	v_cvt_f32_f64_e32 v72, v[22:23]
	v_cvt_f32_f64_e32 v73, v[24:25]
	;; [unrolled: 1-line block ×4, first 2 shown]
	v_add_f64 v[22:23], v[6:7], v[90:91]
	v_min3_f32 v192, v0, v1, v119
	v_add_f64 v[24:25], v[8:9], v[92:93]
	v_add_f64 v[30:31], v[14:15], v[86:87]
	;; [unrolled: 1-line block ×5, first 2 shown]
	v_min3_f32 v182, v2, v3, v19
	s_clause 0x3
	buffer_load_dword v1, off, s[28:31], 0 offset:92
	buffer_load_dword v2, off, s[28:31], 0 offset:96
	;; [unrolled: 1-line block ×4, first 2 shown]
	v_add_f64 v[12:13], v[12:13], v[84:85]
	v_add_f64 v[6:7], v[6:7], v[82:83]
	;; [unrolled: 1-line block ×3, first 2 shown]
	v_cvt_f32_f64_e32 v54, v[54:55]
	v_cvt_f32_f64_e32 v55, v[56:57]
	;; [unrolled: 1-line block ×4, first 2 shown]
	v_add_f64 v[32:33], v[16:17], v[88:89]
	v_add_f64 v[42:43], v[10:11], v[86:87]
	;; [unrolled: 1-line block ×4, first 2 shown]
	v_cvt_f32_f64_e32 v56, v[58:59]
	v_cvt_f32_f64_e32 v57, v[60:61]
	v_cvt_f32_f64_e32 v58, v[62:63]
	v_cvt_f32_f64_e32 v59, v[64:65]
	v_cvt_f32_f64_e32 v60, v[66:67]
	v_cvt_f32_f64_e32 v61, v[68:69]
	v_cvt_f32_f64_e32 v20, v[22:23]
	v_cvt_f32_f64_e32 v21, v[24:25]
	v_cvt_f32_f64_e32 v22, v[26:27]
	v_cvt_f32_f64_e32 v23, v[28:29]
	v_cvt_f32_f64_e32 v24, v[30:31]
	v_cvt_f32_f64_e32 v27, v[44:45]
	v_cvt_f32_f64_e32 v28, v[46:47]
	v_cvt_f32_f64_e32 v29, v[48:49]
	v_cvt_f32_f64_e32 v30, v[50:51]
	v_cvt_f32_f64_e32 v31, v[52:53]
	v_cvt_f32_f64_e32 v14, v[14:15]
	v_cvt_f32_f64_e32 v6, v[6:7]
	v_cvt_f32_f64_e32 v25, v[32:33]
	v_cvt_f32_f64_e32 v26, v[42:43]
	v_cvt_f32_f64_e32 v15, v[16:17]
	v_cvt_f32_f64_e32 v10, v[10:11]
	v_cvt_f32_f64_e32 v11, v[12:13]
	v_cvt_f32_f64_e32 v7, v[8:9]
	v_min3_f32 v231, v110, v111, v102
	v_min3_f32 v230, v112, v113, v103
	;; [unrolled: 1-line block ×28, first 2 shown]
	s_waitcnt vmcnt(4)
	v_add_nc_u32_e32 v0, 0x1000, v168
	s_waitcnt vmcnt(0)
	ds_write2st64_b64 v0, v[1:2], v[3:4] offset1:4
	s_clause 0x9
	buffer_load_dword v1, off, s[28:31], 0 offset:112
	buffer_load_dword v2, off, s[28:31], 0 offset:116
	;; [unrolled: 1-line block ×10, first 2 shown]
	v_add_nc_u32_e32 v0, 0x3000, v168
	s_waitcnt vmcnt(6)
	ds_write2st64_b64 v0, v[1:2], v[3:4] offset1:4
	s_waitcnt vmcnt(5)
	v_add_co_u32 v170, s3, v170, 64
	s_waitcnt vmcnt(4)
	v_add_co_ci_u32_e64 v171, null, 0, v171, s3
	v_add_co_u32 v173, s3, v173, 64
	v_add_co_ci_u32_e64 v174, null, 0, v174, s3
	s_waitcnt vmcnt(3)
	v_add_co_u32 v169, s3, v169, 64
	s_waitcnt vmcnt(2)
	v_add_co_ci_u32_e64 v172, null, 0, v172, s3
	s_waitcnt vmcnt(1)
	v_add_co_u32 v175, s3, v175, 64
	s_waitcnt vmcnt(0)
	v_add_co_ci_u32_e64 v176, null, 0, v176, s3
	s_waitcnt lgkmcnt(0)
	s_waitcnt_vscnt null, 0x0
	s_barrier
	buffer_gl0_inv
	s_cbranch_scc1 .LBB115_43
.LBB115_27:                             ; =>This Inner Loop Header: Depth=1
	s_clause 0x2
	buffer_load_dword v0, off, s[28:31], 0 offset:160
	buffer_load_dword v2, off, s[28:31], 0
	buffer_load_dword v3, off, s[28:31], 0 offset:4
	s_waitcnt vmcnt(2)
	v_add_nc_u32_e32 v10, s19, v0
	v_add_nc_u32_e32 v0, 8, v10
	v_cmp_le_i32_e64 s3, s14, v0
	s_nor_b32 s6, vcc_lo, s3
	s_and_saveexec_b32 s20, s6
	s_cbranch_execz .LBB115_29
; %bb.28:                               ;   in Loop: Header=BB115_27 Depth=1
	buffer_load_dword v0, off, s[28:31], 0 offset:8 ; 4-byte Folded Reload
	s_waitcnt vmcnt(0)
	v_add_co_u32 v2, s6, v169, v0
	v_add_co_ci_u32_e64 v3, null, 0, v172, s6
	flat_load_dwordx2 v[2:3], v[2:3] offset:64
.LBB115_29:                             ;   in Loop: Header=BB115_27 Depth=1
	s_or_b32 exec_lo, exec_lo, s20
	s_clause 0x1
	buffer_load_dword v4, off, s[28:31], 0
	buffer_load_dword v5, off, s[28:31], 0 offset:4
	s_nor_b32 s6, s0, s3
	s_and_saveexec_b32 s20, s6
	s_cbranch_execz .LBB115_31
; %bb.30:                               ;   in Loop: Header=BB115_27 Depth=1
	buffer_load_dword v0, off, s[28:31], 0 offset:8 ; 4-byte Folded Reload
	s_waitcnt vmcnt(0)
	v_add_co_u32 v4, s6, v175, v0
	v_add_co_ci_u32_e64 v5, null, 0, v176, s6
	flat_load_dwordx2 v[4:5], v[4:5] offset:64
.LBB115_31:                             ;   in Loop: Header=BB115_27 Depth=1
	s_or_b32 exec_lo, exec_lo, s20
	s_clause 0x1
	buffer_load_dword v6, off, s[28:31], 0
	buffer_load_dword v7, off, s[28:31], 0 offset:4
	s_nor_b32 s6, s1, s3
	;; [unrolled: 14-line block ×3, first 2 shown]
	s_and_saveexec_b32 s6, s3
	s_cbranch_execz .LBB115_35
; %bb.34:                               ;   in Loop: Header=BB115_27 Depth=1
	buffer_load_dword v0, off, s[28:31], 0 offset:8 ; 4-byte Folded Reload
	s_waitcnt vmcnt(0)
	v_add_co_u32 v8, s3, v173, v0
	v_add_co_ci_u32_e64 v9, null, 0, v174, s3
	flat_load_dwordx2 v[8:9], v[8:9] offset:64
.LBB115_35:                             ;   in Loop: Header=BB115_27 Depth=1
	s_or_b32 exec_lo, exec_lo, s6
	buffer_load_dword v18, off, s[28:31], 0 offset:176 ; 4-byte Folded Reload
	v_add_nc_u32_e32 v0, 0x2000, v168
	s_waitcnt vmcnt(5) lgkmcnt(0)
	ds_write2st64_b64 v168, v[2:3], v[4:5] offset1:4
	v_add_nc_u32_e32 v1, 12, v10
	s_waitcnt vmcnt(0)
	ds_read_b128 v[158:161], v18
	ds_read_b128 v[78:81], v18 offset:16
	ds_write2st64_b64 v0, v[6:7], v[8:9] offset1:4
	buffer_load_dword v0, off, s[28:31], 0 offset:168 ; 4-byte Folded Reload
	v_cmp_le_i32_e64 s3, s14, v1
	s_waitcnt vmcnt(0)
	ds_read_b128 v[98:101], v0
	ds_read_b128 v[2:5], v0 offset:16
	ds_read_b128 v[94:97], v0 offset:1024
	;; [unrolled: 1-line block ×37, first 2 shown]
	s_waitcnt lgkmcnt(0)
	s_waitcnt_vscnt null, 0x0
	s_barrier
	buffer_gl0_inv
	s_clause 0x1
	buffer_load_dword v0, off, s[28:31], 0
	buffer_load_dword v1, off, s[28:31], 0 offset:4
	s_nor_b32 s6, vcc_lo, s3
	s_and_saveexec_b32 s20, s6
	s_cbranch_execz .LBB115_37
; %bb.36:                               ;   in Loop: Header=BB115_27 Depth=1
	buffer_load_dword v0, off, s[28:31], 0 offset:8 ; 4-byte Folded Reload
	s_waitcnt vmcnt(0)
	v_add_co_u32 v164, s6, v169, v0
	v_add_co_ci_u32_e64 v165, null, 0, v172, s6
	flat_load_dwordx2 v[0:1], v[164:165] offset:96
.LBB115_37:                             ;   in Loop: Header=BB115_27 Depth=1
	s_or_b32 exec_lo, exec_lo, s20
	s_waitcnt vmcnt(0) lgkmcnt(0)
	buffer_store_dword v0, off, s[28:31], 0 offset:92 ; 4-byte Folded Spill
	buffer_store_dword v1, off, s[28:31], 0 offset:96 ; 4-byte Folded Spill
	s_clause 0x1
	buffer_load_dword v0, off, s[28:31], 0
	buffer_load_dword v1, off, s[28:31], 0 offset:4
	s_nor_b32 s6, s0, s3
	s_and_saveexec_b32 s20, s6
	s_cbranch_execz .LBB115_39
; %bb.38:                               ;   in Loop: Header=BB115_27 Depth=1
	buffer_load_dword v0, off, s[28:31], 0 offset:8 ; 4-byte Folded Reload
	s_waitcnt vmcnt(0)
	v_add_co_u32 v166, s6, v175, v0
	v_add_co_ci_u32_e64 v167, null, 0, v176, s6
	flat_load_dwordx2 v[0:1], v[166:167] offset:96
.LBB115_39:                             ;   in Loop: Header=BB115_27 Depth=1
	s_or_b32 exec_lo, exec_lo, s20
	s_waitcnt vmcnt(0) lgkmcnt(0)
	buffer_store_dword v0, off, s[28:31], 0 offset:104 ; 4-byte Folded Spill
	buffer_store_dword v1, off, s[28:31], 0 offset:108 ; 4-byte Folded Spill
	;; [unrolled: 1-line block ×3, first 2 shown]
	s_clause 0x1
	buffer_load_dword v0, off, s[28:31], 0
	buffer_load_dword v1, off, s[28:31], 0 offset:4
	s_nor_b32 s6, s1, s3
	s_and_saveexec_b32 s20, s6
	s_cbranch_execz .LBB115_41
; %bb.40:                               ;   in Loop: Header=BB115_27 Depth=1
	buffer_load_dword v0, off, s[28:31], 0 offset:8 ; 4-byte Folded Reload
	s_waitcnt vmcnt(0)
	v_add_co_u32 v168, s6, v170, v0
	v_add_co_ci_u32_e64 v169, null, 0, v171, s6
	flat_load_dwordx2 v[0:1], v[168:169] offset:96
.LBB115_41:                             ;   in Loop: Header=BB115_27 Depth=1
	s_or_b32 exec_lo, exec_lo, s20
	s_waitcnt vmcnt(0) lgkmcnt(0)
	buffer_store_dword v0, off, s[28:31], 0 offset:112 ; 4-byte Folded Spill
	buffer_store_dword v1, off, s[28:31], 0 offset:116 ; 4-byte Folded Spill
	;; [unrolled: 1-line block ×27, first 2 shown]
	s_clause 0x1
	buffer_load_dword v0, off, s[28:31], 0
	buffer_load_dword v1, off, s[28:31], 0 offset:4
	v_mov_b32_e32 v227, v223
	v_mov_b32_e32 v163, v222
	;; [unrolled: 1-line block ×3, first 2 shown]
	s_nor_b32 s3, s2, s3
	s_and_saveexec_b32 s6, s3
	s_cbranch_execz .LBB115_26
; %bb.42:                               ;   in Loop: Header=BB115_27 Depth=1
	buffer_load_dword v0, off, s[28:31], 0 offset:8 ; 4-byte Folded Reload
	s_waitcnt vmcnt(0)
	v_add_co_u32 v170, s3, v173, v0
	v_add_co_ci_u32_e64 v171, null, 0, v174, s3
	flat_load_dwordx2 v[0:1], v[170:171] offset:96
	s_branch .LBB115_26
.LBB115_43:
	v_mov_b32_e32 v221, v162
.LBB115_44:
	s_clause 0x2
	s_load_dwordx2 s[0:1], s[4:5], 0x78
	s_load_dword s6, s[4:5], 0x58
	s_load_dword s5, s[4:5], 0x70
	buffer_load_dword v0, off, s[28:31], 0 offset:156 ; 4-byte Folded Reload
	v_cndmask_b32_e64 v168, 0, 1, s7
	s_waitcnt vmcnt(0)
	ds_read_b128 v[38:41], v0 offset:4096
	ds_read_b128 v[34:37], v0 offset:4112
	buffer_load_dword v1, off, s[28:31], 0 offset:188 ; 4-byte Folded Reload
	s_waitcnt lgkmcnt(0)
	s_lshl_b64 s[0:1], s[0:1], 3
	s_waitcnt vmcnt(0)
	ds_read_b128 v[158:161], v1 offset:12288
	ds_read_b128 v[154:157], v1 offset:12304
	;; [unrolled: 1-line block ×30, first 2 shown]
	buffer_load_dword v0, off, s[28:31], 0 offset:184 ; 4-byte Folded Reload
	ds_read_b128 v[62:65], v1 offset:15360
	ds_read_b128 v[58:61], v1 offset:15376
	;; [unrolled: 1-line block ×6, first 2 shown]
	s_add_u32 s8, s8, s0
	s_addc_u32 s9, s9, s1
	s_waitcnt vmcnt(0)
	v_add_nc_u32_e32 v169, s22, v0
	buffer_load_dword v0, off, s[28:31], 0 offset:180 ; 4-byte Folded Reload
	ds_read_b128 v[14:17], v1 offset:16128
	ds_read_b128 v[10:13], v1 offset:16144
	v_mad_i64_i32 v[162:163], null, v169, s6, 0
	v_mad_i64_i32 v[164:165], null, v169, s5, 0
	v_cmp_gt_i32_e64 s4, s13, v169
	v_lshlrev_b64 v[162:163], 3, v[162:163]
	v_lshlrev_b64 v[164:165], 3, v[164:165]
	v_add_co_u32 v172, vcc_lo, s16, v162
	v_add_co_ci_u32_e64 v173, null, s17, v163, vcc_lo
	v_add_co_u32 v170, vcc_lo, s8, v164
	v_add_co_ci_u32_e64 v171, null, s9, v165, vcc_lo
	s_waitcnt vmcnt(0)
	v_add_nc_u32_e32 v0, s15, v0
	v_cmp_gt_i32_e64 s0, s12, v0
	v_ashrrev_i32_e32 v1, 31, v0
	s_and_b32 s2, s0, s4
	s_and_saveexec_b32 s1, s2
	s_cbranch_execz .LBB115_49
; %bb.45:
	s_andn2_b32 vcc_lo, exec_lo, s7
	s_cbranch_vccnz .LBB115_47
; %bb.46:
	v_lshlrev_b64 v[162:163], 3, v[0:1]
	v_add_co_u32 v162, vcc_lo, v172, v162
	v_add_co_ci_u32_e64 v163, null, v173, v163, vcc_lo
	flat_load_dwordx2 v[162:163], v[162:163]
	s_waitcnt vmcnt(0) lgkmcnt(0)
	v_mul_f64 v[162:163], s[10:11], v[162:163]
	v_cvt_f32_f64_e32 v162, v[162:163]
	s_branch .LBB115_48
.LBB115_47:
	v_mov_b32_e32 v162, 0
.LBB115_48:
	s_waitcnt lgkmcnt(37)
	v_add_f64 v[163:164], v[38:39], v[158:159]
	v_add_f64 v[165:166], v[40:41], v[160:161]
	s_waitcnt lgkmcnt(36)
	v_add_f64 v[174:175], v[34:35], v[154:155]
	v_add_f64 v[176:177], v[36:37], v[156:157]
	v_cvt_f32_f64_e32 v163, v[163:164]
	v_cvt_f32_f64_e32 v164, v[165:166]
	;; [unrolled: 1-line block ×4, first 2 shown]
	v_min3_f32 v163, v163, v164, v245
	v_min_f32_e32 v164, v165, v166
	v_min3_f32 v162, v162, v164, v163
	v_lshlrev_b64 v[164:165], 3, v[0:1]
	v_cvt_f64_f32_e32 v[162:163], v162
	v_add_co_u32 v164, vcc_lo, v170, v164
	v_add_co_ci_u32_e64 v165, null, v171, v165, vcc_lo
	flat_store_dwordx2 v[164:165], v[162:163]
.LBB115_49:
	s_or_b32 exec_lo, exec_lo, s1
	v_add_nc_u32_e32 v162, 32, v0
	v_cmp_gt_i32_e64 s1, s12, v162
	v_ashrrev_i32_e32 v163, 31, v162
	s_and_b32 s3, s1, s4
	s_and_saveexec_b32 s2, s3
	s_cbranch_execz .LBB115_54
; %bb.50:
	v_cmp_ne_u32_e32 vcc_lo, 1, v168
	s_cbranch_vccnz .LBB115_52
; %bb.51:
	v_lshlrev_b64 v[164:165], 3, v[162:163]
	v_add_co_u32 v164, vcc_lo, v172, v164
	v_add_co_ci_u32_e64 v165, null, v173, v165, vcc_lo
	flat_load_dwordx2 v[164:165], v[164:165]
	s_waitcnt vmcnt(0) lgkmcnt(0)
	v_mul_f64 v[164:165], s[10:11], v[164:165]
	v_cvt_f32_f64_e32 v164, v[164:165]
	s_branch .LBB115_53
.LBB115_52:
	v_mov_b32_e32 v164, 0
.LBB115_53:
	s_waitcnt lgkmcnt(35)
	v_add_f64 v[165:166], v[26:27], v[158:159]
	v_add_f64 v[174:175], v[28:29], v[160:161]
	s_waitcnt lgkmcnt(34)
	v_add_f64 v[176:177], v[30:31], v[154:155]
	v_add_f64 v[178:179], v[32:33], v[156:157]
	v_cvt_f32_f64_e32 v165, v[165:166]
	v_cvt_f32_f64_e32 v166, v[174:175]
	v_cvt_f32_f64_e32 v167, v[176:177]
	v_cvt_f32_f64_e32 v174, v[178:179]
	v_min3_f32 v165, v165, v166, v198
	v_min_f32_e32 v166, v167, v174
	v_min3_f32 v164, v164, v166, v165
	v_lshlrev_b64 v[166:167], 3, v[162:163]
	v_cvt_f64_f32_e32 v[164:165], v164
	v_add_co_u32 v166, vcc_lo, v170, v166
	v_add_co_ci_u32_e64 v167, null, v171, v167, vcc_lo
	flat_store_dwordx2 v[166:167], v[164:165]
.LBB115_54:
	s_or_b32 exec_lo, exec_lo, s2
	v_add_nc_u32_e32 v164, 64, v0
	v_cmp_gt_i32_e64 s2, s12, v164
	v_ashrrev_i32_e32 v165, 31, v164
	s_and_b32 s7, s2, s4
	s_and_saveexec_b32 s3, s7
	s_cbranch_execz .LBB115_59
; %bb.55:
	v_cmp_ne_u32_e32 vcc_lo, 1, v168
	s_cbranch_vccnz .LBB115_57
; %bb.56:
	v_lshlrev_b64 v[166:167], 3, v[164:165]
	v_add_co_u32 v166, vcc_lo, v172, v166
	v_add_co_ci_u32_e64 v167, null, v173, v167, vcc_lo
	flat_load_dwordx2 v[166:167], v[166:167]
	s_waitcnt vmcnt(0) lgkmcnt(0)
	v_mul_f64 v[166:167], s[10:11], v[166:167]
	v_cvt_f32_f64_e32 v166, v[166:167]
	s_branch .LBB115_58
.LBB115_57:
	v_mov_b32_e32 v166, 0
.LBB115_58:
	s_waitcnt lgkmcnt(33)
	v_add_f64 v[174:175], v[22:23], v[158:159]
	v_add_f64 v[176:177], v[24:25], v[160:161]
	s_waitcnt lgkmcnt(32)
	v_add_f64 v[178:179], v[18:19], v[154:155]
	v_add_f64 v[180:181], v[20:21], v[156:157]
	v_cvt_f32_f64_e32 v167, v[174:175]
	v_cvt_f32_f64_e32 v174, v[176:177]
	v_cvt_f32_f64_e32 v175, v[178:179]
	v_cvt_f32_f64_e32 v176, v[180:181]
	v_min3_f32 v167, v167, v174, v196
	v_min_f32_e32 v174, v175, v176
	v_min3_f32 v166, v166, v174, v167
	v_lshlrev_b64 v[174:175], 3, v[164:165]
	v_cvt_f64_f32_e32 v[166:167], v166
	v_add_co_u32 v174, vcc_lo, v170, v174
	v_add_co_ci_u32_e64 v175, null, v171, v175, vcc_lo
	flat_store_dwordx2 v[174:175], v[166:167]
.LBB115_59:
	;; [unrolled: 41-line block ×3, first 2 shown]
	s_or_b32 exec_lo, exec_lo, s4
	s_waitcnt lgkmcnt(37)
	v_add_nc_u32_e32 v158, 8, v169
	s_waitcnt lgkmcnt(36)
	v_mad_i64_i32 v[154:155], null, v158, s6, 0
	v_mad_i64_i32 v[156:157], null, v158, s5, 0
	v_cmp_gt_i32_e64 s4, s13, v158
	v_lshlrev_b64 v[154:155], 3, v[154:155]
	s_and_b32 s12, s0, s4
	v_lshlrev_b64 v[158:159], 3, v[156:157]
	v_add_co_u32 v156, vcc_lo, s16, v154
	v_add_co_ci_u32_e64 v157, null, s17, v155, vcc_lo
	v_add_co_u32 v154, vcc_lo, s8, v158
	v_add_co_ci_u32_e64 v155, null, s9, v159, vcc_lo
	s_and_saveexec_b32 s7, s12
	s_cbranch_execnz .LBB115_68
; %bb.65:
	s_or_b32 exec_lo, exec_lo, s7
	s_and_b32 s12, s1, s4
	s_and_saveexec_b32 s7, s12
	s_cbranch_execnz .LBB115_72
.LBB115_66:
	s_or_b32 exec_lo, exec_lo, s7
	s_and_b32 s12, s2, s4
	s_and_saveexec_b32 s7, s12
	s_cbranch_execnz .LBB115_76
.LBB115_67:
	s_or_b32 exec_lo, exec_lo, s7
	s_and_b32 s7, s3, s4
	s_and_saveexec_b32 s4, s7
	s_cbranch_execnz .LBB115_80
	s_branch .LBB115_84
.LBB115_68:
	v_cmp_ne_u32_e32 vcc_lo, 1, v168
	s_cbranch_vccnz .LBB115_70
; %bb.69:
	v_lshlrev_b64 v[158:159], 3, v[0:1]
	v_add_co_u32 v158, vcc_lo, v156, v158
	v_add_co_ci_u32_e64 v159, null, v157, v159, vcc_lo
	flat_load_dwordx2 v[158:159], v[158:159]
	s_waitcnt vmcnt(0) lgkmcnt(0)
	v_mul_f64 v[158:159], s[10:11], v[158:159]
	v_cvt_f32_f64_e32 v158, v[158:159]
	s_branch .LBB115_71
.LBB115_70:
	v_mov_b32_e32 v158, 0
.LBB115_71:
	s_waitcnt lgkmcnt(29)
	v_add_f64 v[159:160], v[38:39], v[150:151]
	v_add_f64 v[170:171], v[40:41], v[152:153]
	s_waitcnt lgkmcnt(28)
	v_add_f64 v[172:173], v[34:35], v[146:147]
	v_add_f64 v[174:175], v[36:37], v[148:149]
	v_cvt_f32_f64_e32 v159, v[159:160]
	v_cvt_f32_f64_e32 v160, v[170:171]
	;; [unrolled: 1-line block ×4, first 2 shown]
	v_min3_f32 v159, v159, v160, v243
	v_min_f32_e32 v160, v161, v170
	v_min3_f32 v158, v158, v160, v159
	v_lshlrev_b64 v[160:161], 3, v[0:1]
	v_cvt_f64_f32_e32 v[158:159], v158
	v_add_co_u32 v160, vcc_lo, v154, v160
	v_add_co_ci_u32_e64 v161, null, v155, v161, vcc_lo
	flat_store_dwordx2 v[160:161], v[158:159]
	s_or_b32 exec_lo, exec_lo, s7
	s_and_b32 s12, s1, s4
	s_and_saveexec_b32 s7, s12
	s_cbranch_execz .LBB115_66
.LBB115_72:
	v_cmp_ne_u32_e32 vcc_lo, 1, v168
	s_cbranch_vccnz .LBB115_74
; %bb.73:
	v_lshlrev_b64 v[158:159], 3, v[162:163]
	v_add_co_u32 v158, vcc_lo, v156, v158
	v_add_co_ci_u32_e64 v159, null, v157, v159, vcc_lo
	flat_load_dwordx2 v[158:159], v[158:159]
	s_waitcnt vmcnt(0) lgkmcnt(0)
	v_mul_f64 v[158:159], s[10:11], v[158:159]
	v_cvt_f32_f64_e32 v158, v[158:159]
	s_branch .LBB115_75
.LBB115_74:
	v_mov_b32_e32 v158, 0
.LBB115_75:
	s_waitcnt lgkmcnt(29)
	v_add_f64 v[159:160], v[26:27], v[150:151]
	v_add_f64 v[170:171], v[28:29], v[152:153]
	s_waitcnt lgkmcnt(28)
	v_add_f64 v[172:173], v[30:31], v[146:147]
	v_add_f64 v[174:175], v[32:33], v[148:149]
	v_cvt_f32_f64_e32 v159, v[159:160]
	v_cvt_f32_f64_e32 v160, v[170:171]
	;; [unrolled: 1-line block ×4, first 2 shown]
	v_min3_f32 v159, v159, v160, v242
	v_min_f32_e32 v160, v161, v170
	v_min3_f32 v158, v158, v160, v159
	v_lshlrev_b64 v[160:161], 3, v[162:163]
	v_cvt_f64_f32_e32 v[158:159], v158
	v_add_co_u32 v160, vcc_lo, v154, v160
	v_add_co_ci_u32_e64 v161, null, v155, v161, vcc_lo
	flat_store_dwordx2 v[160:161], v[158:159]
	s_or_b32 exec_lo, exec_lo, s7
	s_and_b32 s12, s2, s4
	s_and_saveexec_b32 s7, s12
	s_cbranch_execz .LBB115_67
.LBB115_76:
	v_cmp_ne_u32_e32 vcc_lo, 1, v168
	s_cbranch_vccnz .LBB115_78
; %bb.77:
	v_lshlrev_b64 v[158:159], 3, v[164:165]
	v_add_co_u32 v158, vcc_lo, v156, v158
	v_add_co_ci_u32_e64 v159, null, v157, v159, vcc_lo
	flat_load_dwordx2 v[158:159], v[158:159]
	s_waitcnt vmcnt(0) lgkmcnt(0)
	v_mul_f64 v[158:159], s[10:11], v[158:159]
	v_cvt_f32_f64_e32 v158, v[158:159]
	s_branch .LBB115_79
.LBB115_78:
	v_mov_b32_e32 v158, 0
.LBB115_79:
	s_waitcnt lgkmcnt(29)
	v_add_f64 v[159:160], v[22:23], v[150:151]
	v_add_f64 v[170:171], v[24:25], v[152:153]
	s_waitcnt lgkmcnt(28)
	v_add_f64 v[172:173], v[18:19], v[146:147]
	v_add_f64 v[174:175], v[20:21], v[148:149]
	v_cvt_f32_f64_e32 v159, v[159:160]
	v_cvt_f32_f64_e32 v160, v[170:171]
	;; [unrolled: 1-line block ×4, first 2 shown]
	v_min3_f32 v159, v159, v160, v241
	v_min_f32_e32 v160, v161, v170
	v_min3_f32 v158, v158, v160, v159
	v_lshlrev_b64 v[160:161], 3, v[164:165]
	v_cvt_f64_f32_e32 v[158:159], v158
	v_add_co_u32 v160, vcc_lo, v154, v160
	v_add_co_ci_u32_e64 v161, null, v155, v161, vcc_lo
	flat_store_dwordx2 v[160:161], v[158:159]
	s_or_b32 exec_lo, exec_lo, s7
	s_and_b32 s7, s3, s4
	s_and_saveexec_b32 s4, s7
	s_cbranch_execz .LBB115_84
.LBB115_80:
	v_cmp_ne_u32_e32 vcc_lo, 1, v168
	s_cbranch_vccnz .LBB115_82
; %bb.81:
	v_lshlrev_b64 v[158:159], 3, v[166:167]
	v_add_co_u32 v156, vcc_lo, v156, v158
	v_add_co_ci_u32_e64 v157, null, v157, v159, vcc_lo
	flat_load_dwordx2 v[156:157], v[156:157]
	s_waitcnt vmcnt(0) lgkmcnt(0)
	v_mul_f64 v[156:157], s[10:11], v[156:157]
	v_cvt_f32_f64_e32 v156, v[156:157]
	s_branch .LBB115_83
.LBB115_82:
	v_mov_b32_e32 v156, 0
.LBB115_83:
	s_waitcnt lgkmcnt(29)
	v_add_f64 v[150:151], v[6:7], v[150:151]
	v_add_f64 v[152:153], v[8:9], v[152:153]
	s_waitcnt lgkmcnt(28)
	v_add_f64 v[146:147], v[2:3], v[146:147]
	v_add_f64 v[148:149], v[4:5], v[148:149]
	v_cvt_f32_f64_e32 v150, v[150:151]
	v_cvt_f32_f64_e32 v151, v[152:153]
	;; [unrolled: 1-line block ×4, first 2 shown]
	v_min3_f32 v148, v150, v151, v240
	v_min_f32_e32 v146, v146, v147
	v_min3_f32 v146, v156, v146, v148
	v_lshlrev_b64 v[148:149], 3, v[166:167]
	v_cvt_f64_f32_e32 v[146:147], v146
	v_add_co_u32 v148, vcc_lo, v154, v148
	v_add_co_ci_u32_e64 v149, null, v155, v149, vcc_lo
	flat_store_dwordx2 v[148:149], v[146:147]
.LBB115_84:
	s_or_b32 exec_lo, exec_lo, s4
	s_waitcnt lgkmcnt(29)
	v_add_nc_u32_e32 v150, 16, v169
	s_waitcnt lgkmcnt(28)
	v_mad_i64_i32 v[146:147], null, v150, s6, 0
	v_mad_i64_i32 v[148:149], null, v150, s5, 0
	v_cmp_gt_i32_e64 s4, s13, v150
	v_lshlrev_b64 v[146:147], 3, v[146:147]
	s_and_b32 s12, s0, s4
	v_lshlrev_b64 v[150:151], 3, v[148:149]
	v_add_co_u32 v148, vcc_lo, s16, v146
	v_add_co_ci_u32_e64 v149, null, s17, v147, vcc_lo
	v_add_co_u32 v146, vcc_lo, s8, v150
	v_add_co_ci_u32_e64 v147, null, s9, v151, vcc_lo
	s_and_saveexec_b32 s7, s12
	s_cbranch_execnz .LBB115_88
; %bb.85:
	s_or_b32 exec_lo, exec_lo, s7
	s_and_b32 s12, s1, s4
	s_and_saveexec_b32 s7, s12
	s_cbranch_execnz .LBB115_92
.LBB115_86:
	s_or_b32 exec_lo, exec_lo, s7
	s_and_b32 s12, s2, s4
	s_and_saveexec_b32 s7, s12
	s_cbranch_execnz .LBB115_96
.LBB115_87:
	s_or_b32 exec_lo, exec_lo, s7
	s_and_b32 s7, s3, s4
	s_and_saveexec_b32 s4, s7
	s_cbranch_execnz .LBB115_100
	s_branch .LBB115_104
.LBB115_88:
	v_cmp_ne_u32_e32 vcc_lo, 1, v168
	s_cbranch_vccnz .LBB115_90
; %bb.89:
	v_lshlrev_b64 v[150:151], 3, v[0:1]
	v_add_co_u32 v150, vcc_lo, v148, v150
	v_add_co_ci_u32_e64 v151, null, v149, v151, vcc_lo
	flat_load_dwordx2 v[150:151], v[150:151]
	s_waitcnt vmcnt(0) lgkmcnt(0)
	v_mul_f64 v[150:151], s[10:11], v[150:151]
	v_cvt_f32_f64_e32 v150, v[150:151]
	s_branch .LBB115_91
.LBB115_90:
	v_mov_b32_e32 v150, 0
.LBB115_91:
	s_waitcnt lgkmcnt(27)
	v_add_f64 v[151:152], v[38:39], v[142:143]
	v_add_f64 v[153:154], v[40:41], v[144:145]
	s_waitcnt lgkmcnt(26)
	v_add_f64 v[155:156], v[34:35], v[138:139]
	v_add_f64 v[157:158], v[36:37], v[140:141]
	v_cvt_f32_f64_e32 v151, v[151:152]
	v_cvt_f32_f64_e32 v152, v[153:154]
	;; [unrolled: 1-line block ×4, first 2 shown]
	v_min3_f32 v151, v151, v152, v239
	v_min_f32_e32 v152, v153, v154
	v_min3_f32 v150, v150, v152, v151
	v_lshlrev_b64 v[152:153], 3, v[0:1]
	v_cvt_f64_f32_e32 v[150:151], v150
	v_add_co_u32 v152, vcc_lo, v146, v152
	v_add_co_ci_u32_e64 v153, null, v147, v153, vcc_lo
	flat_store_dwordx2 v[152:153], v[150:151]
	s_or_b32 exec_lo, exec_lo, s7
	s_and_b32 s12, s1, s4
	s_and_saveexec_b32 s7, s12
	s_cbranch_execz .LBB115_86
.LBB115_92:
	v_cmp_ne_u32_e32 vcc_lo, 1, v168
	s_cbranch_vccnz .LBB115_94
; %bb.93:
	v_lshlrev_b64 v[150:151], 3, v[162:163]
	v_add_co_u32 v150, vcc_lo, v148, v150
	v_add_co_ci_u32_e64 v151, null, v149, v151, vcc_lo
	flat_load_dwordx2 v[150:151], v[150:151]
	s_waitcnt vmcnt(0) lgkmcnt(0)
	v_mul_f64 v[150:151], s[10:11], v[150:151]
	v_cvt_f32_f64_e32 v150, v[150:151]
	s_branch .LBB115_95
.LBB115_94:
	v_mov_b32_e32 v150, 0
.LBB115_95:
	s_waitcnt lgkmcnt(27)
	v_add_f64 v[151:152], v[26:27], v[142:143]
	v_add_f64 v[153:154], v[28:29], v[144:145]
	s_waitcnt lgkmcnt(26)
	v_add_f64 v[155:156], v[30:31], v[138:139]
	v_add_f64 v[157:158], v[32:33], v[140:141]
	v_cvt_f32_f64_e32 v151, v[151:152]
	v_cvt_f32_f64_e32 v152, v[153:154]
	;; [unrolled: 1-line block ×4, first 2 shown]
	v_min3_f32 v151, v151, v152, v238
	v_min_f32_e32 v152, v153, v154
	v_min3_f32 v150, v150, v152, v151
	v_lshlrev_b64 v[152:153], 3, v[162:163]
	v_cvt_f64_f32_e32 v[150:151], v150
	v_add_co_u32 v152, vcc_lo, v146, v152
	v_add_co_ci_u32_e64 v153, null, v147, v153, vcc_lo
	flat_store_dwordx2 v[152:153], v[150:151]
	s_or_b32 exec_lo, exec_lo, s7
	s_and_b32 s12, s2, s4
	s_and_saveexec_b32 s7, s12
	s_cbranch_execz .LBB115_87
.LBB115_96:
	v_cmp_ne_u32_e32 vcc_lo, 1, v168
	s_cbranch_vccnz .LBB115_98
; %bb.97:
	v_lshlrev_b64 v[150:151], 3, v[164:165]
	v_add_co_u32 v150, vcc_lo, v148, v150
	v_add_co_ci_u32_e64 v151, null, v149, v151, vcc_lo
	flat_load_dwordx2 v[150:151], v[150:151]
	s_waitcnt vmcnt(0) lgkmcnt(0)
	v_mul_f64 v[150:151], s[10:11], v[150:151]
	v_cvt_f32_f64_e32 v150, v[150:151]
	s_branch .LBB115_99
.LBB115_98:
	v_mov_b32_e32 v150, 0
.LBB115_99:
	s_waitcnt lgkmcnt(27)
	v_add_f64 v[151:152], v[22:23], v[142:143]
	v_add_f64 v[153:154], v[24:25], v[144:145]
	s_waitcnt lgkmcnt(26)
	v_add_f64 v[155:156], v[18:19], v[138:139]
	v_add_f64 v[157:158], v[20:21], v[140:141]
	v_cvt_f32_f64_e32 v151, v[151:152]
	v_cvt_f32_f64_e32 v152, v[153:154]
	;; [unrolled: 1-line block ×4, first 2 shown]
	v_min3_f32 v151, v151, v152, v237
	v_min_f32_e32 v152, v153, v154
	v_min3_f32 v150, v150, v152, v151
	v_lshlrev_b64 v[152:153], 3, v[164:165]
	v_cvt_f64_f32_e32 v[150:151], v150
	v_add_co_u32 v152, vcc_lo, v146, v152
	v_add_co_ci_u32_e64 v153, null, v147, v153, vcc_lo
	flat_store_dwordx2 v[152:153], v[150:151]
	s_or_b32 exec_lo, exec_lo, s7
	s_and_b32 s7, s3, s4
	s_and_saveexec_b32 s4, s7
	s_cbranch_execz .LBB115_104
.LBB115_100:
	v_cmp_ne_u32_e32 vcc_lo, 1, v168
	s_cbranch_vccnz .LBB115_102
; %bb.101:
	v_lshlrev_b64 v[150:151], 3, v[166:167]
	v_add_co_u32 v148, vcc_lo, v148, v150
	v_add_co_ci_u32_e64 v149, null, v149, v151, vcc_lo
	flat_load_dwordx2 v[148:149], v[148:149]
	s_waitcnt vmcnt(0) lgkmcnt(0)
	v_mul_f64 v[148:149], s[10:11], v[148:149]
	v_cvt_f32_f64_e32 v148, v[148:149]
	s_branch .LBB115_103
.LBB115_102:
	v_mov_b32_e32 v148, 0
.LBB115_103:
	s_waitcnt lgkmcnt(27)
	v_add_f64 v[142:143], v[6:7], v[142:143]
	v_add_f64 v[144:145], v[8:9], v[144:145]
	s_waitcnt lgkmcnt(26)
	v_add_f64 v[138:139], v[2:3], v[138:139]
	v_add_f64 v[140:141], v[4:5], v[140:141]
	v_cvt_f32_f64_e32 v142, v[142:143]
	v_cvt_f32_f64_e32 v143, v[144:145]
	;; [unrolled: 1-line block ×4, first 2 shown]
	v_min3_f32 v140, v142, v143, v236
	v_min_f32_e32 v138, v138, v139
	v_min3_f32 v138, v148, v138, v140
	v_lshlrev_b64 v[140:141], 3, v[166:167]
	v_cvt_f64_f32_e32 v[138:139], v138
	v_add_co_u32 v140, vcc_lo, v146, v140
	v_add_co_ci_u32_e64 v141, null, v147, v141, vcc_lo
	flat_store_dwordx2 v[140:141], v[138:139]
.LBB115_104:
	s_or_b32 exec_lo, exec_lo, s4
	s_waitcnt lgkmcnt(27)
	v_add_nc_u32_e32 v142, 24, v169
	s_waitcnt lgkmcnt(26)
	v_mad_i64_i32 v[138:139], null, v142, s6, 0
	v_mad_i64_i32 v[140:141], null, v142, s5, 0
	v_cmp_gt_i32_e64 s4, s13, v142
	v_lshlrev_b64 v[138:139], 3, v[138:139]
	s_and_b32 s12, s0, s4
	v_lshlrev_b64 v[142:143], 3, v[140:141]
	v_add_co_u32 v140, vcc_lo, s16, v138
	v_add_co_ci_u32_e64 v141, null, s17, v139, vcc_lo
	v_add_co_u32 v138, vcc_lo, s8, v142
	v_add_co_ci_u32_e64 v139, null, s9, v143, vcc_lo
	s_and_saveexec_b32 s7, s12
	s_cbranch_execnz .LBB115_108
; %bb.105:
	s_or_b32 exec_lo, exec_lo, s7
	s_and_b32 s12, s1, s4
	s_and_saveexec_b32 s7, s12
	s_cbranch_execnz .LBB115_112
.LBB115_106:
	s_or_b32 exec_lo, exec_lo, s7
	s_and_b32 s12, s2, s4
	s_and_saveexec_b32 s7, s12
	s_cbranch_execnz .LBB115_116
.LBB115_107:
	s_or_b32 exec_lo, exec_lo, s7
	s_and_b32 s7, s3, s4
	s_and_saveexec_b32 s4, s7
	s_cbranch_execnz .LBB115_120
	s_branch .LBB115_124
.LBB115_108:
	v_cmp_ne_u32_e32 vcc_lo, 1, v168
	s_cbranch_vccnz .LBB115_110
; %bb.109:
	v_lshlrev_b64 v[142:143], 3, v[0:1]
	v_add_co_u32 v142, vcc_lo, v140, v142
	v_add_co_ci_u32_e64 v143, null, v141, v143, vcc_lo
	flat_load_dwordx2 v[142:143], v[142:143]
	s_waitcnt vmcnt(0) lgkmcnt(0)
	v_mul_f64 v[142:143], s[10:11], v[142:143]
	v_cvt_f32_f64_e32 v142, v[142:143]
	s_branch .LBB115_111
.LBB115_110:
	v_mov_b32_e32 v142, 0
.LBB115_111:
	s_waitcnt lgkmcnt(25)
	v_add_f64 v[143:144], v[38:39], v[134:135]
	v_add_f64 v[145:146], v[40:41], v[136:137]
	s_waitcnt lgkmcnt(24)
	v_add_f64 v[147:148], v[34:35], v[130:131]
	v_add_f64 v[149:150], v[36:37], v[132:133]
	v_cvt_f32_f64_e32 v143, v[143:144]
	v_cvt_f32_f64_e32 v144, v[145:146]
	;; [unrolled: 1-line block ×4, first 2 shown]
	v_min3_f32 v143, v143, v144, v235
	v_min_f32_e32 v144, v145, v146
	v_min3_f32 v142, v142, v144, v143
	v_lshlrev_b64 v[144:145], 3, v[0:1]
	v_cvt_f64_f32_e32 v[142:143], v142
	v_add_co_u32 v144, vcc_lo, v138, v144
	v_add_co_ci_u32_e64 v145, null, v139, v145, vcc_lo
	flat_store_dwordx2 v[144:145], v[142:143]
	s_or_b32 exec_lo, exec_lo, s7
	s_and_b32 s12, s1, s4
	s_and_saveexec_b32 s7, s12
	s_cbranch_execz .LBB115_106
.LBB115_112:
	v_cmp_ne_u32_e32 vcc_lo, 1, v168
	s_cbranch_vccnz .LBB115_114
; %bb.113:
	v_lshlrev_b64 v[142:143], 3, v[162:163]
	v_add_co_u32 v142, vcc_lo, v140, v142
	v_add_co_ci_u32_e64 v143, null, v141, v143, vcc_lo
	flat_load_dwordx2 v[142:143], v[142:143]
	s_waitcnt vmcnt(0) lgkmcnt(0)
	v_mul_f64 v[142:143], s[10:11], v[142:143]
	v_cvt_f32_f64_e32 v142, v[142:143]
	s_branch .LBB115_115
.LBB115_114:
	v_mov_b32_e32 v142, 0
.LBB115_115:
	s_waitcnt lgkmcnt(25)
	v_add_f64 v[143:144], v[26:27], v[134:135]
	v_add_f64 v[145:146], v[28:29], v[136:137]
	s_waitcnt lgkmcnt(24)
	v_add_f64 v[147:148], v[30:31], v[130:131]
	v_add_f64 v[149:150], v[32:33], v[132:133]
	v_cvt_f32_f64_e32 v143, v[143:144]
	v_cvt_f32_f64_e32 v144, v[145:146]
	;; [unrolled: 1-line block ×4, first 2 shown]
	v_min3_f32 v143, v143, v144, v234
	v_min_f32_e32 v144, v145, v146
	v_min3_f32 v142, v142, v144, v143
	v_lshlrev_b64 v[144:145], 3, v[162:163]
	v_cvt_f64_f32_e32 v[142:143], v142
	v_add_co_u32 v144, vcc_lo, v138, v144
	v_add_co_ci_u32_e64 v145, null, v139, v145, vcc_lo
	flat_store_dwordx2 v[144:145], v[142:143]
	s_or_b32 exec_lo, exec_lo, s7
	s_and_b32 s12, s2, s4
	s_and_saveexec_b32 s7, s12
	s_cbranch_execz .LBB115_107
.LBB115_116:
	v_cmp_ne_u32_e32 vcc_lo, 1, v168
	s_cbranch_vccnz .LBB115_118
; %bb.117:
	v_lshlrev_b64 v[142:143], 3, v[164:165]
	v_add_co_u32 v142, vcc_lo, v140, v142
	v_add_co_ci_u32_e64 v143, null, v141, v143, vcc_lo
	flat_load_dwordx2 v[142:143], v[142:143]
	s_waitcnt vmcnt(0) lgkmcnt(0)
	v_mul_f64 v[142:143], s[10:11], v[142:143]
	v_cvt_f32_f64_e32 v142, v[142:143]
	s_branch .LBB115_119
.LBB115_118:
	v_mov_b32_e32 v142, 0
.LBB115_119:
	s_waitcnt lgkmcnt(25)
	v_add_f64 v[143:144], v[22:23], v[134:135]
	v_add_f64 v[145:146], v[24:25], v[136:137]
	s_waitcnt lgkmcnt(24)
	v_add_f64 v[147:148], v[18:19], v[130:131]
	v_add_f64 v[149:150], v[20:21], v[132:133]
	v_cvt_f32_f64_e32 v143, v[143:144]
	v_cvt_f32_f64_e32 v144, v[145:146]
	;; [unrolled: 1-line block ×4, first 2 shown]
	v_min3_f32 v143, v143, v144, v233
	v_min_f32_e32 v144, v145, v146
	v_min3_f32 v142, v142, v144, v143
	v_lshlrev_b64 v[144:145], 3, v[164:165]
	v_cvt_f64_f32_e32 v[142:143], v142
	v_add_co_u32 v144, vcc_lo, v138, v144
	v_add_co_ci_u32_e64 v145, null, v139, v145, vcc_lo
	flat_store_dwordx2 v[144:145], v[142:143]
	s_or_b32 exec_lo, exec_lo, s7
	s_and_b32 s7, s3, s4
	s_and_saveexec_b32 s4, s7
	s_cbranch_execz .LBB115_124
.LBB115_120:
	v_cmp_ne_u32_e32 vcc_lo, 1, v168
	s_cbranch_vccnz .LBB115_122
; %bb.121:
	v_lshlrev_b64 v[142:143], 3, v[166:167]
	v_add_co_u32 v140, vcc_lo, v140, v142
	v_add_co_ci_u32_e64 v141, null, v141, v143, vcc_lo
	flat_load_dwordx2 v[140:141], v[140:141]
	s_waitcnt vmcnt(0) lgkmcnt(0)
	v_mul_f64 v[140:141], s[10:11], v[140:141]
	v_cvt_f32_f64_e32 v140, v[140:141]
	s_branch .LBB115_123
.LBB115_122:
	v_mov_b32_e32 v140, 0
.LBB115_123:
	s_waitcnt lgkmcnt(25)
	v_add_f64 v[134:135], v[6:7], v[134:135]
	v_add_f64 v[136:137], v[8:9], v[136:137]
	s_waitcnt lgkmcnt(24)
	v_add_f64 v[130:131], v[2:3], v[130:131]
	v_add_f64 v[132:133], v[4:5], v[132:133]
	v_cvt_f32_f64_e32 v134, v[134:135]
	v_cvt_f32_f64_e32 v135, v[136:137]
	;; [unrolled: 1-line block ×4, first 2 shown]
	v_min3_f32 v132, v134, v135, v232
	v_min_f32_e32 v130, v130, v131
	v_min3_f32 v130, v140, v130, v132
	v_lshlrev_b64 v[132:133], 3, v[166:167]
	v_cvt_f64_f32_e32 v[130:131], v130
	v_add_co_u32 v132, vcc_lo, v138, v132
	v_add_co_ci_u32_e64 v133, null, v139, v133, vcc_lo
	flat_store_dwordx2 v[132:133], v[130:131]
.LBB115_124:
	s_or_b32 exec_lo, exec_lo, s4
	s_waitcnt lgkmcnt(25)
	v_add_nc_u32_e32 v134, 32, v169
	s_waitcnt lgkmcnt(24)
	v_mad_i64_i32 v[130:131], null, v134, s6, 0
	v_mad_i64_i32 v[132:133], null, v134, s5, 0
	v_cmp_gt_i32_e64 s4, s13, v134
	v_lshlrev_b64 v[130:131], 3, v[130:131]
	s_and_b32 s12, s0, s4
	v_lshlrev_b64 v[134:135], 3, v[132:133]
	v_add_co_u32 v132, vcc_lo, s16, v130
	v_add_co_ci_u32_e64 v133, null, s17, v131, vcc_lo
	v_add_co_u32 v130, vcc_lo, s8, v134
	v_add_co_ci_u32_e64 v131, null, s9, v135, vcc_lo
	s_and_saveexec_b32 s7, s12
	s_cbranch_execnz .LBB115_128
; %bb.125:
	s_or_b32 exec_lo, exec_lo, s7
	s_and_b32 s12, s1, s4
	s_and_saveexec_b32 s7, s12
	s_cbranch_execnz .LBB115_132
.LBB115_126:
	s_or_b32 exec_lo, exec_lo, s7
	s_and_b32 s12, s2, s4
	s_and_saveexec_b32 s7, s12
	s_cbranch_execnz .LBB115_136
.LBB115_127:
	s_or_b32 exec_lo, exec_lo, s7
	s_and_b32 s7, s3, s4
	s_and_saveexec_b32 s4, s7
	s_cbranch_execnz .LBB115_140
	s_branch .LBB115_144
.LBB115_128:
	v_cmp_ne_u32_e32 vcc_lo, 1, v168
	s_cbranch_vccnz .LBB115_130
; %bb.129:
	v_lshlrev_b64 v[134:135], 3, v[0:1]
	v_add_co_u32 v134, vcc_lo, v132, v134
	v_add_co_ci_u32_e64 v135, null, v133, v135, vcc_lo
	flat_load_dwordx2 v[134:135], v[134:135]
	s_waitcnt vmcnt(0) lgkmcnt(0)
	v_mul_f64 v[134:135], s[10:11], v[134:135]
	v_cvt_f32_f64_e32 v134, v[134:135]
	s_branch .LBB115_131
.LBB115_130:
	v_mov_b32_e32 v134, 0
.LBB115_131:
	s_waitcnt lgkmcnt(23)
	v_add_f64 v[135:136], v[38:39], v[126:127]
	v_add_f64 v[137:138], v[40:41], v[128:129]
	s_waitcnt lgkmcnt(22)
	v_add_f64 v[139:140], v[34:35], v[122:123]
	v_add_f64 v[141:142], v[36:37], v[124:125]
	v_cvt_f32_f64_e32 v135, v[135:136]
	v_cvt_f32_f64_e32 v136, v[137:138]
	;; [unrolled: 1-line block ×4, first 2 shown]
	v_min3_f32 v135, v135, v136, v226
	v_min_f32_e32 v136, v137, v138
	v_min3_f32 v134, v134, v136, v135
	v_lshlrev_b64 v[136:137], 3, v[0:1]
	v_cvt_f64_f32_e32 v[134:135], v134
	v_add_co_u32 v136, vcc_lo, v130, v136
	v_add_co_ci_u32_e64 v137, null, v131, v137, vcc_lo
	flat_store_dwordx2 v[136:137], v[134:135]
	s_or_b32 exec_lo, exec_lo, s7
	s_and_b32 s12, s1, s4
	s_and_saveexec_b32 s7, s12
	s_cbranch_execz .LBB115_126
.LBB115_132:
	v_cmp_ne_u32_e32 vcc_lo, 1, v168
	s_cbranch_vccnz .LBB115_134
; %bb.133:
	v_lshlrev_b64 v[134:135], 3, v[162:163]
	v_add_co_u32 v134, vcc_lo, v132, v134
	v_add_co_ci_u32_e64 v135, null, v133, v135, vcc_lo
	flat_load_dwordx2 v[134:135], v[134:135]
	s_waitcnt vmcnt(0) lgkmcnt(0)
	v_mul_f64 v[134:135], s[10:11], v[134:135]
	v_cvt_f32_f64_e32 v134, v[134:135]
	s_branch .LBB115_135
.LBB115_134:
	v_mov_b32_e32 v134, 0
.LBB115_135:
	s_waitcnt lgkmcnt(23)
	v_add_f64 v[135:136], v[26:27], v[126:127]
	v_add_f64 v[137:138], v[28:29], v[128:129]
	s_waitcnt lgkmcnt(22)
	v_add_f64 v[139:140], v[30:31], v[122:123]
	v_add_f64 v[141:142], v[32:33], v[124:125]
	v_cvt_f32_f64_e32 v135, v[135:136]
	v_cvt_f32_f64_e32 v136, v[137:138]
	;; [unrolled: 1-line block ×4, first 2 shown]
	v_min3_f32 v135, v135, v136, v223
	v_min_f32_e32 v136, v137, v138
	v_min3_f32 v134, v134, v136, v135
	v_lshlrev_b64 v[136:137], 3, v[162:163]
	v_cvt_f64_f32_e32 v[134:135], v134
	v_add_co_u32 v136, vcc_lo, v130, v136
	v_add_co_ci_u32_e64 v137, null, v131, v137, vcc_lo
	flat_store_dwordx2 v[136:137], v[134:135]
	s_or_b32 exec_lo, exec_lo, s7
	s_and_b32 s12, s2, s4
	s_and_saveexec_b32 s7, s12
	s_cbranch_execz .LBB115_127
.LBB115_136:
	v_cmp_ne_u32_e32 vcc_lo, 1, v168
	s_cbranch_vccnz .LBB115_138
; %bb.137:
	v_lshlrev_b64 v[134:135], 3, v[164:165]
	v_add_co_u32 v134, vcc_lo, v132, v134
	v_add_co_ci_u32_e64 v135, null, v133, v135, vcc_lo
	flat_load_dwordx2 v[134:135], v[134:135]
	s_waitcnt vmcnt(0) lgkmcnt(0)
	v_mul_f64 v[134:135], s[10:11], v[134:135]
	v_cvt_f32_f64_e32 v134, v[134:135]
	s_branch .LBB115_139
.LBB115_138:
	v_mov_b32_e32 v134, 0
.LBB115_139:
	s_waitcnt lgkmcnt(23)
	v_add_f64 v[135:136], v[22:23], v[126:127]
	v_add_f64 v[137:138], v[24:25], v[128:129]
	s_waitcnt lgkmcnt(22)
	v_add_f64 v[139:140], v[18:19], v[122:123]
	v_add_f64 v[141:142], v[20:21], v[124:125]
	v_cvt_f32_f64_e32 v135, v[135:136]
	v_cvt_f32_f64_e32 v136, v[137:138]
	;; [unrolled: 1-line block ×4, first 2 shown]
	v_min3_f32 v135, v135, v136, v197
	v_min_f32_e32 v136, v137, v138
	v_min3_f32 v134, v134, v136, v135
	v_lshlrev_b64 v[136:137], 3, v[164:165]
	v_cvt_f64_f32_e32 v[134:135], v134
	v_add_co_u32 v136, vcc_lo, v130, v136
	v_add_co_ci_u32_e64 v137, null, v131, v137, vcc_lo
	flat_store_dwordx2 v[136:137], v[134:135]
	s_or_b32 exec_lo, exec_lo, s7
	s_and_b32 s7, s3, s4
	s_and_saveexec_b32 s4, s7
	s_cbranch_execz .LBB115_144
.LBB115_140:
	v_cmp_ne_u32_e32 vcc_lo, 1, v168
	s_cbranch_vccnz .LBB115_142
; %bb.141:
	v_lshlrev_b64 v[134:135], 3, v[166:167]
	v_add_co_u32 v132, vcc_lo, v132, v134
	v_add_co_ci_u32_e64 v133, null, v133, v135, vcc_lo
	flat_load_dwordx2 v[132:133], v[132:133]
	s_waitcnt vmcnt(0) lgkmcnt(0)
	v_mul_f64 v[132:133], s[10:11], v[132:133]
	v_cvt_f32_f64_e32 v132, v[132:133]
	s_branch .LBB115_143
.LBB115_142:
	v_mov_b32_e32 v132, 0
.LBB115_143:
	s_waitcnt lgkmcnt(23)
	v_add_f64 v[126:127], v[6:7], v[126:127]
	v_add_f64 v[128:129], v[8:9], v[128:129]
	s_waitcnt lgkmcnt(22)
	v_add_f64 v[122:123], v[2:3], v[122:123]
	v_add_f64 v[124:125], v[4:5], v[124:125]
	v_cvt_f32_f64_e32 v126, v[126:127]
	v_cvt_f32_f64_e32 v127, v[128:129]
	;; [unrolled: 1-line block ×4, first 2 shown]
	v_min3_f32 v124, v126, v127, v195
	v_min_f32_e32 v122, v122, v123
	v_min3_f32 v122, v132, v122, v124
	v_lshlrev_b64 v[124:125], 3, v[166:167]
	v_cvt_f64_f32_e32 v[122:123], v122
	v_add_co_u32 v124, vcc_lo, v130, v124
	v_add_co_ci_u32_e64 v125, null, v131, v125, vcc_lo
	flat_store_dwordx2 v[124:125], v[122:123]
.LBB115_144:
	s_or_b32 exec_lo, exec_lo, s4
	s_waitcnt lgkmcnt(23)
	v_add_nc_u32_e32 v126, 40, v169
	s_waitcnt lgkmcnt(22)
	v_mad_i64_i32 v[122:123], null, v126, s6, 0
	v_mad_i64_i32 v[124:125], null, v126, s5, 0
	v_cmp_gt_i32_e64 s4, s13, v126
	v_lshlrev_b64 v[122:123], 3, v[122:123]
	s_and_b32 s12, s0, s4
	v_lshlrev_b64 v[126:127], 3, v[124:125]
	v_add_co_u32 v124, vcc_lo, s16, v122
	v_add_co_ci_u32_e64 v125, null, s17, v123, vcc_lo
	v_add_co_u32 v122, vcc_lo, s8, v126
	v_add_co_ci_u32_e64 v123, null, s9, v127, vcc_lo
	s_and_saveexec_b32 s7, s12
	s_cbranch_execnz .LBB115_148
; %bb.145:
	s_or_b32 exec_lo, exec_lo, s7
	s_and_b32 s12, s1, s4
	s_and_saveexec_b32 s7, s12
	s_cbranch_execnz .LBB115_152
.LBB115_146:
	s_or_b32 exec_lo, exec_lo, s7
	s_and_b32 s12, s2, s4
	s_and_saveexec_b32 s7, s12
	s_cbranch_execnz .LBB115_156
.LBB115_147:
	s_or_b32 exec_lo, exec_lo, s7
	s_and_b32 s7, s3, s4
	s_and_saveexec_b32 s4, s7
	s_cbranch_execnz .LBB115_160
	s_branch .LBB115_164
.LBB115_148:
	v_cmp_ne_u32_e32 vcc_lo, 1, v168
	s_cbranch_vccnz .LBB115_150
; %bb.149:
	v_lshlrev_b64 v[126:127], 3, v[0:1]
	v_add_co_u32 v126, vcc_lo, v124, v126
	v_add_co_ci_u32_e64 v127, null, v125, v127, vcc_lo
	flat_load_dwordx2 v[126:127], v[126:127]
	s_waitcnt vmcnt(0) lgkmcnt(0)
	v_mul_f64 v[126:127], s[10:11], v[126:127]
	v_cvt_f32_f64_e32 v126, v[126:127]
	s_branch .LBB115_151
.LBB115_150:
	v_mov_b32_e32 v126, 0
.LBB115_151:
	s_waitcnt lgkmcnt(21)
	v_add_f64 v[127:128], v[38:39], v[118:119]
	v_add_f64 v[129:130], v[40:41], v[120:121]
	s_waitcnt lgkmcnt(20)
	v_add_f64 v[131:132], v[34:35], v[114:115]
	v_add_f64 v[133:134], v[36:37], v[116:117]
	v_cvt_f32_f64_e32 v127, v[127:128]
	v_cvt_f32_f64_e32 v128, v[129:130]
	;; [unrolled: 1-line block ×4, first 2 shown]
	v_min3_f32 v127, v127, v128, v231
	v_min_f32_e32 v128, v129, v130
	v_min3_f32 v126, v126, v128, v127
	v_lshlrev_b64 v[128:129], 3, v[0:1]
	v_cvt_f64_f32_e32 v[126:127], v126
	v_add_co_u32 v128, vcc_lo, v122, v128
	v_add_co_ci_u32_e64 v129, null, v123, v129, vcc_lo
	flat_store_dwordx2 v[128:129], v[126:127]
	s_or_b32 exec_lo, exec_lo, s7
	s_and_b32 s12, s1, s4
	s_and_saveexec_b32 s7, s12
	s_cbranch_execz .LBB115_146
.LBB115_152:
	v_cmp_ne_u32_e32 vcc_lo, 1, v168
	s_cbranch_vccnz .LBB115_154
; %bb.153:
	v_lshlrev_b64 v[126:127], 3, v[162:163]
	v_add_co_u32 v126, vcc_lo, v124, v126
	v_add_co_ci_u32_e64 v127, null, v125, v127, vcc_lo
	flat_load_dwordx2 v[126:127], v[126:127]
	s_waitcnt vmcnt(0) lgkmcnt(0)
	v_mul_f64 v[126:127], s[10:11], v[126:127]
	v_cvt_f32_f64_e32 v126, v[126:127]
	s_branch .LBB115_155
.LBB115_154:
	v_mov_b32_e32 v126, 0
.LBB115_155:
	s_waitcnt lgkmcnt(21)
	v_add_f64 v[127:128], v[26:27], v[118:119]
	v_add_f64 v[129:130], v[28:29], v[120:121]
	s_waitcnt lgkmcnt(20)
	v_add_f64 v[131:132], v[30:31], v[114:115]
	v_add_f64 v[133:134], v[32:33], v[116:117]
	v_cvt_f32_f64_e32 v127, v[127:128]
	v_cvt_f32_f64_e32 v128, v[129:130]
	v_cvt_f32_f64_e32 v129, v[131:132]
	v_cvt_f32_f64_e32 v130, v[133:134]
	v_min3_f32 v127, v127, v128, v230
	v_min_f32_e32 v128, v129, v130
	v_min3_f32 v126, v126, v128, v127
	v_lshlrev_b64 v[128:129], 3, v[162:163]
	v_cvt_f64_f32_e32 v[126:127], v126
	v_add_co_u32 v128, vcc_lo, v122, v128
	v_add_co_ci_u32_e64 v129, null, v123, v129, vcc_lo
	flat_store_dwordx2 v[128:129], v[126:127]
	s_or_b32 exec_lo, exec_lo, s7
	s_and_b32 s12, s2, s4
	s_and_saveexec_b32 s7, s12
	s_cbranch_execz .LBB115_147
.LBB115_156:
	v_cmp_ne_u32_e32 vcc_lo, 1, v168
	s_cbranch_vccnz .LBB115_158
; %bb.157:
	v_lshlrev_b64 v[126:127], 3, v[164:165]
	v_add_co_u32 v126, vcc_lo, v124, v126
	v_add_co_ci_u32_e64 v127, null, v125, v127, vcc_lo
	flat_load_dwordx2 v[126:127], v[126:127]
	s_waitcnt vmcnt(0) lgkmcnt(0)
	v_mul_f64 v[126:127], s[10:11], v[126:127]
	v_cvt_f32_f64_e32 v126, v[126:127]
	s_branch .LBB115_159
.LBB115_158:
	v_mov_b32_e32 v126, 0
.LBB115_159:
	s_waitcnt lgkmcnt(21)
	v_add_f64 v[127:128], v[22:23], v[118:119]
	v_add_f64 v[129:130], v[24:25], v[120:121]
	s_waitcnt lgkmcnt(20)
	v_add_f64 v[131:132], v[18:19], v[114:115]
	v_add_f64 v[133:134], v[20:21], v[116:117]
	v_cvt_f32_f64_e32 v127, v[127:128]
	v_cvt_f32_f64_e32 v128, v[129:130]
	;; [unrolled: 1-line block ×4, first 2 shown]
	v_min3_f32 v127, v127, v128, v229
	v_min_f32_e32 v128, v129, v130
	v_min3_f32 v126, v126, v128, v127
	v_lshlrev_b64 v[128:129], 3, v[164:165]
	v_cvt_f64_f32_e32 v[126:127], v126
	v_add_co_u32 v128, vcc_lo, v122, v128
	v_add_co_ci_u32_e64 v129, null, v123, v129, vcc_lo
	flat_store_dwordx2 v[128:129], v[126:127]
	s_or_b32 exec_lo, exec_lo, s7
	s_and_b32 s7, s3, s4
	s_and_saveexec_b32 s4, s7
	s_cbranch_execz .LBB115_164
.LBB115_160:
	v_cmp_ne_u32_e32 vcc_lo, 1, v168
	s_cbranch_vccnz .LBB115_162
; %bb.161:
	v_lshlrev_b64 v[126:127], 3, v[166:167]
	v_add_co_u32 v124, vcc_lo, v124, v126
	v_add_co_ci_u32_e64 v125, null, v125, v127, vcc_lo
	flat_load_dwordx2 v[124:125], v[124:125]
	s_waitcnt vmcnt(0) lgkmcnt(0)
	v_mul_f64 v[124:125], s[10:11], v[124:125]
	v_cvt_f32_f64_e32 v124, v[124:125]
	s_branch .LBB115_163
.LBB115_162:
	v_mov_b32_e32 v124, 0
.LBB115_163:
	s_waitcnt lgkmcnt(21)
	v_add_f64 v[118:119], v[6:7], v[118:119]
	v_add_f64 v[120:121], v[8:9], v[120:121]
	s_waitcnt lgkmcnt(20)
	v_add_f64 v[114:115], v[2:3], v[114:115]
	v_add_f64 v[116:117], v[4:5], v[116:117]
	v_cvt_f32_f64_e32 v118, v[118:119]
	v_cvt_f32_f64_e32 v119, v[120:121]
	;; [unrolled: 1-line block ×4, first 2 shown]
	v_min3_f32 v116, v118, v119, v225
	v_min_f32_e32 v114, v114, v115
	v_min3_f32 v114, v124, v114, v116
	v_lshlrev_b64 v[116:117], 3, v[166:167]
	v_cvt_f64_f32_e32 v[114:115], v114
	v_add_co_u32 v116, vcc_lo, v122, v116
	v_add_co_ci_u32_e64 v117, null, v123, v117, vcc_lo
	flat_store_dwordx2 v[116:117], v[114:115]
.LBB115_164:
	s_or_b32 exec_lo, exec_lo, s4
	s_waitcnt lgkmcnt(21)
	v_add_nc_u32_e32 v118, 48, v169
	s_waitcnt lgkmcnt(20)
	v_mad_i64_i32 v[114:115], null, v118, s6, 0
	v_mad_i64_i32 v[116:117], null, v118, s5, 0
	v_cmp_gt_i32_e64 s4, s13, v118
	v_lshlrev_b64 v[114:115], 3, v[114:115]
	s_and_b32 s12, s0, s4
	v_lshlrev_b64 v[118:119], 3, v[116:117]
	v_add_co_u32 v116, vcc_lo, s16, v114
	v_add_co_ci_u32_e64 v117, null, s17, v115, vcc_lo
	v_add_co_u32 v114, vcc_lo, s8, v118
	v_add_co_ci_u32_e64 v115, null, s9, v119, vcc_lo
	s_and_saveexec_b32 s7, s12
	s_cbranch_execnz .LBB115_168
; %bb.165:
	s_or_b32 exec_lo, exec_lo, s7
	s_and_b32 s12, s1, s4
	s_and_saveexec_b32 s7, s12
	s_cbranch_execnz .LBB115_172
.LBB115_166:
	s_or_b32 exec_lo, exec_lo, s7
	s_and_b32 s12, s2, s4
	s_and_saveexec_b32 s7, s12
	s_cbranch_execnz .LBB115_176
.LBB115_167:
	s_or_b32 exec_lo, exec_lo, s7
	s_and_b32 s7, s3, s4
	s_and_saveexec_b32 s4, s7
	s_cbranch_execnz .LBB115_180
	s_branch .LBB115_184
.LBB115_168:
	v_cmp_ne_u32_e32 vcc_lo, 1, v168
	s_cbranch_vccnz .LBB115_170
; %bb.169:
	v_lshlrev_b64 v[118:119], 3, v[0:1]
	v_add_co_u32 v118, vcc_lo, v116, v118
	v_add_co_ci_u32_e64 v119, null, v117, v119, vcc_lo
	flat_load_dwordx2 v[118:119], v[118:119]
	s_waitcnt vmcnt(0) lgkmcnt(0)
	v_mul_f64 v[118:119], s[10:11], v[118:119]
	v_cvt_f32_f64_e32 v118, v[118:119]
	s_branch .LBB115_171
.LBB115_170:
	v_mov_b32_e32 v118, 0
.LBB115_171:
	s_waitcnt lgkmcnt(19)
	v_add_f64 v[119:120], v[38:39], v[110:111]
	v_add_f64 v[121:122], v[40:41], v[112:113]
	s_waitcnt lgkmcnt(18)
	v_add_f64 v[123:124], v[34:35], v[106:107]
	v_add_f64 v[125:126], v[36:37], v[108:109]
	v_cvt_f32_f64_e32 v119, v[119:120]
	v_cvt_f32_f64_e32 v120, v[121:122]
	;; [unrolled: 1-line block ×4, first 2 shown]
	v_min3_f32 v119, v119, v120, v224
	v_min_f32_e32 v120, v121, v122
	v_min3_f32 v118, v118, v120, v119
	v_lshlrev_b64 v[120:121], 3, v[0:1]
	v_cvt_f64_f32_e32 v[118:119], v118
	v_add_co_u32 v120, vcc_lo, v114, v120
	v_add_co_ci_u32_e64 v121, null, v115, v121, vcc_lo
	flat_store_dwordx2 v[120:121], v[118:119]
	s_or_b32 exec_lo, exec_lo, s7
	s_and_b32 s12, s1, s4
	s_and_saveexec_b32 s7, s12
	s_cbranch_execz .LBB115_166
.LBB115_172:
	v_cmp_ne_u32_e32 vcc_lo, 1, v168
	s_cbranch_vccnz .LBB115_174
; %bb.173:
	v_lshlrev_b64 v[118:119], 3, v[162:163]
	v_add_co_u32 v118, vcc_lo, v116, v118
	v_add_co_ci_u32_e64 v119, null, v117, v119, vcc_lo
	flat_load_dwordx2 v[118:119], v[118:119]
	s_waitcnt vmcnt(0) lgkmcnt(0)
	v_mul_f64 v[118:119], s[10:11], v[118:119]
	v_cvt_f32_f64_e32 v118, v[118:119]
	s_branch .LBB115_175
.LBB115_174:
	v_mov_b32_e32 v118, 0
.LBB115_175:
	s_waitcnt lgkmcnt(19)
	v_add_f64 v[119:120], v[26:27], v[110:111]
	v_add_f64 v[121:122], v[28:29], v[112:113]
	s_waitcnt lgkmcnt(18)
	v_add_f64 v[123:124], v[30:31], v[106:107]
	v_add_f64 v[125:126], v[32:33], v[108:109]
	v_cvt_f32_f64_e32 v119, v[119:120]
	v_cvt_f32_f64_e32 v120, v[121:122]
	v_cvt_f32_f64_e32 v121, v[123:124]
	v_cvt_f32_f64_e32 v122, v[125:126]
	v_min3_f32 v119, v119, v120, v228
	v_min_f32_e32 v120, v121, v122
	v_min3_f32 v118, v118, v120, v119
	v_lshlrev_b64 v[120:121], 3, v[162:163]
	v_cvt_f64_f32_e32 v[118:119], v118
	v_add_co_u32 v120, vcc_lo, v114, v120
	v_add_co_ci_u32_e64 v121, null, v115, v121, vcc_lo
	flat_store_dwordx2 v[120:121], v[118:119]
	s_or_b32 exec_lo, exec_lo, s7
	s_and_b32 s12, s2, s4
	s_and_saveexec_b32 s7, s12
	s_cbranch_execz .LBB115_167
.LBB115_176:
	v_cmp_ne_u32_e32 vcc_lo, 1, v168
	s_cbranch_vccnz .LBB115_178
; %bb.177:
	v_lshlrev_b64 v[118:119], 3, v[164:165]
	v_add_co_u32 v118, vcc_lo, v116, v118
	v_add_co_ci_u32_e64 v119, null, v117, v119, vcc_lo
	flat_load_dwordx2 v[118:119], v[118:119]
	s_waitcnt vmcnt(0) lgkmcnt(0)
	v_mul_f64 v[118:119], s[10:11], v[118:119]
	v_cvt_f32_f64_e32 v118, v[118:119]
	s_branch .LBB115_179
.LBB115_178:
	v_mov_b32_e32 v118, 0
.LBB115_179:
	s_waitcnt lgkmcnt(19)
	v_add_f64 v[119:120], v[22:23], v[110:111]
	v_add_f64 v[121:122], v[24:25], v[112:113]
	s_waitcnt lgkmcnt(18)
	v_add_f64 v[123:124], v[18:19], v[106:107]
	v_add_f64 v[125:126], v[20:21], v[108:109]
	v_cvt_f32_f64_e32 v119, v[119:120]
	v_cvt_f32_f64_e32 v120, v[121:122]
	;; [unrolled: 1-line block ×4, first 2 shown]
	v_min3_f32 v119, v119, v120, v250
	v_min_f32_e32 v120, v121, v122
	v_min3_f32 v118, v118, v120, v119
	v_lshlrev_b64 v[120:121], 3, v[164:165]
	v_cvt_f64_f32_e32 v[118:119], v118
	v_add_co_u32 v120, vcc_lo, v114, v120
	v_add_co_ci_u32_e64 v121, null, v115, v121, vcc_lo
	flat_store_dwordx2 v[120:121], v[118:119]
	s_or_b32 exec_lo, exec_lo, s7
	s_and_b32 s7, s3, s4
	s_and_saveexec_b32 s4, s7
	s_cbranch_execz .LBB115_184
.LBB115_180:
	v_cmp_ne_u32_e32 vcc_lo, 1, v168
	s_cbranch_vccnz .LBB115_182
; %bb.181:
	v_lshlrev_b64 v[118:119], 3, v[166:167]
	v_add_co_u32 v116, vcc_lo, v116, v118
	v_add_co_ci_u32_e64 v117, null, v117, v119, vcc_lo
	flat_load_dwordx2 v[116:117], v[116:117]
	s_waitcnt vmcnt(0) lgkmcnt(0)
	v_mul_f64 v[116:117], s[10:11], v[116:117]
	v_cvt_f32_f64_e32 v116, v[116:117]
	s_branch .LBB115_183
.LBB115_182:
	v_mov_b32_e32 v116, 0
.LBB115_183:
	s_waitcnt lgkmcnt(19)
	v_add_f64 v[110:111], v[6:7], v[110:111]
	v_add_f64 v[112:113], v[8:9], v[112:113]
	s_waitcnt lgkmcnt(18)
	v_add_f64 v[106:107], v[2:3], v[106:107]
	v_add_f64 v[108:109], v[4:5], v[108:109]
	v_cvt_f32_f64_e32 v110, v[110:111]
	v_cvt_f32_f64_e32 v111, v[112:113]
	;; [unrolled: 1-line block ×4, first 2 shown]
	v_min3_f32 v108, v110, v111, v201
	v_min_f32_e32 v106, v106, v107
	v_min3_f32 v106, v116, v106, v108
	v_lshlrev_b64 v[108:109], 3, v[166:167]
	v_cvt_f64_f32_e32 v[106:107], v106
	v_add_co_u32 v108, vcc_lo, v114, v108
	v_add_co_ci_u32_e64 v109, null, v115, v109, vcc_lo
	flat_store_dwordx2 v[108:109], v[106:107]
.LBB115_184:
	s_or_b32 exec_lo, exec_lo, s4
	s_waitcnt lgkmcnt(19)
	v_add_nc_u32_e32 v110, 56, v169
	s_waitcnt lgkmcnt(18)
	v_mad_i64_i32 v[106:107], null, v110, s6, 0
	v_mad_i64_i32 v[108:109], null, v110, s5, 0
	v_cmp_gt_i32_e64 s4, s13, v110
	v_lshlrev_b64 v[106:107], 3, v[106:107]
	s_and_b32 s12, s0, s4
	v_lshlrev_b64 v[110:111], 3, v[108:109]
	v_add_co_u32 v108, vcc_lo, s16, v106
	v_add_co_ci_u32_e64 v109, null, s17, v107, vcc_lo
	v_add_co_u32 v106, vcc_lo, s8, v110
	v_add_co_ci_u32_e64 v107, null, s9, v111, vcc_lo
	s_and_saveexec_b32 s7, s12
	s_cbranch_execnz .LBB115_188
; %bb.185:
	s_or_b32 exec_lo, exec_lo, s7
	s_and_b32 s12, s1, s4
	s_and_saveexec_b32 s7, s12
	s_cbranch_execnz .LBB115_192
.LBB115_186:
	s_or_b32 exec_lo, exec_lo, s7
	s_and_b32 s12, s2, s4
	s_and_saveexec_b32 s7, s12
	s_cbranch_execnz .LBB115_196
.LBB115_187:
	s_or_b32 exec_lo, exec_lo, s7
	s_and_b32 s7, s3, s4
	s_and_saveexec_b32 s4, s7
	s_cbranch_execnz .LBB115_200
	s_branch .LBB115_204
.LBB115_188:
	v_cmp_ne_u32_e32 vcc_lo, 1, v168
	s_cbranch_vccnz .LBB115_190
; %bb.189:
	v_lshlrev_b64 v[110:111], 3, v[0:1]
	v_add_co_u32 v110, vcc_lo, v108, v110
	v_add_co_ci_u32_e64 v111, null, v109, v111, vcc_lo
	flat_load_dwordx2 v[110:111], v[110:111]
	s_waitcnt vmcnt(0) lgkmcnt(0)
	v_mul_f64 v[110:111], s[10:11], v[110:111]
	v_cvt_f32_f64_e32 v110, v[110:111]
	s_branch .LBB115_191
.LBB115_190:
	v_mov_b32_e32 v110, 0
.LBB115_191:
	s_waitcnt lgkmcnt(17)
	v_add_f64 v[111:112], v[38:39], v[102:103]
	v_add_f64 v[113:114], v[40:41], v[104:105]
	s_waitcnt lgkmcnt(16)
	v_add_f64 v[115:116], v[34:35], v[98:99]
	v_add_f64 v[117:118], v[36:37], v[100:101]
	v_cvt_f32_f64_e32 v111, v[111:112]
	v_cvt_f32_f64_e32 v112, v[113:114]
	;; [unrolled: 1-line block ×4, first 2 shown]
	v_min3_f32 v111, v111, v112, v222
	v_min_f32_e32 v112, v113, v114
	v_min3_f32 v110, v110, v112, v111
	v_lshlrev_b64 v[112:113], 3, v[0:1]
	v_cvt_f64_f32_e32 v[110:111], v110
	v_add_co_u32 v112, vcc_lo, v106, v112
	v_add_co_ci_u32_e64 v113, null, v107, v113, vcc_lo
	flat_store_dwordx2 v[112:113], v[110:111]
	s_or_b32 exec_lo, exec_lo, s7
	s_and_b32 s12, s1, s4
	s_and_saveexec_b32 s7, s12
	s_cbranch_execz .LBB115_186
.LBB115_192:
	v_cmp_ne_u32_e32 vcc_lo, 1, v168
	s_cbranch_vccnz .LBB115_194
; %bb.193:
	v_lshlrev_b64 v[110:111], 3, v[162:163]
	v_add_co_u32 v110, vcc_lo, v108, v110
	v_add_co_ci_u32_e64 v111, null, v109, v111, vcc_lo
	flat_load_dwordx2 v[110:111], v[110:111]
	s_waitcnt vmcnt(0) lgkmcnt(0)
	v_mul_f64 v[110:111], s[10:11], v[110:111]
	v_cvt_f32_f64_e32 v110, v[110:111]
	s_branch .LBB115_195
.LBB115_194:
	v_mov_b32_e32 v110, 0
.LBB115_195:
	s_waitcnt lgkmcnt(17)
	v_add_f64 v[111:112], v[26:27], v[102:103]
	v_add_f64 v[113:114], v[28:29], v[104:105]
	s_waitcnt lgkmcnt(16)
	v_add_f64 v[115:116], v[30:31], v[98:99]
	v_add_f64 v[117:118], v[32:33], v[100:101]
	v_cvt_f32_f64_e32 v111, v[111:112]
	v_cvt_f32_f64_e32 v112, v[113:114]
	;; [unrolled: 1-line block ×4, first 2 shown]
	v_min3_f32 v111, v111, v112, v221
	v_min_f32_e32 v112, v113, v114
	v_min3_f32 v110, v110, v112, v111
	v_lshlrev_b64 v[112:113], 3, v[162:163]
	v_cvt_f64_f32_e32 v[110:111], v110
	v_add_co_u32 v112, vcc_lo, v106, v112
	v_add_co_ci_u32_e64 v113, null, v107, v113, vcc_lo
	flat_store_dwordx2 v[112:113], v[110:111]
	s_or_b32 exec_lo, exec_lo, s7
	s_and_b32 s12, s2, s4
	s_and_saveexec_b32 s7, s12
	s_cbranch_execz .LBB115_187
.LBB115_196:
	v_cmp_ne_u32_e32 vcc_lo, 1, v168
	s_cbranch_vccnz .LBB115_198
; %bb.197:
	v_lshlrev_b64 v[110:111], 3, v[164:165]
	v_add_co_u32 v110, vcc_lo, v108, v110
	v_add_co_ci_u32_e64 v111, null, v109, v111, vcc_lo
	flat_load_dwordx2 v[110:111], v[110:111]
	s_waitcnt vmcnt(0) lgkmcnt(0)
	v_mul_f64 v[110:111], s[10:11], v[110:111]
	v_cvt_f32_f64_e32 v110, v[110:111]
	s_branch .LBB115_199
.LBB115_198:
	v_mov_b32_e32 v110, 0
.LBB115_199:
	s_waitcnt lgkmcnt(17)
	v_add_f64 v[111:112], v[22:23], v[102:103]
	v_add_f64 v[113:114], v[24:25], v[104:105]
	s_waitcnt lgkmcnt(16)
	v_add_f64 v[115:116], v[18:19], v[98:99]
	v_add_f64 v[117:118], v[20:21], v[100:101]
	v_cvt_f32_f64_e32 v111, v[111:112]
	v_cvt_f32_f64_e32 v112, v[113:114]
	;; [unrolled: 1-line block ×4, first 2 shown]
	v_min3_f32 v111, v111, v112, v207
	v_min_f32_e32 v112, v113, v114
	v_min3_f32 v110, v110, v112, v111
	v_lshlrev_b64 v[112:113], 3, v[164:165]
	v_cvt_f64_f32_e32 v[110:111], v110
	v_add_co_u32 v112, vcc_lo, v106, v112
	v_add_co_ci_u32_e64 v113, null, v107, v113, vcc_lo
	flat_store_dwordx2 v[112:113], v[110:111]
	s_or_b32 exec_lo, exec_lo, s7
	s_and_b32 s7, s3, s4
	s_and_saveexec_b32 s4, s7
	s_cbranch_execz .LBB115_204
.LBB115_200:
	v_cmp_ne_u32_e32 vcc_lo, 1, v168
	s_cbranch_vccnz .LBB115_202
; %bb.201:
	v_lshlrev_b64 v[110:111], 3, v[166:167]
	v_add_co_u32 v108, vcc_lo, v108, v110
	v_add_co_ci_u32_e64 v109, null, v109, v111, vcc_lo
	flat_load_dwordx2 v[108:109], v[108:109]
	s_waitcnt vmcnt(0) lgkmcnt(0)
	v_mul_f64 v[108:109], s[10:11], v[108:109]
	v_cvt_f32_f64_e32 v108, v[108:109]
	s_branch .LBB115_203
.LBB115_202:
	v_mov_b32_e32 v108, 0
.LBB115_203:
	s_waitcnt lgkmcnt(17)
	v_add_f64 v[102:103], v[6:7], v[102:103]
	v_add_f64 v[104:105], v[8:9], v[104:105]
	s_waitcnt lgkmcnt(16)
	v_add_f64 v[98:99], v[2:3], v[98:99]
	v_add_f64 v[100:101], v[4:5], v[100:101]
	v_cvt_f32_f64_e32 v102, v[102:103]
	v_cvt_f32_f64_e32 v103, v[104:105]
	;; [unrolled: 1-line block ×4, first 2 shown]
	v_min3_f32 v100, v102, v103, v206
	v_min_f32_e32 v98, v98, v99
	v_min3_f32 v98, v108, v98, v100
	v_lshlrev_b64 v[100:101], 3, v[166:167]
	v_cvt_f64_f32_e32 v[98:99], v98
	v_add_co_u32 v100, vcc_lo, v106, v100
	v_add_co_ci_u32_e64 v101, null, v107, v101, vcc_lo
	flat_store_dwordx2 v[100:101], v[98:99]
.LBB115_204:
	s_or_b32 exec_lo, exec_lo, s4
	s_waitcnt lgkmcnt(17)
	v_add_nc_u32_e32 v102, 64, v169
	s_waitcnt lgkmcnt(16)
	v_mad_i64_i32 v[98:99], null, v102, s6, 0
	v_mad_i64_i32 v[100:101], null, v102, s5, 0
	v_cmp_gt_i32_e64 s4, s13, v102
	v_lshlrev_b64 v[98:99], 3, v[98:99]
	s_and_b32 s12, s0, s4
	v_lshlrev_b64 v[102:103], 3, v[100:101]
	v_add_co_u32 v100, vcc_lo, s16, v98
	v_add_co_ci_u32_e64 v101, null, s17, v99, vcc_lo
	v_add_co_u32 v98, vcc_lo, s8, v102
	v_add_co_ci_u32_e64 v99, null, s9, v103, vcc_lo
	s_and_saveexec_b32 s7, s12
	s_cbranch_execnz .LBB115_208
; %bb.205:
	s_or_b32 exec_lo, exec_lo, s7
	s_and_b32 s12, s1, s4
	s_and_saveexec_b32 s7, s12
	s_cbranch_execnz .LBB115_212
.LBB115_206:
	s_or_b32 exec_lo, exec_lo, s7
	s_and_b32 s12, s2, s4
	s_and_saveexec_b32 s7, s12
	s_cbranch_execnz .LBB115_216
.LBB115_207:
	s_or_b32 exec_lo, exec_lo, s7
	s_and_b32 s7, s3, s4
	s_and_saveexec_b32 s4, s7
	s_cbranch_execnz .LBB115_220
	s_branch .LBB115_224
.LBB115_208:
	v_cmp_ne_u32_e32 vcc_lo, 1, v168
	s_cbranch_vccnz .LBB115_210
; %bb.209:
	v_lshlrev_b64 v[102:103], 3, v[0:1]
	v_add_co_u32 v102, vcc_lo, v100, v102
	v_add_co_ci_u32_e64 v103, null, v101, v103, vcc_lo
	flat_load_dwordx2 v[102:103], v[102:103]
	s_waitcnt vmcnt(0) lgkmcnt(0)
	v_mul_f64 v[102:103], s[10:11], v[102:103]
	v_cvt_f32_f64_e32 v102, v[102:103]
	s_branch .LBB115_211
.LBB115_210:
	v_mov_b32_e32 v102, 0
.LBB115_211:
	s_waitcnt lgkmcnt(15)
	v_add_f64 v[103:104], v[38:39], v[94:95]
	v_add_f64 v[105:106], v[40:41], v[96:97]
	s_waitcnt lgkmcnt(14)
	v_add_f64 v[107:108], v[34:35], v[90:91]
	v_add_f64 v[109:110], v[36:37], v[92:93]
	v_cvt_f32_f64_e32 v103, v[103:104]
	v_cvt_f32_f64_e32 v104, v[105:106]
	v_cvt_f32_f64_e32 v105, v[107:108]
	v_cvt_f32_f64_e32 v106, v[109:110]
	v_min3_f32 v103, v103, v104, v205
	v_min_f32_e32 v104, v105, v106
	v_min3_f32 v102, v102, v104, v103
	v_lshlrev_b64 v[104:105], 3, v[0:1]
	v_cvt_f64_f32_e32 v[102:103], v102
	v_add_co_u32 v104, vcc_lo, v98, v104
	v_add_co_ci_u32_e64 v105, null, v99, v105, vcc_lo
	flat_store_dwordx2 v[104:105], v[102:103]
	s_or_b32 exec_lo, exec_lo, s7
	s_and_b32 s12, s1, s4
	s_and_saveexec_b32 s7, s12
	s_cbranch_execz .LBB115_206
.LBB115_212:
	v_cmp_ne_u32_e32 vcc_lo, 1, v168
	s_cbranch_vccnz .LBB115_214
; %bb.213:
	v_lshlrev_b64 v[102:103], 3, v[162:163]
	v_add_co_u32 v102, vcc_lo, v100, v102
	v_add_co_ci_u32_e64 v103, null, v101, v103, vcc_lo
	flat_load_dwordx2 v[102:103], v[102:103]
	s_waitcnt vmcnt(0) lgkmcnt(0)
	v_mul_f64 v[102:103], s[10:11], v[102:103]
	v_cvt_f32_f64_e32 v102, v[102:103]
	s_branch .LBB115_215
.LBB115_214:
	v_mov_b32_e32 v102, 0
.LBB115_215:
	s_waitcnt lgkmcnt(15)
	v_add_f64 v[103:104], v[26:27], v[94:95]
	v_add_f64 v[105:106], v[28:29], v[96:97]
	s_waitcnt lgkmcnt(14)
	v_add_f64 v[107:108], v[30:31], v[90:91]
	v_add_f64 v[109:110], v[32:33], v[92:93]
	v_cvt_f32_f64_e32 v103, v[103:104]
	v_cvt_f32_f64_e32 v104, v[105:106]
	;; [unrolled: 1-line block ×4, first 2 shown]
	v_min3_f32 v103, v103, v104, v204
	v_min_f32_e32 v104, v105, v106
	v_min3_f32 v102, v102, v104, v103
	v_lshlrev_b64 v[104:105], 3, v[162:163]
	v_cvt_f64_f32_e32 v[102:103], v102
	v_add_co_u32 v104, vcc_lo, v98, v104
	v_add_co_ci_u32_e64 v105, null, v99, v105, vcc_lo
	flat_store_dwordx2 v[104:105], v[102:103]
	s_or_b32 exec_lo, exec_lo, s7
	s_and_b32 s12, s2, s4
	s_and_saveexec_b32 s7, s12
	s_cbranch_execz .LBB115_207
.LBB115_216:
	v_cmp_ne_u32_e32 vcc_lo, 1, v168
	s_cbranch_vccnz .LBB115_218
; %bb.217:
	v_lshlrev_b64 v[102:103], 3, v[164:165]
	v_add_co_u32 v102, vcc_lo, v100, v102
	v_add_co_ci_u32_e64 v103, null, v101, v103, vcc_lo
	flat_load_dwordx2 v[102:103], v[102:103]
	s_waitcnt vmcnt(0) lgkmcnt(0)
	v_mul_f64 v[102:103], s[10:11], v[102:103]
	v_cvt_f32_f64_e32 v102, v[102:103]
	s_branch .LBB115_219
.LBB115_218:
	v_mov_b32_e32 v102, 0
.LBB115_219:
	s_waitcnt lgkmcnt(15)
	v_add_f64 v[103:104], v[22:23], v[94:95]
	v_add_f64 v[105:106], v[24:25], v[96:97]
	s_waitcnt lgkmcnt(14)
	v_add_f64 v[107:108], v[18:19], v[90:91]
	v_add_f64 v[109:110], v[20:21], v[92:93]
	v_cvt_f32_f64_e32 v103, v[103:104]
	v_cvt_f32_f64_e32 v104, v[105:106]
	;; [unrolled: 1-line block ×4, first 2 shown]
	v_min3_f32 v103, v103, v104, v202
	v_min_f32_e32 v104, v105, v106
	v_min3_f32 v102, v102, v104, v103
	v_lshlrev_b64 v[104:105], 3, v[164:165]
	v_cvt_f64_f32_e32 v[102:103], v102
	v_add_co_u32 v104, vcc_lo, v98, v104
	v_add_co_ci_u32_e64 v105, null, v99, v105, vcc_lo
	flat_store_dwordx2 v[104:105], v[102:103]
	s_or_b32 exec_lo, exec_lo, s7
	s_and_b32 s7, s3, s4
	s_and_saveexec_b32 s4, s7
	s_cbranch_execz .LBB115_224
.LBB115_220:
	v_cmp_ne_u32_e32 vcc_lo, 1, v168
	s_cbranch_vccnz .LBB115_222
; %bb.221:
	v_lshlrev_b64 v[102:103], 3, v[166:167]
	v_add_co_u32 v100, vcc_lo, v100, v102
	v_add_co_ci_u32_e64 v101, null, v101, v103, vcc_lo
	flat_load_dwordx2 v[100:101], v[100:101]
	s_waitcnt vmcnt(0) lgkmcnt(0)
	v_mul_f64 v[100:101], s[10:11], v[100:101]
	v_cvt_f32_f64_e32 v100, v[100:101]
	s_branch .LBB115_223
.LBB115_222:
	v_mov_b32_e32 v100, 0
.LBB115_223:
	s_waitcnt lgkmcnt(15)
	v_add_f64 v[94:95], v[6:7], v[94:95]
	v_add_f64 v[96:97], v[8:9], v[96:97]
	s_waitcnt lgkmcnt(14)
	v_add_f64 v[90:91], v[2:3], v[90:91]
	v_add_f64 v[92:93], v[4:5], v[92:93]
	v_cvt_f32_f64_e32 v94, v[94:95]
	v_cvt_f32_f64_e32 v95, v[96:97]
	;; [unrolled: 1-line block ×4, first 2 shown]
	v_min3_f32 v92, v94, v95, v199
	v_min_f32_e32 v90, v90, v91
	v_min3_f32 v90, v100, v90, v92
	v_lshlrev_b64 v[92:93], 3, v[166:167]
	v_cvt_f64_f32_e32 v[90:91], v90
	v_add_co_u32 v92, vcc_lo, v98, v92
	v_add_co_ci_u32_e64 v93, null, v99, v93, vcc_lo
	flat_store_dwordx2 v[92:93], v[90:91]
.LBB115_224:
	s_or_b32 exec_lo, exec_lo, s4
	s_waitcnt lgkmcnt(15)
	v_add_nc_u32_e32 v94, 0x48, v169
	s_waitcnt lgkmcnt(14)
	v_mad_i64_i32 v[90:91], null, v94, s6, 0
	v_mad_i64_i32 v[92:93], null, v94, s5, 0
	v_cmp_gt_i32_e64 s4, s13, v94
	v_lshlrev_b64 v[90:91], 3, v[90:91]
	s_and_b32 s12, s0, s4
	v_lshlrev_b64 v[94:95], 3, v[92:93]
	v_add_co_u32 v92, vcc_lo, s16, v90
	v_add_co_ci_u32_e64 v93, null, s17, v91, vcc_lo
	v_add_co_u32 v90, vcc_lo, s8, v94
	v_add_co_ci_u32_e64 v91, null, s9, v95, vcc_lo
	s_and_saveexec_b32 s7, s12
	s_cbranch_execnz .LBB115_228
; %bb.225:
	s_or_b32 exec_lo, exec_lo, s7
	s_and_b32 s12, s1, s4
	s_and_saveexec_b32 s7, s12
	s_cbranch_execnz .LBB115_232
.LBB115_226:
	s_or_b32 exec_lo, exec_lo, s7
	s_and_b32 s12, s2, s4
	s_and_saveexec_b32 s7, s12
	s_cbranch_execnz .LBB115_236
.LBB115_227:
	s_or_b32 exec_lo, exec_lo, s7
	s_and_b32 s7, s3, s4
	s_and_saveexec_b32 s4, s7
	s_cbranch_execnz .LBB115_240
	s_branch .LBB115_244
.LBB115_228:
	v_cmp_ne_u32_e32 vcc_lo, 1, v168
	s_cbranch_vccnz .LBB115_230
; %bb.229:
	v_lshlrev_b64 v[94:95], 3, v[0:1]
	v_add_co_u32 v94, vcc_lo, v92, v94
	v_add_co_ci_u32_e64 v95, null, v93, v95, vcc_lo
	flat_load_dwordx2 v[94:95], v[94:95]
	s_waitcnt vmcnt(0) lgkmcnt(0)
	v_mul_f64 v[94:95], s[10:11], v[94:95]
	v_cvt_f32_f64_e32 v94, v[94:95]
	s_branch .LBB115_231
.LBB115_230:
	v_mov_b32_e32 v94, 0
.LBB115_231:
	s_waitcnt lgkmcnt(13)
	v_add_f64 v[95:96], v[38:39], v[86:87]
	v_add_f64 v[97:98], v[40:41], v[88:89]
	s_waitcnt lgkmcnt(12)
	v_add_f64 v[99:100], v[34:35], v[82:83]
	v_add_f64 v[101:102], v[36:37], v[84:85]
	v_cvt_f32_f64_e32 v95, v[95:96]
	v_cvt_f32_f64_e32 v96, v[97:98]
	;; [unrolled: 1-line block ×4, first 2 shown]
	v_min3_f32 v95, v95, v96, v251
	v_min_f32_e32 v96, v97, v98
	v_min3_f32 v94, v94, v96, v95
	v_lshlrev_b64 v[96:97], 3, v[0:1]
	v_cvt_f64_f32_e32 v[94:95], v94
	v_add_co_u32 v96, vcc_lo, v90, v96
	v_add_co_ci_u32_e64 v97, null, v91, v97, vcc_lo
	flat_store_dwordx2 v[96:97], v[94:95]
	s_or_b32 exec_lo, exec_lo, s7
	s_and_b32 s12, s1, s4
	s_and_saveexec_b32 s7, s12
	s_cbranch_execz .LBB115_226
.LBB115_232:
	v_cmp_ne_u32_e32 vcc_lo, 1, v168
	s_cbranch_vccnz .LBB115_234
; %bb.233:
	v_lshlrev_b64 v[94:95], 3, v[162:163]
	v_add_co_u32 v94, vcc_lo, v92, v94
	v_add_co_ci_u32_e64 v95, null, v93, v95, vcc_lo
	flat_load_dwordx2 v[94:95], v[94:95]
	s_waitcnt vmcnt(0) lgkmcnt(0)
	v_mul_f64 v[94:95], s[10:11], v[94:95]
	v_cvt_f32_f64_e32 v94, v[94:95]
	s_branch .LBB115_235
.LBB115_234:
	v_mov_b32_e32 v94, 0
.LBB115_235:
	s_waitcnt lgkmcnt(13)
	v_add_f64 v[95:96], v[26:27], v[86:87]
	v_add_f64 v[97:98], v[28:29], v[88:89]
	s_waitcnt lgkmcnt(12)
	v_add_f64 v[99:100], v[30:31], v[82:83]
	v_add_f64 v[101:102], v[32:33], v[84:85]
	v_cvt_f32_f64_e32 v95, v[95:96]
	v_cvt_f32_f64_e32 v96, v[97:98]
	v_cvt_f32_f64_e32 v97, v[99:100]
	v_cvt_f32_f64_e32 v98, v[101:102]
	v_min3_f32 v95, v95, v96, v249
	v_min_f32_e32 v96, v97, v98
	v_min3_f32 v94, v94, v96, v95
	v_lshlrev_b64 v[96:97], 3, v[162:163]
	v_cvt_f64_f32_e32 v[94:95], v94
	v_add_co_u32 v96, vcc_lo, v90, v96
	v_add_co_ci_u32_e64 v97, null, v91, v97, vcc_lo
	flat_store_dwordx2 v[96:97], v[94:95]
	s_or_b32 exec_lo, exec_lo, s7
	s_and_b32 s12, s2, s4
	s_and_saveexec_b32 s7, s12
	s_cbranch_execz .LBB115_227
.LBB115_236:
	v_cmp_ne_u32_e32 vcc_lo, 1, v168
	s_cbranch_vccnz .LBB115_238
; %bb.237:
	v_lshlrev_b64 v[94:95], 3, v[164:165]
	v_add_co_u32 v94, vcc_lo, v92, v94
	v_add_co_ci_u32_e64 v95, null, v93, v95, vcc_lo
	flat_load_dwordx2 v[94:95], v[94:95]
	s_waitcnt vmcnt(0) lgkmcnt(0)
	v_mul_f64 v[94:95], s[10:11], v[94:95]
	v_cvt_f32_f64_e32 v94, v[94:95]
	s_branch .LBB115_239
.LBB115_238:
	v_mov_b32_e32 v94, 0
.LBB115_239:
	s_waitcnt lgkmcnt(13)
	v_add_f64 v[95:96], v[22:23], v[86:87]
	v_add_f64 v[97:98], v[24:25], v[88:89]
	s_waitcnt lgkmcnt(12)
	v_add_f64 v[99:100], v[18:19], v[82:83]
	v_add_f64 v[101:102], v[20:21], v[84:85]
	v_cvt_f32_f64_e32 v95, v[95:96]
	v_cvt_f32_f64_e32 v96, v[97:98]
	;; [unrolled: 1-line block ×4, first 2 shown]
	v_min3_f32 v95, v95, v96, v248
	v_min_f32_e32 v96, v97, v98
	v_min3_f32 v94, v94, v96, v95
	v_lshlrev_b64 v[96:97], 3, v[164:165]
	v_cvt_f64_f32_e32 v[94:95], v94
	v_add_co_u32 v96, vcc_lo, v90, v96
	v_add_co_ci_u32_e64 v97, null, v91, v97, vcc_lo
	flat_store_dwordx2 v[96:97], v[94:95]
	s_or_b32 exec_lo, exec_lo, s7
	s_and_b32 s7, s3, s4
	s_and_saveexec_b32 s4, s7
	s_cbranch_execz .LBB115_244
.LBB115_240:
	v_cmp_ne_u32_e32 vcc_lo, 1, v168
	s_cbranch_vccnz .LBB115_242
; %bb.241:
	v_lshlrev_b64 v[94:95], 3, v[166:167]
	v_add_co_u32 v92, vcc_lo, v92, v94
	v_add_co_ci_u32_e64 v93, null, v93, v95, vcc_lo
	flat_load_dwordx2 v[92:93], v[92:93]
	s_waitcnt vmcnt(0) lgkmcnt(0)
	v_mul_f64 v[92:93], s[10:11], v[92:93]
	v_cvt_f32_f64_e32 v92, v[92:93]
	s_branch .LBB115_243
.LBB115_242:
	v_mov_b32_e32 v92, 0
.LBB115_243:
	s_waitcnt lgkmcnt(13)
	v_add_f64 v[86:87], v[6:7], v[86:87]
	v_add_f64 v[88:89], v[8:9], v[88:89]
	s_waitcnt lgkmcnt(12)
	v_add_f64 v[82:83], v[2:3], v[82:83]
	v_add_f64 v[84:85], v[4:5], v[84:85]
	v_cvt_f32_f64_e32 v86, v[86:87]
	v_cvt_f32_f64_e32 v87, v[88:89]
	;; [unrolled: 1-line block ×4, first 2 shown]
	v_min3_f32 v84, v86, v87, v247
	v_min_f32_e32 v82, v82, v83
	v_min3_f32 v82, v92, v82, v84
	v_lshlrev_b64 v[84:85], 3, v[166:167]
	v_cvt_f64_f32_e32 v[82:83], v82
	v_add_co_u32 v84, vcc_lo, v90, v84
	v_add_co_ci_u32_e64 v85, null, v91, v85, vcc_lo
	flat_store_dwordx2 v[84:85], v[82:83]
.LBB115_244:
	s_or_b32 exec_lo, exec_lo, s4
	s_waitcnt lgkmcnt(13)
	v_add_nc_u32_e32 v86, 0x50, v169
	s_waitcnt lgkmcnt(12)
	v_mad_i64_i32 v[82:83], null, v86, s6, 0
	v_mad_i64_i32 v[84:85], null, v86, s5, 0
	v_cmp_gt_i32_e64 s4, s13, v86
	v_lshlrev_b64 v[82:83], 3, v[82:83]
	s_and_b32 s12, s0, s4
	v_lshlrev_b64 v[86:87], 3, v[84:85]
	v_add_co_u32 v84, vcc_lo, s16, v82
	v_add_co_ci_u32_e64 v85, null, s17, v83, vcc_lo
	v_add_co_u32 v82, vcc_lo, s8, v86
	v_add_co_ci_u32_e64 v83, null, s9, v87, vcc_lo
	s_and_saveexec_b32 s7, s12
	s_cbranch_execnz .LBB115_248
; %bb.245:
	s_or_b32 exec_lo, exec_lo, s7
	s_and_b32 s12, s1, s4
	s_and_saveexec_b32 s7, s12
	s_cbranch_execnz .LBB115_252
.LBB115_246:
	s_or_b32 exec_lo, exec_lo, s7
	s_and_b32 s12, s2, s4
	s_and_saveexec_b32 s7, s12
	s_cbranch_execnz .LBB115_256
.LBB115_247:
	s_or_b32 exec_lo, exec_lo, s7
	s_and_b32 s7, s3, s4
	s_and_saveexec_b32 s4, s7
	s_cbranch_execnz .LBB115_260
	s_branch .LBB115_264
.LBB115_248:
	v_cmp_ne_u32_e32 vcc_lo, 1, v168
	s_cbranch_vccnz .LBB115_250
; %bb.249:
	v_lshlrev_b64 v[86:87], 3, v[0:1]
	v_add_co_u32 v86, vcc_lo, v84, v86
	v_add_co_ci_u32_e64 v87, null, v85, v87, vcc_lo
	flat_load_dwordx2 v[86:87], v[86:87]
	s_waitcnt vmcnt(0) lgkmcnt(0)
	v_mul_f64 v[86:87], s[10:11], v[86:87]
	v_cvt_f32_f64_e32 v86, v[86:87]
	s_branch .LBB115_251
.LBB115_250:
	v_mov_b32_e32 v86, 0
.LBB115_251:
	s_waitcnt lgkmcnt(11)
	v_add_f64 v[87:88], v[38:39], v[78:79]
	v_add_f64 v[89:90], v[40:41], v[80:81]
	s_waitcnt lgkmcnt(10)
	v_add_f64 v[91:92], v[34:35], v[74:75]
	v_add_f64 v[93:94], v[36:37], v[76:77]
	v_cvt_f32_f64_e32 v87, v[87:88]
	v_cvt_f32_f64_e32 v88, v[89:90]
	v_cvt_f32_f64_e32 v89, v[91:92]
	v_cvt_f32_f64_e32 v90, v[93:94]
	v_min3_f32 v87, v87, v88, v246
	v_min_f32_e32 v88, v89, v90
	v_min3_f32 v86, v86, v88, v87
	v_lshlrev_b64 v[88:89], 3, v[0:1]
	v_cvt_f64_f32_e32 v[86:87], v86
	v_add_co_u32 v88, vcc_lo, v82, v88
	v_add_co_ci_u32_e64 v89, null, v83, v89, vcc_lo
	flat_store_dwordx2 v[88:89], v[86:87]
	s_or_b32 exec_lo, exec_lo, s7
	s_and_b32 s12, s1, s4
	s_and_saveexec_b32 s7, s12
	s_cbranch_execz .LBB115_246
.LBB115_252:
	v_cmp_ne_u32_e32 vcc_lo, 1, v168
	s_cbranch_vccnz .LBB115_254
; %bb.253:
	v_lshlrev_b64 v[86:87], 3, v[162:163]
	v_add_co_u32 v86, vcc_lo, v84, v86
	v_add_co_ci_u32_e64 v87, null, v85, v87, vcc_lo
	flat_load_dwordx2 v[86:87], v[86:87]
	s_waitcnt vmcnt(0) lgkmcnt(0)
	v_mul_f64 v[86:87], s[10:11], v[86:87]
	v_cvt_f32_f64_e32 v86, v[86:87]
	s_branch .LBB115_255
.LBB115_254:
	v_mov_b32_e32 v86, 0
.LBB115_255:
	s_waitcnt lgkmcnt(11)
	v_add_f64 v[87:88], v[26:27], v[78:79]
	v_add_f64 v[89:90], v[28:29], v[80:81]
	s_waitcnt lgkmcnt(10)
	v_add_f64 v[91:92], v[30:31], v[74:75]
	v_add_f64 v[93:94], v[32:33], v[76:77]
	v_cvt_f32_f64_e32 v87, v[87:88]
	v_cvt_f32_f64_e32 v88, v[89:90]
	;; [unrolled: 1-line block ×4, first 2 shown]
	v_min3_f32 v87, v87, v88, v213
	v_min_f32_e32 v88, v89, v90
	v_min3_f32 v86, v86, v88, v87
	v_lshlrev_b64 v[88:89], 3, v[162:163]
	v_cvt_f64_f32_e32 v[86:87], v86
	v_add_co_u32 v88, vcc_lo, v82, v88
	v_add_co_ci_u32_e64 v89, null, v83, v89, vcc_lo
	flat_store_dwordx2 v[88:89], v[86:87]
	s_or_b32 exec_lo, exec_lo, s7
	s_and_b32 s12, s2, s4
	s_and_saveexec_b32 s7, s12
	s_cbranch_execz .LBB115_247
.LBB115_256:
	v_cmp_ne_u32_e32 vcc_lo, 1, v168
	s_cbranch_vccnz .LBB115_258
; %bb.257:
	v_lshlrev_b64 v[86:87], 3, v[164:165]
	v_add_co_u32 v86, vcc_lo, v84, v86
	v_add_co_ci_u32_e64 v87, null, v85, v87, vcc_lo
	flat_load_dwordx2 v[86:87], v[86:87]
	s_waitcnt vmcnt(0) lgkmcnt(0)
	v_mul_f64 v[86:87], s[10:11], v[86:87]
	v_cvt_f32_f64_e32 v86, v[86:87]
	s_branch .LBB115_259
.LBB115_258:
	v_mov_b32_e32 v86, 0
.LBB115_259:
	s_waitcnt lgkmcnt(11)
	v_add_f64 v[87:88], v[22:23], v[78:79]
	v_add_f64 v[89:90], v[24:25], v[80:81]
	s_waitcnt lgkmcnt(10)
	v_add_f64 v[91:92], v[18:19], v[74:75]
	v_add_f64 v[93:94], v[20:21], v[76:77]
	v_cvt_f32_f64_e32 v87, v[87:88]
	v_cvt_f32_f64_e32 v88, v[89:90]
	;; [unrolled: 1-line block ×4, first 2 shown]
	v_min3_f32 v87, v87, v88, v203
	v_min_f32_e32 v88, v89, v90
	v_min3_f32 v86, v86, v88, v87
	v_lshlrev_b64 v[88:89], 3, v[164:165]
	v_cvt_f64_f32_e32 v[86:87], v86
	v_add_co_u32 v88, vcc_lo, v82, v88
	v_add_co_ci_u32_e64 v89, null, v83, v89, vcc_lo
	flat_store_dwordx2 v[88:89], v[86:87]
	s_or_b32 exec_lo, exec_lo, s7
	s_and_b32 s7, s3, s4
	s_and_saveexec_b32 s4, s7
	s_cbranch_execz .LBB115_264
.LBB115_260:
	v_cmp_ne_u32_e32 vcc_lo, 1, v168
	s_cbranch_vccnz .LBB115_262
; %bb.261:
	v_lshlrev_b64 v[86:87], 3, v[166:167]
	v_add_co_u32 v84, vcc_lo, v84, v86
	v_add_co_ci_u32_e64 v85, null, v85, v87, vcc_lo
	flat_load_dwordx2 v[84:85], v[84:85]
	s_waitcnt vmcnt(0) lgkmcnt(0)
	v_mul_f64 v[84:85], s[10:11], v[84:85]
	v_cvt_f32_f64_e32 v84, v[84:85]
	s_branch .LBB115_263
.LBB115_262:
	v_mov_b32_e32 v84, 0
.LBB115_263:
	s_waitcnt lgkmcnt(11)
	v_add_f64 v[78:79], v[6:7], v[78:79]
	v_add_f64 v[80:81], v[8:9], v[80:81]
	s_waitcnt lgkmcnt(10)
	v_add_f64 v[74:75], v[2:3], v[74:75]
	v_add_f64 v[76:77], v[4:5], v[76:77]
	v_cvt_f32_f64_e32 v78, v[78:79]
	v_cvt_f32_f64_e32 v79, v[80:81]
	;; [unrolled: 1-line block ×4, first 2 shown]
	v_min3_f32 v76, v78, v79, v200
	v_min_f32_e32 v74, v74, v75
	v_min3_f32 v74, v84, v74, v76
	v_lshlrev_b64 v[76:77], 3, v[166:167]
	v_cvt_f64_f32_e32 v[74:75], v74
	v_add_co_u32 v76, vcc_lo, v82, v76
	v_add_co_ci_u32_e64 v77, null, v83, v77, vcc_lo
	flat_store_dwordx2 v[76:77], v[74:75]
.LBB115_264:
	s_or_b32 exec_lo, exec_lo, s4
	s_waitcnt lgkmcnt(11)
	v_add_nc_u32_e32 v78, 0x58, v169
	s_waitcnt lgkmcnt(10)
	v_mad_i64_i32 v[74:75], null, v78, s6, 0
	v_mad_i64_i32 v[76:77], null, v78, s5, 0
	v_cmp_gt_i32_e64 s4, s13, v78
	v_lshlrev_b64 v[74:75], 3, v[74:75]
	s_and_b32 s12, s0, s4
	v_lshlrev_b64 v[78:79], 3, v[76:77]
	v_add_co_u32 v76, vcc_lo, s16, v74
	v_add_co_ci_u32_e64 v77, null, s17, v75, vcc_lo
	v_add_co_u32 v74, vcc_lo, s8, v78
	v_add_co_ci_u32_e64 v75, null, s9, v79, vcc_lo
	s_and_saveexec_b32 s7, s12
	s_cbranch_execnz .LBB115_268
; %bb.265:
	s_or_b32 exec_lo, exec_lo, s7
	s_and_b32 s12, s1, s4
	s_and_saveexec_b32 s7, s12
	s_cbranch_execnz .LBB115_272
.LBB115_266:
	s_or_b32 exec_lo, exec_lo, s7
	s_and_b32 s12, s2, s4
	s_and_saveexec_b32 s7, s12
	s_cbranch_execnz .LBB115_276
.LBB115_267:
	s_or_b32 exec_lo, exec_lo, s7
	s_and_b32 s7, s3, s4
	s_and_saveexec_b32 s4, s7
	s_cbranch_execnz .LBB115_280
	s_branch .LBB115_284
.LBB115_268:
	v_cmp_ne_u32_e32 vcc_lo, 1, v168
	s_cbranch_vccnz .LBB115_270
; %bb.269:
	v_lshlrev_b64 v[78:79], 3, v[0:1]
	v_add_co_u32 v78, vcc_lo, v76, v78
	v_add_co_ci_u32_e64 v79, null, v77, v79, vcc_lo
	flat_load_dwordx2 v[78:79], v[78:79]
	s_waitcnt vmcnt(0) lgkmcnt(0)
	v_mul_f64 v[78:79], s[10:11], v[78:79]
	v_cvt_f32_f64_e32 v78, v[78:79]
	s_branch .LBB115_271
.LBB115_270:
	v_mov_b32_e32 v78, 0
.LBB115_271:
	s_waitcnt lgkmcnt(9)
	v_add_f64 v[79:80], v[38:39], v[70:71]
	v_add_f64 v[81:82], v[40:41], v[72:73]
	s_waitcnt lgkmcnt(8)
	v_add_f64 v[83:84], v[34:35], v[66:67]
	v_add_f64 v[85:86], v[36:37], v[68:69]
	v_cvt_f32_f64_e32 v79, v[79:80]
	v_cvt_f32_f64_e32 v80, v[81:82]
	;; [unrolled: 1-line block ×4, first 2 shown]
	v_min3_f32 v79, v79, v80, v220
	v_min_f32_e32 v80, v81, v82
	v_min3_f32 v78, v78, v80, v79
	v_lshlrev_b64 v[80:81], 3, v[0:1]
	v_cvt_f64_f32_e32 v[78:79], v78
	v_add_co_u32 v80, vcc_lo, v74, v80
	v_add_co_ci_u32_e64 v81, null, v75, v81, vcc_lo
	flat_store_dwordx2 v[80:81], v[78:79]
	s_or_b32 exec_lo, exec_lo, s7
	s_and_b32 s12, s1, s4
	s_and_saveexec_b32 s7, s12
	s_cbranch_execz .LBB115_266
.LBB115_272:
	v_cmp_ne_u32_e32 vcc_lo, 1, v168
	s_cbranch_vccnz .LBB115_274
; %bb.273:
	v_lshlrev_b64 v[78:79], 3, v[162:163]
	v_add_co_u32 v78, vcc_lo, v76, v78
	v_add_co_ci_u32_e64 v79, null, v77, v79, vcc_lo
	flat_load_dwordx2 v[78:79], v[78:79]
	s_waitcnt vmcnt(0) lgkmcnt(0)
	v_mul_f64 v[78:79], s[10:11], v[78:79]
	v_cvt_f32_f64_e32 v78, v[78:79]
	s_branch .LBB115_275
.LBB115_274:
	v_mov_b32_e32 v78, 0
.LBB115_275:
	s_waitcnt lgkmcnt(9)
	v_add_f64 v[79:80], v[26:27], v[70:71]
	v_add_f64 v[81:82], v[28:29], v[72:73]
	s_waitcnt lgkmcnt(8)
	v_add_f64 v[83:84], v[30:31], v[66:67]
	v_add_f64 v[85:86], v[32:33], v[68:69]
	v_cvt_f32_f64_e32 v79, v[79:80]
	v_cvt_f32_f64_e32 v80, v[81:82]
	;; [unrolled: 1-line block ×4, first 2 shown]
	v_min3_f32 v79, v79, v80, v218
	v_min_f32_e32 v80, v81, v82
	v_min3_f32 v78, v78, v80, v79
	v_lshlrev_b64 v[80:81], 3, v[162:163]
	v_cvt_f64_f32_e32 v[78:79], v78
	v_add_co_u32 v80, vcc_lo, v74, v80
	v_add_co_ci_u32_e64 v81, null, v75, v81, vcc_lo
	flat_store_dwordx2 v[80:81], v[78:79]
	s_or_b32 exec_lo, exec_lo, s7
	s_and_b32 s12, s2, s4
	s_and_saveexec_b32 s7, s12
	s_cbranch_execz .LBB115_267
.LBB115_276:
	v_cmp_ne_u32_e32 vcc_lo, 1, v168
	s_cbranch_vccnz .LBB115_278
; %bb.277:
	v_lshlrev_b64 v[78:79], 3, v[164:165]
	v_add_co_u32 v78, vcc_lo, v76, v78
	v_add_co_ci_u32_e64 v79, null, v77, v79, vcc_lo
	flat_load_dwordx2 v[78:79], v[78:79]
	s_waitcnt vmcnt(0) lgkmcnt(0)
	v_mul_f64 v[78:79], s[10:11], v[78:79]
	v_cvt_f32_f64_e32 v78, v[78:79]
	s_branch .LBB115_279
.LBB115_278:
	v_mov_b32_e32 v78, 0
.LBB115_279:
	s_waitcnt lgkmcnt(9)
	v_add_f64 v[79:80], v[22:23], v[70:71]
	v_add_f64 v[81:82], v[24:25], v[72:73]
	s_waitcnt lgkmcnt(8)
	v_add_f64 v[83:84], v[18:19], v[66:67]
	v_add_f64 v[85:86], v[20:21], v[68:69]
	v_cvt_f32_f64_e32 v79, v[79:80]
	v_cvt_f32_f64_e32 v80, v[81:82]
	;; [unrolled: 1-line block ×4, first 2 shown]
	v_min3_f32 v79, v79, v80, v212
	v_min_f32_e32 v80, v81, v82
	v_min3_f32 v78, v78, v80, v79
	v_lshlrev_b64 v[80:81], 3, v[164:165]
	v_cvt_f64_f32_e32 v[78:79], v78
	v_add_co_u32 v80, vcc_lo, v74, v80
	v_add_co_ci_u32_e64 v81, null, v75, v81, vcc_lo
	flat_store_dwordx2 v[80:81], v[78:79]
	s_or_b32 exec_lo, exec_lo, s7
	s_and_b32 s7, s3, s4
	s_and_saveexec_b32 s4, s7
	s_cbranch_execz .LBB115_284
.LBB115_280:
	v_cmp_ne_u32_e32 vcc_lo, 1, v168
	s_cbranch_vccnz .LBB115_282
; %bb.281:
	v_lshlrev_b64 v[78:79], 3, v[166:167]
	v_add_co_u32 v76, vcc_lo, v76, v78
	v_add_co_ci_u32_e64 v77, null, v77, v79, vcc_lo
	flat_load_dwordx2 v[76:77], v[76:77]
	s_waitcnt vmcnt(0) lgkmcnt(0)
	v_mul_f64 v[76:77], s[10:11], v[76:77]
	v_cvt_f32_f64_e32 v76, v[76:77]
	s_branch .LBB115_283
.LBB115_282:
	v_mov_b32_e32 v76, 0
.LBB115_283:
	s_waitcnt lgkmcnt(9)
	v_add_f64 v[70:71], v[6:7], v[70:71]
	v_add_f64 v[72:73], v[8:9], v[72:73]
	s_waitcnt lgkmcnt(8)
	v_add_f64 v[66:67], v[2:3], v[66:67]
	v_add_f64 v[68:69], v[4:5], v[68:69]
	v_cvt_f32_f64_e32 v70, v[70:71]
	v_cvt_f32_f64_e32 v71, v[72:73]
	;; [unrolled: 1-line block ×4, first 2 shown]
	v_min3_f32 v68, v70, v71, v211
	v_min_f32_e32 v66, v66, v67
	v_min3_f32 v66, v76, v66, v68
	v_lshlrev_b64 v[68:69], 3, v[166:167]
	v_cvt_f64_f32_e32 v[66:67], v66
	v_add_co_u32 v68, vcc_lo, v74, v68
	v_add_co_ci_u32_e64 v69, null, v75, v69, vcc_lo
	flat_store_dwordx2 v[68:69], v[66:67]
.LBB115_284:
	s_or_b32 exec_lo, exec_lo, s4
	s_waitcnt lgkmcnt(9)
	v_add_nc_u32_e32 v70, 0x60, v169
	s_waitcnt lgkmcnt(8)
	v_mad_i64_i32 v[66:67], null, v70, s6, 0
	v_mad_i64_i32 v[68:69], null, v70, s5, 0
	v_cmp_gt_i32_e64 s4, s13, v70
	v_lshlrev_b64 v[66:67], 3, v[66:67]
	s_and_b32 s12, s0, s4
	v_lshlrev_b64 v[70:71], 3, v[68:69]
	v_add_co_u32 v68, vcc_lo, s16, v66
	v_add_co_ci_u32_e64 v69, null, s17, v67, vcc_lo
	v_add_co_u32 v66, vcc_lo, s8, v70
	v_add_co_ci_u32_e64 v67, null, s9, v71, vcc_lo
	s_and_saveexec_b32 s7, s12
	s_cbranch_execnz .LBB115_288
; %bb.285:
	s_or_b32 exec_lo, exec_lo, s7
	s_and_b32 s12, s1, s4
	s_and_saveexec_b32 s7, s12
	s_cbranch_execnz .LBB115_292
.LBB115_286:
	s_or_b32 exec_lo, exec_lo, s7
	s_and_b32 s12, s2, s4
	s_and_saveexec_b32 s7, s12
	s_cbranch_execnz .LBB115_296
.LBB115_287:
	s_or_b32 exec_lo, exec_lo, s7
	s_and_b32 s7, s3, s4
	s_and_saveexec_b32 s4, s7
	s_cbranch_execnz .LBB115_300
	s_branch .LBB115_304
.LBB115_288:
	v_cmp_ne_u32_e32 vcc_lo, 1, v168
	s_cbranch_vccnz .LBB115_290
; %bb.289:
	v_lshlrev_b64 v[70:71], 3, v[0:1]
	v_add_co_u32 v70, vcc_lo, v68, v70
	v_add_co_ci_u32_e64 v71, null, v69, v71, vcc_lo
	flat_load_dwordx2 v[70:71], v[70:71]
	s_waitcnt vmcnt(0) lgkmcnt(0)
	v_mul_f64 v[70:71], s[10:11], v[70:71]
	v_cvt_f32_f64_e32 v70, v[70:71]
	s_branch .LBB115_291
.LBB115_290:
	v_mov_b32_e32 v70, 0
.LBB115_291:
	s_waitcnt lgkmcnt(7)
	v_add_f64 v[71:72], v[38:39], v[62:63]
	v_add_f64 v[73:74], v[40:41], v[64:65]
	s_waitcnt lgkmcnt(6)
	v_add_f64 v[75:76], v[34:35], v[58:59]
	v_add_f64 v[77:78], v[36:37], v[60:61]
	v_cvt_f32_f64_e32 v71, v[71:72]
	v_cvt_f32_f64_e32 v72, v[73:74]
	;; [unrolled: 1-line block ×4, first 2 shown]
	v_min3_f32 v71, v71, v72, v210
	v_min_f32_e32 v72, v73, v74
	v_min3_f32 v70, v70, v72, v71
	v_lshlrev_b64 v[72:73], 3, v[0:1]
	v_cvt_f64_f32_e32 v[70:71], v70
	v_add_co_u32 v72, vcc_lo, v66, v72
	v_add_co_ci_u32_e64 v73, null, v67, v73, vcc_lo
	flat_store_dwordx2 v[72:73], v[70:71]
	s_or_b32 exec_lo, exec_lo, s7
	s_and_b32 s12, s1, s4
	s_and_saveexec_b32 s7, s12
	s_cbranch_execz .LBB115_286
.LBB115_292:
	v_cmp_ne_u32_e32 vcc_lo, 1, v168
	s_cbranch_vccnz .LBB115_294
; %bb.293:
	v_lshlrev_b64 v[70:71], 3, v[162:163]
	v_add_co_u32 v70, vcc_lo, v68, v70
	v_add_co_ci_u32_e64 v71, null, v69, v71, vcc_lo
	flat_load_dwordx2 v[70:71], v[70:71]
	s_waitcnt vmcnt(0) lgkmcnt(0)
	v_mul_f64 v[70:71], s[10:11], v[70:71]
	v_cvt_f32_f64_e32 v70, v[70:71]
	s_branch .LBB115_295
.LBB115_294:
	v_mov_b32_e32 v70, 0
.LBB115_295:
	s_waitcnt lgkmcnt(7)
	v_add_f64 v[71:72], v[26:27], v[62:63]
	v_add_f64 v[73:74], v[28:29], v[64:65]
	s_waitcnt lgkmcnt(6)
	v_add_f64 v[75:76], v[30:31], v[58:59]
	v_add_f64 v[77:78], v[32:33], v[60:61]
	v_cvt_f32_f64_e32 v71, v[71:72]
	v_cvt_f32_f64_e32 v72, v[73:74]
	;; [unrolled: 1-line block ×4, first 2 shown]
	v_min3_f32 v71, v71, v72, v209
	v_min_f32_e32 v72, v73, v74
	v_min3_f32 v70, v70, v72, v71
	v_lshlrev_b64 v[72:73], 3, v[162:163]
	v_cvt_f64_f32_e32 v[70:71], v70
	v_add_co_u32 v72, vcc_lo, v66, v72
	v_add_co_ci_u32_e64 v73, null, v67, v73, vcc_lo
	flat_store_dwordx2 v[72:73], v[70:71]
	s_or_b32 exec_lo, exec_lo, s7
	s_and_b32 s12, s2, s4
	s_and_saveexec_b32 s7, s12
	s_cbranch_execz .LBB115_287
.LBB115_296:
	v_cmp_ne_u32_e32 vcc_lo, 1, v168
	s_cbranch_vccnz .LBB115_298
; %bb.297:
	v_lshlrev_b64 v[70:71], 3, v[164:165]
	v_add_co_u32 v70, vcc_lo, v68, v70
	v_add_co_ci_u32_e64 v71, null, v69, v71, vcc_lo
	flat_load_dwordx2 v[70:71], v[70:71]
	s_waitcnt vmcnt(0) lgkmcnt(0)
	v_mul_f64 v[70:71], s[10:11], v[70:71]
	v_cvt_f32_f64_e32 v70, v[70:71]
	s_branch .LBB115_299
.LBB115_298:
	v_mov_b32_e32 v70, 0
.LBB115_299:
	s_waitcnt lgkmcnt(7)
	v_add_f64 v[71:72], v[22:23], v[62:63]
	v_add_f64 v[73:74], v[24:25], v[64:65]
	s_waitcnt lgkmcnt(6)
	v_add_f64 v[75:76], v[18:19], v[58:59]
	v_add_f64 v[77:78], v[20:21], v[60:61]
	v_cvt_f32_f64_e32 v71, v[71:72]
	v_cvt_f32_f64_e32 v72, v[73:74]
	;; [unrolled: 1-line block ×4, first 2 shown]
	v_min3_f32 v71, v71, v72, v208
	v_min_f32_e32 v72, v73, v74
	v_min3_f32 v70, v70, v72, v71
	v_lshlrev_b64 v[72:73], 3, v[164:165]
	v_cvt_f64_f32_e32 v[70:71], v70
	v_add_co_u32 v72, vcc_lo, v66, v72
	v_add_co_ci_u32_e64 v73, null, v67, v73, vcc_lo
	flat_store_dwordx2 v[72:73], v[70:71]
	s_or_b32 exec_lo, exec_lo, s7
	s_and_b32 s7, s3, s4
	s_and_saveexec_b32 s4, s7
	s_cbranch_execz .LBB115_304
.LBB115_300:
	v_cmp_ne_u32_e32 vcc_lo, 1, v168
	s_cbranch_vccnz .LBB115_302
; %bb.301:
	v_lshlrev_b64 v[70:71], 3, v[166:167]
	v_add_co_u32 v68, vcc_lo, v68, v70
	v_add_co_ci_u32_e64 v69, null, v69, v71, vcc_lo
	flat_load_dwordx2 v[68:69], v[68:69]
	s_waitcnt vmcnt(0) lgkmcnt(0)
	v_mul_f64 v[68:69], s[10:11], v[68:69]
	v_cvt_f32_f64_e32 v68, v[68:69]
	s_branch .LBB115_303
.LBB115_302:
	v_mov_b32_e32 v68, 0
.LBB115_303:
	s_waitcnt lgkmcnt(7)
	v_add_f64 v[62:63], v[6:7], v[62:63]
	v_add_f64 v[64:65], v[8:9], v[64:65]
	s_waitcnt lgkmcnt(6)
	v_add_f64 v[58:59], v[2:3], v[58:59]
	v_add_f64 v[60:61], v[4:5], v[60:61]
	v_cvt_f32_f64_e32 v62, v[62:63]
	v_cvt_f32_f64_e32 v63, v[64:65]
	;; [unrolled: 1-line block ×4, first 2 shown]
	v_min3_f32 v60, v62, v63, v194
	v_min_f32_e32 v58, v58, v59
	v_min3_f32 v58, v68, v58, v60
	v_lshlrev_b64 v[60:61], 3, v[166:167]
	v_cvt_f64_f32_e32 v[58:59], v58
	v_add_co_u32 v60, vcc_lo, v66, v60
	v_add_co_ci_u32_e64 v61, null, v67, v61, vcc_lo
	flat_store_dwordx2 v[60:61], v[58:59]
.LBB115_304:
	s_or_b32 exec_lo, exec_lo, s4
	s_waitcnt lgkmcnt(7)
	v_add_nc_u32_e32 v62, 0x68, v169
	s_waitcnt lgkmcnt(6)
	v_mad_i64_i32 v[58:59], null, v62, s6, 0
	v_mad_i64_i32 v[60:61], null, v62, s5, 0
	v_cmp_gt_i32_e64 s4, s13, v62
	v_lshlrev_b64 v[58:59], 3, v[58:59]
	s_and_b32 s12, s0, s4
	v_lshlrev_b64 v[62:63], 3, v[60:61]
	v_add_co_u32 v60, vcc_lo, s16, v58
	v_add_co_ci_u32_e64 v61, null, s17, v59, vcc_lo
	v_add_co_u32 v58, vcc_lo, s8, v62
	v_add_co_ci_u32_e64 v59, null, s9, v63, vcc_lo
	s_and_saveexec_b32 s7, s12
	s_cbranch_execnz .LBB115_308
; %bb.305:
	s_or_b32 exec_lo, exec_lo, s7
	s_and_b32 s12, s1, s4
	s_and_saveexec_b32 s7, s12
	s_cbranch_execnz .LBB115_312
.LBB115_306:
	s_or_b32 exec_lo, exec_lo, s7
	s_and_b32 s12, s2, s4
	s_and_saveexec_b32 s7, s12
	s_cbranch_execnz .LBB115_316
.LBB115_307:
	s_or_b32 exec_lo, exec_lo, s7
	s_and_b32 s7, s3, s4
	s_and_saveexec_b32 s4, s7
	s_cbranch_execnz .LBB115_320
	s_branch .LBB115_324
.LBB115_308:
	v_cmp_ne_u32_e32 vcc_lo, 1, v168
	s_cbranch_vccnz .LBB115_310
; %bb.309:
	v_lshlrev_b64 v[62:63], 3, v[0:1]
	v_add_co_u32 v62, vcc_lo, v60, v62
	v_add_co_ci_u32_e64 v63, null, v61, v63, vcc_lo
	flat_load_dwordx2 v[62:63], v[62:63]
	s_waitcnt vmcnt(0) lgkmcnt(0)
	v_mul_f64 v[62:63], s[10:11], v[62:63]
	v_cvt_f32_f64_e32 v62, v[62:63]
	s_branch .LBB115_311
.LBB115_310:
	v_mov_b32_e32 v62, 0
.LBB115_311:
	s_waitcnt lgkmcnt(5)
	v_add_f64 v[63:64], v[38:39], v[54:55]
	v_add_f64 v[65:66], v[40:41], v[56:57]
	s_waitcnt lgkmcnt(4)
	v_add_f64 v[67:68], v[34:35], v[50:51]
	v_add_f64 v[69:70], v[36:37], v[52:53]
	v_cvt_f32_f64_e32 v63, v[63:64]
	v_cvt_f32_f64_e32 v64, v[65:66]
	;; [unrolled: 1-line block ×4, first 2 shown]
	v_min3_f32 v63, v63, v64, v193
	v_min_f32_e32 v64, v65, v66
	v_min3_f32 v62, v62, v64, v63
	v_lshlrev_b64 v[64:65], 3, v[0:1]
	v_cvt_f64_f32_e32 v[62:63], v62
	v_add_co_u32 v64, vcc_lo, v58, v64
	v_add_co_ci_u32_e64 v65, null, v59, v65, vcc_lo
	flat_store_dwordx2 v[64:65], v[62:63]
	s_or_b32 exec_lo, exec_lo, s7
	s_and_b32 s12, s1, s4
	s_and_saveexec_b32 s7, s12
	s_cbranch_execz .LBB115_306
.LBB115_312:
	v_cmp_ne_u32_e32 vcc_lo, 1, v168
	s_cbranch_vccnz .LBB115_314
; %bb.313:
	v_lshlrev_b64 v[62:63], 3, v[162:163]
	v_add_co_u32 v62, vcc_lo, v60, v62
	v_add_co_ci_u32_e64 v63, null, v61, v63, vcc_lo
	flat_load_dwordx2 v[62:63], v[62:63]
	s_waitcnt vmcnt(0) lgkmcnt(0)
	v_mul_f64 v[62:63], s[10:11], v[62:63]
	v_cvt_f32_f64_e32 v62, v[62:63]
	s_branch .LBB115_315
.LBB115_314:
	v_mov_b32_e32 v62, 0
.LBB115_315:
	s_waitcnt lgkmcnt(5)
	v_add_f64 v[63:64], v[26:27], v[54:55]
	v_add_f64 v[65:66], v[28:29], v[56:57]
	s_waitcnt lgkmcnt(4)
	v_add_f64 v[67:68], v[30:31], v[50:51]
	v_add_f64 v[69:70], v[32:33], v[52:53]
	v_cvt_f32_f64_e32 v63, v[63:64]
	v_cvt_f32_f64_e32 v64, v[65:66]
	;; [unrolled: 1-line block ×4, first 2 shown]
	v_min3_f32 v63, v63, v64, v192
	v_min_f32_e32 v64, v65, v66
	v_min3_f32 v62, v62, v64, v63
	v_lshlrev_b64 v[64:65], 3, v[162:163]
	v_cvt_f64_f32_e32 v[62:63], v62
	v_add_co_u32 v64, vcc_lo, v58, v64
	v_add_co_ci_u32_e64 v65, null, v59, v65, vcc_lo
	flat_store_dwordx2 v[64:65], v[62:63]
	s_or_b32 exec_lo, exec_lo, s7
	s_and_b32 s12, s2, s4
	s_and_saveexec_b32 s7, s12
	s_cbranch_execz .LBB115_307
.LBB115_316:
	v_cmp_ne_u32_e32 vcc_lo, 1, v168
	s_cbranch_vccnz .LBB115_318
; %bb.317:
	v_lshlrev_b64 v[62:63], 3, v[164:165]
	v_add_co_u32 v62, vcc_lo, v60, v62
	v_add_co_ci_u32_e64 v63, null, v61, v63, vcc_lo
	flat_load_dwordx2 v[62:63], v[62:63]
	s_waitcnt vmcnt(0) lgkmcnt(0)
	v_mul_f64 v[62:63], s[10:11], v[62:63]
	v_cvt_f32_f64_e32 v62, v[62:63]
	s_branch .LBB115_319
.LBB115_318:
	v_mov_b32_e32 v62, 0
.LBB115_319:
	s_waitcnt lgkmcnt(5)
	v_add_f64 v[63:64], v[22:23], v[54:55]
	v_add_f64 v[65:66], v[24:25], v[56:57]
	s_waitcnt lgkmcnt(4)
	v_add_f64 v[67:68], v[18:19], v[50:51]
	v_add_f64 v[69:70], v[20:21], v[52:53]
	v_cvt_f32_f64_e32 v63, v[63:64]
	v_cvt_f32_f64_e32 v64, v[65:66]
	;; [unrolled: 1-line block ×4, first 2 shown]
	v_min3_f32 v63, v63, v64, v191
	v_min_f32_e32 v64, v65, v66
	v_min3_f32 v62, v62, v64, v63
	v_lshlrev_b64 v[64:65], 3, v[164:165]
	v_cvt_f64_f32_e32 v[62:63], v62
	v_add_co_u32 v64, vcc_lo, v58, v64
	v_add_co_ci_u32_e64 v65, null, v59, v65, vcc_lo
	flat_store_dwordx2 v[64:65], v[62:63]
	s_or_b32 exec_lo, exec_lo, s7
	s_and_b32 s7, s3, s4
	s_and_saveexec_b32 s4, s7
	s_cbranch_execz .LBB115_324
.LBB115_320:
	v_cmp_ne_u32_e32 vcc_lo, 1, v168
	s_cbranch_vccnz .LBB115_322
; %bb.321:
	v_lshlrev_b64 v[62:63], 3, v[166:167]
	v_add_co_u32 v60, vcc_lo, v60, v62
	v_add_co_ci_u32_e64 v61, null, v61, v63, vcc_lo
	flat_load_dwordx2 v[60:61], v[60:61]
	s_waitcnt vmcnt(0) lgkmcnt(0)
	v_mul_f64 v[60:61], s[10:11], v[60:61]
	v_cvt_f32_f64_e32 v60, v[60:61]
	s_branch .LBB115_323
.LBB115_322:
	v_mov_b32_e32 v60, 0
.LBB115_323:
	s_waitcnt lgkmcnt(5)
	v_add_f64 v[54:55], v[6:7], v[54:55]
	v_add_f64 v[56:57], v[8:9], v[56:57]
	s_waitcnt lgkmcnt(4)
	v_add_f64 v[50:51], v[2:3], v[50:51]
	v_add_f64 v[52:53], v[4:5], v[52:53]
	v_cvt_f32_f64_e32 v54, v[54:55]
	v_cvt_f32_f64_e32 v55, v[56:57]
	;; [unrolled: 1-line block ×4, first 2 shown]
	v_min3_f32 v52, v54, v55, v190
	v_min_f32_e32 v50, v50, v51
	v_min3_f32 v50, v60, v50, v52
	v_lshlrev_b64 v[52:53], 3, v[166:167]
	v_cvt_f64_f32_e32 v[50:51], v50
	v_add_co_u32 v52, vcc_lo, v58, v52
	v_add_co_ci_u32_e64 v53, null, v59, v53, vcc_lo
	flat_store_dwordx2 v[52:53], v[50:51]
.LBB115_324:
	s_or_b32 exec_lo, exec_lo, s4
	s_waitcnt lgkmcnt(5)
	v_add_nc_u32_e32 v54, 0x70, v169
	s_waitcnt lgkmcnt(4)
	v_mad_i64_i32 v[50:51], null, v54, s6, 0
	v_mad_i64_i32 v[52:53], null, v54, s5, 0
	v_cmp_gt_i32_e64 s4, s13, v54
	v_lshlrev_b64 v[50:51], 3, v[50:51]
	s_and_b32 s12, s0, s4
	v_lshlrev_b64 v[54:55], 3, v[52:53]
	v_add_co_u32 v52, vcc_lo, s16, v50
	v_add_co_ci_u32_e64 v53, null, s17, v51, vcc_lo
	v_add_co_u32 v50, vcc_lo, s8, v54
	v_add_co_ci_u32_e64 v51, null, s9, v55, vcc_lo
	s_and_saveexec_b32 s7, s12
	s_cbranch_execnz .LBB115_328
; %bb.325:
	s_or_b32 exec_lo, exec_lo, s7
	s_and_b32 s12, s1, s4
	s_and_saveexec_b32 s7, s12
	s_cbranch_execnz .LBB115_332
.LBB115_326:
	s_or_b32 exec_lo, exec_lo, s7
	s_and_b32 s12, s2, s4
	s_and_saveexec_b32 s7, s12
	s_cbranch_execnz .LBB115_336
.LBB115_327:
	s_or_b32 exec_lo, exec_lo, s7
	s_and_b32 s7, s3, s4
	s_and_saveexec_b32 s4, s7
	s_cbranch_execnz .LBB115_340
	s_branch .LBB115_344
.LBB115_328:
	v_cmp_ne_u32_e32 vcc_lo, 1, v168
	s_cbranch_vccnz .LBB115_330
; %bb.329:
	v_lshlrev_b64 v[54:55], 3, v[0:1]
	v_add_co_u32 v54, vcc_lo, v52, v54
	v_add_co_ci_u32_e64 v55, null, v53, v55, vcc_lo
	flat_load_dwordx2 v[54:55], v[54:55]
	s_waitcnt vmcnt(0) lgkmcnt(0)
	v_mul_f64 v[54:55], s[10:11], v[54:55]
	v_cvt_f32_f64_e32 v54, v[54:55]
	s_branch .LBB115_331
.LBB115_330:
	v_mov_b32_e32 v54, 0
.LBB115_331:
	s_waitcnt lgkmcnt(3)
	v_add_f64 v[55:56], v[38:39], v[46:47]
	v_add_f64 v[57:58], v[40:41], v[48:49]
	s_waitcnt lgkmcnt(2)
	v_add_f64 v[59:60], v[34:35], v[42:43]
	v_add_f64 v[61:62], v[36:37], v[44:45]
	v_cvt_f32_f64_e32 v55, v[55:56]
	v_cvt_f32_f64_e32 v56, v[57:58]
	;; [unrolled: 1-line block ×4, first 2 shown]
	v_min3_f32 v55, v55, v56, v189
	v_min_f32_e32 v56, v57, v58
	v_min3_f32 v54, v54, v56, v55
	v_lshlrev_b64 v[56:57], 3, v[0:1]
	v_cvt_f64_f32_e32 v[54:55], v54
	v_add_co_u32 v56, vcc_lo, v50, v56
	v_add_co_ci_u32_e64 v57, null, v51, v57, vcc_lo
	flat_store_dwordx2 v[56:57], v[54:55]
	s_or_b32 exec_lo, exec_lo, s7
	s_and_b32 s12, s1, s4
	s_and_saveexec_b32 s7, s12
	s_cbranch_execz .LBB115_326
.LBB115_332:
	v_cmp_ne_u32_e32 vcc_lo, 1, v168
	s_cbranch_vccnz .LBB115_334
; %bb.333:
	v_lshlrev_b64 v[54:55], 3, v[162:163]
	v_add_co_u32 v54, vcc_lo, v52, v54
	v_add_co_ci_u32_e64 v55, null, v53, v55, vcc_lo
	flat_load_dwordx2 v[54:55], v[54:55]
	s_waitcnt vmcnt(0) lgkmcnt(0)
	v_mul_f64 v[54:55], s[10:11], v[54:55]
	v_cvt_f32_f64_e32 v54, v[54:55]
	s_branch .LBB115_335
.LBB115_334:
	v_mov_b32_e32 v54, 0
.LBB115_335:
	s_waitcnt lgkmcnt(3)
	v_add_f64 v[55:56], v[26:27], v[46:47]
	v_add_f64 v[57:58], v[28:29], v[48:49]
	s_waitcnt lgkmcnt(2)
	v_add_f64 v[59:60], v[30:31], v[42:43]
	v_add_f64 v[61:62], v[32:33], v[44:45]
	v_cvt_f32_f64_e32 v55, v[55:56]
	v_cvt_f32_f64_e32 v56, v[57:58]
	;; [unrolled: 1-line block ×4, first 2 shown]
	v_min3_f32 v55, v55, v56, v188
	v_min_f32_e32 v56, v57, v58
	v_min3_f32 v54, v54, v56, v55
	v_lshlrev_b64 v[56:57], 3, v[162:163]
	v_cvt_f64_f32_e32 v[54:55], v54
	v_add_co_u32 v56, vcc_lo, v50, v56
	v_add_co_ci_u32_e64 v57, null, v51, v57, vcc_lo
	flat_store_dwordx2 v[56:57], v[54:55]
	s_or_b32 exec_lo, exec_lo, s7
	s_and_b32 s12, s2, s4
	s_and_saveexec_b32 s7, s12
	s_cbranch_execz .LBB115_327
.LBB115_336:
	v_cmp_ne_u32_e32 vcc_lo, 1, v168
	s_cbranch_vccnz .LBB115_338
; %bb.337:
	v_lshlrev_b64 v[54:55], 3, v[164:165]
	v_add_co_u32 v54, vcc_lo, v52, v54
	v_add_co_ci_u32_e64 v55, null, v53, v55, vcc_lo
	flat_load_dwordx2 v[54:55], v[54:55]
	s_waitcnt vmcnt(0) lgkmcnt(0)
	v_mul_f64 v[54:55], s[10:11], v[54:55]
	v_cvt_f32_f64_e32 v54, v[54:55]
	s_branch .LBB115_339
.LBB115_338:
	v_mov_b32_e32 v54, 0
.LBB115_339:
	s_waitcnt lgkmcnt(3)
	v_add_f64 v[55:56], v[22:23], v[46:47]
	v_add_f64 v[57:58], v[24:25], v[48:49]
	s_waitcnt lgkmcnt(2)
	v_add_f64 v[59:60], v[18:19], v[42:43]
	v_add_f64 v[61:62], v[20:21], v[44:45]
	v_cvt_f32_f64_e32 v55, v[55:56]
	v_cvt_f32_f64_e32 v56, v[57:58]
	;; [unrolled: 1-line block ×4, first 2 shown]
	v_min3_f32 v55, v55, v56, v187
	v_min_f32_e32 v56, v57, v58
	v_min3_f32 v54, v54, v56, v55
	v_lshlrev_b64 v[56:57], 3, v[164:165]
	v_cvt_f64_f32_e32 v[54:55], v54
	v_add_co_u32 v56, vcc_lo, v50, v56
	v_add_co_ci_u32_e64 v57, null, v51, v57, vcc_lo
	flat_store_dwordx2 v[56:57], v[54:55]
	s_or_b32 exec_lo, exec_lo, s7
	s_and_b32 s7, s3, s4
	s_and_saveexec_b32 s4, s7
	s_cbranch_execz .LBB115_344
.LBB115_340:
	v_cmp_ne_u32_e32 vcc_lo, 1, v168
	s_cbranch_vccnz .LBB115_342
; %bb.341:
	v_lshlrev_b64 v[54:55], 3, v[166:167]
	v_add_co_u32 v52, vcc_lo, v52, v54
	v_add_co_ci_u32_e64 v53, null, v53, v55, vcc_lo
	flat_load_dwordx2 v[52:53], v[52:53]
	s_waitcnt vmcnt(0) lgkmcnt(0)
	v_mul_f64 v[52:53], s[10:11], v[52:53]
	v_cvt_f32_f64_e32 v52, v[52:53]
	s_branch .LBB115_343
.LBB115_342:
	v_mov_b32_e32 v52, 0
.LBB115_343:
	s_waitcnt lgkmcnt(3)
	v_add_f64 v[46:47], v[6:7], v[46:47]
	v_add_f64 v[48:49], v[8:9], v[48:49]
	s_waitcnt lgkmcnt(2)
	v_add_f64 v[42:43], v[2:3], v[42:43]
	v_add_f64 v[44:45], v[4:5], v[44:45]
	v_cvt_f32_f64_e32 v46, v[46:47]
	v_cvt_f32_f64_e32 v47, v[48:49]
	;; [unrolled: 1-line block ×4, first 2 shown]
	v_min3_f32 v44, v46, v47, v186
	v_min_f32_e32 v42, v42, v43
	v_min3_f32 v42, v52, v42, v44
	v_lshlrev_b64 v[44:45], 3, v[166:167]
	v_cvt_f64_f32_e32 v[42:43], v42
	v_add_co_u32 v44, vcc_lo, v50, v44
	v_add_co_ci_u32_e64 v45, null, v51, v45, vcc_lo
	flat_store_dwordx2 v[44:45], v[42:43]
.LBB115_344:
	s_or_b32 exec_lo, exec_lo, s4
	s_waitcnt lgkmcnt(3)
	v_add_nc_u32_e32 v46, 0x78, v169
	s_waitcnt lgkmcnt(2)
	v_mad_i64_i32 v[42:43], null, v46, s6, 0
	v_mad_i64_i32 v[44:45], null, v46, s5, 0
	v_cmp_gt_i32_e64 s4, s13, v46
	v_lshlrev_b64 v[42:43], 3, v[42:43]
	s_and_b32 s5, s0, s4
	v_lshlrev_b64 v[46:47], 3, v[44:45]
	v_add_co_u32 v44, vcc_lo, s16, v42
	v_add_co_ci_u32_e64 v45, null, s17, v43, vcc_lo
	v_add_co_u32 v42, vcc_lo, s8, v46
	v_add_co_ci_u32_e64 v43, null, s9, v47, vcc_lo
	s_and_saveexec_b32 s0, s5
	s_cbranch_execnz .LBB115_349
; %bb.345:
	s_or_b32 exec_lo, exec_lo, s0
	s_and_b32 s1, s1, s4
	s_and_saveexec_b32 s0, s1
	s_cbranch_execnz .LBB115_353
.LBB115_346:
	s_or_b32 exec_lo, exec_lo, s0
	s_and_b32 s1, s2, s4
	s_and_saveexec_b32 s0, s1
	s_cbranch_execnz .LBB115_357
.LBB115_347:
	s_or_b32 exec_lo, exec_lo, s0
	s_and_b32 s0, s3, s4
	s_and_saveexec_b32 s1, s0
	s_cbranch_execnz .LBB115_361
.LBB115_348:
	s_endpgm
.LBB115_349:
	v_cmp_ne_u32_e32 vcc_lo, 1, v168
	v_lshlrev_b64 v[0:1], 3, v[0:1]
	s_cbranch_vccnz .LBB115_351
; %bb.350:
	v_add_co_u32 v46, vcc_lo, v44, v0
	v_add_co_ci_u32_e64 v47, null, v45, v1, vcc_lo
	flat_load_dwordx2 v[46:47], v[46:47]
	s_waitcnt vmcnt(0) lgkmcnt(0)
	v_mul_f64 v[46:47], s[10:11], v[46:47]
	v_cvt_f32_f64_e32 v46, v[46:47]
	s_branch .LBB115_352
.LBB115_351:
	v_mov_b32_e32 v46, 0
.LBB115_352:
	s_waitcnt lgkmcnt(1)
	v_add_f64 v[38:39], v[38:39], v[14:15]
	v_add_f64 v[40:41], v[40:41], v[16:17]
	s_waitcnt lgkmcnt(0)
	v_add_f64 v[34:35], v[34:35], v[10:11]
	v_add_f64 v[36:37], v[36:37], v[12:13]
	v_add_co_u32 v0, vcc_lo, v42, v0
	v_add_co_ci_u32_e64 v1, null, v43, v1, vcc_lo
	v_cvt_f32_f64_e32 v38, v[38:39]
	v_cvt_f32_f64_e32 v39, v[40:41]
	;; [unrolled: 1-line block ×4, first 2 shown]
	v_min3_f32 v36, v38, v39, v185
	v_min_f32_e32 v34, v34, v35
	v_min3_f32 v34, v46, v34, v36
	v_cvt_f64_f32_e32 v[34:35], v34
	flat_store_dwordx2 v[0:1], v[34:35]
	s_or_b32 exec_lo, exec_lo, s0
	s_and_b32 s1, s1, s4
	s_and_saveexec_b32 s0, s1
	s_cbranch_execz .LBB115_346
.LBB115_353:
	v_cmp_ne_u32_e32 vcc_lo, 1, v168
	v_lshlrev_b64 v[0:1], 3, v[162:163]
	s_cbranch_vccnz .LBB115_355
; %bb.354:
	v_add_co_u32 v34, vcc_lo, v44, v0
	v_add_co_ci_u32_e64 v35, null, v45, v1, vcc_lo
	flat_load_dwordx2 v[34:35], v[34:35]
	s_waitcnt vmcnt(0) lgkmcnt(0)
	v_mul_f64 v[34:35], s[10:11], v[34:35]
	v_cvt_f32_f64_e32 v34, v[34:35]
	s_branch .LBB115_356
.LBB115_355:
	v_mov_b32_e32 v34, 0
.LBB115_356:
	s_waitcnt lgkmcnt(1)
	v_add_f64 v[26:27], v[26:27], v[14:15]
	v_add_f64 v[28:29], v[28:29], v[16:17]
	s_waitcnt lgkmcnt(0)
	v_add_f64 v[30:31], v[30:31], v[10:11]
	v_add_f64 v[32:33], v[32:33], v[12:13]
	v_add_co_u32 v0, vcc_lo, v42, v0
	v_add_co_ci_u32_e64 v1, null, v43, v1, vcc_lo
	v_cvt_f32_f64_e32 v26, v[26:27]
	v_cvt_f32_f64_e32 v27, v[28:29]
	;; [unrolled: 1-line block ×4, first 2 shown]
	v_min3_f32 v26, v26, v27, v184
	v_min_f32_e32 v27, v28, v29
	v_min3_f32 v26, v34, v27, v26
	v_cvt_f64_f32_e32 v[26:27], v26
	flat_store_dwordx2 v[0:1], v[26:27]
	s_or_b32 exec_lo, exec_lo, s0
	s_and_b32 s1, s2, s4
	s_and_saveexec_b32 s0, s1
	s_cbranch_execz .LBB115_347
.LBB115_357:
	v_cmp_ne_u32_e32 vcc_lo, 1, v168
	v_lshlrev_b64 v[0:1], 3, v[164:165]
	s_cbranch_vccnz .LBB115_359
; %bb.358:
	v_add_co_u32 v26, vcc_lo, v44, v0
	v_add_co_ci_u32_e64 v27, null, v45, v1, vcc_lo
	flat_load_dwordx2 v[26:27], v[26:27]
	s_waitcnt vmcnt(0) lgkmcnt(0)
	v_mul_f64 v[26:27], s[10:11], v[26:27]
	v_cvt_f32_f64_e32 v26, v[26:27]
	s_branch .LBB115_360
.LBB115_359:
	v_mov_b32_e32 v26, 0
.LBB115_360:
	s_waitcnt lgkmcnt(1)
	v_add_f64 v[22:23], v[22:23], v[14:15]
	v_add_f64 v[24:25], v[24:25], v[16:17]
	s_waitcnt lgkmcnt(0)
	v_add_f64 v[18:19], v[18:19], v[10:11]
	v_add_f64 v[20:21], v[20:21], v[12:13]
	v_add_co_u32 v0, vcc_lo, v42, v0
	v_add_co_ci_u32_e64 v1, null, v43, v1, vcc_lo
	v_cvt_f32_f64_e32 v22, v[22:23]
	v_cvt_f32_f64_e32 v23, v[24:25]
	;; [unrolled: 1-line block ×4, first 2 shown]
	v_min3_f32 v20, v22, v23, v183
	v_min_f32_e32 v18, v18, v19
	v_min3_f32 v18, v26, v18, v20
	v_cvt_f64_f32_e32 v[18:19], v18
	flat_store_dwordx2 v[0:1], v[18:19]
	s_or_b32 exec_lo, exec_lo, s0
	s_and_b32 s0, s3, s4
	s_and_saveexec_b32 s1, s0
	s_cbranch_execz .LBB115_348
.LBB115_361:
	v_cmp_ne_u32_e32 vcc_lo, 1, v168
	v_lshlrev_b64 v[0:1], 3, v[166:167]
	s_cbranch_vccnz .LBB115_363
; %bb.362:
	v_add_co_u32 v18, vcc_lo, v44, v0
	v_add_co_ci_u32_e64 v19, null, v45, v1, vcc_lo
	flat_load_dwordx2 v[18:19], v[18:19]
	s_waitcnt vmcnt(0) lgkmcnt(0)
	v_mul_f64 v[18:19], s[10:11], v[18:19]
	v_cvt_f32_f64_e32 v18, v[18:19]
	s_branch .LBB115_364
.LBB115_363:
	v_mov_b32_e32 v18, 0
.LBB115_364:
	s_waitcnt lgkmcnt(1)
	v_add_f64 v[6:7], v[6:7], v[14:15]
	v_add_f64 v[8:9], v[8:9], v[16:17]
	s_waitcnt lgkmcnt(0)
	v_add_f64 v[2:3], v[2:3], v[10:11]
	v_add_f64 v[4:5], v[4:5], v[12:13]
	v_add_co_u32 v0, vcc_lo, v42, v0
	v_add_co_ci_u32_e64 v1, null, v43, v1, vcc_lo
	v_cvt_f32_f64_e32 v6, v[6:7]
	v_cvt_f32_f64_e32 v7, v[8:9]
	;; [unrolled: 1-line block ×4, first 2 shown]
	v_min3_f32 v4, v6, v7, v182
	v_min_f32_e32 v2, v2, v3
	v_min3_f32 v2, v18, v2, v4
	v_cvt_f64_f32_e32 v[2:3], v2
	flat_store_dwordx2 v[0:1], v[2:3]
	s_endpgm
	.section	.rodata,"a",@progbits
	.p2align	6, 0x0
	.amdhsa_kernel _ZN12_GLOBAL__N_120geam_min_plus_kernelId15HIP_vector_typeIdLj2EEdLi32ELi8ELi128ELi128ELi4ELi4ELi64ELi4ELi64ELc84ELc78ELb1ELb1ELb1EdKPKdKPdEEviiiT16_PT17_ilSA_ilS8_SA_ilPT18_ili26rocblas_geam_ex_operation_
		.amdhsa_group_segment_fixed_size 16384
		.amdhsa_private_segment_fixed_size 196
		.amdhsa_kernarg_size 136
		.amdhsa_user_sgpr_count 6
		.amdhsa_user_sgpr_private_segment_buffer 1
		.amdhsa_user_sgpr_dispatch_ptr 0
		.amdhsa_user_sgpr_queue_ptr 0
		.amdhsa_user_sgpr_kernarg_segment_ptr 1
		.amdhsa_user_sgpr_dispatch_id 0
		.amdhsa_user_sgpr_flat_scratch_init 0
		.amdhsa_user_sgpr_private_segment_size 0
		.amdhsa_wavefront_size32 1
		.amdhsa_uses_dynamic_stack 0
		.amdhsa_system_sgpr_private_segment_wavefront_offset 1
		.amdhsa_system_sgpr_workgroup_id_x 1
		.amdhsa_system_sgpr_workgroup_id_y 0
		.amdhsa_system_sgpr_workgroup_id_z 1
		.amdhsa_system_sgpr_workgroup_info 0
		.amdhsa_system_vgpr_workitem_id 1
		.amdhsa_next_free_vgpr 256
		.amdhsa_next_free_sgpr 32
		.amdhsa_reserve_vcc 1
		.amdhsa_reserve_flat_scratch 0
		.amdhsa_float_round_mode_32 0
		.amdhsa_float_round_mode_16_64 0
		.amdhsa_float_denorm_mode_32 3
		.amdhsa_float_denorm_mode_16_64 3
		.amdhsa_dx10_clamp 1
		.amdhsa_ieee_mode 1
		.amdhsa_fp16_overflow 0
		.amdhsa_workgroup_processor_mode 1
		.amdhsa_memory_ordered 1
		.amdhsa_forward_progress 1
		.amdhsa_shared_vgpr_count 0
		.amdhsa_exception_fp_ieee_invalid_op 0
		.amdhsa_exception_fp_denorm_src 0
		.amdhsa_exception_fp_ieee_div_zero 0
		.amdhsa_exception_fp_ieee_overflow 0
		.amdhsa_exception_fp_ieee_underflow 0
		.amdhsa_exception_fp_ieee_inexact 0
		.amdhsa_exception_int_div_zero 0
	.end_amdhsa_kernel
	.section	.text._ZN12_GLOBAL__N_120geam_min_plus_kernelId15HIP_vector_typeIdLj2EEdLi32ELi8ELi128ELi128ELi4ELi4ELi64ELi4ELi64ELc84ELc78ELb1ELb1ELb1EdKPKdKPdEEviiiT16_PT17_ilSA_ilS8_SA_ilPT18_ili26rocblas_geam_ex_operation_,"axG",@progbits,_ZN12_GLOBAL__N_120geam_min_plus_kernelId15HIP_vector_typeIdLj2EEdLi32ELi8ELi128ELi128ELi4ELi4ELi64ELi4ELi64ELc84ELc78ELb1ELb1ELb1EdKPKdKPdEEviiiT16_PT17_ilSA_ilS8_SA_ilPT18_ili26rocblas_geam_ex_operation_,comdat
.Lfunc_end115:
	.size	_ZN12_GLOBAL__N_120geam_min_plus_kernelId15HIP_vector_typeIdLj2EEdLi32ELi8ELi128ELi128ELi4ELi4ELi64ELi4ELi64ELc84ELc78ELb1ELb1ELb1EdKPKdKPdEEviiiT16_PT17_ilSA_ilS8_SA_ilPT18_ili26rocblas_geam_ex_operation_, .Lfunc_end115-_ZN12_GLOBAL__N_120geam_min_plus_kernelId15HIP_vector_typeIdLj2EEdLi32ELi8ELi128ELi128ELi4ELi4ELi64ELi4ELi64ELc84ELc78ELb1ELb1ELb1EdKPKdKPdEEviiiT16_PT17_ilSA_ilS8_SA_ilPT18_ili26rocblas_geam_ex_operation_
                                        ; -- End function
	.set _ZN12_GLOBAL__N_120geam_min_plus_kernelId15HIP_vector_typeIdLj2EEdLi32ELi8ELi128ELi128ELi4ELi4ELi64ELi4ELi64ELc84ELc78ELb1ELb1ELb1EdKPKdKPdEEviiiT16_PT17_ilSA_ilS8_SA_ilPT18_ili26rocblas_geam_ex_operation_.num_vgpr, 256
	.set _ZN12_GLOBAL__N_120geam_min_plus_kernelId15HIP_vector_typeIdLj2EEdLi32ELi8ELi128ELi128ELi4ELi4ELi64ELi4ELi64ELc84ELc78ELb1ELb1ELb1EdKPKdKPdEEviiiT16_PT17_ilSA_ilS8_SA_ilPT18_ili26rocblas_geam_ex_operation_.num_agpr, 0
	.set _ZN12_GLOBAL__N_120geam_min_plus_kernelId15HIP_vector_typeIdLj2EEdLi32ELi8ELi128ELi128ELi4ELi4ELi64ELi4ELi64ELc84ELc78ELb1ELb1ELb1EdKPKdKPdEEviiiT16_PT17_ilSA_ilS8_SA_ilPT18_ili26rocblas_geam_ex_operation_.numbered_sgpr, 32
	.set _ZN12_GLOBAL__N_120geam_min_plus_kernelId15HIP_vector_typeIdLj2EEdLi32ELi8ELi128ELi128ELi4ELi4ELi64ELi4ELi64ELc84ELc78ELb1ELb1ELb1EdKPKdKPdEEviiiT16_PT17_ilSA_ilS8_SA_ilPT18_ili26rocblas_geam_ex_operation_.num_named_barrier, 0
	.set _ZN12_GLOBAL__N_120geam_min_plus_kernelId15HIP_vector_typeIdLj2EEdLi32ELi8ELi128ELi128ELi4ELi4ELi64ELi4ELi64ELc84ELc78ELb1ELb1ELb1EdKPKdKPdEEviiiT16_PT17_ilSA_ilS8_SA_ilPT18_ili26rocblas_geam_ex_operation_.private_seg_size, 196
	.set _ZN12_GLOBAL__N_120geam_min_plus_kernelId15HIP_vector_typeIdLj2EEdLi32ELi8ELi128ELi128ELi4ELi4ELi64ELi4ELi64ELc84ELc78ELb1ELb1ELb1EdKPKdKPdEEviiiT16_PT17_ilSA_ilS8_SA_ilPT18_ili26rocblas_geam_ex_operation_.uses_vcc, 1
	.set _ZN12_GLOBAL__N_120geam_min_plus_kernelId15HIP_vector_typeIdLj2EEdLi32ELi8ELi128ELi128ELi4ELi4ELi64ELi4ELi64ELc84ELc78ELb1ELb1ELb1EdKPKdKPdEEviiiT16_PT17_ilSA_ilS8_SA_ilPT18_ili26rocblas_geam_ex_operation_.uses_flat_scratch, 0
	.set _ZN12_GLOBAL__N_120geam_min_plus_kernelId15HIP_vector_typeIdLj2EEdLi32ELi8ELi128ELi128ELi4ELi4ELi64ELi4ELi64ELc84ELc78ELb1ELb1ELb1EdKPKdKPdEEviiiT16_PT17_ilSA_ilS8_SA_ilPT18_ili26rocblas_geam_ex_operation_.has_dyn_sized_stack, 0
	.set _ZN12_GLOBAL__N_120geam_min_plus_kernelId15HIP_vector_typeIdLj2EEdLi32ELi8ELi128ELi128ELi4ELi4ELi64ELi4ELi64ELc84ELc78ELb1ELb1ELb1EdKPKdKPdEEviiiT16_PT17_ilSA_ilS8_SA_ilPT18_ili26rocblas_geam_ex_operation_.has_recursion, 0
	.set _ZN12_GLOBAL__N_120geam_min_plus_kernelId15HIP_vector_typeIdLj2EEdLi32ELi8ELi128ELi128ELi4ELi4ELi64ELi4ELi64ELc84ELc78ELb1ELb1ELb1EdKPKdKPdEEviiiT16_PT17_ilSA_ilS8_SA_ilPT18_ili26rocblas_geam_ex_operation_.has_indirect_call, 0
	.section	.AMDGPU.csdata,"",@progbits
; Kernel info:
; codeLenInByte = 31656
; TotalNumSgprs: 34
; NumVgprs: 256
; ScratchSize: 196
; MemoryBound: 0
; FloatMode: 240
; IeeeMode: 1
; LDSByteSize: 16384 bytes/workgroup (compile time only)
; SGPRBlocks: 0
; VGPRBlocks: 31
; NumSGPRsForWavesPerEU: 34
; NumVGPRsForWavesPerEU: 256
; Occupancy: 4
; WaveLimiterHint : 1
; COMPUTE_PGM_RSRC2:SCRATCH_EN: 1
; COMPUTE_PGM_RSRC2:USER_SGPR: 6
; COMPUTE_PGM_RSRC2:TRAP_HANDLER: 0
; COMPUTE_PGM_RSRC2:TGID_X_EN: 1
; COMPUTE_PGM_RSRC2:TGID_Y_EN: 0
; COMPUTE_PGM_RSRC2:TGID_Z_EN: 1
; COMPUTE_PGM_RSRC2:TIDIG_COMP_CNT: 1
	.section	.text._ZN12_GLOBAL__N_120geam_min_plus_kernelId15HIP_vector_typeIdLj2EEdLi32ELi8ELi128ELi128ELi4ELi4ELi64ELi4ELi64ELc84ELc78ELb0ELb1ELb1EdKPKdKPdEEviiiT16_PT17_ilSA_ilS8_SA_ilPT18_ili26rocblas_geam_ex_operation_,"axG",@progbits,_ZN12_GLOBAL__N_120geam_min_plus_kernelId15HIP_vector_typeIdLj2EEdLi32ELi8ELi128ELi128ELi4ELi4ELi64ELi4ELi64ELc84ELc78ELb0ELb1ELb1EdKPKdKPdEEviiiT16_PT17_ilSA_ilS8_SA_ilPT18_ili26rocblas_geam_ex_operation_,comdat
	.globl	_ZN12_GLOBAL__N_120geam_min_plus_kernelId15HIP_vector_typeIdLj2EEdLi32ELi8ELi128ELi128ELi4ELi4ELi64ELi4ELi64ELc84ELc78ELb0ELb1ELb1EdKPKdKPdEEviiiT16_PT17_ilSA_ilS8_SA_ilPT18_ili26rocblas_geam_ex_operation_ ; -- Begin function _ZN12_GLOBAL__N_120geam_min_plus_kernelId15HIP_vector_typeIdLj2EEdLi32ELi8ELi128ELi128ELi4ELi4ELi64ELi4ELi64ELc84ELc78ELb0ELb1ELb1EdKPKdKPdEEviiiT16_PT17_ilSA_ilS8_SA_ilPT18_ili26rocblas_geam_ex_operation_
	.p2align	8
	.type	_ZN12_GLOBAL__N_120geam_min_plus_kernelId15HIP_vector_typeIdLj2EEdLi32ELi8ELi128ELi128ELi4ELi4ELi64ELi4ELi64ELc84ELc78ELb0ELb1ELb1EdKPKdKPdEEviiiT16_PT17_ilSA_ilS8_SA_ilPT18_ili26rocblas_geam_ex_operation_,@function
_ZN12_GLOBAL__N_120geam_min_plus_kernelId15HIP_vector_typeIdLj2EEdLi32ELi8ELi128ELi128ELi4ELi4ELi64ELi4ELi64ELc84ELc78ELb0ELb1ELb1EdKPKdKPdEEviiiT16_PT17_ilSA_ilS8_SA_ilPT18_ili26rocblas_geam_ex_operation_: ; @_ZN12_GLOBAL__N_120geam_min_plus_kernelId15HIP_vector_typeIdLj2EEdLi32ELi8ELi128ELi128ELi4ELi4ELi64ELi4ELi64ELc84ELc78ELb0ELb1ELb1EdKPKdKPdEEviiiT16_PT17_ilSA_ilS8_SA_ilPT18_ili26rocblas_geam_ex_operation_
; %bb.0:
	s_mov_b64 s[38:39], s[2:3]
	s_mov_b64 s[36:37], s[0:1]
	s_clause 0x1
	s_load_dwordx4 s[16:19], s[4:5], 0x10
	s_load_dwordx4 s[0:3], s[4:5], 0x28
	s_mov_b32 s24, s7
	v_mov_b32_e32 v163, v1
	v_mov_b32_e32 v162, v0
	s_add_u32 s36, s36, s8
	s_addc_u32 s37, s37, 0
	s_mov_b64 s[20:21], 0
	s_waitcnt lgkmcnt(0)
	v_cmp_eq_f64_e64 s7, s[16:17], 0
	s_and_b32 vcc_lo, exec_lo, s7
	s_cbranch_vccnz .LBB116_2
; %bb.1:
	s_mov_b32 s25, 0
	s_lshl_b64 s[8:9], s[24:25], 3
	s_add_u32 s8, s18, s8
	s_addc_u32 s9, s19, s9
	s_lshl_b64 s[0:1], s[0:1], 3
	s_load_dwordx2 s[8:9], s[8:9], 0x0
	s_waitcnt lgkmcnt(0)
	s_add_u32 s20, s8, s0
	s_addc_u32 s21, s9, s1
.LBB116_2:
	s_clause 0x1
	s_load_dwordx4 s[8:11], s[4:5], 0x40
	s_load_dwordx2 s[12:13], s[4:5], 0x50
	s_andn2_b32 vcc_lo, exec_lo, s7
	s_mov_b32 s25, 0
	s_cbranch_vccnz .LBB116_4
; %bb.3:
	s_mov_b32 s0, s25
	s_mov_b64 s[18:19], 0
	s_andn2_b32 vcc_lo, exec_lo, s0
	s_mov_b64 s[22:23], 0
	s_cbranch_vccz .LBB116_5
	s_branch .LBB116_6
.LBB116_4:
	s_mov_b64 s[18:19], 0
	s_mov_b64 s[22:23], 0
.LBB116_5:
	s_lshl_b64 s[0:1], s[24:25], 3
	s_add_u32 s0, s2, s0
	s_addc_u32 s1, s3, s1
	s_waitcnt lgkmcnt(0)
	s_lshl_b64 s[2:3], s[8:9], 3
	s_load_dwordx2 s[0:1], s[0:1], 0x0
	s_waitcnt lgkmcnt(0)
	s_add_u32 s22, s0, s2
	s_addc_u32 s23, s1, s3
.LBB116_6:
	s_waitcnt lgkmcnt(0)
	v_cmp_eq_f64_e64 s8, s[10:11], 0
	v_cmp_neq_f64_e64 s7, s[10:11], 0
	s_load_dwordx4 s[0:3], s[4:5], 0x60
	s_and_b32 vcc_lo, exec_lo, s8
	s_cbranch_vccnz .LBB116_8
; %bb.7:
	s_lshl_b64 s[8:9], s[24:25], 3
	s_add_u32 s8, s12, s8
	s_addc_u32 s9, s13, s9
	s_waitcnt lgkmcnt(0)
	s_lshl_b64 s[0:1], s[0:1], 3
	s_load_dwordx2 s[8:9], s[8:9], 0x0
	s_waitcnt lgkmcnt(0)
	s_add_u32 s18, s8, s0
	s_addc_u32 s19, s9, s1
.LBB116_8:
	s_clause 0x1
	s_load_dwordx4 s[12:15], s[4:5], 0x0
	s_load_dword s27, s[4:5], 0x20
	s_waitcnt lgkmcnt(0)
	s_lshl_b64 s[0:1], s[24:25], 3
	v_and_b32_e32 v1, 3, v162
	s_add_u32 s8, s2, s0
	s_addc_u32 s9, s3, s1
	v_cmp_eq_f64_e64 s26, s[16:17], 0
	buffer_store_dword v1, off, s[36:39], 0 offset:60 ; 4-byte Folded Spill
	s_add_i32 s0, s12, -1
	s_ashr_i32 s1, s0, 31
	s_lshr_b32 s1, s1, 25
	s_add_i32 s0, s0, s1
	s_ashr_i32 s0, s0, 7
	s_add_i32 s1, s0, 1
	s_not_b32 s0, s0
	v_cvt_f32_u32_e32 v0, s1
	v_rcp_iflag_f32_e32 v0, v0
	v_mul_f32_e32 v0, 0x4f7ffffe, v0
	v_cvt_u32_f32_e32 v0, v0
	v_readfirstlane_b32 s2, v0
	v_lshl_add_u32 v0, v163, 5, v162
	s_mul_i32 s0, s0, s2
	v_lshrrev_b32_e32 v12, 2, v0
	s_mul_hi_u32 s0, s2, s0
	s_add_i32 s2, s2, s0
	s_mul_hi_u32 s0, s6, s2
	s_mul_i32 s2, s0, s1
	s_add_i32 s3, s0, 1
	s_sub_i32 s2, s6, s2
	s_sub_i32 s15, s2, s1
	s_cmp_ge_u32 s2, s1
	s_cselect_b32 s0, s3, s0
	s_cselect_b32 s2, s15, s2
	s_add_i32 s3, s0, 1
	s_cmp_ge_u32 s2, s1
	s_cselect_b32 s2, s3, s0
	s_add_i32 s25, s14, -1
	s_mul_i32 s0, s2, s1
	v_min_i32_e32 v2, s25, v1
	s_sub_i32 s0, s6, s0
	v_cmp_le_i32_e64 s3, s14, v1
	s_lshl_b32 s15, s0, 7
	v_ashrrev_i32_e32 v3, 31, v2
	v_add_nc_u32_e32 v90, s15, v12
	v_lshlrev_b64 v[6:7], 3, v[2:3]
	v_cmp_le_i32_e32 vcc_lo, s12, v90
	v_add_co_u32 v8, s0, s20, v6
	v_add_co_ci_u32_e64 v9, null, s21, v7, s0
	s_or_b32 s0, s3, vcc_lo
	v_cndmask_b32_e64 v3, 0, 0x7fefffff, s0
	v_cndmask_b32_e64 v2, 0, -1, s0
	s_nor_b32 s0, s26, s0
	s_and_saveexec_b32 s1, s0
	s_cbranch_execz .LBB116_10
; %bb.9:
	v_mad_i64_i32 v[2:3], null, v90, s27, 0
	v_lshlrev_b64 v[2:3], 3, v[2:3]
	v_add_co_u32 v2, s0, v8, v2
	v_add_co_ci_u32_e64 v3, null, v9, v3, s0
	flat_load_dwordx2 v[2:3], v[2:3]
	s_waitcnt vmcnt(0) lgkmcnt(0)
	v_mul_f64 v[2:3], s[16:17], v[2:3]
.LBB116_10:
	s_or_b32 exec_lo, exec_lo, s1
	v_add_nc_u32_e32 v91, 64, v90
	v_cmp_le_i32_e64 s0, s12, v91
	s_or_b32 s1, s3, s0
	v_cndmask_b32_e64 v5, 0, 0x7fefffff, s1
	v_cndmask_b32_e64 v4, 0, -1, s1
	s_nor_b32 s1, s26, s1
	s_and_saveexec_b32 s6, s1
	s_cbranch_execz .LBB116_12
; %bb.11:
	v_mad_i64_i32 v[4:5], null, v91, s27, 0
	v_lshlrev_b64 v[4:5], 3, v[4:5]
	v_add_co_u32 v4, s1, v8, v4
	v_add_co_ci_u32_e64 v5, null, v9, v5, s1
	flat_load_dwordx2 v[4:5], v[4:5]
	s_waitcnt vmcnt(0) lgkmcnt(0)
	v_mul_f64 v[4:5], s[16:17], v[4:5]
.LBB116_12:
	s_or_b32 exec_lo, exec_lo, s6
	s_load_dword s28, s[4:5], 0x38
	s_lshl_b32 s24, s2, 7
	v_add_co_u32 v10, s2, s22, v6
	v_add_nc_u32_e32 v92, s24, v12
	v_add_co_ci_u32_e64 v11, null, s23, v7, s2
	v_cmp_le_i32_e64 s1, s13, v92
	s_or_b32 s2, s3, s1
	v_cndmask_b32_e64 v7, 0, 0x7fefffff, s2
	v_cndmask_b32_e64 v6, 0, -1, s2
	s_nor_b32 s2, s26, s2
	s_and_saveexec_b32 s6, s2
	s_cbranch_execz .LBB116_14
; %bb.13:
	s_waitcnt lgkmcnt(0)
	v_mad_i64_i32 v[6:7], null, v92, s28, 0
	v_lshlrev_b64 v[6:7], 3, v[6:7]
	v_add_co_u32 v6, s2, v10, v6
	v_add_co_ci_u32_e64 v7, null, v11, v7, s2
	flat_load_dwordx2 v[6:7], v[6:7]
	s_waitcnt vmcnt(0) lgkmcnt(0)
	v_mul_f64 v[6:7], s[16:17], v[6:7]
.LBB116_14:
	s_or_b32 exec_lo, exec_lo, s6
	v_add_nc_u32_e32 v93, 64, v92
	v_cmp_le_i32_e64 s2, s13, v93
	s_or_b32 s3, s3, s2
	v_cndmask_b32_e64 v9, 0, 0x7fefffff, s3
	v_cndmask_b32_e64 v8, 0, -1, s3
	s_nor_b32 s3, s26, s3
	s_and_saveexec_b32 s6, s3
	s_cbranch_execz .LBB116_16
; %bb.15:
	s_waitcnt lgkmcnt(0)
	v_mad_i64_i32 v[8:9], null, v93, s28, 0
	v_lshlrev_b64 v[8:9], 3, v[8:9]
	v_add_co_u32 v8, s3, v10, v8
	v_add_co_ci_u32_e64 v9, null, v11, v9, s3
	flat_load_dwordx2 v[8:9], v[8:9]
	s_waitcnt vmcnt(0) lgkmcnt(0)
	v_mul_f64 v[8:9], s[16:17], v[8:9]
.LBB116_16:
	s_or_b32 exec_lo, exec_lo, s6
	v_and_b32_e32 v0, 3, v162
	v_or_b32_e32 v0, 4, v0
	v_min_i32_e32 v10, s25, v0
	v_cmp_le_i32_e64 s3, s14, v0
	v_ashrrev_i32_e32 v11, 31, v10
	s_or_b32 s29, s3, vcc_lo
	v_cndmask_b32_e64 v87, 0, 0x7fefffff, s29
	v_cndmask_b32_e64 v86, 0, -1, s29
	v_lshlrev_b64 v[10:11], 3, v[10:11]
	v_add_co_u32 v13, s6, s20, v10
	v_add_co_ci_u32_e64 v14, null, s21, v11, s6
	s_nor_b32 s6, s26, s29
	s_and_saveexec_b32 s29, s6
	s_cbranch_execz .LBB116_18
; %bb.17:
	v_mad_i64_i32 v[15:16], null, v90, s27, 0
	v_lshlrev_b64 v[15:16], 3, v[15:16]
	v_add_co_u32 v15, s6, v13, v15
	v_add_co_ci_u32_e64 v16, null, v14, v16, s6
	flat_load_dwordx2 v[15:16], v[15:16]
	s_waitcnt vmcnt(0) lgkmcnt(0)
	v_mul_f64 v[86:87], s[16:17], v[15:16]
.LBB116_18:
	s_or_b32 exec_lo, exec_lo, s29
	s_or_b32 s6, s3, s0
	v_cndmask_b32_e64 v89, 0, 0x7fefffff, s6
	v_cndmask_b32_e64 v88, 0, -1, s6
	s_nor_b32 s6, s26, s6
	s_and_saveexec_b32 s29, s6
	s_cbranch_execz .LBB116_20
; %bb.19:
	v_mad_i64_i32 v[15:16], null, v91, s27, 0
	v_lshlrev_b64 v[15:16], 3, v[15:16]
	v_add_co_u32 v13, s6, v13, v15
	v_add_co_ci_u32_e64 v14, null, v14, v16, s6
	flat_load_dwordx2 v[13:14], v[13:14]
	s_waitcnt vmcnt(0) lgkmcnt(0)
	v_mul_f64 v[88:89], s[16:17], v[13:14]
.LBB116_20:
	s_or_b32 exec_lo, exec_lo, s29
	v_add_co_u32 v10, s6, s22, v10
	v_add_co_ci_u32_e64 v11, null, s23, v11, s6
	s_or_b32 s6, s3, s1
	v_cndmask_b32_e64 v83, 0, 0x7fefffff, s6
	v_cndmask_b32_e64 v82, 0, -1, s6
	s_nor_b32 s6, s26, s6
	s_and_saveexec_b32 s29, s6
	s_cbranch_execz .LBB116_22
; %bb.21:
	s_waitcnt lgkmcnt(0)
	v_mad_i64_i32 v[13:14], null, v92, s28, 0
	v_lshlrev_b64 v[13:14], 3, v[13:14]
	v_add_co_u32 v13, s6, v10, v13
	v_add_co_ci_u32_e64 v14, null, v11, v14, s6
	flat_load_dwordx2 v[13:14], v[13:14]
	s_waitcnt vmcnt(0) lgkmcnt(0)
	v_mul_f64 v[82:83], s[16:17], v[13:14]
.LBB116_22:
	s_or_b32 exec_lo, exec_lo, s29
	s_or_b32 s3, s3, s2
	v_cndmask_b32_e64 v85, 0, 0x7fefffff, s3
	v_cndmask_b32_e64 v84, 0, -1, s3
	s_nor_b32 s3, s26, s3
	s_and_saveexec_b32 s6, s3
	s_cbranch_execz .LBB116_24
; %bb.23:
	s_waitcnt lgkmcnt(0)
	v_mad_i64_i32 v[13:14], null, v93, s28, 0
	v_lshlrev_b64 v[13:14], 3, v[13:14]
	v_add_co_u32 v10, s3, v10, v13
	v_add_co_ci_u32_e64 v11, null, v11, v14, s3
	flat_load_dwordx2 v[10:11], v[10:11]
	s_waitcnt vmcnt(0) lgkmcnt(0)
	v_mul_f64 v[84:85], s[16:17], v[10:11]
.LBB116_24:
	s_or_b32 exec_lo, exec_lo, s6
	v_lshlrev_b32_e32 v0, 5, v12
	v_and_b32_e32 v1, 3, v162
	v_lshlrev_b32_e32 v158, 5, v162
	v_lshlrev_b32_e32 v164, 5, v163
	s_load_dwordx2 s[8:9], s[8:9], 0x0
	s_cmp_lt_i32 s14, 9
	v_lshl_or_b32 v165, v1, 3, v0
	ds_write2st64_b64 v165, v[2:3], v[4:5] offset1:4
	ds_write2st64_b64 v165, v[6:7], v[8:9] offset0:16 offset1:20
	s_waitcnt lgkmcnt(0)
	s_waitcnt_vscnt null, 0x0
	s_barrier
	buffer_gl0_inv
	ds_read_b128 v[6:9], v158 offset:1024
	ds_read_b128 v[10:13], v158 offset:2048
	;; [unrolled: 1-line block ×18, first 2 shown]
	ds_read_b128 v[94:97], v158
	ds_read_b128 v[2:5], v158 offset:16
	ds_read_b128 v[98:101], v164 offset:8192
	;; [unrolled: 1-line block ×3, first 2 shown]
	s_waitcnt lgkmcnt(1)
	v_add_f64 v[102:103], v[96:97], v[100:101]
	v_add_f64 v[104:105], v[94:95], v[98:99]
	s_waitcnt lgkmcnt(0)
	v_add_f64 v[160:161], v[2:3], v[18:19]
	v_cvt_f32_f64_e32 v1, v[102:103]
	v_cvt_f32_f64_e32 v0, v[104:105]
	v_add_f64 v[102:103], v[8:9], v[100:101]
	v_add_f64 v[104:105], v[6:7], v[98:99]
	v_min3_f32 v157, v0, v1, 0x7f800000
	v_cvt_f32_f64_e32 v1, v[102:103]
	v_cvt_f32_f64_e32 v0, v[104:105]
	v_add_f64 v[102:103], v[12:13], v[100:101]
	v_add_f64 v[104:105], v[10:11], v[98:99]
	;; [unrolled: 1-line block ×4, first 2 shown]
	v_min3_f32 v156, v0, v1, 0x7f800000
	v_cvt_f32_f64_e32 v1, v[102:103]
	v_cvt_f32_f64_e32 v0, v[104:105]
	v_min3_f32 v155, v0, v1, 0x7f800000
	v_cvt_f32_f64_e32 v0, v[98:99]
	v_cvt_f32_f64_e32 v1, v[100:101]
	v_add_f64 v[98:99], v[96:97], v[24:25]
	v_add_f64 v[100:101], v[94:95], v[22:23]
	v_min3_f32 v154, v0, v1, 0x7f800000
	v_cvt_f32_f64_e32 v1, v[98:99]
	v_cvt_f32_f64_e32 v0, v[100:101]
	v_add_f64 v[98:99], v[8:9], v[24:25]
	v_add_f64 v[100:101], v[6:7], v[22:23]
	;; [unrolled: 5-line block ×3, first 2 shown]
	v_add_f64 v[24:25], v[16:17], v[24:25]
	v_add_f64 v[22:23], v[14:15], v[22:23]
	v_min3_f32 v152, v0, v1, 0x7f800000
	v_cvt_f32_f64_e32 v1, v[98:99]
	v_cvt_f32_f64_e32 v0, v[100:101]
	v_min3_f32 v151, v0, v1, 0x7f800000
	v_cvt_f32_f64_e32 v0, v[22:23]
	v_cvt_f32_f64_e32 v1, v[24:25]
	v_add_f64 v[22:23], v[96:97], v[28:29]
	v_add_f64 v[24:25], v[94:95], v[26:27]
	v_min3_f32 v150, v0, v1, 0x7f800000
	v_cvt_f32_f64_e32 v1, v[22:23]
	v_cvt_f32_f64_e32 v0, v[24:25]
	v_add_f64 v[22:23], v[8:9], v[28:29]
	v_add_f64 v[24:25], v[6:7], v[26:27]
	;; [unrolled: 5-line block ×50, first 2 shown]
	v_add_f64 v[8:9], v[8:9], v[80:81]
	v_add_f64 v[6:7], v[6:7], v[78:79]
	v_min3_f32 v101, v0, v1, 0x7f800000
	v_cvt_f32_f64_e32 v1, v[22:23]
	v_cvt_f32_f64_e32 v0, v[24:25]
	v_add_f64 v[22:23], v[12:13], v[76:77]
	v_add_f64 v[24:25], v[10:11], v[74:75]
	v_min3_f32 v100, v0, v1, 0x7f800000
	v_cvt_f32_f64_e32 v1, v[22:23]
	v_cvt_f32_f64_e32 v0, v[24:25]
	;; [unrolled: 5-line block ×4, first 2 shown]
	v_min3_f32 v97, v0, v1, 0x7f800000
	v_cvt_f32_f64_e32 v0, v[6:7]
	v_cvt_f32_f64_e32 v1, v[8:9]
	v_add_f64 v[6:7], v[12:13], v[80:81]
	v_add_f64 v[8:9], v[10:11], v[78:79]
	v_min3_f32 v96, v0, v1, 0x7f800000
	v_cvt_f32_f64_e32 v1, v[6:7]
	v_cvt_f32_f64_e32 v0, v[8:9]
	v_add_f64 v[6:7], v[16:17], v[80:81]
	v_add_f64 v[8:9], v[14:15], v[78:79]
	ds_read_b128 v[14:17], v158 offset:1040
	ds_read_b128 v[10:13], v158 offset:2064
	buffer_store_dword v158, off, s[36:39], 0 offset:56 ; 4-byte Folded Spill
	v_min3_f32 v95, v0, v1, 0x7f800000
	v_cvt_f32_f64_e32 v1, v[6:7]
	v_cvt_f32_f64_e32 v0, v[8:9]
	ds_read_b128 v[6:9], v158 offset:3088
	ds_read_b128 v[78:81], v164 offset:8464
	;; [unrolled: 1-line block ×16, first 2 shown]
	v_add_f64 v[158:159], v[4:5], v[20:21]
	v_min3_f32 v94, v0, v1, 0x7f800000
	v_cvt_f32_f64_e32 v0, v[160:161]
	v_cvt_f32_f64_e32 v1, v[158:159]
	s_waitcnt lgkmcnt(17)
	v_add_f64 v[159:160], v[14:15], v[18:19]
	v_min3_f32 v222, v0, v1, v157
	v_add_f64 v[157:158], v[16:17], v[20:21]
	v_cvt_f32_f64_e32 v0, v[159:160]
	v_cvt_f32_f64_e32 v1, v[157:158]
	s_waitcnt lgkmcnt(16)
	v_add_f64 v[158:159], v[10:11], v[18:19]
	s_waitcnt lgkmcnt(15)
	v_add_f64 v[18:19], v[6:7], v[18:19]
	v_min3_f32 v221, v0, v1, v156
	v_add_f64 v[156:157], v[12:13], v[20:21]
	v_cvt_f32_f64_e32 v0, v[158:159]
	v_add_f64 v[20:21], v[8:9], v[20:21]
	v_cvt_f32_f64_e32 v1, v[156:157]
	v_min3_f32 v220, v0, v1, v155
	v_cvt_f32_f64_e32 v0, v[18:19]
	v_cvt_f32_f64_e32 v1, v[20:21]
	s_waitcnt lgkmcnt(14)
	v_add_f64 v[18:19], v[4:5], v[80:81]
	v_add_f64 v[20:21], v[2:3], v[78:79]
	v_min3_f32 v219, v0, v1, v154
	v_cvt_f32_f64_e32 v1, v[18:19]
	v_cvt_f32_f64_e32 v0, v[20:21]
	v_add_f64 v[18:19], v[16:17], v[80:81]
	v_add_f64 v[20:21], v[14:15], v[78:79]
	v_min3_f32 v244, v0, v1, v153
	v_cvt_f32_f64_e32 v1, v[18:19]
	v_cvt_f32_f64_e32 v0, v[20:21]
	v_add_f64 v[18:19], v[12:13], v[80:81]
	v_add_f64 v[20:21], v[10:11], v[78:79]
	v_min3_f32 v243, v0, v1, v152
	v_cvt_f32_f64_e32 v1, v[18:19]
	v_cvt_f32_f64_e32 v0, v[20:21]
	v_add_f64 v[18:19], v[8:9], v[80:81]
	v_add_f64 v[20:21], v[6:7], v[78:79]
	v_min3_f32 v242, v0, v1, v151
	v_cvt_f32_f64_e32 v1, v[18:19]
	v_cvt_f32_f64_e32 v0, v[20:21]
	s_waitcnt lgkmcnt(13)
	v_add_f64 v[18:19], v[4:5], v[76:77]
	v_add_f64 v[20:21], v[2:3], v[74:75]
	v_min3_f32 v241, v0, v1, v150
	v_cvt_f32_f64_e32 v1, v[18:19]
	v_cvt_f32_f64_e32 v0, v[20:21]
	v_add_f64 v[18:19], v[16:17], v[76:77]
	v_add_f64 v[20:21], v[14:15], v[74:75]
	v_min3_f32 v240, v0, v1, v149
	v_cvt_f32_f64_e32 v1, v[18:19]
	v_cvt_f32_f64_e32 v0, v[20:21]
	v_add_f64 v[18:19], v[12:13], v[76:77]
	v_add_f64 v[20:21], v[10:11], v[74:75]
	v_min3_f32 v239, v0, v1, v148
	v_cvt_f32_f64_e32 v1, v[18:19]
	v_cvt_f32_f64_e32 v0, v[20:21]
	v_add_f64 v[18:19], v[8:9], v[76:77]
	v_add_f64 v[20:21], v[6:7], v[74:75]
	;; [unrolled: 21-line block ×10, first 2 shown]
	v_min3_f32 v212, v0, v1, v115
	v_cvt_f32_f64_e32 v1, v[18:19]
	v_cvt_f32_f64_e32 v0, v[20:21]
	s_waitcnt lgkmcnt(4)
	v_add_f64 v[18:19], v[4:5], v[40:41]
	v_add_f64 v[20:21], v[2:3], v[38:39]
	v_min3_f32 v210, v0, v1, v114
	v_cvt_f32_f64_e32 v1, v[18:19]
	v_cvt_f32_f64_e32 v0, v[20:21]
	v_add_f64 v[18:19], v[16:17], v[40:41]
	v_add_f64 v[20:21], v[14:15], v[38:39]
	v_min3_f32 v0, v0, v1, v113
	v_cvt_f32_f64_e32 v1, v[18:19]
	v_add_f64 v[18:19], v[12:13], v[40:41]
	buffer_store_dword v0, off, s[36:39], 0 ; 4-byte Folded Spill
	v_cvt_f32_f64_e32 v0, v[20:21]
	v_add_f64 v[20:21], v[10:11], v[38:39]
	ds_write2st64_b64 v165, v[86:87], v[88:89] offset0:8 offset1:12
	ds_write2st64_b64 v165, v[82:83], v[84:85] offset0:24 offset1:28
	s_waitcnt lgkmcnt(0)
	s_waitcnt_vscnt null, 0x0
	s_barrier
	buffer_gl0_inv
	buffer_store_dword v162, off, s[36:39], 0 offset:104 ; 4-byte Folded Spill
	buffer_store_dword v163, off, s[36:39], 0 offset:108 ; 4-byte Folded Spill
	;; [unrolled: 1-line block ×3, first 2 shown]
	v_min3_f32 v200, v0, v1, v112
	v_cvt_f32_f64_e32 v0, v[20:21]
	v_cvt_f32_f64_e32 v1, v[18:19]
	v_add_f64 v[18:19], v[8:9], v[40:41]
	v_add_f64 v[20:21], v[6:7], v[38:39]
	v_min3_f32 v199, v0, v1, v111
	v_cvt_f32_f64_e32 v1, v[18:19]
	v_cvt_f32_f64_e32 v0, v[20:21]
	v_add_f64 v[18:19], v[4:5], v[36:37]
	v_add_f64 v[20:21], v[2:3], v[34:35]
	;; [unrolled: 5-line block ×10, first 2 shown]
	v_add_f64 v[4:5], v[4:5], v[24:25]
	v_add_f64 v[2:3], v[2:3], v[22:23]
	v_min3_f32 v190, v0, v1, v102
	v_cvt_f32_f64_e32 v1, v[18:19]
	v_cvt_f32_f64_e32 v0, v[20:21]
	v_add_f64 v[18:19], v[16:17], v[28:29]
	v_add_f64 v[20:21], v[14:15], v[26:27]
	v_min3_f32 v189, v0, v1, v101
	v_cvt_f32_f64_e32 v1, v[18:19]
	v_cvt_f32_f64_e32 v0, v[20:21]
	;; [unrolled: 5-line block ×4, first 2 shown]
	v_min3_f32 v186, v0, v1, v98
	v_cvt_f32_f64_e32 v0, v[2:3]
	v_cvt_f32_f64_e32 v1, v[4:5]
	v_add_f64 v[2:3], v[16:17], v[24:25]
	v_add_f64 v[4:5], v[14:15], v[22:23]
	v_min3_f32 v185, v0, v1, v97
	v_cvt_f32_f64_e32 v1, v[2:3]
	v_cvt_f32_f64_e32 v0, v[4:5]
	v_add_f64 v[2:3], v[12:13], v[24:25]
	v_add_f64 v[4:5], v[10:11], v[22:23]
	;; [unrolled: 5-line block ×3, first 2 shown]
	v_min3_f32 v183, v0, v1, v95
	v_cvt_f32_f64_e32 v1, v[2:3]
	v_cvt_f32_f64_e32 v0, v[4:5]
	v_min3_f32 v182, v0, v1, v94
	s_cbranch_scc1 .LBB116_43
; %bb.25:
	v_mad_i64_i32 v[2:3], null, v90, s27, 0
	v_lshl_add_u32 v0, v162, 5, 0x1000
	v_mad_i64_i32 v[4:5], null, v91, s27, 0
	v_mad_i64_i32 v[6:7], null, v92, s28, 0
	buffer_store_dword v0, off, s[36:39], 0 offset:68 ; 4-byte Folded Spill
	v_lshlrev_b64 v[0:1], 3, v[2:3]
	v_mad_i64_i32 v[8:9], null, v93, s28, 0
	v_or_b32_e32 v201, 0x2000, v164
	v_lshl_add_u32 v204, v163, 5, 0x3000
	s_add_i32 s27, s14, -8
	buffer_store_dword v0, off, s[36:39], 0 offset:72 ; 4-byte Folded Spill
	buffer_store_dword v1, off, s[36:39], 0 offset:76 ; 4-byte Folded Spill
	v_lshlrev_b64 v[0:1], 3, v[4:5]
	s_mov_b32 s28, 0
	buffer_store_dword v0, off, s[36:39], 0 offset:80 ; 4-byte Folded Spill
	buffer_store_dword v1, off, s[36:39], 0 offset:84 ; 4-byte Folded Spill
	v_lshlrev_b64 v[0:1], 3, v[6:7]
	buffer_store_dword v0, off, s[36:39], 0 offset:88 ; 4-byte Folded Spill
	buffer_store_dword v1, off, s[36:39], 0 offset:92 ; 4-byte Folded Spill
	v_lshlrev_b64 v[0:1], 3, v[8:9]
	buffer_store_dword v0, off, s[36:39], 0 offset:96 ; 4-byte Folded Spill
	buffer_store_dword v1, off, s[36:39], 0 offset:100 ; 4-byte Folded Spill
	;; [unrolled: 1-line block ×3, first 2 shown]
	s_branch .LBB116_27
.LBB116_26:                             ;   in Loop: Header=BB116_27 Depth=1
	s_or_b32 exec_lo, exec_lo, s6
	v_add_f64 v[249:250], v[100:101], v[160:161]
	v_add_f64 v[251:252], v[98:99], v[158:159]
	;; [unrolled: 1-line block ×24, first 2 shown]
	v_cvt_f32_f64_e32 v251, v[251:252]
	v_cvt_f32_f64_e32 v162, v[162:163]
	;; [unrolled: 1-line block ×10, first 2 shown]
	v_add_f64 v[0:1], v[98:99], v[146:147]
	v_cvt_f32_f64_e32 v249, v[249:250]
	v_cvt_f32_f64_e32 v186, v[150:151]
	v_add_f64 v[150:151], v[100:101], v[148:149]
	v_cvt_f32_f64_e32 v160, v[168:169]
	v_cvt_f32_f64_e32 v167, v[178:179]
	;; [unrolled: 1-line block ×12, first 2 shown]
	v_min3_f32 v152, v162, v163, v221
	v_add_f64 v[162:163], v[96:97], v[148:149]
	v_min3_f32 v154, v158, v159, v219
	v_add_f64 v[190:191], v[100:101], v[140:141]
	v_add_f64 v[192:193], v[98:99], v[138:139]
	;; [unrolled: 1-line block ×3, first 2 shown]
	v_cvt_f32_f64_e32 v0, v[0:1]
	v_min3_f32 v153, v164, v165, v220
	v_add_f64 v[164:165], v[88:89], v[148:149]
	v_cvt_f32_f64_e32 v1, v[150:151]
	v_min3_f32 v151, v251, v249, v222
	v_min3_f32 v155, v160, v161, v244
	;; [unrolled: 1-line block ×3, first 2 shown]
	v_add_f64 v[166:167], v[86:87], v[146:147]
	v_min3_f32 v157, v168, v169, v242
	v_min3_f32 v158, v178, v179, v241
	;; [unrolled: 1-line block ×3, first 2 shown]
	v_add_f64 v[178:179], v[100:101], v[144:145]
	v_min3_f32 v160, v182, v183, v239
	v_add_f64 v[180:181], v[98:99], v[142:143]
	v_min3_f32 v161, v184, v185, v238
	v_min3_f32 v249, v186, v187, v224
	v_add_f64 v[182:183], v[96:97], v[144:145]
	v_add_f64 v[184:185], v[94:95], v[142:143]
	;; [unrolled: 1-line block ×9, first 2 shown]
	v_min3_f32 v150, v0, v1, v236
	v_add_f64 v[0:1], v[94:95], v[146:147]
	v_add_f64 v[146:147], v[82:83], v[146:147]
	;; [unrolled: 1-line block ×5, first 2 shown]
	v_cvt_f32_f64_e32 v149, v[166:167]
	v_add_f64 v[166:167], v[94:95], v[130:131]
	v_cvt_f32_f64_e32 v178, v[178:179]
	s_add_i32 s28, s28, 8
	v_cvt_f32_f64_e32 v180, v[180:181]
	s_cmp_ge_i32 s28, s27
	v_cvt_f32_f64_e32 v181, v[182:183]
	v_cvt_f32_f64_e32 v179, v[184:185]
	v_cvt_f32_f64_e32 v183, v[186:187]
	v_cvt_f32_f64_e32 v185, v[144:145]
	v_cvt_f32_f64_e32 v186, v[192:193]
	v_cvt_f32_f64_e32 v193, v[140:141]
	v_add_f64 v[140:141], v[94:95], v[134:135]
	v_add_f64 v[144:145], v[86:87], v[134:135]
	v_cvt_f32_f64_e32 v242, v[168:169]
	v_cvt_f32_f64_e32 v182, v[188:189]
	;; [unrolled: 1-line block ×5, first 2 shown]
	v_add_f64 v[146:147], v[88:89], v[136:137]
	v_cvt_f32_f64_e32 v184, v[142:143]
	v_cvt_f32_f64_e32 v189, v[194:195]
	v_add_f64 v[142:143], v[96:97], v[136:137]
	v_add_f64 v[162:163], v[98:99], v[130:131]
	v_add_f64 v[168:169], v[96:97], v[132:133]
	v_cvt_f32_f64_e32 v187, v[190:191]
	v_cvt_f32_f64_e32 v188, v[196:197]
	;; [unrolled: 1-line block ×4, first 2 shown]
	v_add_f64 v[138:139], v[100:101], v[136:137]
	v_add_f64 v[136:137], v[84:85], v[136:137]
	v_cvt_f32_f64_e32 v190, v[240:241]
	v_cvt_f32_f64_e32 v196, v[140:141]
	;; [unrolled: 1-line block ×3, first 2 shown]
	v_add_f64 v[140:141], v[94:95], v[126:127]
	v_min3_f32 v148, v0, v1, v235
	v_add_f64 v[0:1], v[98:99], v[134:135]
	v_add_f64 v[134:135], v[82:83], v[134:135]
	v_cvt_f32_f64_e32 v235, v[164:165]
	v_add_f64 v[164:165], v[100:101], v[132:133]
	v_cvt_f32_f64_e32 v145, v[146:147]
	v_cvt_f32_f64_e32 v197, v[142:143]
	;; [unrolled: 1-line block ×3, first 2 shown]
	v_add_f64 v[142:143], v[96:97], v[128:129]
	v_add_f64 v[162:163], v[88:89], v[128:129]
	v_min3_f32 v229, v236, v242, v229
	v_cvt_f32_f64_e32 v195, v[138:139]
	v_cvt_f32_f64_e32 v147, v[136:137]
	v_add_f64 v[136:137], v[98:99], v[126:127]
	v_add_f64 v[138:139], v[100:101], v[128:129]
	v_cvt_f32_f64_e32 v243, v[140:141]
	v_cvt_f32_f64_e32 v194, v[0:1]
	;; [unrolled: 1-line block ×3, first 2 shown]
	v_add_f64 v[0:1], v[86:87], v[130:131]
	v_add_f64 v[134:135], v[88:89], v[132:133]
	;; [unrolled: 1-line block ×4, first 2 shown]
	v_cvt_f32_f64_e32 v164, v[164:165]
	v_cvt_f32_f64_e32 v165, v[166:167]
	;; [unrolled: 1-line block ×4, first 2 shown]
	v_min3_f32 v140, v144, v145, v225
	v_min3_f32 v149, v149, v235, v223
	v_cvt_f32_f64_e32 v240, v[136:137]
	v_cvt_f32_f64_e32 v241, v[138:139]
	v_min3_f32 v136, v190, v191, v216
	v_min3_f32 v137, v192, v193, v215
	v_add_f64 v[215:216], v[96:97], v[116:117]
	v_min3_f32 v139, v196, v197, v227
	v_add_f64 v[190:191], v[88:89], v[120:121]
	v_add_f64 v[192:193], v[98:99], v[114:115]
	;; [unrolled: 1-line block ×3, first 2 shown]
	v_min3_f32 v138, v194, v195, v228
	v_add_f64 v[194:195], v[100:101], v[116:117]
	v_cvt_f32_f64_e32 v167, v[0:1]
	v_cvt_f32_f64_e32 v168, v[134:135]
	;; [unrolled: 1-line block ×4, first 2 shown]
	v_add_f64 v[0:1], v[86:87], v[126:127]
	v_min3_f32 v130, v180, v178, v226
	v_min3_f32 v131, v179, v181, v246
	;; [unrolled: 1-line block ×6, first 2 shown]
	v_cvt_f32_f64_e32 v218, v[162:163]
	v_add_f64 v[162:163], v[100:101], v[124:125]
	v_add_f64 v[164:165], v[94:95], v[122:123]
	;; [unrolled: 1-line block ×3, first 2 shown]
	v_min3_f32 v132, v182, v183, v237
	v_min3_f32 v133, v184, v185, v234
	v_add_f64 v[180:181], v[98:99], v[118:119]
	v_add_f64 v[182:183], v[100:101], v[120:121]
	;; [unrolled: 1-line block ×6, first 2 shown]
	v_min3_f32 v144, v167, v168, v231
	v_add_f64 v[166:167], v[96:97], v[124:125]
	v_min3_f32 v145, v169, v239, v230
	v_cvt_f32_f64_e32 v217, v[0:1]
	v_add_f64 v[0:1], v[82:83], v[126:127]
	v_add_f64 v[126:127], v[84:85], v[128:129]
	;; [unrolled: 1-line block ×7, first 2 shown]
	v_cvt_f32_f64_e32 v222, v[162:163]
	v_add_f64 v[162:163], v[84:85], v[116:117]
	v_cvt_f32_f64_e32 v226, v[178:179]
	v_add_f64 v[178:179], v[96:97], v[112:113]
	v_cvt_f32_f64_e32 v223, v[164:165]
	v_cvt_f32_f64_e32 v227, v[180:181]
	;; [unrolled: 1-line block ×13, first 2 shown]
	v_add_f64 v[126:127], v[88:89], v[116:117]
	v_cvt_f32_f64_e32 v192, v[215:216]
	v_cvt_f32_f64_e32 v122, v[122:123]
	;; [unrolled: 1-line block ×4, first 2 shown]
	v_add_f64 v[0:1], v[86:87], v[114:115]
	v_cvt_f32_f64_e32 v221, v[128:129]
	v_cvt_f32_f64_e32 v224, v[166:167]
	;; [unrolled: 1-line block ×3, first 2 shown]
	v_add_f64 v[128:129], v[82:83], v[114:115]
	v_add_f64 v[164:165], v[98:99], v[110:111]
	;; [unrolled: 1-line block ×6, first 2 shown]
	v_cvt_f32_f64_e32 v195, v[178:179]
	v_add_f64 v[178:179], v[100:101], v[104:105]
	v_min3_f32 v119, v184, v185, v202
	v_add_f64 v[184:185], v[86:87], v[102:103]
	v_min3_f32 v120, v186, v187, v212
	;; [unrolled: 2-line block ×3, first 2 shown]
	v_min3_f32 v146, v240, v241, v214
	v_min3_f32 v147, v243, v244, v213
	;; [unrolled: 1-line block ×4, first 2 shown]
	buffer_load_dword v122, off, s[36:39], 0 ; 4-byte Folded Reload
	v_min3_f32 v121, v188, v121, v210
	v_min3_f32 v123, v191, v192, v200
	v_cvt_f32_f64_e32 v188, v[0:1]
	v_cvt_f32_f64_e32 v191, v[162:163]
	v_add_f64 v[0:1], v[82:83], v[110:111]
	v_add_f64 v[110:111], v[84:85], v[112:113]
	;; [unrolled: 1-line block ×4, first 2 shown]
	v_cvt_f32_f64_e32 v192, v[164:165]
	v_cvt_f32_f64_e32 v194, v[168:169]
	;; [unrolled: 1-line block ×3, first 2 shown]
	v_add_f64 v[164:165], v[86:87], v[106:107]
	v_add_f64 v[168:169], v[98:99], v[102:103]
	;; [unrolled: 1-line block ×4, first 2 shown]
	v_cvt_f32_f64_e32 v197, v[182:183]
	v_add_f64 v[182:183], v[96:97], v[104:105]
	v_cvt_f32_f64_e32 v193, v[166:167]
	v_add_f64 v[166:167], v[88:89], v[108:109]
	v_add_f64 v[104:105], v[84:85], v[104:105]
	;; [unrolled: 1-line block ×4, first 2 shown]
	v_min3_f32 v125, v219, v220, v209
	v_min3_f32 v114, v221, v222, v208
	;; [unrolled: 1-line block ×4, first 2 shown]
	v_cvt_f32_f64_e32 v200, v[0:1]
	v_cvt_f32_f64_e32 v110, v[110:111]
	;; [unrolled: 1-line block ×3, first 2 shown]
	v_add_f64 v[0:1], v[86:87], v[90:91]
	v_min3_f32 v116, v225, v226, v171
	s_waitcnt vmcnt(0)
	v_min3_f32 v122, v189, v190, v122
	v_cvt_f32_f64_e32 v189, v[126:127]
	v_add_f64 v[126:127], v[100:101], v[108:109]
	v_add_f64 v[100:101], v[100:101], v[92:93]
	v_cvt_f32_f64_e32 v190, v[128:129]
	v_add_f64 v[128:129], v[94:95], v[106:107]
	v_add_f64 v[106:107], v[82:83], v[106:107]
	;; [unrolled: 1-line block ×4, first 2 shown]
	v_cvt_f32_f64_e32 v112, v[126:127]
	v_cvt_f32_f64_e32 v126, v[162:163]
	v_cvt_f32_f64_e32 v162, v[178:179]
	v_cvt_f32_f64_e32 v178, v[100:101]
	v_add_f64 v[100:101], v[82:83], v[90:91]
	buffer_load_dword v82, off, s[36:39], 0 offset:36 ; 4-byte Folded Reload
	v_cvt_f32_f64_e32 v127, v[164:165]
	v_cvt_f32_f64_e32 v163, v[180:181]
	;; [unrolled: 1-line block ×6, first 2 shown]
	v_add_f64 v[102:103], v[84:85], v[92:93]
	v_cvt_f32_f64_e32 v165, v[184:185]
	v_cvt_f32_f64_e32 v166, v[186:187]
	;; [unrolled: 1-line block ×9, first 2 shown]
	v_add_f64 v[98:99], v[88:89], v[92:93]
	v_add_f64 v[104:105], v[2:3], v[78:79]
	v_add_f64 v[106:107], v[4:5], v[80:81]
	v_min3_f32 v94, v200, v110, v247
	v_min3_f32 v95, v111, v112, v206
	v_cvt_f32_f64_e32 v182, v[100:101]
	v_add_f64 v[100:101], v[10:11], v[78:79]
	v_add_f64 v[110:111], v[8:9], v[76:77]
	v_min3_f32 v96, v188, v189, v199
	v_min3_f32 v89, v113, v126, v170
	;; [unrolled: 1-line block ×3, first 2 shown]
	v_add_f64 v[112:113], v[10:11], v[74:75]
	v_cvt_f32_f64_e32 v183, v[102:103]
	v_add_f64 v[102:103], v[12:13], v[80:81]
	v_add_f64 v[126:127], v[12:13], v[76:77]
	v_min3_f32 v91, v192, v193, v255
	v_min3_f32 v88, v109, v162, v174
	;; [unrolled: 1-line block ×5, first 2 shown]
	v_add_f64 v[108:109], v[6:7], v[74:75]
	v_add_f64 v[128:129], v[2:3], v[70:71]
	v_cvt_f32_f64_e32 v181, v[98:99]
	v_cvt_f32_f64_e32 v184, v[104:105]
	;; [unrolled: 1-line block ×3, first 2 shown]
	v_add_f64 v[98:99], v[8:9], v[80:81]
	v_add_f64 v[80:81], v[16:17], v[80:81]
	;; [unrolled: 1-line block ×6, first 2 shown]
	v_min3_f32 v93, v196, v197, v248
	v_cvt_f32_f64_e32 v98, v[98:99]
	v_cvt_f32_f64_e32 v99, v[100:101]
	;; [unrolled: 1-line block ×12, first 2 shown]
	v_add_f64 v[74:75], v[8:9], v[68:69]
	v_add_f64 v[76:77], v[10:11], v[66:67]
	v_add_f64 v[80:81], v[14:15], v[66:67]
	v_cvt_f32_f64_e32 v188, v[104:105]
	v_min3_f32 v102, v184, v185, v151
	v_min3_f32 v104, v99, v100, v153
	;; [unrolled: 1-line block ×5, first 2 shown]
	v_add_f64 v[157:158], v[4:5], v[56:57]
	v_min3_f32 v106, v188, v106, v155
	v_add_f64 v[155:156], v[2:3], v[54:55]
	v_cvt_f32_f64_e32 v155, v[155:156]
	v_cvt_f32_f64_e32 v156, v[157:158]
	v_min3_f32 v213, v155, v156, v138
	s_waitcnt vmcnt(0)
	v_min3_f32 v85, v163, v164, v82
	buffer_load_dword v82, off, s[36:39], 0 offset:24 ; 4-byte Folded Reload
	v_add_f64 v[162:163], v[4:5], v[72:73]
	v_cvt_f32_f64_e32 v126, v[162:163]
	v_min3_f32 v110, v113, v126, v159
	s_waitcnt vmcnt(0)
	v_min3_f32 v86, v165, v166, v82
	buffer_load_dword v82, off, s[36:39], 0 offset:20 ; 4-byte Folded Reload
	v_add_f64 v[164:165], v[6:7], v[70:71]
	v_cvt_f32_f64_e32 v127, v[164:165]
	v_cvt_f32_f64_e32 v165, v[80:81]
	v_add_f64 v[80:81], v[16:17], v[64:65]
	s_waitcnt vmcnt(0)
	v_min3_f32 v83, v167, v168, v82
	buffer_load_dword v82, off, s[36:39], 0 offset:16 ; 4-byte Folded Reload
	v_add_f64 v[166:167], v[8:9], v[72:73]
	v_cvt_f32_f64_e32 v128, v[166:167]
	v_min3_f32 v111, v127, v128, v160
	v_add_f64 v[126:127], v[6:7], v[58:59]
	s_waitcnt vmcnt(0)
	v_min3_f32 v84, v169, v178, v82
	buffer_load_dword v82, off, s[36:39], 0 offset:12 ; 4-byte Folded Reload
	v_add_f64 v[168:169], v[10:11], v[70:71]
	v_add_f64 v[70:71], v[14:15], v[70:71]
	v_cvt_f32_f64_e32 v129, v[168:169]
	v_cvt_f32_f64_e32 v163, v[70:71]
	v_add_f64 v[70:71], v[4:5], v[68:69]
	v_cvt_f32_f64_e32 v169, v[126:127]
	v_add_f64 v[126:127], v[6:7], v[46:47]
	;; [unrolled: 2-line block ×3, first 2 shown]
	s_waitcnt vmcnt(0)
	v_min3_f32 v82, v179, v180, v82
	v_cvt_f32_f64_e32 v180, v[0:1]
	v_add_f64 v[0:1], v[6:7], v[78:79]
	v_add_f64 v[78:79], v[14:15], v[78:79]
	;; [unrolled: 1-line block ×4, first 2 shown]
	v_cvt_f32_f64_e32 v186, v[0:1]
	v_cvt_f32_f64_e32 v101, v[78:79]
	;; [unrolled: 1-line block ×4, first 2 shown]
	v_add_f64 v[0:1], v[2:3], v[66:67]
	v_add_f64 v[72:73], v[6:7], v[66:67]
	;; [unrolled: 1-line block ×4, first 2 shown]
	buffer_load_dword v66, off, s[36:39], 0 offset:8 ; 4-byte Folded Reload
	v_min3_f32 v103, v186, v98, v152
	v_min3_f32 v105, v101, v187, v154
	;; [unrolled: 1-line block ×4, first 2 shown]
	v_cvt_f32_f64_e32 v159, v[0:1]
	v_cvt_f32_f64_e32 v161, v[72:73]
	;; [unrolled: 1-line block ×6, first 2 shown]
	v_add_f64 v[0:1], v[2:3], v[62:63]
	v_add_f64 v[68:69], v[4:5], v[64:65]
	;; [unrolled: 1-line block ×13, first 2 shown]
	v_min3_f32 v62, v159, v160, v150
	v_min3_f32 v63, v161, v162, v148
	v_cvt_f32_f64_e32 v161, v[70:71]
	v_min3_f32 v64, v163, v164, v149
	v_min3_f32 v65, v165, v166, v229
	v_cvt_f32_f64_e32 v159, v[0:1]
	v_cvt_f32_f64_e32 v160, v[68:69]
	;; [unrolled: 1-line block ×13, first 2 shown]
	v_add_f64 v[0:1], v[6:7], v[54:55]
	v_add_f64 v[58:59], v[8:9], v[56:57]
	v_add_f64 v[60:61], v[10:11], v[54:55]
	v_add_f64 v[68:69], v[12:13], v[56:57]
	v_add_f64 v[54:55], v[14:15], v[54:55]
	v_add_f64 v[56:57], v[16:17], v[56:57]
	v_add_f64 v[70:71], v[2:3], v[50:51]
	v_add_f64 v[72:73], v[4:5], v[52:53]
	v_add_f64 v[74:75], v[6:7], v[50:51]
	v_add_f64 v[76:77], v[8:9], v[52:53]
	v_add_f64 v[78:79], v[10:11], v[50:51]
	v_add_f64 v[80:81], v[12:13], v[52:53]
	v_add_f64 v[50:51], v[14:15], v[50:51]
	v_add_f64 v[52:53], v[16:17], v[52:53]
	v_add_f64 v[98:99], v[2:3], v[46:47]
	v_add_f64 v[100:101], v[4:5], v[48:49]
	v_add_f64 v[128:129], v[8:9], v[48:49]
	v_cvt_f32_f64_e32 v152, v[151:152]
	v_add_f64 v[148:149], v[10:11], v[46:47]
	v_add_f64 v[150:151], v[12:13], v[48:49]
	;; [unrolled: 1-line block ×4, first 2 shown]
	v_cvt_f32_f64_e32 v157, v[0:1]
	v_cvt_f32_f64_e32 v58, v[58:59]
	;; [unrolled: 1-line block ×18, first 2 shown]
	v_add_f64 v[78:79], v[10:11], v[34:35]
	v_add_f64 v[80:81], v[12:13], v[36:37]
	v_cvt_f32_f64_e32 v73, v[148:149]
	v_cvt_f32_f64_e32 v74, v[150:151]
	v_cvt_f32_f64_e32 v75, v[46:47]
	v_cvt_f32_f64_e32 v48, v[48:49]
	v_add_f64 v[0:1], v[2:3], v[42:43]
	v_min3_f32 v215, v59, v60, v140
	v_add_f64 v[46:47], v[4:5], v[44:45]
	v_min3_f32 v216, v54, v55, v141
	;; [unrolled: 2-line block ×5, first 2 shown]
	v_min3_f32 v214, v157, v58, v139
	v_min3_f32 v220, v50, v51, v145
	v_add_f64 v[50:51], v[12:13], v[44:45]
	v_min3_f32 v221, v52, v53, v146
	v_add_f64 v[52:53], v[2:3], v[38:39]
	;; [unrolled: 2-line block ×3, first 2 shown]
	v_add_f64 v[58:59], v[8:9], v[40:41]
	v_add_f64 v[68:69], v[12:13], v[40:41]
	v_min3_f32 v223, v73, v74, v124
	v_add_f64 v[38:39], v[14:15], v[38:39]
	v_min3_f32 v224, v75, v48, v125
	v_cvt_f32_f64_e32 v98, v[0:1]
	v_add_f64 v[0:1], v[6:7], v[42:43]
	v_cvt_f32_f64_e32 v99, v[46:47]
	v_add_f64 v[46:47], v[8:9], v[44:45]
	v_add_f64 v[48:49], v[10:11], v[42:43]
	;; [unrolled: 1-line block ×10, first 2 shown]
	v_min3_f32 v126, v159, v160, v130
	v_cvt_f32_f64_e32 v52, v[52:53]
	v_cvt_f32_f64_e32 v53, v[54:55]
	v_cvt_f32_f64_e32 v54, v[56:57]
	v_cvt_f32_f64_e32 v56, v[60:61]
	v_cvt_f32_f64_e32 v60, v[70:71]
	v_cvt_f32_f64_e32 v70, v[78:79]
	v_cvt_f32_f64_e32 v71, v[80:81]
	v_cvt_f32_f64_e32 v55, v[58:59]
	v_cvt_f32_f64_e32 v57, v[68:69]
	v_cvt_f32_f64_e32 v58, v[38:39]
	v_add_f64 v[38:39], v[8:9], v[32:33]
	v_cvt_f32_f64_e32 v101, v[46:47]
	v_cvt_f32_f64_e32 v48, v[48:49]
	;; [unrolled: 1-line block ×8, first 2 shown]
	v_add_f64 v[36:37], v[6:7], v[30:31]
	v_add_f64 v[40:41], v[10:11], v[30:31]
	;; [unrolled: 1-line block ×5, first 2 shown]
	v_cvt_f32_f64_e32 v100, v[0:1]
	v_cvt_f32_f64_e32 v72, v[34:35]
	v_add_f64 v[0:1], v[2:3], v[30:31]
	v_add_f64 v[34:35], v[4:5], v[32:33]
	v_min3_f32 v188, v70, v71, v96
	s_clause 0x1
	buffer_load_dword v70, off, s[36:39], 0 offset:56
	buffer_load_dword v67, off, s[36:39], 0 offset:4
	v_add_f64 v[30:31], v[14:15], v[30:31]
	v_add_f64 v[32:33], v[16:17], v[32:33]
	v_min3_f32 v184, v56, v57, v120
	v_cvt_f32_f64_e32 v68, v[74:75]
	v_min3_f32 v227, v48, v49, v116
	v_cvt_f32_f64_e32 v69, v[76:77]
	;; [unrolled: 2-line block ×3, first 2 shown]
	v_add_f64 v[38:39], v[4:5], v[24:25]
	v_add_f64 v[4:5], v[4:5], v[20:21]
	v_cvt_f32_f64_e32 v50, v[36:37]
	v_add_f64 v[36:37], v[2:3], v[22:23]
	v_add_f64 v[2:3], v[2:3], v[18:19]
	v_cvt_f32_f64_e32 v56, v[44:45]
	v_cvt_f32_f64_e32 v57, v[46:47]
	v_add_f64 v[44:45], v[10:11], v[22:23]
	v_add_f64 v[46:47], v[12:13], v[24:25]
	v_cvt_f32_f64_e32 v48, v[0:1]
	v_cvt_f32_f64_e32 v49, v[34:35]
	v_add_f64 v[0:1], v[6:7], v[26:27]
	v_add_f64 v[34:35], v[12:13], v[28:29]
	;; [unrolled: 1-line block ×3, first 2 shown]
	v_min3_f32 v185, v58, v59, v121
	v_min3_f32 v186, v60, v61, v122
	;; [unrolled: 1-line block ×12, first 2 shown]
	v_cvt_f32_f64_e32 v2, v[2:3]
	v_cvt_f32_f64_e32 v3, v[4:5]
	v_min3_f32 v194, v56, v57, v95
	v_min3_f32 v211, v152, v153, v136
	v_min3_f32 v212, v154, v179, v137
	v_min3_f32 v190, v48, v49, v91
	v_cvt_f32_f64_e32 v0, v[0:1]
	v_min3_f32 v205, v2, v3, v84
	s_waitcnt vmcnt(2)
	v_min3_f32 v66, v180, v181, v66
	s_waitcnt vmcnt(1)
	ds_read_b128 v[58:61], v70
	s_waitcnt vmcnt(0)
	v_min3_f32 v67, v182, v183, v67
	v_min3_f32 v182, v52, v53, v118
	v_cvt_f32_f64_e32 v52, v[40:41]
	v_cvt_f32_f64_e32 v53, v[42:43]
	v_add_f64 v[40:41], v[6:7], v[22:23]
	v_add_f64 v[42:43], v[8:9], v[24:25]
	;; [unrolled: 1-line block ×4, first 2 shown]
	v_min3_f32 v183, v54, v55, v119
	v_cvt_f32_f64_e32 v54, v[30:31]
	v_cvt_f32_f64_e32 v55, v[32:33]
	v_add_f64 v[30:31], v[8:9], v[28:29]
	v_add_f64 v[32:33], v[10:11], v[26:27]
	;; [unrolled: 1-line block ×9, first 2 shown]
	ds_read_b128 v[18:21], v201
	v_min3_f32 v192, v52, v53, v93
	v_cvt_f32_f64_e32 v22, v[22:23]
	v_cvt_f32_f64_e32 v23, v[24:25]
	v_min3_f32 v193, v54, v55, v94
	v_cvt_f32_f64_e32 v1, v[30:31]
	v_cvt_f32_f64_e32 v30, v[32:33]
	;; [unrolled: 1-line block ×13, first 2 shown]
	ds_read_b128 v[54:57], v70 offset:1024
	ds_read_b128 v[42:45], v70 offset:2048
	;; [unrolled: 1-line block ×3, first 2 shown]
	v_cvt_f32_f64_e32 v6, v[10:11]
	v_cvt_f32_f64_e32 v7, v[12:13]
	v_min3_f32 v203, v22, v23, v83
	ds_read_b128 v[22:25], v201 offset:256
	v_cvt_f32_f64_e32 v8, v[14:15]
	v_cvt_f32_f64_e32 v9, v[16:17]
	v_min3_f32 v195, v0, v1, v89
	s_waitcnt lgkmcnt(4)
	v_add_f64 v[0:1], v[60:61], v[20:21]
	v_min3_f32 v196, v30, v31, v90
	v_add_f64 v[46:47], v[58:59], v[18:19]
	v_min3_f32 v197, v26, v27, v87
	v_min3_f32 v198, v28, v29, v88
	;; [unrolled: 1-line block ×4, first 2 shown]
	s_waitcnt lgkmcnt(3)
	v_add_f64 v[48:49], v[56:57], v[20:21]
	v_min3_f32 v206, v4, v5, v82
	s_waitcnt lgkmcnt(2)
	v_add_f64 v[78:79], v[42:43], v[18:19]
	s_waitcnt lgkmcnt(1)
	v_add_f64 v[80:81], v[40:41], v[20:21]
	v_add_f64 v[82:83], v[38:39], v[18:19]
	;; [unrolled: 1-line block ×3, first 2 shown]
	s_waitcnt lgkmcnt(0)
	v_add_f64 v[84:85], v[58:59], v[22:23]
	v_add_f64 v[86:87], v[60:61], v[24:25]
	;; [unrolled: 1-line block ×6, first 2 shown]
	v_min3_f32 v142, v6, v7, v66
	v_min3_f32 v143, v8, v9, v67
	ds_read_b128 v[34:37], v201 offset:512
	ds_read_b128 v[66:69], v201 offset:768
	;; [unrolled: 1-line block ×6, first 2 shown]
	v_add_f64 v[52:53], v[44:45], v[20:21]
	ds_read_b128 v[2:5], v70 offset:3088
	ds_read_b128 v[26:29], v201 offset:272
	;; [unrolled: 1-line block ×10, first 2 shown]
	v_cvt_f32_f64_e32 v145, v[0:1]
	v_add_f64 v[0:1], v[40:41], v[24:25]
	v_add_f64 v[22:23], v[38:39], v[22:23]
	v_cvt_f32_f64_e32 v148, v[78:79]
	v_cvt_f32_f64_e32 v151, v[80:81]
	;; [unrolled: 1-line block ×10, first 2 shown]
	s_waitcnt lgkmcnt(15)
	v_add_f64 v[24:25], v[60:61], v[36:37]
	v_add_f64 v[78:79], v[58:59], v[34:35]
	;; [unrolled: 1-line block ×8, first 2 shown]
	s_waitcnt lgkmcnt(14)
	v_add_f64 v[116:117], v[60:61], v[68:69]
	v_add_f64 v[122:123], v[58:59], v[66:67]
	v_add_f64 v[124:125], v[56:57], v[68:69]
	v_add_f64 v[128:129], v[54:55], v[66:67]
	v_add_f64 v[130:131], v[44:45], v[68:69]
	v_add_f64 v[132:133], v[42:43], v[66:67]
	v_add_f64 v[68:69], v[40:41], v[68:69]
	v_add_f64 v[66:67], v[38:39], v[66:67]
	s_waitcnt lgkmcnt(7)
	v_add_f64 v[134:135], v[58:59], v[18:19]
	v_add_f64 v[136:137], v[60:61], v[20:21]
	;; [unrolled: 1-line block ×4, first 2 shown]
	v_cvt_f32_f64_e32 v146, v[50:51]
	v_cvt_f32_f64_e32 v147, v[48:49]
	;; [unrolled: 1-line block ×25, first 2 shown]
	v_min3_f32 v144, v144, v145, v102
	v_min3_f32 v145, v146, v147, v103
	;; [unrolled: 1-line block ×14, first 2 shown]
	v_add_f64 v[102:103], v[44:45], v[20:21]
	v_min3_f32 v158, v124, v125, v64
	v_add_f64 v[114:115], v[42:43], v[18:19]
	v_min3_f32 v159, v128, v129, v65
	;; [unrolled: 2-line block ×4, first 2 shown]
	s_waitcnt lgkmcnt(6)
	v_add_f64 v[106:107], v[60:61], v[120:121]
	v_add_f64 v[126:127], v[58:59], v[118:119]
	;; [unrolled: 1-line block ×8, first 2 shown]
	s_waitcnt lgkmcnt(5)
	v_add_f64 v[118:119], v[60:61], v[231:232]
	v_add_f64 v[134:135], v[58:59], v[229:230]
	;; [unrolled: 1-line block ×8, first 2 shown]
	s_waitcnt lgkmcnt(4)
	v_add_f64 v[0:1], v[58:59], v[74:75]
	v_add_f64 v[162:163], v[60:61], v[76:77]
	v_cvt_f32_f64_e32 v164, v[114:115]
	v_cvt_f32_f64_e32 v165, v[102:103]
	;; [unrolled: 1-line block ×6, first 2 shown]
	v_add_f64 v[102:103], v[54:55], v[74:75]
	v_cvt_f32_f64_e32 v178, v[128:129]
	v_add_f64 v[104:105], v[44:45], v[76:77]
	v_cvt_f32_f64_e32 v180, v[130:131]
	v_cvt_f32_f64_e32 v230, v[112:113]
	;; [unrolled: 1-line block ×9, first 2 shown]
	v_add_f64 v[106:107], v[42:43], v[74:75]
	v_cvt_f32_f64_e32 v140, v[140:141]
	v_cvt_f32_f64_e32 v141, v[124:125]
	v_cvt_f32_f64_e32 v237, v[0:1]
	v_add_f64 v[0:1], v[56:57], v[76:77]
	s_waitcnt lgkmcnt(3)
	v_add_f64 v[112:113], v[60:61], v[72:73]
	v_add_f64 v[114:115], v[58:59], v[70:71]
	;; [unrolled: 1-line block ×8, first 2 shown]
	s_waitcnt lgkmcnt(2)
	v_add_f64 v[128:129], v[58:59], v[90:91]
	v_add_f64 v[130:131], v[60:61], v[92:93]
	;; [unrolled: 1-line block ×6, first 2 shown]
	v_cvt_f32_f64_e32 v179, v[108:109]
	v_cvt_f32_f64_e32 v181, v[110:111]
	;; [unrolled: 1-line block ×3, first 2 shown]
	v_add_f64 v[108:109], v[40:41], v[76:77]
	v_add_f64 v[110:111], v[38:39], v[74:75]
	;; [unrolled: 1-line block ×4, first 2 shown]
	v_cvt_f32_f64_e32 v163, v[102:103]
	v_cvt_f32_f64_e32 v0, v[0:1]
	;; [unrolled: 1-line block ×18, first 2 shown]
	ds_read_b128 v[50:53], v201 offset:528
	ds_read_b128 v[46:49], v201 offset:784
	;; [unrolled: 1-line block ×7, first 2 shown]
	v_cvt_f32_f64_e32 v239, v[110:111]
	v_cvt_f32_f64_e32 v240, v[108:109]
	;; [unrolled: 1-line block ×4, first 2 shown]
	v_min3_f32 v134, v164, v165, v207
	v_min3_f32 v135, v166, v167, v208
	;; [unrolled: 1-line block ×16, first 2 shown]
	s_waitcnt lgkmcnt(8)
	v_add_f64 v[0:1], v[60:61], v[100:101]
	v_add_f64 v[122:123], v[58:59], v[98:99]
	;; [unrolled: 1-line block ×8, first 2 shown]
	s_waitcnt lgkmcnt(7)
	v_add_f64 v[138:139], v[60:61], v[96:97]
	v_add_f64 v[140:141], v[58:59], v[94:95]
	;; [unrolled: 1-line block ×8, first 2 shown]
	s_waitcnt lgkmcnt(3)
	v_add_f64 v[207:208], v[58:59], v[86:87]
	v_add_f64 v[209:210], v[60:61], v[88:89]
	v_min3_f32 v105, v229, v230, v212
	v_min3_f32 v106, v231, v232, v213
	;; [unrolled: 1-line block ×6, first 2 shown]
	v_add_f64 v[211:212], v[54:55], v[86:87]
	v_add_f64 v[213:214], v[56:57], v[88:89]
	v_cvt_f32_f64_e32 v219, v[122:123]
	v_cvt_f32_f64_e32 v220, v[0:1]
	;; [unrolled: 1-line block ×18, first 2 shown]
	v_add_f64 v[0:1], v[40:41], v[88:89]
	v_add_f64 v[122:123], v[38:39], v[86:87]
	s_waitcnt lgkmcnt(2)
	v_add_f64 v[124:125], v[60:61], v[84:85]
	v_add_f64 v[126:127], v[58:59], v[82:83]
	v_add_f64 v[128:129], v[56:57], v[84:85]
	v_add_f64 v[130:131], v[54:55], v[82:83]
	v_add_f64 v[132:133], v[44:45], v[84:85]
	v_add_f64 v[136:137], v[42:43], v[82:83]
	v_add_f64 v[138:139], v[40:41], v[84:85]
	v_add_f64 v[140:141], v[38:39], v[82:83]
	s_waitcnt lgkmcnt(1)
	v_add_f64 v[162:163], v[60:61], v[80:81]
	v_add_f64 v[164:165], v[58:59], v[78:79]
	v_add_f64 v[166:167], v[56:57], v[80:81]
	v_add_f64 v[168:169], v[54:55], v[78:79]
	v_add_f64 v[178:179], v[44:45], v[80:81]
	v_add_f64 v[180:181], v[42:43], v[78:79]
	;; [unrolled: 9-line block ×3, first 2 shown]
	v_cvt_f32_f64_e32 v123, v[122:123]
	v_cvt_f32_f64_e32 v0, v[0:1]
	;; [unrolled: 1-line block ×26, first 2 shown]
	v_min3_f32 v136, v219, v220, v182
	v_min3_f32 v137, v221, v222, v183
	;; [unrolled: 1-line block ×8, first 2 shown]
	v_add_f64 v[0:1], v[42:43], v[66:67]
	v_min3_f32 v129, v133, v138, v199
	v_add_f64 v[42:43], v[44:45], v[68:69]
	v_min3_f32 v130, v139, v140, v200
	;; [unrolled: 2-line block ×5, first 2 shown]
	v_add_f64 v[66:67], v[16:17], v[32:33]
	v_add_f64 v[68:69], v[10:11], v[30:31]
	;; [unrolled: 1-line block ×15, first 2 shown]
	v_min3_f32 v54, v223, v224, v184
	v_min3_f32 v55, v225, v226, v185
	;; [unrolled: 1-line block ×9, first 2 shown]
	v_add_f64 v[184:185], v[14:15], v[50:51]
	v_add_f64 v[186:187], v[16:17], v[52:53]
	v_cvt_f32_f64_e32 v188, v[0:1]
	v_cvt_f32_f64_e32 v189, v[42:43]
	;; [unrolled: 1-line block ×19, first 2 shown]
	v_add_f64 v[0:1], v[10:11], v[50:51]
	v_add_f64 v[26:27], v[12:13], v[52:53]
	;; [unrolled: 1-line block ×22, first 2 shown]
	v_cvt_f32_f64_e32 v0, v[0:1]
	v_cvt_f32_f64_e32 v1, v[26:27]
	;; [unrolled: 1-line block ×22, first 2 shown]
	ds_read_b128 v[22:25], v201 offset:1296
	ds_read_b128 v[18:21], v201 offset:1552
	v_min3_f32 v239, v0, v1, v153
	v_min3_f32 v238, v28, v29, v154
	ds_read_b128 v[62:65], v201 offset:1808
	ds_read_b128 v[74:77], v201 offset:2064
	v_min3_f32 v224, v30, v31, v155
	v_min3_f32 v236, v32, v33, v156
	;; [unrolled: 4-line block ×3, first 2 shown]
	v_cvt_f32_f64_e32 v179, v[182:183]
	v_min3_f32 v229, v42, v43, v159
	v_min3_f32 v222, v192, v193, v144
	;; [unrolled: 1-line block ×7, first 2 shown]
	s_waitcnt lgkmcnt(5)
	v_add_f64 v[0:1], v[14:15], v[22:23]
	v_min3_f32 v234, v34, v35, v135
	v_add_f64 v[28:29], v[16:17], v[24:25]
	v_add_f64 v[30:31], v[10:11], v[22:23]
	;; [unrolled: 1-line block ×7, first 2 shown]
	s_waitcnt lgkmcnt(4)
	v_add_f64 v[38:39], v[14:15], v[18:19]
	v_add_f64 v[40:41], v[16:17], v[20:21]
	;; [unrolled: 1-line block ×8, first 2 shown]
	v_min3_f32 v219, v198, v199, v147
	v_min3_f32 v244, v200, v203, v148
	;; [unrolled: 1-line block ×3, first 2 shown]
	s_waitcnt lgkmcnt(3)
	v_add_f64 v[66:67], v[10:11], v[62:63]
	v_add_f64 v[68:69], v[12:13], v[64:65]
	v_cvt_f32_f64_e32 v140, v[0:1]
	v_add_f64 v[0:1], v[2:3], v[62:63]
	v_cvt_f32_f64_e32 v141, v[28:29]
	s_waitcnt lgkmcnt(2)
	v_add_f64 v[28:29], v[12:13], v[76:77]
	v_cvt_f32_f64_e32 v182, v[184:185]
	v_cvt_f32_f64_e32 v144, v[34:35]
	;; [unrolled: 1-line block ×7, first 2 shown]
	v_add_f64 v[22:23], v[16:17], v[76:77]
	v_add_f64 v[24:25], v[10:11], v[74:75]
	;; [unrolled: 1-line block ×4, first 2 shown]
	v_cvt_f32_f64_e32 v154, v[18:19]
	v_cvt_f32_f64_e32 v155, v[20:21]
	v_add_f64 v[18:19], v[4:5], v[64:65]
	v_add_f64 v[20:21], v[14:15], v[74:75]
	s_waitcnt lgkmcnt(1)
	v_add_f64 v[38:39], v[14:15], v[70:71]
	v_add_f64 v[40:41], v[16:17], v[72:73]
	v_cvt_f32_f64_e32 v183, v[186:187]
	v_min3_f32 v26, v188, v189, v142
	v_min3_f32 v27, v190, v191, v143
	;; [unrolled: 1-line block ×4, first 2 shown]
	v_add_f64 v[50:51], v[14:15], v[62:63]
	v_cvt_f32_f64_e32 v142, v[30:31]
	v_cvt_f32_f64_e32 v143, v[32:33]
	;; [unrolled: 1-line block ×6, first 2 shown]
	v_add_f64 v[30:31], v[6:7], v[74:75]
	v_add_f64 v[32:33], v[8:9], v[76:77]
	;; [unrolled: 1-line block ×4, first 2 shown]
	s_waitcnt lgkmcnt(0)
	v_add_f64 v[66:67], v[10:11], v[90:91]
	v_add_f64 v[68:69], v[12:13], v[92:93]
	v_cvt_f32_f64_e32 v0, v[0:1]
	v_cvt_f32_f64_e32 v1, v[18:19]
	;; [unrolled: 1-line block ×10, first 2 shown]
	ds_read_b128 v[98:101], v201 offset:2832
	ds_read_b128 v[94:97], v201 offset:3088
	v_min3_f32 v240, v182, v183, v152
	v_add_f64 v[52:53], v[16:17], v[64:65]
	v_add_f64 v[134:135], v[6:7], v[62:63]
	;; [unrolled: 1-line block ×3, first 2 shown]
	v_cvt_f32_f64_e32 v152, v[46:47]
	v_cvt_f32_f64_e32 v156, v[50:51]
	v_add_f64 v[46:47], v[6:7], v[70:71]
	v_add_f64 v[50:51], v[2:3], v[70:71]
	;; [unrolled: 1-line block ×4, first 2 shown]
	v_cvt_f32_f64_e32 v22, v[30:31]
	v_cvt_f32_f64_e32 v23, v[32:33]
	;; [unrolled: 1-line block ×6, first 2 shown]
	v_min3_f32 v230, v0, v1, v113
	v_min3_f32 v214, v18, v19, v114
	;; [unrolled: 1-line block ×4, first 2 shown]
	v_add_f64 v[0:1], v[6:7], v[90:91]
	v_add_f64 v[18:19], v[8:9], v[92:93]
	s_waitcnt lgkmcnt(1)
	v_add_f64 v[24:25], v[14:15], v[98:99]
	v_add_f64 v[28:29], v[16:17], v[100:101]
	s_waitcnt lgkmcnt(0)
	v_add_f64 v[42:43], v[14:15], v[94:95]
	v_add_f64 v[44:45], v[16:17], v[96:97]
	ds_read_b128 v[86:89], v201 offset:3344
	ds_read_b128 v[82:85], v201 offset:3600
	;; [unrolled: 1-line block ×3, first 2 shown]
	v_cvt_f32_f64_e32 v157, v[52:53]
	v_add_f64 v[52:53], v[4:5], v[72:73]
	v_cvt_f32_f64_e32 v32, v[46:47]
	v_cvt_f32_f64_e32 v34, v[50:51]
	;; [unrolled: 1-line block ×4, first 2 shown]
	v_min3_f32 v213, v20, v21, v115
	v_min3_f32 v211, v22, v23, v116
	;; [unrolled: 1-line block ×3, first 2 shown]
	v_add_f64 v[20:21], v[2:3], v[90:91]
	v_add_f64 v[22:23], v[4:5], v[92:93]
	;; [unrolled: 1-line block ×8, first 2 shown]
	v_cvt_f32_f64_e32 v70, v[0:1]
	v_cvt_f32_f64_e32 v71, v[18:19]
	;; [unrolled: 1-line block ×6, first 2 shown]
	s_waitcnt lgkmcnt(2)
	v_add_f64 v[0:1], v[10:11], v[86:87]
	v_add_f64 v[18:19], v[12:13], v[88:89]
	;; [unrolled: 1-line block ×4, first 2 shown]
	s_waitcnt lgkmcnt(1)
	v_add_f64 v[42:43], v[2:3], v[82:83]
	v_add_f64 v[44:45], v[4:5], v[84:85]
	s_waitcnt lgkmcnt(0)
	v_add_f64 v[2:3], v[2:3], v[78:79]
	v_add_f64 v[4:5], v[4:5], v[80:81]
	buffer_load_dword v165, off, s[36:39], 0 offset:64 ; 4-byte Folded Reload
	v_cvt_f32_f64_e32 v153, v[48:49]
	v_add_f64 v[48:49], v[8:9], v[72:73]
	v_cvt_f32_f64_e32 v35, v[52:53]
	v_min3_f32 v207, v30, v31, v119
	v_min3_f32 v203, v36, v37, v136
	v_add_f64 v[30:31], v[10:11], v[98:99]
	v_add_f64 v[36:37], v[8:9], v[100:101]
	;; [unrolled: 1-line block ×5, first 2 shown]
	v_cvt_f32_f64_e32 v72, v[20:21]
	v_cvt_f32_f64_e32 v73, v[22:23]
	v_cvt_f32_f64_e32 v92, v[38:39]
	v_cvt_f32_f64_e32 v0, v[0:1]
	v_cvt_f32_f64_e32 v1, v[18:19]
	v_cvt_f32_f64_e32 v93, v[40:41]
	v_add_f64 v[20:21], v[6:7], v[86:87]
	v_add_f64 v[22:23], v[8:9], v[88:89]
	v_add_f64 v[38:39], v[6:7], v[82:83]
	v_cvt_f32_f64_e32 v2, v[2:3]
	v_cvt_f32_f64_e32 v3, v[4:5]
	v_min3_f32 v4, v74, v75, v56
	v_add_f64 v[40:41], v[8:9], v[84:85]
	v_cvt_f32_f64_e32 v33, v[48:49]
	v_min3_f32 v205, v34, v35, v121
	v_add_f64 v[34:35], v[6:7], v[98:99]
	buffer_store_dword v4, off, s[36:39], 0 ; 4-byte Folded Spill
	v_add_f64 v[48:49], v[12:13], v[96:97]
	v_cvt_f32_f64_e32 v76, v[30:31]
	v_cvt_f32_f64_e32 v91, v[36:37]
	v_add_f64 v[30:31], v[14:15], v[82:83]
	v_add_f64 v[36:37], v[12:13], v[84:85]
	;; [unrolled: 1-line block ×5, first 2 shown]
	v_cvt_f32_f64_e32 v134, v[134:135]
	v_min3_f32 v192, v0, v1, v125
	v_cvt_f32_f64_e32 v135, v[138:139]
	v_cvt_f32_f64_e32 v46, v[46:47]
	;; [unrolled: 1-line block ×5, first 2 shown]
	v_min3_f32 v182, v2, v3, v27
	s_clause 0x3
	buffer_load_dword v1, off, s[36:39], 0 offset:40
	buffer_load_dword v2, off, s[36:39], 0 offset:44
	;; [unrolled: 1-line block ×4, first 2 shown]
	v_cvt_f32_f64_e32 v21, v[28:29]
	v_min3_f32 v206, v32, v33, v120
	v_add_f64 v[32:33], v[12:13], v[100:101]
	v_cvt_f32_f64_e32 v90, v[34:35]
	v_add_f64 v[34:35], v[10:11], v[82:83]
	v_add_f64 v[10:11], v[10:11], v[78:79]
	;; [unrolled: 1-line block ×3, first 2 shown]
	v_cvt_f32_f64_e32 v47, v[48:49]
	v_cvt_f32_f64_e32 v48, v[50:51]
	;; [unrolled: 1-line block ×16, first 2 shown]
	v_min3_f32 v218, v140, v141, v102
	v_cvt_f32_f64_e32 v77, v[32:33]
	v_add_f64 v[32:33], v[16:17], v[84:85]
	v_add_f64 v[16:17], v[16:17], v[80:81]
	v_cvt_f32_f64_e32 v24, v[34:35]
	v_cvt_f32_f64_e32 v10, v[10:11]
	;; [unrolled: 1-line block ×3, first 2 shown]
	v_min3_f32 v217, v142, v143, v103
	v_min3_f32 v216, v144, v145, v104
	;; [unrolled: 1-line block ×17, first 2 shown]
	v_cvt_f32_f64_e32 v23, v[32:33]
	v_cvt_f32_f64_e32 v15, v[16:17]
	v_min3_f32 v248, v48, v49, v122
	v_min3_f32 v247, v50, v51, v123
	;; [unrolled: 1-line block ×12, first 2 shown]
	s_waitcnt vmcnt(4)
	v_add_nc_u32_e32 v0, 0x1000, v165
	s_waitcnt vmcnt(0)
	ds_write2st64_b64 v0, v[1:2], v[3:4] offset1:4
	s_clause 0x1
	buffer_load_dword v1, off, s[36:39], 0 offset:28
	buffer_load_dword v2, off, s[36:39], 0 offset:32
	v_add_nc_u32_e32 v0, 0x3000, v165
	s_waitcnt vmcnt(0)
	ds_write2st64_b64 v0, v[1:2], v[172:173] offset1:4
	s_waitcnt lgkmcnt(0)
	s_waitcnt_vscnt null, 0x0
	s_barrier
	buffer_gl0_inv
	s_cbranch_scc1 .LBB116_43
.LBB116_27:                             ; =>This Inner Loop Header: Depth=1
	buffer_load_dword v0, off, s[36:39], 0 offset:60 ; 4-byte Folded Reload
	s_waitcnt vmcnt(0)
	v_add_nc_u32_e32 v10, s28, v0
	v_add_nc_u32_e32 v0, 8, v10
	v_min_i32_e32 v2, s25, v0
	v_cmp_le_i32_e64 s3, s14, v0
	v_ashrrev_i32_e32 v3, 31, v2
	s_or_b32 s29, vcc_lo, s3
	v_lshlrev_b64 v[6:7], 3, v[2:3]
	v_cndmask_b32_e64 v3, 0, 0x7fefffff, s29
	v_cndmask_b32_e64 v2, 0, -1, s29
	v_add_co_u32 v8, s6, s20, v6
	v_add_co_ci_u32_e64 v9, null, s21, v7, s6
	s_nor_b32 s6, s26, s29
	s_and_saveexec_b32 s29, s6
	s_cbranch_execz .LBB116_29
; %bb.28:                               ;   in Loop: Header=BB116_27 Depth=1
	s_clause 0x1
	buffer_load_dword v0, off, s[36:39], 0 offset:72
	buffer_load_dword v1, off, s[36:39], 0 offset:76
	s_waitcnt vmcnt(1)
	v_add_co_u32 v2, s6, v8, v0
	s_waitcnt vmcnt(0)
	v_add_co_ci_u32_e64 v3, null, v9, v1, s6
	flat_load_dwordx2 v[2:3], v[2:3]
	s_waitcnt vmcnt(0) lgkmcnt(0)
	v_mul_f64 v[2:3], s[16:17], v[2:3]
.LBB116_29:                             ;   in Loop: Header=BB116_27 Depth=1
	s_or_b32 exec_lo, exec_lo, s29
	s_or_b32 s6, s0, s3
	v_cndmask_b32_e64 v5, 0, 0x7fefffff, s6
	v_cndmask_b32_e64 v4, 0, -1, s6
	s_nor_b32 s6, s26, s6
	s_and_saveexec_b32 s29, s6
	s_cbranch_execz .LBB116_31
; %bb.30:                               ;   in Loop: Header=BB116_27 Depth=1
	s_clause 0x1
	buffer_load_dword v0, off, s[36:39], 0 offset:80
	buffer_load_dword v1, off, s[36:39], 0 offset:84
	s_waitcnt vmcnt(1)
	v_add_co_u32 v4, s6, v8, v0
	s_waitcnt vmcnt(0)
	v_add_co_ci_u32_e64 v5, null, v9, v1, s6
	flat_load_dwordx2 v[4:5], v[4:5]
	s_waitcnt vmcnt(0) lgkmcnt(0)
	v_mul_f64 v[4:5], s[16:17], v[4:5]
.LBB116_31:                             ;   in Loop: Header=BB116_27 Depth=1
	s_or_b32 exec_lo, exec_lo, s29
	v_add_co_u32 v11, s6, s22, v6
	v_add_co_ci_u32_e64 v12, null, s23, v7, s6
	s_or_b32 s6, s1, s3
	v_cndmask_b32_e64 v7, 0, 0x7fefffff, s6
	v_cndmask_b32_e64 v6, 0, -1, s6
	s_nor_b32 s6, s26, s6
	s_and_saveexec_b32 s29, s6
	s_cbranch_execz .LBB116_33
; %bb.32:                               ;   in Loop: Header=BB116_27 Depth=1
	s_clause 0x1
	buffer_load_dword v0, off, s[36:39], 0 offset:88
	buffer_load_dword v1, off, s[36:39], 0 offset:92
	s_waitcnt vmcnt(1)
	v_add_co_u32 v6, s6, v11, v0
	s_waitcnt vmcnt(0)
	v_add_co_ci_u32_e64 v7, null, v12, v1, s6
	flat_load_dwordx2 v[6:7], v[6:7]
	s_waitcnt vmcnt(0) lgkmcnt(0)
	v_mul_f64 v[6:7], s[16:17], v[6:7]
.LBB116_33:                             ;   in Loop: Header=BB116_27 Depth=1
	s_or_b32 exec_lo, exec_lo, s29
	s_or_b32 s3, s2, s3
	v_cndmask_b32_e64 v9, 0, 0x7fefffff, s3
	v_cndmask_b32_e64 v8, 0, -1, s3
	s_nor_b32 s3, s26, s3
	s_and_saveexec_b32 s6, s3
	s_cbranch_execz .LBB116_35
; %bb.34:                               ;   in Loop: Header=BB116_27 Depth=1
	s_clause 0x1
	buffer_load_dword v0, off, s[36:39], 0 offset:96
	buffer_load_dword v1, off, s[36:39], 0 offset:100
	s_waitcnt vmcnt(1)
	v_add_co_u32 v8, s3, v11, v0
	s_waitcnt vmcnt(0)
	v_add_co_ci_u32_e64 v9, null, v12, v1, s3
	flat_load_dwordx2 v[8:9], v[8:9]
	s_waitcnt vmcnt(0) lgkmcnt(0)
	v_mul_f64 v[8:9], s[16:17], v[8:9]
.LBB116_35:                             ;   in Loop: Header=BB116_27 Depth=1
	s_or_b32 exec_lo, exec_lo, s6
	ds_write2st64_b64 v165, v[2:3], v[4:5] offset1:4
	ds_read_b128 v[158:161], v204
	ds_read_b128 v[78:81], v204 offset:16
	buffer_load_dword v14, off, s[36:39], 0 offset:68 ; 4-byte Folded Reload
	v_add_nc_u32_e32 v1, 0x2000, v165
	v_add_nc_u32_e32 v0, 12, v10
	s_waitcnt vmcnt(0)
	ds_read_b128 v[98:101], v14
	ds_read_b128 v[2:5], v14 offset:16
	ds_write2st64_b64 v1, v[6:7], v[8:9] offset1:4
	ds_read_b128 v[94:97], v14 offset:1024
	ds_read_b128 v[6:9], v14 offset:1040
	;; [unrolled: 1-line block ×36, first 2 shown]
	v_min_i32_e32 v170, s25, v0
	v_cmp_le_i32_e64 s3, s14, v0
	s_waitcnt lgkmcnt(0)
	s_waitcnt_vscnt null, 0x0
	s_barrier
	buffer_gl0_inv
	v_ashrrev_i32_e32 v171, 31, v170
	s_or_b32 s6, vcc_lo, s3
	v_cndmask_b32_e64 v163, 0, 0x7fefffff, s6
	s_nor_b32 s30, s26, s6
	v_lshlrev_b64 v[170:171], 3, v[170:171]
	v_cndmask_b32_e64 v162, 0, -1, s6
	v_add_co_u32 v172, s6, s20, v170
	v_add_co_ci_u32_e64 v173, null, s21, v171, s6
	s_and_saveexec_b32 s29, s30
	s_cbranch_execz .LBB116_37
; %bb.36:                               ;   in Loop: Header=BB116_27 Depth=1
	s_clause 0x1
	buffer_load_dword v0, off, s[36:39], 0 offset:72
	buffer_load_dword v1, off, s[36:39], 0 offset:76
	s_waitcnt vmcnt(1)
	v_add_co_u32 v174, s6, v172, v0
	s_waitcnt vmcnt(0)
	v_add_co_ci_u32_e64 v175, null, v173, v1, s6
	flat_load_dwordx2 v[174:175], v[174:175]
	s_waitcnt vmcnt(0) lgkmcnt(0)
	v_mul_f64 v[162:163], s[16:17], v[174:175]
.LBB116_37:                             ;   in Loop: Header=BB116_27 Depth=1
	s_or_b32 exec_lo, exec_lo, s29
	s_or_b32 s6, s0, s3
	v_cndmask_b32_e64 v167, 0, 0x7fefffff, s6
	v_cndmask_b32_e64 v166, 0, -1, s6
	s_nor_b32 s6, s26, s6
	s_and_saveexec_b32 s29, s6
	s_cbranch_execz .LBB116_39
; %bb.38:                               ;   in Loop: Header=BB116_27 Depth=1
	s_clause 0x1
	buffer_load_dword v0, off, s[36:39], 0 offset:80
	buffer_load_dword v1, off, s[36:39], 0 offset:84
	s_waitcnt vmcnt(1)
	v_add_co_u32 v172, s6, v172, v0
	s_waitcnt vmcnt(0)
	v_add_co_ci_u32_e64 v173, null, v173, v1, s6
	flat_load_dwordx2 v[172:173], v[172:173]
	s_waitcnt vmcnt(0) lgkmcnt(0)
	v_mul_f64 v[166:167], s[16:17], v[172:173]
.LBB116_39:                             ;   in Loop: Header=BB116_27 Depth=1
	s_or_b32 exec_lo, exec_lo, s29
	v_add_co_u32 v249, s6, s22, v170
	v_add_co_ci_u32_e64 v250, null, s23, v171, s6
	s_or_b32 s6, s1, s3
	v_cndmask_b32_e64 v1, 0, 0x7fefffff, s6
	v_cndmask_b32_e64 v0, 0, -1, s6
	s_nor_b32 s6, s26, s6
	s_and_saveexec_b32 s29, s6
	s_cbranch_execz .LBB116_41
; %bb.40:                               ;   in Loop: Header=BB116_27 Depth=1
	s_clause 0x1
	buffer_load_dword v0, off, s[36:39], 0 offset:88
	buffer_load_dword v1, off, s[36:39], 0 offset:92
	s_waitcnt vmcnt(1)
	v_add_co_u32 v170, s6, v249, v0
	s_waitcnt vmcnt(0)
	v_add_co_ci_u32_e64 v171, null, v250, v1, s6
	flat_load_dwordx2 v[170:171], v[170:171]
	s_waitcnt vmcnt(0) lgkmcnt(0)
	v_mul_f64 v[0:1], s[16:17], v[170:171]
.LBB116_41:                             ;   in Loop: Header=BB116_27 Depth=1
	s_or_b32 exec_lo, exec_lo, s29
	s_or_b32 s3, s2, s3
	v_mov_b32_e32 v171, v206
	v_mov_b32_e32 v175, v196
	;; [unrolled: 1-line block ×7, first 2 shown]
	v_cndmask_b32_e64 v173, 0, 0x7fefffff, s3
	v_cndmask_b32_e64 v172, 0, -1, s3
	s_nor_b32 s3, s26, s3
	buffer_store_dword v166, off, s[36:39], 0 offset:48 ; 4-byte Folded Spill
	buffer_store_dword v167, off, s[36:39], 0 offset:52 ; 4-byte Folded Spill
	;; [unrolled: 1-line block ×13, first 2 shown]
	s_and_saveexec_b32 s6, s3
	s_cbranch_execz .LBB116_26
; %bb.42:                               ;   in Loop: Header=BB116_27 Depth=1
	s_clause 0x1
	buffer_load_dword v0, off, s[36:39], 0 offset:96
	buffer_load_dword v1, off, s[36:39], 0 offset:100
	s_waitcnt vmcnt(1)
	v_add_co_u32 v172, s3, v249, v0
	s_waitcnt vmcnt(0)
	v_add_co_ci_u32_e64 v173, null, v250, v1, s3
	flat_load_dwordx2 v[172:173], v[172:173]
	s_waitcnt vmcnt(0) lgkmcnt(0)
	v_mul_f64 v[172:173], s[16:17], v[172:173]
	s_branch .LBB116_26
.LBB116_43:
	s_clause 0x2
	s_load_dwordx2 s[0:1], s[4:5], 0x78
	s_load_dword s6, s[4:5], 0x58
	s_load_dword s5, s[4:5], 0x70
	buffer_load_dword v0, off, s[36:39], 0 offset:56 ; 4-byte Folded Reload
	v_cndmask_b32_e64 v168, 0, 1, s7
	s_waitcnt vmcnt(0)
	ds_read_b128 v[38:41], v0 offset:4096
	ds_read_b128 v[34:37], v0 offset:4112
	buffer_load_dword v1, off, s[36:39], 0 offset:112 ; 4-byte Folded Reload
	s_waitcnt lgkmcnt(0)
	s_lshl_b64 s[0:1], s[0:1], 3
	s_waitcnt vmcnt(0)
	ds_read_b128 v[158:161], v1 offset:12288
	ds_read_b128 v[154:157], v1 offset:12304
	ds_read_b128 v[26:29], v0 offset:5120
	ds_read_b128 v[30:33], v0 offset:5136
	ds_read_b128 v[22:25], v0 offset:6144
	ds_read_b128 v[18:21], v0 offset:6160
	ds_read_b128 v[6:9], v0 offset:7168
	ds_read_b128 v[2:5], v0 offset:7184
	ds_read_b128 v[150:153], v1 offset:12544
	ds_read_b128 v[146:149], v1 offset:12560
	ds_read_b128 v[142:145], v1 offset:12800
	ds_read_b128 v[138:141], v1 offset:12816
	ds_read_b128 v[134:137], v1 offset:13056
	ds_read_b128 v[130:133], v1 offset:13072
	ds_read_b128 v[126:129], v1 offset:13312
	ds_read_b128 v[122:125], v1 offset:13328
	ds_read_b128 v[118:121], v1 offset:13568
	ds_read_b128 v[114:117], v1 offset:13584
	ds_read_b128 v[110:113], v1 offset:13824
	ds_read_b128 v[106:109], v1 offset:13840
	ds_read_b128 v[102:105], v1 offset:14080
	ds_read_b128 v[98:101], v1 offset:14096
	ds_read_b128 v[94:97], v1 offset:14336
	ds_read_b128 v[90:93], v1 offset:14352
	ds_read_b128 v[86:89], v1 offset:14592
	ds_read_b128 v[82:85], v1 offset:14608
	ds_read_b128 v[78:81], v1 offset:14848
	ds_read_b128 v[74:77], v1 offset:14864
	ds_read_b128 v[70:73], v1 offset:15104
	ds_read_b128 v[66:69], v1 offset:15120
	buffer_load_dword v0, off, s[36:39], 0 offset:108 ; 4-byte Folded Reload
	ds_read_b128 v[62:65], v1 offset:15360
	ds_read_b128 v[58:61], v1 offset:15376
	;; [unrolled: 1-line block ×6, first 2 shown]
	s_add_u32 s8, s8, s0
	s_addc_u32 s9, s9, s1
	s_waitcnt vmcnt(0)
	v_add_nc_u32_e32 v169, s24, v0
	buffer_load_dword v0, off, s[36:39], 0 offset:104 ; 4-byte Folded Reload
	ds_read_b128 v[14:17], v1 offset:16128
	ds_read_b128 v[10:13], v1 offset:16144
	v_mad_i64_i32 v[162:163], null, v169, s6, 0
	v_mad_i64_i32 v[164:165], null, v169, s5, 0
	v_cmp_gt_i32_e64 s4, s13, v169
	v_lshlrev_b64 v[162:163], 3, v[162:163]
	v_lshlrev_b64 v[164:165], 3, v[164:165]
	v_add_co_u32 v172, vcc_lo, s18, v162
	v_add_co_ci_u32_e64 v173, null, s19, v163, vcc_lo
	v_add_co_u32 v170, vcc_lo, s8, v164
	v_add_co_ci_u32_e64 v171, null, s9, v165, vcc_lo
	s_waitcnt vmcnt(0)
	v_add_nc_u32_e32 v0, s15, v0
	v_cmp_gt_i32_e64 s0, s12, v0
	v_ashrrev_i32_e32 v1, 31, v0
	s_and_b32 s2, s0, s4
	s_and_saveexec_b32 s1, s2
	s_cbranch_execz .LBB116_48
; %bb.44:
	s_andn2_b32 vcc_lo, exec_lo, s7
	s_cbranch_vccnz .LBB116_46
; %bb.45:
	v_lshlrev_b64 v[162:163], 3, v[0:1]
	buffer_load_dword v164, off, s[36:39], 0 ; 4-byte Folded Reload
	v_add_co_u32 v162, vcc_lo, v172, v162
	v_add_co_ci_u32_e64 v163, null, v173, v163, vcc_lo
	flat_load_dwordx2 v[162:163], v[162:163]
	s_waitcnt vmcnt(0) lgkmcnt(0)
	v_mul_f64 v[162:163], s[10:11], v[162:163]
	v_cvt_f32_f64_e32 v162, v[162:163]
	s_branch .LBB116_47
.LBB116_46:
	buffer_load_dword v164, off, s[36:39], 0 ; 4-byte Folded Reload
	v_mov_b32_e32 v162, 0
.LBB116_47:
	s_waitcnt vmcnt(0)
	buffer_store_dword v164, off, s[36:39], 0 ; 4-byte Folded Spill
	s_waitcnt lgkmcnt(37)
	v_add_f64 v[163:164], v[38:39], v[158:159]
	v_add_f64 v[165:166], v[40:41], v[160:161]
	s_waitcnt lgkmcnt(36)
	v_add_f64 v[174:175], v[34:35], v[154:155]
	v_add_f64 v[176:177], v[36:37], v[156:157]
	v_cvt_f32_f64_e32 v163, v[163:164]
	v_cvt_f32_f64_e32 v164, v[165:166]
	;; [unrolled: 1-line block ×4, first 2 shown]
	v_min3_f32 v163, v163, v164, v222
	v_min_f32_e32 v164, v165, v166
	v_min3_f32 v162, v162, v164, v163
	v_lshlrev_b64 v[164:165], 3, v[0:1]
	v_cvt_f64_f32_e32 v[162:163], v162
	v_add_co_u32 v164, vcc_lo, v170, v164
	v_add_co_ci_u32_e64 v165, null, v171, v165, vcc_lo
	flat_store_dwordx2 v[164:165], v[162:163]
.LBB116_48:
	s_or_b32 exec_lo, exec_lo, s1
	v_add_nc_u32_e32 v162, 32, v0
	v_cmp_gt_i32_e64 s1, s12, v162
	v_ashrrev_i32_e32 v163, 31, v162
	s_and_b32 s3, s1, s4
	s_and_saveexec_b32 s2, s3
	s_cbranch_execz .LBB116_53
; %bb.49:
	v_cmp_ne_u32_e32 vcc_lo, 1, v168
	s_cbranch_vccnz .LBB116_51
; %bb.50:
	v_lshlrev_b64 v[164:165], 3, v[162:163]
	buffer_load_dword v166, off, s[36:39], 0 ; 4-byte Folded Reload
	v_add_co_u32 v164, vcc_lo, v172, v164
	v_add_co_ci_u32_e64 v165, null, v173, v165, vcc_lo
	flat_load_dwordx2 v[164:165], v[164:165]
	s_waitcnt vmcnt(0) lgkmcnt(0)
	v_mul_f64 v[164:165], s[10:11], v[164:165]
	v_cvt_f32_f64_e32 v164, v[164:165]
	s_branch .LBB116_52
.LBB116_51:
	buffer_load_dword v166, off, s[36:39], 0 ; 4-byte Folded Reload
	v_mov_b32_e32 v164, 0
.LBB116_52:
	s_waitcnt vmcnt(0)
	buffer_store_dword v166, off, s[36:39], 0 ; 4-byte Folded Spill
	s_waitcnt lgkmcnt(35)
	v_add_f64 v[165:166], v[26:27], v[158:159]
	v_add_f64 v[174:175], v[28:29], v[160:161]
	s_waitcnt lgkmcnt(34)
	v_add_f64 v[176:177], v[30:31], v[154:155]
	v_add_f64 v[178:179], v[32:33], v[156:157]
	v_cvt_f32_f64_e32 v165, v[165:166]
	v_cvt_f32_f64_e32 v166, v[174:175]
	;; [unrolled: 1-line block ×4, first 2 shown]
	v_min3_f32 v165, v165, v166, v221
	v_min_f32_e32 v166, v167, v174
	v_min3_f32 v164, v164, v166, v165
	v_lshlrev_b64 v[166:167], 3, v[162:163]
	v_cvt_f64_f32_e32 v[164:165], v164
	v_add_co_u32 v166, vcc_lo, v170, v166
	v_add_co_ci_u32_e64 v167, null, v171, v167, vcc_lo
	flat_store_dwordx2 v[166:167], v[164:165]
.LBB116_53:
	s_or_b32 exec_lo, exec_lo, s2
	v_add_nc_u32_e32 v164, 64, v0
	v_cmp_gt_i32_e64 s2, s12, v164
	v_ashrrev_i32_e32 v165, 31, v164
	s_and_b32 s7, s2, s4
	s_and_saveexec_b32 s3, s7
	s_cbranch_execz .LBB116_58
; %bb.54:
	v_cmp_ne_u32_e32 vcc_lo, 1, v168
	s_cbranch_vccnz .LBB116_56
; %bb.55:
	v_lshlrev_b64 v[166:167], 3, v[164:165]
	buffer_load_dword v174, off, s[36:39], 0 ; 4-byte Folded Reload
	v_add_co_u32 v166, vcc_lo, v172, v166
	v_add_co_ci_u32_e64 v167, null, v173, v167, vcc_lo
	flat_load_dwordx2 v[166:167], v[166:167]
	s_waitcnt vmcnt(0) lgkmcnt(0)
	v_mul_f64 v[166:167], s[10:11], v[166:167]
	v_cvt_f32_f64_e32 v166, v[166:167]
	s_branch .LBB116_57
.LBB116_56:
	buffer_load_dword v174, off, s[36:39], 0 ; 4-byte Folded Reload
	v_mov_b32_e32 v166, 0
.LBB116_57:
	s_waitcnt vmcnt(0)
	buffer_store_dword v174, off, s[36:39], 0 ; 4-byte Folded Spill
	s_waitcnt lgkmcnt(33)
	v_add_f64 v[174:175], v[22:23], v[158:159]
	v_add_f64 v[176:177], v[24:25], v[160:161]
	s_waitcnt lgkmcnt(32)
	v_add_f64 v[178:179], v[18:19], v[154:155]
	v_add_f64 v[180:181], v[20:21], v[156:157]
	v_cvt_f32_f64_e32 v167, v[174:175]
	v_cvt_f32_f64_e32 v174, v[176:177]
	;; [unrolled: 1-line block ×4, first 2 shown]
	v_min3_f32 v167, v167, v174, v220
	v_min_f32_e32 v174, v175, v176
	v_min3_f32 v166, v166, v174, v167
	v_lshlrev_b64 v[174:175], 3, v[164:165]
	v_cvt_f64_f32_e32 v[166:167], v166
	v_add_co_u32 v174, vcc_lo, v170, v174
	v_add_co_ci_u32_e64 v175, null, v171, v175, vcc_lo
	flat_store_dwordx2 v[174:175], v[166:167]
.LBB116_58:
	s_or_b32 exec_lo, exec_lo, s3
	v_add_nc_u32_e32 v166, 0x60, v0
	v_cmp_gt_i32_e64 s3, s12, v166
	v_ashrrev_i32_e32 v167, 31, v166
	s_and_b32 s7, s3, s4
	s_and_saveexec_b32 s4, s7
	s_cbranch_execz .LBB116_63
; %bb.59:
	v_cmp_ne_u32_e32 vcc_lo, 1, v168
	s_cbranch_vccnz .LBB116_61
; %bb.60:
	v_lshlrev_b64 v[174:175], 3, v[166:167]
	v_add_co_u32 v172, vcc_lo, v172, v174
	v_add_co_ci_u32_e64 v173, null, v173, v175, vcc_lo
	flat_load_dwordx2 v[172:173], v[172:173]
	s_waitcnt vmcnt(0) lgkmcnt(0)
	v_mul_f64 v[172:173], s[10:11], v[172:173]
	v_cvt_f32_f64_e32 v172, v[172:173]
	s_branch .LBB116_62
.LBB116_61:
	v_mov_b32_e32 v172, 0
.LBB116_62:
	s_waitcnt lgkmcnt(31)
	v_add_f64 v[158:159], v[6:7], v[158:159]
	v_add_f64 v[160:161], v[8:9], v[160:161]
	s_waitcnt lgkmcnt(30)
	v_add_f64 v[154:155], v[2:3], v[154:155]
	v_add_f64 v[156:157], v[4:5], v[156:157]
	v_cvt_f32_f64_e32 v158, v[158:159]
	v_cvt_f32_f64_e32 v159, v[160:161]
	;; [unrolled: 1-line block ×4, first 2 shown]
	v_min3_f32 v156, v158, v159, v219
	v_min_f32_e32 v154, v154, v155
	v_min3_f32 v154, v172, v154, v156
	v_lshlrev_b64 v[156:157], 3, v[166:167]
	v_cvt_f64_f32_e32 v[154:155], v154
	v_add_co_u32 v156, vcc_lo, v170, v156
	v_add_co_ci_u32_e64 v157, null, v171, v157, vcc_lo
	flat_store_dwordx2 v[156:157], v[154:155]
.LBB116_63:
	s_or_b32 exec_lo, exec_lo, s4
	s_waitcnt lgkmcnt(37)
	v_add_nc_u32_e32 v158, 8, v169
	s_waitcnt lgkmcnt(36)
	v_mad_i64_i32 v[154:155], null, v158, s6, 0
	v_mad_i64_i32 v[156:157], null, v158, s5, 0
	v_cmp_gt_i32_e64 s4, s13, v158
	v_lshlrev_b64 v[154:155], 3, v[154:155]
	s_and_b32 s12, s0, s4
	v_lshlrev_b64 v[158:159], 3, v[156:157]
	v_add_co_u32 v156, vcc_lo, s18, v154
	v_add_co_ci_u32_e64 v157, null, s19, v155, vcc_lo
	v_add_co_u32 v154, vcc_lo, s8, v158
	v_add_co_ci_u32_e64 v155, null, s9, v159, vcc_lo
	s_and_saveexec_b32 s7, s12
	s_cbranch_execnz .LBB116_67
; %bb.64:
	s_or_b32 exec_lo, exec_lo, s7
	s_and_b32 s12, s1, s4
	s_and_saveexec_b32 s7, s12
	s_cbranch_execnz .LBB116_71
.LBB116_65:
	s_or_b32 exec_lo, exec_lo, s7
	s_and_b32 s12, s2, s4
	s_and_saveexec_b32 s7, s12
	s_cbranch_execnz .LBB116_75
.LBB116_66:
	s_or_b32 exec_lo, exec_lo, s7
	s_and_b32 s7, s3, s4
	s_and_saveexec_b32 s4, s7
	s_cbranch_execnz .LBB116_79
	s_branch .LBB116_83
.LBB116_67:
	v_cmp_ne_u32_e32 vcc_lo, 1, v168
	s_cbranch_vccnz .LBB116_69
; %bb.68:
	v_lshlrev_b64 v[158:159], 3, v[0:1]
	v_add_co_u32 v158, vcc_lo, v156, v158
	v_add_co_ci_u32_e64 v159, null, v157, v159, vcc_lo
	flat_load_dwordx2 v[158:159], v[158:159]
	s_waitcnt vmcnt(0) lgkmcnt(0)
	v_mul_f64 v[158:159], s[10:11], v[158:159]
	v_cvt_f32_f64_e32 v158, v[158:159]
	s_branch .LBB116_70
.LBB116_69:
	v_mov_b32_e32 v158, 0
.LBB116_70:
	s_waitcnt lgkmcnt(29)
	v_add_f64 v[159:160], v[38:39], v[150:151]
	v_add_f64 v[170:171], v[40:41], v[152:153]
	s_waitcnt lgkmcnt(28)
	v_add_f64 v[172:173], v[34:35], v[146:147]
	v_add_f64 v[174:175], v[36:37], v[148:149]
	v_cvt_f32_f64_e32 v159, v[159:160]
	v_cvt_f32_f64_e32 v160, v[170:171]
	;; [unrolled: 1-line block ×4, first 2 shown]
	v_min3_f32 v159, v159, v160, v244
	v_min_f32_e32 v160, v161, v170
	v_min3_f32 v158, v158, v160, v159
	v_lshlrev_b64 v[160:161], 3, v[0:1]
	v_cvt_f64_f32_e32 v[158:159], v158
	v_add_co_u32 v160, vcc_lo, v154, v160
	v_add_co_ci_u32_e64 v161, null, v155, v161, vcc_lo
	flat_store_dwordx2 v[160:161], v[158:159]
	s_or_b32 exec_lo, exec_lo, s7
	s_and_b32 s12, s1, s4
	s_and_saveexec_b32 s7, s12
	s_cbranch_execz .LBB116_65
.LBB116_71:
	v_cmp_ne_u32_e32 vcc_lo, 1, v168
	s_cbranch_vccnz .LBB116_73
; %bb.72:
	v_lshlrev_b64 v[158:159], 3, v[162:163]
	v_add_co_u32 v158, vcc_lo, v156, v158
	v_add_co_ci_u32_e64 v159, null, v157, v159, vcc_lo
	flat_load_dwordx2 v[158:159], v[158:159]
	s_waitcnt vmcnt(0) lgkmcnt(0)
	v_mul_f64 v[158:159], s[10:11], v[158:159]
	v_cvt_f32_f64_e32 v158, v[158:159]
	s_branch .LBB116_74
.LBB116_73:
	v_mov_b32_e32 v158, 0
.LBB116_74:
	s_waitcnt lgkmcnt(29)
	v_add_f64 v[159:160], v[26:27], v[150:151]
	v_add_f64 v[170:171], v[28:29], v[152:153]
	s_waitcnt lgkmcnt(28)
	v_add_f64 v[172:173], v[30:31], v[146:147]
	v_add_f64 v[174:175], v[32:33], v[148:149]
	v_cvt_f32_f64_e32 v159, v[159:160]
	v_cvt_f32_f64_e32 v160, v[170:171]
	;; [unrolled: 1-line block ×4, first 2 shown]
	v_min3_f32 v159, v159, v160, v243
	v_min_f32_e32 v160, v161, v170
	v_min3_f32 v158, v158, v160, v159
	v_lshlrev_b64 v[160:161], 3, v[162:163]
	v_cvt_f64_f32_e32 v[158:159], v158
	v_add_co_u32 v160, vcc_lo, v154, v160
	v_add_co_ci_u32_e64 v161, null, v155, v161, vcc_lo
	flat_store_dwordx2 v[160:161], v[158:159]
	s_or_b32 exec_lo, exec_lo, s7
	s_and_b32 s12, s2, s4
	s_and_saveexec_b32 s7, s12
	s_cbranch_execz .LBB116_66
.LBB116_75:
	v_cmp_ne_u32_e32 vcc_lo, 1, v168
	s_cbranch_vccnz .LBB116_77
; %bb.76:
	v_lshlrev_b64 v[158:159], 3, v[164:165]
	v_add_co_u32 v158, vcc_lo, v156, v158
	v_add_co_ci_u32_e64 v159, null, v157, v159, vcc_lo
	flat_load_dwordx2 v[158:159], v[158:159]
	s_waitcnt vmcnt(0) lgkmcnt(0)
	v_mul_f64 v[158:159], s[10:11], v[158:159]
	v_cvt_f32_f64_e32 v158, v[158:159]
	s_branch .LBB116_78
.LBB116_77:
	v_mov_b32_e32 v158, 0
.LBB116_78:
	s_waitcnt lgkmcnt(29)
	v_add_f64 v[159:160], v[22:23], v[150:151]
	v_add_f64 v[170:171], v[24:25], v[152:153]
	s_waitcnt lgkmcnt(28)
	v_add_f64 v[172:173], v[18:19], v[146:147]
	v_add_f64 v[174:175], v[20:21], v[148:149]
	v_cvt_f32_f64_e32 v159, v[159:160]
	v_cvt_f32_f64_e32 v160, v[170:171]
	;; [unrolled: 1-line block ×4, first 2 shown]
	v_min3_f32 v159, v159, v160, v242
	v_min_f32_e32 v160, v161, v170
	v_min3_f32 v158, v158, v160, v159
	v_lshlrev_b64 v[160:161], 3, v[164:165]
	v_cvt_f64_f32_e32 v[158:159], v158
	v_add_co_u32 v160, vcc_lo, v154, v160
	v_add_co_ci_u32_e64 v161, null, v155, v161, vcc_lo
	flat_store_dwordx2 v[160:161], v[158:159]
	s_or_b32 exec_lo, exec_lo, s7
	s_and_b32 s7, s3, s4
	s_and_saveexec_b32 s4, s7
	s_cbranch_execz .LBB116_83
.LBB116_79:
	v_cmp_ne_u32_e32 vcc_lo, 1, v168
	s_cbranch_vccnz .LBB116_81
; %bb.80:
	v_lshlrev_b64 v[158:159], 3, v[166:167]
	v_add_co_u32 v156, vcc_lo, v156, v158
	v_add_co_ci_u32_e64 v157, null, v157, v159, vcc_lo
	flat_load_dwordx2 v[156:157], v[156:157]
	s_waitcnt vmcnt(0) lgkmcnt(0)
	v_mul_f64 v[156:157], s[10:11], v[156:157]
	v_cvt_f32_f64_e32 v156, v[156:157]
	s_branch .LBB116_82
.LBB116_81:
	v_mov_b32_e32 v156, 0
.LBB116_82:
	s_waitcnt lgkmcnt(29)
	v_add_f64 v[150:151], v[6:7], v[150:151]
	v_add_f64 v[152:153], v[8:9], v[152:153]
	s_waitcnt lgkmcnt(28)
	v_add_f64 v[146:147], v[2:3], v[146:147]
	v_add_f64 v[148:149], v[4:5], v[148:149]
	v_cvt_f32_f64_e32 v150, v[150:151]
	v_cvt_f32_f64_e32 v151, v[152:153]
	;; [unrolled: 1-line block ×4, first 2 shown]
	v_min3_f32 v148, v150, v151, v241
	v_min_f32_e32 v146, v146, v147
	v_min3_f32 v146, v156, v146, v148
	v_lshlrev_b64 v[148:149], 3, v[166:167]
	v_cvt_f64_f32_e32 v[146:147], v146
	v_add_co_u32 v148, vcc_lo, v154, v148
	v_add_co_ci_u32_e64 v149, null, v155, v149, vcc_lo
	flat_store_dwordx2 v[148:149], v[146:147]
.LBB116_83:
	s_or_b32 exec_lo, exec_lo, s4
	s_waitcnt lgkmcnt(29)
	v_add_nc_u32_e32 v150, 16, v169
	s_waitcnt lgkmcnt(28)
	v_mad_i64_i32 v[146:147], null, v150, s6, 0
	v_mad_i64_i32 v[148:149], null, v150, s5, 0
	v_cmp_gt_i32_e64 s4, s13, v150
	v_lshlrev_b64 v[146:147], 3, v[146:147]
	s_and_b32 s12, s0, s4
	v_lshlrev_b64 v[150:151], 3, v[148:149]
	v_add_co_u32 v148, vcc_lo, s18, v146
	v_add_co_ci_u32_e64 v149, null, s19, v147, vcc_lo
	v_add_co_u32 v146, vcc_lo, s8, v150
	v_add_co_ci_u32_e64 v147, null, s9, v151, vcc_lo
	s_and_saveexec_b32 s7, s12
	s_cbranch_execnz .LBB116_87
; %bb.84:
	s_or_b32 exec_lo, exec_lo, s7
	s_and_b32 s12, s1, s4
	s_and_saveexec_b32 s7, s12
	s_cbranch_execnz .LBB116_91
.LBB116_85:
	s_or_b32 exec_lo, exec_lo, s7
	s_and_b32 s12, s2, s4
	s_and_saveexec_b32 s7, s12
	s_cbranch_execnz .LBB116_95
.LBB116_86:
	s_or_b32 exec_lo, exec_lo, s7
	s_and_b32 s7, s3, s4
	s_and_saveexec_b32 s4, s7
	s_cbranch_execnz .LBB116_99
	s_branch .LBB116_103
.LBB116_87:
	v_cmp_ne_u32_e32 vcc_lo, 1, v168
	s_cbranch_vccnz .LBB116_89
; %bb.88:
	v_lshlrev_b64 v[150:151], 3, v[0:1]
	v_add_co_u32 v150, vcc_lo, v148, v150
	v_add_co_ci_u32_e64 v151, null, v149, v151, vcc_lo
	flat_load_dwordx2 v[150:151], v[150:151]
	s_waitcnt vmcnt(0) lgkmcnt(0)
	v_mul_f64 v[150:151], s[10:11], v[150:151]
	v_cvt_f32_f64_e32 v150, v[150:151]
	s_branch .LBB116_90
.LBB116_89:
	v_mov_b32_e32 v150, 0
.LBB116_90:
	s_waitcnt lgkmcnt(27)
	v_add_f64 v[151:152], v[38:39], v[142:143]
	v_add_f64 v[153:154], v[40:41], v[144:145]
	s_waitcnt lgkmcnt(26)
	v_add_f64 v[155:156], v[34:35], v[138:139]
	v_add_f64 v[157:158], v[36:37], v[140:141]
	v_cvt_f32_f64_e32 v151, v[151:152]
	v_cvt_f32_f64_e32 v152, v[153:154]
	;; [unrolled: 1-line block ×4, first 2 shown]
	v_min3_f32 v151, v151, v152, v240
	v_min_f32_e32 v152, v153, v154
	v_min3_f32 v150, v150, v152, v151
	v_lshlrev_b64 v[152:153], 3, v[0:1]
	v_cvt_f64_f32_e32 v[150:151], v150
	v_add_co_u32 v152, vcc_lo, v146, v152
	v_add_co_ci_u32_e64 v153, null, v147, v153, vcc_lo
	flat_store_dwordx2 v[152:153], v[150:151]
	s_or_b32 exec_lo, exec_lo, s7
	s_and_b32 s12, s1, s4
	s_and_saveexec_b32 s7, s12
	s_cbranch_execz .LBB116_85
.LBB116_91:
	v_cmp_ne_u32_e32 vcc_lo, 1, v168
	s_cbranch_vccnz .LBB116_93
; %bb.92:
	v_lshlrev_b64 v[150:151], 3, v[162:163]
	v_add_co_u32 v150, vcc_lo, v148, v150
	v_add_co_ci_u32_e64 v151, null, v149, v151, vcc_lo
	flat_load_dwordx2 v[150:151], v[150:151]
	s_waitcnt vmcnt(0) lgkmcnt(0)
	v_mul_f64 v[150:151], s[10:11], v[150:151]
	v_cvt_f32_f64_e32 v150, v[150:151]
	s_branch .LBB116_94
.LBB116_93:
	v_mov_b32_e32 v150, 0
.LBB116_94:
	s_waitcnt lgkmcnt(27)
	v_add_f64 v[151:152], v[26:27], v[142:143]
	v_add_f64 v[153:154], v[28:29], v[144:145]
	s_waitcnt lgkmcnt(26)
	v_add_f64 v[155:156], v[30:31], v[138:139]
	v_add_f64 v[157:158], v[32:33], v[140:141]
	v_cvt_f32_f64_e32 v151, v[151:152]
	v_cvt_f32_f64_e32 v152, v[153:154]
	;; [unrolled: 1-line block ×4, first 2 shown]
	v_min3_f32 v151, v151, v152, v239
	v_min_f32_e32 v152, v153, v154
	v_min3_f32 v150, v150, v152, v151
	v_lshlrev_b64 v[152:153], 3, v[162:163]
	v_cvt_f64_f32_e32 v[150:151], v150
	v_add_co_u32 v152, vcc_lo, v146, v152
	v_add_co_ci_u32_e64 v153, null, v147, v153, vcc_lo
	flat_store_dwordx2 v[152:153], v[150:151]
	s_or_b32 exec_lo, exec_lo, s7
	s_and_b32 s12, s2, s4
	s_and_saveexec_b32 s7, s12
	s_cbranch_execz .LBB116_86
.LBB116_95:
	v_cmp_ne_u32_e32 vcc_lo, 1, v168
	s_cbranch_vccnz .LBB116_97
; %bb.96:
	v_lshlrev_b64 v[150:151], 3, v[164:165]
	v_add_co_u32 v150, vcc_lo, v148, v150
	v_add_co_ci_u32_e64 v151, null, v149, v151, vcc_lo
	flat_load_dwordx2 v[150:151], v[150:151]
	s_waitcnt vmcnt(0) lgkmcnt(0)
	v_mul_f64 v[150:151], s[10:11], v[150:151]
	v_cvt_f32_f64_e32 v150, v[150:151]
	s_branch .LBB116_98
.LBB116_97:
	v_mov_b32_e32 v150, 0
.LBB116_98:
	s_waitcnt lgkmcnt(27)
	v_add_f64 v[151:152], v[22:23], v[142:143]
	v_add_f64 v[153:154], v[24:25], v[144:145]
	s_waitcnt lgkmcnt(26)
	v_add_f64 v[155:156], v[18:19], v[138:139]
	v_add_f64 v[157:158], v[20:21], v[140:141]
	v_cvt_f32_f64_e32 v151, v[151:152]
	v_cvt_f32_f64_e32 v152, v[153:154]
	;; [unrolled: 1-line block ×4, first 2 shown]
	v_min3_f32 v151, v151, v152, v238
	v_min_f32_e32 v152, v153, v154
	v_min3_f32 v150, v150, v152, v151
	v_lshlrev_b64 v[152:153], 3, v[164:165]
	v_cvt_f64_f32_e32 v[150:151], v150
	v_add_co_u32 v152, vcc_lo, v146, v152
	v_add_co_ci_u32_e64 v153, null, v147, v153, vcc_lo
	flat_store_dwordx2 v[152:153], v[150:151]
	s_or_b32 exec_lo, exec_lo, s7
	s_and_b32 s7, s3, s4
	s_and_saveexec_b32 s4, s7
	s_cbranch_execz .LBB116_103
.LBB116_99:
	v_cmp_ne_u32_e32 vcc_lo, 1, v168
	s_cbranch_vccnz .LBB116_101
; %bb.100:
	v_lshlrev_b64 v[150:151], 3, v[166:167]
	v_add_co_u32 v148, vcc_lo, v148, v150
	v_add_co_ci_u32_e64 v149, null, v149, v151, vcc_lo
	flat_load_dwordx2 v[148:149], v[148:149]
	s_waitcnt vmcnt(0) lgkmcnt(0)
	v_mul_f64 v[148:149], s[10:11], v[148:149]
	v_cvt_f32_f64_e32 v148, v[148:149]
	s_branch .LBB116_102
.LBB116_101:
	v_mov_b32_e32 v148, 0
.LBB116_102:
	s_waitcnt lgkmcnt(27)
	v_add_f64 v[142:143], v[6:7], v[142:143]
	v_add_f64 v[144:145], v[8:9], v[144:145]
	s_waitcnt lgkmcnt(26)
	v_add_f64 v[138:139], v[2:3], v[138:139]
	v_add_f64 v[140:141], v[4:5], v[140:141]
	v_cvt_f32_f64_e32 v142, v[142:143]
	v_cvt_f32_f64_e32 v143, v[144:145]
	;; [unrolled: 1-line block ×4, first 2 shown]
	v_min3_f32 v140, v142, v143, v224
	v_min_f32_e32 v138, v138, v139
	v_min3_f32 v138, v148, v138, v140
	v_lshlrev_b64 v[140:141], 3, v[166:167]
	v_cvt_f64_f32_e32 v[138:139], v138
	v_add_co_u32 v140, vcc_lo, v146, v140
	v_add_co_ci_u32_e64 v141, null, v147, v141, vcc_lo
	flat_store_dwordx2 v[140:141], v[138:139]
.LBB116_103:
	s_or_b32 exec_lo, exec_lo, s4
	s_waitcnt lgkmcnt(27)
	v_add_nc_u32_e32 v142, 24, v169
	s_waitcnt lgkmcnt(26)
	v_mad_i64_i32 v[138:139], null, v142, s6, 0
	v_mad_i64_i32 v[140:141], null, v142, s5, 0
	v_cmp_gt_i32_e64 s4, s13, v142
	v_lshlrev_b64 v[138:139], 3, v[138:139]
	s_and_b32 s12, s0, s4
	v_lshlrev_b64 v[142:143], 3, v[140:141]
	v_add_co_u32 v140, vcc_lo, s18, v138
	v_add_co_ci_u32_e64 v141, null, s19, v139, vcc_lo
	v_add_co_u32 v138, vcc_lo, s8, v142
	v_add_co_ci_u32_e64 v139, null, s9, v143, vcc_lo
	s_and_saveexec_b32 s7, s12
	s_cbranch_execnz .LBB116_107
; %bb.104:
	s_or_b32 exec_lo, exec_lo, s7
	s_and_b32 s12, s1, s4
	s_and_saveexec_b32 s7, s12
	s_cbranch_execnz .LBB116_111
.LBB116_105:
	s_or_b32 exec_lo, exec_lo, s7
	s_and_b32 s12, s2, s4
	s_and_saveexec_b32 s7, s12
	s_cbranch_execnz .LBB116_115
.LBB116_106:
	s_or_b32 exec_lo, exec_lo, s7
	s_and_b32 s7, s3, s4
	s_and_saveexec_b32 s4, s7
	s_cbranch_execnz .LBB116_119
	s_branch .LBB116_123
.LBB116_107:
	v_cmp_ne_u32_e32 vcc_lo, 1, v168
	s_cbranch_vccnz .LBB116_109
; %bb.108:
	v_lshlrev_b64 v[142:143], 3, v[0:1]
	v_add_co_u32 v142, vcc_lo, v140, v142
	v_add_co_ci_u32_e64 v143, null, v141, v143, vcc_lo
	flat_load_dwordx2 v[142:143], v[142:143]
	s_waitcnt vmcnt(0) lgkmcnt(0)
	v_mul_f64 v[142:143], s[10:11], v[142:143]
	v_cvt_f32_f64_e32 v142, v[142:143]
	s_branch .LBB116_110
.LBB116_109:
	v_mov_b32_e32 v142, 0
.LBB116_110:
	s_waitcnt lgkmcnt(25)
	v_add_f64 v[143:144], v[38:39], v[134:135]
	v_add_f64 v[145:146], v[40:41], v[136:137]
	s_waitcnt lgkmcnt(24)
	v_add_f64 v[147:148], v[34:35], v[130:131]
	v_add_f64 v[149:150], v[36:37], v[132:133]
	v_cvt_f32_f64_e32 v143, v[143:144]
	v_cvt_f32_f64_e32 v144, v[145:146]
	;; [unrolled: 1-line block ×4, first 2 shown]
	v_min3_f32 v143, v143, v144, v236
	v_min_f32_e32 v144, v145, v146
	v_min3_f32 v142, v142, v144, v143
	v_lshlrev_b64 v[144:145], 3, v[0:1]
	v_cvt_f64_f32_e32 v[142:143], v142
	v_add_co_u32 v144, vcc_lo, v138, v144
	v_add_co_ci_u32_e64 v145, null, v139, v145, vcc_lo
	flat_store_dwordx2 v[144:145], v[142:143]
	s_or_b32 exec_lo, exec_lo, s7
	s_and_b32 s12, s1, s4
	s_and_saveexec_b32 s7, s12
	s_cbranch_execz .LBB116_105
.LBB116_111:
	v_cmp_ne_u32_e32 vcc_lo, 1, v168
	s_cbranch_vccnz .LBB116_113
; %bb.112:
	v_lshlrev_b64 v[142:143], 3, v[162:163]
	v_add_co_u32 v142, vcc_lo, v140, v142
	v_add_co_ci_u32_e64 v143, null, v141, v143, vcc_lo
	flat_load_dwordx2 v[142:143], v[142:143]
	s_waitcnt vmcnt(0) lgkmcnt(0)
	v_mul_f64 v[142:143], s[10:11], v[142:143]
	v_cvt_f32_f64_e32 v142, v[142:143]
	s_branch .LBB116_114
.LBB116_113:
	v_mov_b32_e32 v142, 0
.LBB116_114:
	s_waitcnt lgkmcnt(25)
	v_add_f64 v[143:144], v[26:27], v[134:135]
	v_add_f64 v[145:146], v[28:29], v[136:137]
	s_waitcnt lgkmcnt(24)
	v_add_f64 v[147:148], v[30:31], v[130:131]
	v_add_f64 v[149:150], v[32:33], v[132:133]
	v_cvt_f32_f64_e32 v143, v[143:144]
	v_cvt_f32_f64_e32 v144, v[145:146]
	;; [unrolled: 1-line block ×4, first 2 shown]
	v_min3_f32 v143, v143, v144, v235
	v_min_f32_e32 v144, v145, v146
	v_min3_f32 v142, v142, v144, v143
	v_lshlrev_b64 v[144:145], 3, v[162:163]
	v_cvt_f64_f32_e32 v[142:143], v142
	v_add_co_u32 v144, vcc_lo, v138, v144
	v_add_co_ci_u32_e64 v145, null, v139, v145, vcc_lo
	flat_store_dwordx2 v[144:145], v[142:143]
	s_or_b32 exec_lo, exec_lo, s7
	s_and_b32 s12, s2, s4
	s_and_saveexec_b32 s7, s12
	s_cbranch_execz .LBB116_106
.LBB116_115:
	v_cmp_ne_u32_e32 vcc_lo, 1, v168
	s_cbranch_vccnz .LBB116_117
; %bb.116:
	v_lshlrev_b64 v[142:143], 3, v[164:165]
	v_add_co_u32 v142, vcc_lo, v140, v142
	v_add_co_ci_u32_e64 v143, null, v141, v143, vcc_lo
	flat_load_dwordx2 v[142:143], v[142:143]
	s_waitcnt vmcnt(0) lgkmcnt(0)
	v_mul_f64 v[142:143], s[10:11], v[142:143]
	v_cvt_f32_f64_e32 v142, v[142:143]
	s_branch .LBB116_118
.LBB116_117:
	v_mov_b32_e32 v142, 0
.LBB116_118:
	s_waitcnt lgkmcnt(25)
	v_add_f64 v[143:144], v[22:23], v[134:135]
	v_add_f64 v[145:146], v[24:25], v[136:137]
	s_waitcnt lgkmcnt(24)
	v_add_f64 v[147:148], v[18:19], v[130:131]
	v_add_f64 v[149:150], v[20:21], v[132:133]
	v_cvt_f32_f64_e32 v143, v[143:144]
	v_cvt_f32_f64_e32 v144, v[145:146]
	;; [unrolled: 1-line block ×4, first 2 shown]
	v_min3_f32 v143, v143, v144, v223
	v_min_f32_e32 v144, v145, v146
	v_min3_f32 v142, v142, v144, v143
	v_lshlrev_b64 v[144:145], 3, v[164:165]
	v_cvt_f64_f32_e32 v[142:143], v142
	v_add_co_u32 v144, vcc_lo, v138, v144
	v_add_co_ci_u32_e64 v145, null, v139, v145, vcc_lo
	flat_store_dwordx2 v[144:145], v[142:143]
	s_or_b32 exec_lo, exec_lo, s7
	s_and_b32 s7, s3, s4
	s_and_saveexec_b32 s4, s7
	s_cbranch_execz .LBB116_123
.LBB116_119:
	v_cmp_ne_u32_e32 vcc_lo, 1, v168
	s_cbranch_vccnz .LBB116_121
; %bb.120:
	v_lshlrev_b64 v[142:143], 3, v[166:167]
	v_add_co_u32 v140, vcc_lo, v140, v142
	v_add_co_ci_u32_e64 v141, null, v141, v143, vcc_lo
	flat_load_dwordx2 v[140:141], v[140:141]
	s_waitcnt vmcnt(0) lgkmcnt(0)
	v_mul_f64 v[140:141], s[10:11], v[140:141]
	v_cvt_f32_f64_e32 v140, v[140:141]
	s_branch .LBB116_122
.LBB116_121:
	v_mov_b32_e32 v140, 0
.LBB116_122:
	s_waitcnt lgkmcnt(25)
	v_add_f64 v[134:135], v[6:7], v[134:135]
	v_add_f64 v[136:137], v[8:9], v[136:137]
	s_waitcnt lgkmcnt(24)
	v_add_f64 v[130:131], v[2:3], v[130:131]
	v_add_f64 v[132:133], v[4:5], v[132:133]
	v_cvt_f32_f64_e32 v134, v[134:135]
	v_cvt_f32_f64_e32 v135, v[136:137]
	;; [unrolled: 1-line block ×4, first 2 shown]
	v_min3_f32 v132, v134, v135, v229
	v_min_f32_e32 v130, v130, v131
	v_min3_f32 v130, v140, v130, v132
	v_lshlrev_b64 v[132:133], 3, v[166:167]
	v_cvt_f64_f32_e32 v[130:131], v130
	v_add_co_u32 v132, vcc_lo, v138, v132
	v_add_co_ci_u32_e64 v133, null, v139, v133, vcc_lo
	flat_store_dwordx2 v[132:133], v[130:131]
.LBB116_123:
	s_or_b32 exec_lo, exec_lo, s4
	s_waitcnt lgkmcnt(25)
	v_add_nc_u32_e32 v134, 32, v169
	s_waitcnt lgkmcnt(24)
	v_mad_i64_i32 v[130:131], null, v134, s6, 0
	v_mad_i64_i32 v[132:133], null, v134, s5, 0
	v_cmp_gt_i32_e64 s4, s13, v134
	v_lshlrev_b64 v[130:131], 3, v[130:131]
	s_and_b32 s12, s0, s4
	v_lshlrev_b64 v[134:135], 3, v[132:133]
	v_add_co_u32 v132, vcc_lo, s18, v130
	v_add_co_ci_u32_e64 v133, null, s19, v131, vcc_lo
	v_add_co_u32 v130, vcc_lo, s8, v134
	v_add_co_ci_u32_e64 v131, null, s9, v135, vcc_lo
	s_and_saveexec_b32 s7, s12
	s_cbranch_execnz .LBB116_127
; %bb.124:
	s_or_b32 exec_lo, exec_lo, s7
	s_and_b32 s12, s1, s4
	s_and_saveexec_b32 s7, s12
	s_cbranch_execnz .LBB116_131
.LBB116_125:
	s_or_b32 exec_lo, exec_lo, s7
	s_and_b32 s12, s2, s4
	s_and_saveexec_b32 s7, s12
	s_cbranch_execnz .LBB116_135
.LBB116_126:
	s_or_b32 exec_lo, exec_lo, s7
	s_and_b32 s7, s3, s4
	s_and_saveexec_b32 s4, s7
	s_cbranch_execnz .LBB116_139
	s_branch .LBB116_143
.LBB116_127:
	v_cmp_ne_u32_e32 vcc_lo, 1, v168
	s_cbranch_vccnz .LBB116_129
; %bb.128:
	v_lshlrev_b64 v[134:135], 3, v[0:1]
	v_add_co_u32 v134, vcc_lo, v132, v134
	v_add_co_ci_u32_e64 v135, null, v133, v135, vcc_lo
	flat_load_dwordx2 v[134:135], v[134:135]
	s_waitcnt vmcnt(0) lgkmcnt(0)
	v_mul_f64 v[134:135], s[10:11], v[134:135]
	v_cvt_f32_f64_e32 v134, v[134:135]
	s_branch .LBB116_130
.LBB116_129:
	v_mov_b32_e32 v134, 0
.LBB116_130:
	s_waitcnt lgkmcnt(23)
	v_add_f64 v[135:136], v[38:39], v[126:127]
	v_add_f64 v[137:138], v[40:41], v[128:129]
	s_waitcnt lgkmcnt(22)
	v_add_f64 v[139:140], v[34:35], v[122:123]
	v_add_f64 v[141:142], v[36:37], v[124:125]
	v_cvt_f32_f64_e32 v135, v[135:136]
	v_cvt_f32_f64_e32 v136, v[137:138]
	;; [unrolled: 1-line block ×4, first 2 shown]
	v_min3_f32 v135, v135, v136, v226
	v_min_f32_e32 v136, v137, v138
	v_min3_f32 v134, v134, v136, v135
	v_lshlrev_b64 v[136:137], 3, v[0:1]
	v_cvt_f64_f32_e32 v[134:135], v134
	v_add_co_u32 v136, vcc_lo, v130, v136
	v_add_co_ci_u32_e64 v137, null, v131, v137, vcc_lo
	flat_store_dwordx2 v[136:137], v[134:135]
	s_or_b32 exec_lo, exec_lo, s7
	s_and_b32 s12, s1, s4
	s_and_saveexec_b32 s7, s12
	s_cbranch_execz .LBB116_125
.LBB116_131:
	v_cmp_ne_u32_e32 vcc_lo, 1, v168
	s_cbranch_vccnz .LBB116_133
; %bb.132:
	v_lshlrev_b64 v[134:135], 3, v[162:163]
	v_add_co_u32 v134, vcc_lo, v132, v134
	v_add_co_ci_u32_e64 v135, null, v133, v135, vcc_lo
	flat_load_dwordx2 v[134:135], v[134:135]
	s_waitcnt vmcnt(0) lgkmcnt(0)
	v_mul_f64 v[134:135], s[10:11], v[134:135]
	v_cvt_f32_f64_e32 v134, v[134:135]
	s_branch .LBB116_134
.LBB116_133:
	v_mov_b32_e32 v134, 0
.LBB116_134:
	s_waitcnt lgkmcnt(23)
	v_add_f64 v[135:136], v[26:27], v[126:127]
	v_add_f64 v[137:138], v[28:29], v[128:129]
	s_waitcnt lgkmcnt(22)
	v_add_f64 v[139:140], v[30:31], v[122:123]
	v_add_f64 v[141:142], v[32:33], v[124:125]
	v_cvt_f32_f64_e32 v135, v[135:136]
	v_cvt_f32_f64_e32 v136, v[137:138]
	;; [unrolled: 1-line block ×4, first 2 shown]
	v_min3_f32 v135, v135, v136, v246
	v_min_f32_e32 v136, v137, v138
	v_min3_f32 v134, v134, v136, v135
	v_lshlrev_b64 v[136:137], 3, v[162:163]
	v_cvt_f64_f32_e32 v[134:135], v134
	v_add_co_u32 v136, vcc_lo, v130, v136
	v_add_co_ci_u32_e64 v137, null, v131, v137, vcc_lo
	flat_store_dwordx2 v[136:137], v[134:135]
	s_or_b32 exec_lo, exec_lo, s7
	s_and_b32 s12, s2, s4
	s_and_saveexec_b32 s7, s12
	s_cbranch_execz .LBB116_126
.LBB116_135:
	v_cmp_ne_u32_e32 vcc_lo, 1, v168
	s_cbranch_vccnz .LBB116_137
; %bb.136:
	v_lshlrev_b64 v[134:135], 3, v[164:165]
	v_add_co_u32 v134, vcc_lo, v132, v134
	v_add_co_ci_u32_e64 v135, null, v133, v135, vcc_lo
	flat_load_dwordx2 v[134:135], v[134:135]
	s_waitcnt vmcnt(0) lgkmcnt(0)
	v_mul_f64 v[134:135], s[10:11], v[134:135]
	v_cvt_f32_f64_e32 v134, v[134:135]
	s_branch .LBB116_138
.LBB116_137:
	v_mov_b32_e32 v134, 0
.LBB116_138:
	s_waitcnt lgkmcnt(23)
	v_add_f64 v[135:136], v[22:23], v[126:127]
	v_add_f64 v[137:138], v[24:25], v[128:129]
	s_waitcnt lgkmcnt(22)
	v_add_f64 v[139:140], v[18:19], v[122:123]
	v_add_f64 v[141:142], v[20:21], v[124:125]
	v_cvt_f32_f64_e32 v135, v[135:136]
	v_cvt_f32_f64_e32 v136, v[137:138]
	v_cvt_f32_f64_e32 v137, v[139:140]
	v_cvt_f32_f64_e32 v138, v[141:142]
	v_min3_f32 v135, v135, v136, v237
	v_min_f32_e32 v136, v137, v138
	v_min3_f32 v134, v134, v136, v135
	v_lshlrev_b64 v[136:137], 3, v[164:165]
	v_cvt_f64_f32_e32 v[134:135], v134
	v_add_co_u32 v136, vcc_lo, v130, v136
	v_add_co_ci_u32_e64 v137, null, v131, v137, vcc_lo
	flat_store_dwordx2 v[136:137], v[134:135]
	s_or_b32 exec_lo, exec_lo, s7
	s_and_b32 s7, s3, s4
	s_and_saveexec_b32 s4, s7
	s_cbranch_execz .LBB116_143
.LBB116_139:
	v_cmp_ne_u32_e32 vcc_lo, 1, v168
	s_cbranch_vccnz .LBB116_141
; %bb.140:
	v_lshlrev_b64 v[134:135], 3, v[166:167]
	v_add_co_u32 v132, vcc_lo, v132, v134
	v_add_co_ci_u32_e64 v133, null, v133, v135, vcc_lo
	flat_load_dwordx2 v[132:133], v[132:133]
	s_waitcnt vmcnt(0) lgkmcnt(0)
	v_mul_f64 v[132:133], s[10:11], v[132:133]
	v_cvt_f32_f64_e32 v132, v[132:133]
	s_branch .LBB116_142
.LBB116_141:
	v_mov_b32_e32 v132, 0
.LBB116_142:
	s_waitcnt lgkmcnt(23)
	v_add_f64 v[126:127], v[6:7], v[126:127]
	v_add_f64 v[128:129], v[8:9], v[128:129]
	s_waitcnt lgkmcnt(22)
	v_add_f64 v[122:123], v[2:3], v[122:123]
	v_add_f64 v[124:125], v[4:5], v[124:125]
	v_cvt_f32_f64_e32 v126, v[126:127]
	v_cvt_f32_f64_e32 v127, v[128:129]
	;; [unrolled: 1-line block ×4, first 2 shown]
	v_min3_f32 v124, v126, v127, v234
	v_min_f32_e32 v122, v122, v123
	v_min3_f32 v122, v132, v122, v124
	v_lshlrev_b64 v[124:125], 3, v[166:167]
	v_cvt_f64_f32_e32 v[122:123], v122
	v_add_co_u32 v124, vcc_lo, v130, v124
	v_add_co_ci_u32_e64 v125, null, v131, v125, vcc_lo
	flat_store_dwordx2 v[124:125], v[122:123]
.LBB116_143:
	s_or_b32 exec_lo, exec_lo, s4
	s_waitcnt lgkmcnt(23)
	v_add_nc_u32_e32 v126, 40, v169
	s_waitcnt lgkmcnt(22)
	v_mad_i64_i32 v[122:123], null, v126, s6, 0
	v_mad_i64_i32 v[124:125], null, v126, s5, 0
	v_cmp_gt_i32_e64 s4, s13, v126
	v_lshlrev_b64 v[122:123], 3, v[122:123]
	s_and_b32 s12, s0, s4
	v_lshlrev_b64 v[126:127], 3, v[124:125]
	v_add_co_u32 v124, vcc_lo, s18, v122
	v_add_co_ci_u32_e64 v125, null, s19, v123, vcc_lo
	v_add_co_u32 v122, vcc_lo, s8, v126
	v_add_co_ci_u32_e64 v123, null, s9, v127, vcc_lo
	s_and_saveexec_b32 s7, s12
	s_cbranch_execnz .LBB116_147
; %bb.144:
	s_or_b32 exec_lo, exec_lo, s7
	s_and_b32 s12, s1, s4
	s_and_saveexec_b32 s7, s12
	s_cbranch_execnz .LBB116_151
.LBB116_145:
	s_or_b32 exec_lo, exec_lo, s7
	s_and_b32 s12, s2, s4
	s_and_saveexec_b32 s7, s12
	s_cbranch_execnz .LBB116_155
.LBB116_146:
	s_or_b32 exec_lo, exec_lo, s7
	s_and_b32 s7, s3, s4
	s_and_saveexec_b32 s4, s7
	s_cbranch_execnz .LBB116_159
	s_branch .LBB116_163
.LBB116_147:
	v_cmp_ne_u32_e32 vcc_lo, 1, v168
	s_cbranch_vccnz .LBB116_149
; %bb.148:
	v_lshlrev_b64 v[126:127], 3, v[0:1]
	v_add_co_u32 v126, vcc_lo, v124, v126
	v_add_co_ci_u32_e64 v127, null, v125, v127, vcc_lo
	flat_load_dwordx2 v[126:127], v[126:127]
	s_waitcnt vmcnt(0) lgkmcnt(0)
	v_mul_f64 v[126:127], s[10:11], v[126:127]
	v_cvt_f32_f64_e32 v126, v[126:127]
	s_branch .LBB116_150
.LBB116_149:
	v_mov_b32_e32 v126, 0
.LBB116_150:
	s_waitcnt lgkmcnt(21)
	v_add_f64 v[127:128], v[38:39], v[118:119]
	v_add_f64 v[129:130], v[40:41], v[120:121]
	s_waitcnt lgkmcnt(20)
	v_add_f64 v[131:132], v[34:35], v[114:115]
	v_add_f64 v[133:134], v[36:37], v[116:117]
	v_cvt_f32_f64_e32 v127, v[127:128]
	v_cvt_f32_f64_e32 v128, v[129:130]
	v_cvt_f32_f64_e32 v129, v[131:132]
	v_cvt_f32_f64_e32 v130, v[133:134]
	v_min3_f32 v127, v127, v128, v218
	v_min_f32_e32 v128, v129, v130
	v_min3_f32 v126, v126, v128, v127
	v_lshlrev_b64 v[128:129], 3, v[0:1]
	v_cvt_f64_f32_e32 v[126:127], v126
	v_add_co_u32 v128, vcc_lo, v122, v128
	v_add_co_ci_u32_e64 v129, null, v123, v129, vcc_lo
	flat_store_dwordx2 v[128:129], v[126:127]
	s_or_b32 exec_lo, exec_lo, s7
	s_and_b32 s12, s1, s4
	s_and_saveexec_b32 s7, s12
	s_cbranch_execz .LBB116_145
.LBB116_151:
	v_cmp_ne_u32_e32 vcc_lo, 1, v168
	s_cbranch_vccnz .LBB116_153
; %bb.152:
	v_lshlrev_b64 v[126:127], 3, v[162:163]
	v_add_co_u32 v126, vcc_lo, v124, v126
	v_add_co_ci_u32_e64 v127, null, v125, v127, vcc_lo
	flat_load_dwordx2 v[126:127], v[126:127]
	s_waitcnt vmcnt(0) lgkmcnt(0)
	v_mul_f64 v[126:127], s[10:11], v[126:127]
	v_cvt_f32_f64_e32 v126, v[126:127]
	s_branch .LBB116_154
.LBB116_153:
	v_mov_b32_e32 v126, 0
.LBB116_154:
	s_waitcnt lgkmcnt(21)
	v_add_f64 v[127:128], v[26:27], v[118:119]
	v_add_f64 v[129:130], v[28:29], v[120:121]
	s_waitcnt lgkmcnt(20)
	v_add_f64 v[131:132], v[30:31], v[114:115]
	v_add_f64 v[133:134], v[32:33], v[116:117]
	v_cvt_f32_f64_e32 v127, v[127:128]
	v_cvt_f32_f64_e32 v128, v[129:130]
	;; [unrolled: 1-line block ×4, first 2 shown]
	v_min3_f32 v127, v127, v128, v217
	v_min_f32_e32 v128, v129, v130
	v_min3_f32 v126, v126, v128, v127
	v_lshlrev_b64 v[128:129], 3, v[162:163]
	v_cvt_f64_f32_e32 v[126:127], v126
	v_add_co_u32 v128, vcc_lo, v122, v128
	v_add_co_ci_u32_e64 v129, null, v123, v129, vcc_lo
	flat_store_dwordx2 v[128:129], v[126:127]
	s_or_b32 exec_lo, exec_lo, s7
	s_and_b32 s12, s2, s4
	s_and_saveexec_b32 s7, s12
	s_cbranch_execz .LBB116_146
.LBB116_155:
	v_cmp_ne_u32_e32 vcc_lo, 1, v168
	s_cbranch_vccnz .LBB116_157
; %bb.156:
	v_lshlrev_b64 v[126:127], 3, v[164:165]
	v_add_co_u32 v126, vcc_lo, v124, v126
	v_add_co_ci_u32_e64 v127, null, v125, v127, vcc_lo
	flat_load_dwordx2 v[126:127], v[126:127]
	s_waitcnt vmcnt(0) lgkmcnt(0)
	v_mul_f64 v[126:127], s[10:11], v[126:127]
	v_cvt_f32_f64_e32 v126, v[126:127]
	s_branch .LBB116_158
.LBB116_157:
	v_mov_b32_e32 v126, 0
.LBB116_158:
	s_waitcnt lgkmcnt(21)
	v_add_f64 v[127:128], v[22:23], v[118:119]
	v_add_f64 v[129:130], v[24:25], v[120:121]
	s_waitcnt lgkmcnt(20)
	v_add_f64 v[131:132], v[18:19], v[114:115]
	v_add_f64 v[133:134], v[20:21], v[116:117]
	v_cvt_f32_f64_e32 v127, v[127:128]
	v_cvt_f32_f64_e32 v128, v[129:130]
	;; [unrolled: 1-line block ×4, first 2 shown]
	v_min3_f32 v127, v127, v128, v216
	v_min_f32_e32 v128, v129, v130
	v_min3_f32 v126, v126, v128, v127
	v_lshlrev_b64 v[128:129], 3, v[164:165]
	v_cvt_f64_f32_e32 v[126:127], v126
	v_add_co_u32 v128, vcc_lo, v122, v128
	v_add_co_ci_u32_e64 v129, null, v123, v129, vcc_lo
	flat_store_dwordx2 v[128:129], v[126:127]
	s_or_b32 exec_lo, exec_lo, s7
	s_and_b32 s7, s3, s4
	s_and_saveexec_b32 s4, s7
	s_cbranch_execz .LBB116_163
.LBB116_159:
	v_cmp_ne_u32_e32 vcc_lo, 1, v168
	s_cbranch_vccnz .LBB116_161
; %bb.160:
	v_lshlrev_b64 v[126:127], 3, v[166:167]
	v_add_co_u32 v124, vcc_lo, v124, v126
	v_add_co_ci_u32_e64 v125, null, v125, v127, vcc_lo
	flat_load_dwordx2 v[124:125], v[124:125]
	s_waitcnt vmcnt(0) lgkmcnt(0)
	v_mul_f64 v[124:125], s[10:11], v[124:125]
	v_cvt_f32_f64_e32 v124, v[124:125]
	s_branch .LBB116_162
.LBB116_161:
	v_mov_b32_e32 v124, 0
.LBB116_162:
	s_waitcnt lgkmcnt(21)
	v_add_f64 v[118:119], v[6:7], v[118:119]
	v_add_f64 v[120:121], v[8:9], v[120:121]
	s_waitcnt lgkmcnt(20)
	v_add_f64 v[114:115], v[2:3], v[114:115]
	v_add_f64 v[116:117], v[4:5], v[116:117]
	v_cvt_f32_f64_e32 v118, v[118:119]
	v_cvt_f32_f64_e32 v119, v[120:121]
	v_cvt_f32_f64_e32 v114, v[114:115]
	v_cvt_f32_f64_e32 v115, v[116:117]
	v_min3_f32 v116, v118, v119, v215
	v_min_f32_e32 v114, v114, v115
	v_min3_f32 v114, v124, v114, v116
	v_lshlrev_b64 v[116:117], 3, v[166:167]
	v_cvt_f64_f32_e32 v[114:115], v114
	v_add_co_u32 v116, vcc_lo, v122, v116
	v_add_co_ci_u32_e64 v117, null, v123, v117, vcc_lo
	flat_store_dwordx2 v[116:117], v[114:115]
.LBB116_163:
	s_or_b32 exec_lo, exec_lo, s4
	s_waitcnt lgkmcnt(21)
	v_add_nc_u32_e32 v118, 48, v169
	s_waitcnt lgkmcnt(20)
	v_mad_i64_i32 v[114:115], null, v118, s6, 0
	v_mad_i64_i32 v[116:117], null, v118, s5, 0
	v_cmp_gt_i32_e64 s4, s13, v118
	v_lshlrev_b64 v[114:115], 3, v[114:115]
	s_and_b32 s12, s0, s4
	v_lshlrev_b64 v[118:119], 3, v[116:117]
	v_add_co_u32 v116, vcc_lo, s18, v114
	v_add_co_ci_u32_e64 v117, null, s19, v115, vcc_lo
	v_add_co_u32 v114, vcc_lo, s8, v118
	v_add_co_ci_u32_e64 v115, null, s9, v119, vcc_lo
	s_and_saveexec_b32 s7, s12
	s_cbranch_execnz .LBB116_167
; %bb.164:
	s_or_b32 exec_lo, exec_lo, s7
	s_and_b32 s12, s1, s4
	s_and_saveexec_b32 s7, s12
	s_cbranch_execnz .LBB116_171
.LBB116_165:
	s_or_b32 exec_lo, exec_lo, s7
	s_and_b32 s12, s2, s4
	s_and_saveexec_b32 s7, s12
	s_cbranch_execnz .LBB116_175
.LBB116_166:
	s_or_b32 exec_lo, exec_lo, s7
	s_and_b32 s7, s3, s4
	s_and_saveexec_b32 s4, s7
	s_cbranch_execnz .LBB116_179
	s_branch .LBB116_183
.LBB116_167:
	v_cmp_ne_u32_e32 vcc_lo, 1, v168
	s_cbranch_vccnz .LBB116_169
; %bb.168:
	v_lshlrev_b64 v[118:119], 3, v[0:1]
	v_add_co_u32 v118, vcc_lo, v116, v118
	v_add_co_ci_u32_e64 v119, null, v117, v119, vcc_lo
	flat_load_dwordx2 v[118:119], v[118:119]
	s_waitcnt vmcnt(0) lgkmcnt(0)
	v_mul_f64 v[118:119], s[10:11], v[118:119]
	v_cvt_f32_f64_e32 v118, v[118:119]
	s_branch .LBB116_170
.LBB116_169:
	v_mov_b32_e32 v118, 0
.LBB116_170:
	s_waitcnt lgkmcnt(19)
	v_add_f64 v[119:120], v[38:39], v[110:111]
	v_add_f64 v[121:122], v[40:41], v[112:113]
	s_waitcnt lgkmcnt(18)
	v_add_f64 v[123:124], v[34:35], v[106:107]
	v_add_f64 v[125:126], v[36:37], v[108:109]
	v_cvt_f32_f64_e32 v119, v[119:120]
	v_cvt_f32_f64_e32 v120, v[121:122]
	;; [unrolled: 1-line block ×4, first 2 shown]
	v_min3_f32 v119, v119, v120, v228
	v_min_f32_e32 v120, v121, v122
	v_min3_f32 v118, v118, v120, v119
	v_lshlrev_b64 v[120:121], 3, v[0:1]
	v_cvt_f64_f32_e32 v[118:119], v118
	v_add_co_u32 v120, vcc_lo, v114, v120
	v_add_co_ci_u32_e64 v121, null, v115, v121, vcc_lo
	flat_store_dwordx2 v[120:121], v[118:119]
	s_or_b32 exec_lo, exec_lo, s7
	s_and_b32 s12, s1, s4
	s_and_saveexec_b32 s7, s12
	s_cbranch_execz .LBB116_165
.LBB116_171:
	v_cmp_ne_u32_e32 vcc_lo, 1, v168
	s_cbranch_vccnz .LBB116_173
; %bb.172:
	v_lshlrev_b64 v[118:119], 3, v[162:163]
	v_add_co_u32 v118, vcc_lo, v116, v118
	v_add_co_ci_u32_e64 v119, null, v117, v119, vcc_lo
	flat_load_dwordx2 v[118:119], v[118:119]
	s_waitcnt vmcnt(0) lgkmcnt(0)
	v_mul_f64 v[118:119], s[10:11], v[118:119]
	v_cvt_f32_f64_e32 v118, v[118:119]
	s_branch .LBB116_174
.LBB116_173:
	v_mov_b32_e32 v118, 0
.LBB116_174:
	s_waitcnt lgkmcnt(19)
	v_add_f64 v[119:120], v[26:27], v[110:111]
	v_add_f64 v[121:122], v[28:29], v[112:113]
	s_waitcnt lgkmcnt(18)
	v_add_f64 v[123:124], v[30:31], v[106:107]
	v_add_f64 v[125:126], v[32:33], v[108:109]
	v_cvt_f32_f64_e32 v119, v[119:120]
	v_cvt_f32_f64_e32 v120, v[121:122]
	;; [unrolled: 1-line block ×4, first 2 shown]
	v_min3_f32 v119, v119, v120, v227
	v_min_f32_e32 v120, v121, v122
	v_min3_f32 v118, v118, v120, v119
	v_lshlrev_b64 v[120:121], 3, v[162:163]
	v_cvt_f64_f32_e32 v[118:119], v118
	v_add_co_u32 v120, vcc_lo, v114, v120
	v_add_co_ci_u32_e64 v121, null, v115, v121, vcc_lo
	flat_store_dwordx2 v[120:121], v[118:119]
	s_or_b32 exec_lo, exec_lo, s7
	s_and_b32 s12, s2, s4
	s_and_saveexec_b32 s7, s12
	s_cbranch_execz .LBB116_166
.LBB116_175:
	v_cmp_ne_u32_e32 vcc_lo, 1, v168
	s_cbranch_vccnz .LBB116_177
; %bb.176:
	v_lshlrev_b64 v[118:119], 3, v[164:165]
	v_add_co_u32 v118, vcc_lo, v116, v118
	v_add_co_ci_u32_e64 v119, null, v117, v119, vcc_lo
	flat_load_dwordx2 v[118:119], v[118:119]
	s_waitcnt vmcnt(0) lgkmcnt(0)
	v_mul_f64 v[118:119], s[10:11], v[118:119]
	v_cvt_f32_f64_e32 v118, v[118:119]
	s_branch .LBB116_178
.LBB116_177:
	v_mov_b32_e32 v118, 0
.LBB116_178:
	s_waitcnt lgkmcnt(19)
	v_add_f64 v[119:120], v[22:23], v[110:111]
	v_add_f64 v[121:122], v[24:25], v[112:113]
	s_waitcnt lgkmcnt(18)
	v_add_f64 v[123:124], v[18:19], v[106:107]
	v_add_f64 v[125:126], v[20:21], v[108:109]
	v_cvt_f32_f64_e32 v119, v[119:120]
	v_cvt_f32_f64_e32 v120, v[121:122]
	;; [unrolled: 1-line block ×4, first 2 shown]
	v_min3_f32 v119, v119, v120, v225
	v_min_f32_e32 v120, v121, v122
	v_min3_f32 v118, v118, v120, v119
	v_lshlrev_b64 v[120:121], 3, v[164:165]
	v_cvt_f64_f32_e32 v[118:119], v118
	v_add_co_u32 v120, vcc_lo, v114, v120
	v_add_co_ci_u32_e64 v121, null, v115, v121, vcc_lo
	flat_store_dwordx2 v[120:121], v[118:119]
	s_or_b32 exec_lo, exec_lo, s7
	s_and_b32 s7, s3, s4
	s_and_saveexec_b32 s4, s7
	s_cbranch_execz .LBB116_183
.LBB116_179:
	v_cmp_ne_u32_e32 vcc_lo, 1, v168
	s_cbranch_vccnz .LBB116_181
; %bb.180:
	v_lshlrev_b64 v[118:119], 3, v[166:167]
	v_add_co_u32 v116, vcc_lo, v116, v118
	v_add_co_ci_u32_e64 v117, null, v117, v119, vcc_lo
	flat_load_dwordx2 v[116:117], v[116:117]
	s_waitcnt vmcnt(0) lgkmcnt(0)
	v_mul_f64 v[116:117], s[10:11], v[116:117]
	v_cvt_f32_f64_e32 v116, v[116:117]
	s_branch .LBB116_182
.LBB116_181:
	v_mov_b32_e32 v116, 0
.LBB116_182:
	s_waitcnt lgkmcnt(19)
	v_add_f64 v[110:111], v[6:7], v[110:111]
	v_add_f64 v[112:113], v[8:9], v[112:113]
	s_waitcnt lgkmcnt(18)
	v_add_f64 v[106:107], v[2:3], v[106:107]
	v_add_f64 v[108:109], v[4:5], v[108:109]
	v_cvt_f32_f64_e32 v110, v[110:111]
	v_cvt_f32_f64_e32 v111, v[112:113]
	v_cvt_f32_f64_e32 v106, v[106:107]
	v_cvt_f32_f64_e32 v107, v[108:109]
	v_min3_f32 v108, v110, v111, v245
	v_min_f32_e32 v106, v106, v107
	v_min3_f32 v106, v116, v106, v108
	v_lshlrev_b64 v[108:109], 3, v[166:167]
	v_cvt_f64_f32_e32 v[106:107], v106
	v_add_co_u32 v108, vcc_lo, v114, v108
	v_add_co_ci_u32_e64 v109, null, v115, v109, vcc_lo
	flat_store_dwordx2 v[108:109], v[106:107]
.LBB116_183:
	s_or_b32 exec_lo, exec_lo, s4
	s_waitcnt lgkmcnt(19)
	v_add_nc_u32_e32 v110, 56, v169
	s_waitcnt lgkmcnt(18)
	v_mad_i64_i32 v[106:107], null, v110, s6, 0
	v_mad_i64_i32 v[108:109], null, v110, s5, 0
	v_cmp_gt_i32_e64 s4, s13, v110
	v_lshlrev_b64 v[106:107], 3, v[106:107]
	s_and_b32 s12, s0, s4
	v_lshlrev_b64 v[110:111], 3, v[108:109]
	v_add_co_u32 v108, vcc_lo, s18, v106
	v_add_co_ci_u32_e64 v109, null, s19, v107, vcc_lo
	v_add_co_u32 v106, vcc_lo, s8, v110
	v_add_co_ci_u32_e64 v107, null, s9, v111, vcc_lo
	s_and_saveexec_b32 s7, s12
	s_cbranch_execnz .LBB116_187
; %bb.184:
	s_or_b32 exec_lo, exec_lo, s7
	s_and_b32 s12, s1, s4
	s_and_saveexec_b32 s7, s12
	s_cbranch_execnz .LBB116_191
.LBB116_185:
	s_or_b32 exec_lo, exec_lo, s7
	s_and_b32 s12, s2, s4
	s_and_saveexec_b32 s7, s12
	s_cbranch_execnz .LBB116_195
.LBB116_186:
	s_or_b32 exec_lo, exec_lo, s7
	s_and_b32 s7, s3, s4
	s_and_saveexec_b32 s4, s7
	s_cbranch_execnz .LBB116_199
	s_branch .LBB116_203
.LBB116_187:
	v_cmp_ne_u32_e32 vcc_lo, 1, v168
	s_cbranch_vccnz .LBB116_189
; %bb.188:
	v_lshlrev_b64 v[110:111], 3, v[0:1]
	v_add_co_u32 v110, vcc_lo, v108, v110
	v_add_co_ci_u32_e64 v111, null, v109, v111, vcc_lo
	flat_load_dwordx2 v[110:111], v[110:111]
	s_waitcnt vmcnt(0) lgkmcnt(0)
	v_mul_f64 v[110:111], s[10:11], v[110:111]
	v_cvt_f32_f64_e32 v110, v[110:111]
	s_branch .LBB116_190
.LBB116_189:
	v_mov_b32_e32 v110, 0
.LBB116_190:
	s_waitcnt lgkmcnt(17)
	v_add_f64 v[111:112], v[38:39], v[102:103]
	v_add_f64 v[113:114], v[40:41], v[104:105]
	s_waitcnt lgkmcnt(16)
	v_add_f64 v[115:116], v[34:35], v[98:99]
	v_add_f64 v[117:118], v[36:37], v[100:101]
	v_cvt_f32_f64_e32 v111, v[111:112]
	v_cvt_f32_f64_e32 v112, v[113:114]
	;; [unrolled: 1-line block ×4, first 2 shown]
	v_min3_f32 v111, v111, v112, v233
	v_min_f32_e32 v112, v113, v114
	v_min3_f32 v110, v110, v112, v111
	v_lshlrev_b64 v[112:113], 3, v[0:1]
	v_cvt_f64_f32_e32 v[110:111], v110
	v_add_co_u32 v112, vcc_lo, v106, v112
	v_add_co_ci_u32_e64 v113, null, v107, v113, vcc_lo
	flat_store_dwordx2 v[112:113], v[110:111]
	s_or_b32 exec_lo, exec_lo, s7
	s_and_b32 s12, s1, s4
	s_and_saveexec_b32 s7, s12
	s_cbranch_execz .LBB116_185
.LBB116_191:
	v_cmp_ne_u32_e32 vcc_lo, 1, v168
	s_cbranch_vccnz .LBB116_193
; %bb.192:
	v_lshlrev_b64 v[110:111], 3, v[162:163]
	v_add_co_u32 v110, vcc_lo, v108, v110
	v_add_co_ci_u32_e64 v111, null, v109, v111, vcc_lo
	flat_load_dwordx2 v[110:111], v[110:111]
	s_waitcnt vmcnt(0) lgkmcnt(0)
	v_mul_f64 v[110:111], s[10:11], v[110:111]
	v_cvt_f32_f64_e32 v110, v[110:111]
	s_branch .LBB116_194
.LBB116_193:
	v_mov_b32_e32 v110, 0
.LBB116_194:
	s_waitcnt lgkmcnt(17)
	v_add_f64 v[111:112], v[26:27], v[102:103]
	v_add_f64 v[113:114], v[28:29], v[104:105]
	s_waitcnt lgkmcnt(16)
	v_add_f64 v[115:116], v[30:31], v[98:99]
	v_add_f64 v[117:118], v[32:33], v[100:101]
	v_cvt_f32_f64_e32 v111, v[111:112]
	v_cvt_f32_f64_e32 v112, v[113:114]
	;; [unrolled: 1-line block ×4, first 2 shown]
	v_min3_f32 v111, v111, v112, v232
	v_min_f32_e32 v112, v113, v114
	v_min3_f32 v110, v110, v112, v111
	v_lshlrev_b64 v[112:113], 3, v[162:163]
	v_cvt_f64_f32_e32 v[110:111], v110
	v_add_co_u32 v112, vcc_lo, v106, v112
	v_add_co_ci_u32_e64 v113, null, v107, v113, vcc_lo
	flat_store_dwordx2 v[112:113], v[110:111]
	s_or_b32 exec_lo, exec_lo, s7
	s_and_b32 s12, s2, s4
	s_and_saveexec_b32 s7, s12
	s_cbranch_execz .LBB116_186
.LBB116_195:
	v_cmp_ne_u32_e32 vcc_lo, 1, v168
	s_cbranch_vccnz .LBB116_197
; %bb.196:
	v_lshlrev_b64 v[110:111], 3, v[164:165]
	v_add_co_u32 v110, vcc_lo, v108, v110
	v_add_co_ci_u32_e64 v111, null, v109, v111, vcc_lo
	flat_load_dwordx2 v[110:111], v[110:111]
	s_waitcnt vmcnt(0) lgkmcnt(0)
	v_mul_f64 v[110:111], s[10:11], v[110:111]
	v_cvt_f32_f64_e32 v110, v[110:111]
	s_branch .LBB116_198
.LBB116_197:
	v_mov_b32_e32 v110, 0
.LBB116_198:
	s_waitcnt lgkmcnt(17)
	v_add_f64 v[111:112], v[22:23], v[102:103]
	v_add_f64 v[113:114], v[24:25], v[104:105]
	s_waitcnt lgkmcnt(16)
	v_add_f64 v[115:116], v[18:19], v[98:99]
	v_add_f64 v[117:118], v[20:21], v[100:101]
	v_cvt_f32_f64_e32 v111, v[111:112]
	v_cvt_f32_f64_e32 v112, v[113:114]
	;; [unrolled: 1-line block ×4, first 2 shown]
	v_min3_f32 v111, v111, v112, v231
	v_min_f32_e32 v112, v113, v114
	v_min3_f32 v110, v110, v112, v111
	v_lshlrev_b64 v[112:113], 3, v[164:165]
	v_cvt_f64_f32_e32 v[110:111], v110
	v_add_co_u32 v112, vcc_lo, v106, v112
	v_add_co_ci_u32_e64 v113, null, v107, v113, vcc_lo
	flat_store_dwordx2 v[112:113], v[110:111]
	s_or_b32 exec_lo, exec_lo, s7
	s_and_b32 s7, s3, s4
	s_and_saveexec_b32 s4, s7
	s_cbranch_execz .LBB116_203
.LBB116_199:
	v_cmp_ne_u32_e32 vcc_lo, 1, v168
	s_cbranch_vccnz .LBB116_201
; %bb.200:
	v_lshlrev_b64 v[110:111], 3, v[166:167]
	v_add_co_u32 v108, vcc_lo, v108, v110
	v_add_co_ci_u32_e64 v109, null, v109, v111, vcc_lo
	flat_load_dwordx2 v[108:109], v[108:109]
	s_waitcnt vmcnt(0) lgkmcnt(0)
	v_mul_f64 v[108:109], s[10:11], v[108:109]
	v_cvt_f32_f64_e32 v108, v[108:109]
	s_branch .LBB116_202
.LBB116_201:
	v_mov_b32_e32 v108, 0
.LBB116_202:
	s_waitcnt lgkmcnt(17)
	v_add_f64 v[102:103], v[6:7], v[102:103]
	v_add_f64 v[104:105], v[8:9], v[104:105]
	s_waitcnt lgkmcnt(16)
	v_add_f64 v[98:99], v[2:3], v[98:99]
	v_add_f64 v[100:101], v[4:5], v[100:101]
	v_cvt_f32_f64_e32 v102, v[102:103]
	v_cvt_f32_f64_e32 v103, v[104:105]
	;; [unrolled: 1-line block ×4, first 2 shown]
	v_min3_f32 v100, v102, v103, v230
	v_min_f32_e32 v98, v98, v99
	v_min3_f32 v98, v108, v98, v100
	v_lshlrev_b64 v[100:101], 3, v[166:167]
	v_cvt_f64_f32_e32 v[98:99], v98
	v_add_co_u32 v100, vcc_lo, v106, v100
	v_add_co_ci_u32_e64 v101, null, v107, v101, vcc_lo
	flat_store_dwordx2 v[100:101], v[98:99]
.LBB116_203:
	s_or_b32 exec_lo, exec_lo, s4
	s_waitcnt lgkmcnt(17)
	v_add_nc_u32_e32 v102, 64, v169
	s_waitcnt lgkmcnt(16)
	v_mad_i64_i32 v[98:99], null, v102, s6, 0
	v_mad_i64_i32 v[100:101], null, v102, s5, 0
	v_cmp_gt_i32_e64 s4, s13, v102
	v_lshlrev_b64 v[98:99], 3, v[98:99]
	s_and_b32 s12, s0, s4
	v_lshlrev_b64 v[102:103], 3, v[100:101]
	v_add_co_u32 v100, vcc_lo, s18, v98
	v_add_co_ci_u32_e64 v101, null, s19, v99, vcc_lo
	v_add_co_u32 v98, vcc_lo, s8, v102
	v_add_co_ci_u32_e64 v99, null, s9, v103, vcc_lo
	s_and_saveexec_b32 s7, s12
	s_cbranch_execnz .LBB116_207
; %bb.204:
	s_or_b32 exec_lo, exec_lo, s7
	s_and_b32 s12, s1, s4
	s_and_saveexec_b32 s7, s12
	s_cbranch_execnz .LBB116_211
.LBB116_205:
	s_or_b32 exec_lo, exec_lo, s7
	s_and_b32 s12, s2, s4
	s_and_saveexec_b32 s7, s12
	s_cbranch_execnz .LBB116_215
.LBB116_206:
	s_or_b32 exec_lo, exec_lo, s7
	s_and_b32 s7, s3, s4
	s_and_saveexec_b32 s4, s7
	s_cbranch_execnz .LBB116_219
	s_branch .LBB116_223
.LBB116_207:
	v_cmp_ne_u32_e32 vcc_lo, 1, v168
	s_cbranch_vccnz .LBB116_209
; %bb.208:
	v_lshlrev_b64 v[102:103], 3, v[0:1]
	v_add_co_u32 v102, vcc_lo, v100, v102
	v_add_co_ci_u32_e64 v103, null, v101, v103, vcc_lo
	flat_load_dwordx2 v[102:103], v[102:103]
	s_waitcnt vmcnt(0) lgkmcnt(0)
	v_mul_f64 v[102:103], s[10:11], v[102:103]
	v_cvt_f32_f64_e32 v102, v[102:103]
	s_branch .LBB116_210
.LBB116_209:
	v_mov_b32_e32 v102, 0
.LBB116_210:
	s_waitcnt lgkmcnt(15)
	v_add_f64 v[103:104], v[38:39], v[94:95]
	v_add_f64 v[105:106], v[40:41], v[96:97]
	s_waitcnt lgkmcnt(14)
	v_add_f64 v[107:108], v[34:35], v[90:91]
	v_add_f64 v[109:110], v[36:37], v[92:93]
	v_cvt_f32_f64_e32 v103, v[103:104]
	v_cvt_f32_f64_e32 v104, v[105:106]
	;; [unrolled: 1-line block ×4, first 2 shown]
	v_min3_f32 v103, v103, v104, v214
	v_min_f32_e32 v104, v105, v106
	v_min3_f32 v102, v102, v104, v103
	v_lshlrev_b64 v[104:105], 3, v[0:1]
	v_cvt_f64_f32_e32 v[102:103], v102
	v_add_co_u32 v104, vcc_lo, v98, v104
	v_add_co_ci_u32_e64 v105, null, v99, v105, vcc_lo
	flat_store_dwordx2 v[104:105], v[102:103]
	s_or_b32 exec_lo, exec_lo, s7
	s_and_b32 s12, s1, s4
	s_and_saveexec_b32 s7, s12
	s_cbranch_execz .LBB116_205
.LBB116_211:
	v_cmp_ne_u32_e32 vcc_lo, 1, v168
	s_cbranch_vccnz .LBB116_213
; %bb.212:
	v_lshlrev_b64 v[102:103], 3, v[162:163]
	v_add_co_u32 v102, vcc_lo, v100, v102
	v_add_co_ci_u32_e64 v103, null, v101, v103, vcc_lo
	flat_load_dwordx2 v[102:103], v[102:103]
	s_waitcnt vmcnt(0) lgkmcnt(0)
	v_mul_f64 v[102:103], s[10:11], v[102:103]
	v_cvt_f32_f64_e32 v102, v[102:103]
	s_branch .LBB116_214
.LBB116_213:
	v_mov_b32_e32 v102, 0
.LBB116_214:
	s_waitcnt lgkmcnt(15)
	v_add_f64 v[103:104], v[26:27], v[94:95]
	v_add_f64 v[105:106], v[28:29], v[96:97]
	s_waitcnt lgkmcnt(14)
	v_add_f64 v[107:108], v[30:31], v[90:91]
	v_add_f64 v[109:110], v[32:33], v[92:93]
	v_cvt_f32_f64_e32 v103, v[103:104]
	v_cvt_f32_f64_e32 v104, v[105:106]
	v_cvt_f32_f64_e32 v105, v[107:108]
	v_cvt_f32_f64_e32 v106, v[109:110]
	v_min3_f32 v103, v103, v104, v213
	v_min_f32_e32 v104, v105, v106
	v_min3_f32 v102, v102, v104, v103
	v_lshlrev_b64 v[104:105], 3, v[162:163]
	v_cvt_f64_f32_e32 v[102:103], v102
	v_add_co_u32 v104, vcc_lo, v98, v104
	v_add_co_ci_u32_e64 v105, null, v99, v105, vcc_lo
	flat_store_dwordx2 v[104:105], v[102:103]
	s_or_b32 exec_lo, exec_lo, s7
	s_and_b32 s12, s2, s4
	s_and_saveexec_b32 s7, s12
	s_cbranch_execz .LBB116_206
.LBB116_215:
	v_cmp_ne_u32_e32 vcc_lo, 1, v168
	s_cbranch_vccnz .LBB116_217
; %bb.216:
	v_lshlrev_b64 v[102:103], 3, v[164:165]
	v_add_co_u32 v102, vcc_lo, v100, v102
	v_add_co_ci_u32_e64 v103, null, v101, v103, vcc_lo
	flat_load_dwordx2 v[102:103], v[102:103]
	s_waitcnt vmcnt(0) lgkmcnt(0)
	v_mul_f64 v[102:103], s[10:11], v[102:103]
	v_cvt_f32_f64_e32 v102, v[102:103]
	s_branch .LBB116_218
.LBB116_217:
	v_mov_b32_e32 v102, 0
.LBB116_218:
	s_waitcnt lgkmcnt(15)
	v_add_f64 v[103:104], v[22:23], v[94:95]
	v_add_f64 v[105:106], v[24:25], v[96:97]
	s_waitcnt lgkmcnt(14)
	v_add_f64 v[107:108], v[18:19], v[90:91]
	v_add_f64 v[109:110], v[20:21], v[92:93]
	v_cvt_f32_f64_e32 v103, v[103:104]
	v_cvt_f32_f64_e32 v104, v[105:106]
	;; [unrolled: 1-line block ×4, first 2 shown]
	v_min3_f32 v103, v103, v104, v211
	v_min_f32_e32 v104, v105, v106
	v_min3_f32 v102, v102, v104, v103
	v_lshlrev_b64 v[104:105], 3, v[164:165]
	v_cvt_f64_f32_e32 v[102:103], v102
	v_add_co_u32 v104, vcc_lo, v98, v104
	v_add_co_ci_u32_e64 v105, null, v99, v105, vcc_lo
	flat_store_dwordx2 v[104:105], v[102:103]
	s_or_b32 exec_lo, exec_lo, s7
	s_and_b32 s7, s3, s4
	s_and_saveexec_b32 s4, s7
	s_cbranch_execz .LBB116_223
.LBB116_219:
	v_cmp_ne_u32_e32 vcc_lo, 1, v168
	s_cbranch_vccnz .LBB116_221
; %bb.220:
	v_lshlrev_b64 v[102:103], 3, v[166:167]
	v_add_co_u32 v100, vcc_lo, v100, v102
	v_add_co_ci_u32_e64 v101, null, v101, v103, vcc_lo
	flat_load_dwordx2 v[100:101], v[100:101]
	s_waitcnt vmcnt(0) lgkmcnt(0)
	v_mul_f64 v[100:101], s[10:11], v[100:101]
	v_cvt_f32_f64_e32 v100, v[100:101]
	s_branch .LBB116_222
.LBB116_221:
	v_mov_b32_e32 v100, 0
.LBB116_222:
	s_waitcnt lgkmcnt(15)
	v_add_f64 v[94:95], v[6:7], v[94:95]
	v_add_f64 v[96:97], v[8:9], v[96:97]
	s_waitcnt lgkmcnt(14)
	v_add_f64 v[90:91], v[2:3], v[90:91]
	v_add_f64 v[92:93], v[4:5], v[92:93]
	v_cvt_f32_f64_e32 v94, v[94:95]
	v_cvt_f32_f64_e32 v95, v[96:97]
	v_cvt_f32_f64_e32 v90, v[90:91]
	v_cvt_f32_f64_e32 v91, v[92:93]
	v_min3_f32 v92, v94, v95, v209
	v_min_f32_e32 v90, v90, v91
	v_min3_f32 v90, v100, v90, v92
	v_lshlrev_b64 v[92:93], 3, v[166:167]
	v_cvt_f64_f32_e32 v[90:91], v90
	v_add_co_u32 v92, vcc_lo, v98, v92
	v_add_co_ci_u32_e64 v93, null, v99, v93, vcc_lo
	flat_store_dwordx2 v[92:93], v[90:91]
.LBB116_223:
	s_or_b32 exec_lo, exec_lo, s4
	s_waitcnt lgkmcnt(15)
	v_add_nc_u32_e32 v94, 0x48, v169
	s_waitcnt lgkmcnt(14)
	v_mad_i64_i32 v[90:91], null, v94, s6, 0
	v_mad_i64_i32 v[92:93], null, v94, s5, 0
	v_cmp_gt_i32_e64 s4, s13, v94
	v_lshlrev_b64 v[90:91], 3, v[90:91]
	s_and_b32 s12, s0, s4
	v_lshlrev_b64 v[94:95], 3, v[92:93]
	v_add_co_u32 v92, vcc_lo, s18, v90
	v_add_co_ci_u32_e64 v93, null, s19, v91, vcc_lo
	v_add_co_u32 v90, vcc_lo, s8, v94
	v_add_co_ci_u32_e64 v91, null, s9, v95, vcc_lo
	s_and_saveexec_b32 s7, s12
	s_cbranch_execnz .LBB116_227
; %bb.224:
	s_or_b32 exec_lo, exec_lo, s7
	s_and_b32 s12, s1, s4
	s_and_saveexec_b32 s7, s12
	s_cbranch_execnz .LBB116_231
.LBB116_225:
	s_or_b32 exec_lo, exec_lo, s7
	s_and_b32 s12, s2, s4
	s_and_saveexec_b32 s7, s12
	s_cbranch_execnz .LBB116_235
.LBB116_226:
	s_or_b32 exec_lo, exec_lo, s7
	s_and_b32 s7, s3, s4
	s_and_saveexec_b32 s4, s7
	s_cbranch_execnz .LBB116_239
	s_branch .LBB116_243
.LBB116_227:
	v_cmp_ne_u32_e32 vcc_lo, 1, v168
	s_cbranch_vccnz .LBB116_229
; %bb.228:
	v_lshlrev_b64 v[94:95], 3, v[0:1]
	v_add_co_u32 v94, vcc_lo, v92, v94
	v_add_co_ci_u32_e64 v95, null, v93, v95, vcc_lo
	flat_load_dwordx2 v[94:95], v[94:95]
	s_waitcnt vmcnt(0) lgkmcnt(0)
	v_mul_f64 v[94:95], s[10:11], v[94:95]
	v_cvt_f32_f64_e32 v94, v[94:95]
	s_branch .LBB116_230
.LBB116_229:
	v_mov_b32_e32 v94, 0
.LBB116_230:
	s_waitcnt lgkmcnt(13)
	v_add_f64 v[95:96], v[38:39], v[86:87]
	v_add_f64 v[97:98], v[40:41], v[88:89]
	s_waitcnt lgkmcnt(12)
	v_add_f64 v[99:100], v[34:35], v[82:83]
	v_add_f64 v[101:102], v[36:37], v[84:85]
	v_cvt_f32_f64_e32 v95, v[95:96]
	v_cvt_f32_f64_e32 v96, v[97:98]
	;; [unrolled: 1-line block ×4, first 2 shown]
	v_min3_f32 v95, v95, v96, v208
	v_min_f32_e32 v96, v97, v98
	v_min3_f32 v94, v94, v96, v95
	v_lshlrev_b64 v[96:97], 3, v[0:1]
	v_cvt_f64_f32_e32 v[94:95], v94
	v_add_co_u32 v96, vcc_lo, v90, v96
	v_add_co_ci_u32_e64 v97, null, v91, v97, vcc_lo
	flat_store_dwordx2 v[96:97], v[94:95]
	s_or_b32 exec_lo, exec_lo, s7
	s_and_b32 s12, s1, s4
	s_and_saveexec_b32 s7, s12
	s_cbranch_execz .LBB116_225
.LBB116_231:
	v_cmp_ne_u32_e32 vcc_lo, 1, v168
	s_cbranch_vccnz .LBB116_233
; %bb.232:
	v_lshlrev_b64 v[94:95], 3, v[162:163]
	v_add_co_u32 v94, vcc_lo, v92, v94
	v_add_co_ci_u32_e64 v95, null, v93, v95, vcc_lo
	flat_load_dwordx2 v[94:95], v[94:95]
	s_waitcnt vmcnt(0) lgkmcnt(0)
	v_mul_f64 v[94:95], s[10:11], v[94:95]
	v_cvt_f32_f64_e32 v94, v[94:95]
	s_branch .LBB116_234
.LBB116_233:
	v_mov_b32_e32 v94, 0
.LBB116_234:
	s_waitcnt lgkmcnt(13)
	v_add_f64 v[95:96], v[26:27], v[86:87]
	v_add_f64 v[97:98], v[28:29], v[88:89]
	s_waitcnt lgkmcnt(12)
	v_add_f64 v[99:100], v[30:31], v[82:83]
	v_add_f64 v[101:102], v[32:33], v[84:85]
	v_cvt_f32_f64_e32 v95, v[95:96]
	v_cvt_f32_f64_e32 v96, v[97:98]
	;; [unrolled: 1-line block ×4, first 2 shown]
	v_min3_f32 v95, v95, v96, v207
	v_min_f32_e32 v96, v97, v98
	v_min3_f32 v94, v94, v96, v95
	v_lshlrev_b64 v[96:97], 3, v[162:163]
	v_cvt_f64_f32_e32 v[94:95], v94
	v_add_co_u32 v96, vcc_lo, v90, v96
	v_add_co_ci_u32_e64 v97, null, v91, v97, vcc_lo
	flat_store_dwordx2 v[96:97], v[94:95]
	s_or_b32 exec_lo, exec_lo, s7
	s_and_b32 s12, s2, s4
	s_and_saveexec_b32 s7, s12
	s_cbranch_execz .LBB116_226
.LBB116_235:
	v_cmp_ne_u32_e32 vcc_lo, 1, v168
	s_cbranch_vccnz .LBB116_237
; %bb.236:
	v_lshlrev_b64 v[94:95], 3, v[164:165]
	v_add_co_u32 v94, vcc_lo, v92, v94
	v_add_co_ci_u32_e64 v95, null, v93, v95, vcc_lo
	flat_load_dwordx2 v[94:95], v[94:95]
	s_waitcnt vmcnt(0) lgkmcnt(0)
	v_mul_f64 v[94:95], s[10:11], v[94:95]
	v_cvt_f32_f64_e32 v94, v[94:95]
	s_branch .LBB116_238
.LBB116_237:
	v_mov_b32_e32 v94, 0
.LBB116_238:
	s_waitcnt lgkmcnt(13)
	v_add_f64 v[95:96], v[22:23], v[86:87]
	v_add_f64 v[97:98], v[24:25], v[88:89]
	s_waitcnt lgkmcnt(12)
	v_add_f64 v[99:100], v[18:19], v[82:83]
	v_add_f64 v[101:102], v[20:21], v[84:85]
	v_cvt_f32_f64_e32 v95, v[95:96]
	v_cvt_f32_f64_e32 v96, v[97:98]
	;; [unrolled: 1-line block ×4, first 2 shown]
	v_min3_f32 v95, v95, v96, v206
	v_min_f32_e32 v96, v97, v98
	v_min3_f32 v94, v94, v96, v95
	v_lshlrev_b64 v[96:97], 3, v[164:165]
	v_cvt_f64_f32_e32 v[94:95], v94
	v_add_co_u32 v96, vcc_lo, v90, v96
	v_add_co_ci_u32_e64 v97, null, v91, v97, vcc_lo
	flat_store_dwordx2 v[96:97], v[94:95]
	s_or_b32 exec_lo, exec_lo, s7
	s_and_b32 s7, s3, s4
	s_and_saveexec_b32 s4, s7
	s_cbranch_execz .LBB116_243
.LBB116_239:
	v_cmp_ne_u32_e32 vcc_lo, 1, v168
	s_cbranch_vccnz .LBB116_241
; %bb.240:
	v_lshlrev_b64 v[94:95], 3, v[166:167]
	v_add_co_u32 v92, vcc_lo, v92, v94
	v_add_co_ci_u32_e64 v93, null, v93, v95, vcc_lo
	flat_load_dwordx2 v[92:93], v[92:93]
	s_waitcnt vmcnt(0) lgkmcnt(0)
	v_mul_f64 v[92:93], s[10:11], v[92:93]
	v_cvt_f32_f64_e32 v92, v[92:93]
	s_branch .LBB116_242
.LBB116_241:
	v_mov_b32_e32 v92, 0
.LBB116_242:
	s_waitcnt lgkmcnt(13)
	v_add_f64 v[86:87], v[6:7], v[86:87]
	v_add_f64 v[88:89], v[8:9], v[88:89]
	s_waitcnt lgkmcnt(12)
	v_add_f64 v[82:83], v[2:3], v[82:83]
	v_add_f64 v[84:85], v[4:5], v[84:85]
	v_cvt_f32_f64_e32 v86, v[86:87]
	v_cvt_f32_f64_e32 v87, v[88:89]
	;; [unrolled: 1-line block ×4, first 2 shown]
	v_min3_f32 v84, v86, v87, v205
	v_min_f32_e32 v82, v82, v83
	v_min3_f32 v82, v92, v82, v84
	v_lshlrev_b64 v[84:85], 3, v[166:167]
	v_cvt_f64_f32_e32 v[82:83], v82
	v_add_co_u32 v84, vcc_lo, v90, v84
	v_add_co_ci_u32_e64 v85, null, v91, v85, vcc_lo
	flat_store_dwordx2 v[84:85], v[82:83]
.LBB116_243:
	s_or_b32 exec_lo, exec_lo, s4
	s_waitcnt lgkmcnt(13)
	v_add_nc_u32_e32 v86, 0x50, v169
	s_waitcnt lgkmcnt(12)
	v_mad_i64_i32 v[82:83], null, v86, s6, 0
	v_mad_i64_i32 v[84:85], null, v86, s5, 0
	v_cmp_gt_i32_e64 s4, s13, v86
	v_lshlrev_b64 v[82:83], 3, v[82:83]
	s_and_b32 s12, s0, s4
	v_lshlrev_b64 v[86:87], 3, v[84:85]
	v_add_co_u32 v84, vcc_lo, s18, v82
	v_add_co_ci_u32_e64 v85, null, s19, v83, vcc_lo
	v_add_co_u32 v82, vcc_lo, s8, v86
	v_add_co_ci_u32_e64 v83, null, s9, v87, vcc_lo
	s_and_saveexec_b32 s7, s12
	s_cbranch_execnz .LBB116_247
; %bb.244:
	s_or_b32 exec_lo, exec_lo, s7
	s_and_b32 s12, s1, s4
	s_and_saveexec_b32 s7, s12
	s_cbranch_execnz .LBB116_251
.LBB116_245:
	s_or_b32 exec_lo, exec_lo, s7
	s_and_b32 s12, s2, s4
	s_and_saveexec_b32 s7, s12
	s_cbranch_execnz .LBB116_255
.LBB116_246:
	s_or_b32 exec_lo, exec_lo, s7
	s_and_b32 s7, s3, s4
	s_and_saveexec_b32 s4, s7
	s_cbranch_execnz .LBB116_259
	s_branch .LBB116_263
.LBB116_247:
	v_cmp_ne_u32_e32 vcc_lo, 1, v168
	s_cbranch_vccnz .LBB116_249
; %bb.248:
	v_lshlrev_b64 v[86:87], 3, v[0:1]
	v_add_co_u32 v86, vcc_lo, v84, v86
	v_add_co_ci_u32_e64 v87, null, v85, v87, vcc_lo
	flat_load_dwordx2 v[86:87], v[86:87]
	s_waitcnt vmcnt(0) lgkmcnt(0)
	v_mul_f64 v[86:87], s[10:11], v[86:87]
	v_cvt_f32_f64_e32 v86, v[86:87]
	s_branch .LBB116_250
.LBB116_249:
	v_mov_b32_e32 v86, 0
.LBB116_250:
	s_waitcnt lgkmcnt(11)
	v_add_f64 v[87:88], v[38:39], v[78:79]
	v_add_f64 v[89:90], v[40:41], v[80:81]
	s_waitcnt lgkmcnt(10)
	v_add_f64 v[91:92], v[34:35], v[74:75]
	v_add_f64 v[93:94], v[36:37], v[76:77]
	v_cvt_f32_f64_e32 v87, v[87:88]
	v_cvt_f32_f64_e32 v88, v[89:90]
	;; [unrolled: 1-line block ×4, first 2 shown]
	v_min3_f32 v87, v87, v88, v203
	v_min_f32_e32 v88, v89, v90
	v_min3_f32 v86, v86, v88, v87
	v_lshlrev_b64 v[88:89], 3, v[0:1]
	v_cvt_f64_f32_e32 v[86:87], v86
	v_add_co_u32 v88, vcc_lo, v82, v88
	v_add_co_ci_u32_e64 v89, null, v83, v89, vcc_lo
	flat_store_dwordx2 v[88:89], v[86:87]
	s_or_b32 exec_lo, exec_lo, s7
	s_and_b32 s12, s1, s4
	s_and_saveexec_b32 s7, s12
	s_cbranch_execz .LBB116_245
.LBB116_251:
	v_cmp_ne_u32_e32 vcc_lo, 1, v168
	s_cbranch_vccnz .LBB116_253
; %bb.252:
	v_lshlrev_b64 v[86:87], 3, v[162:163]
	v_add_co_u32 v86, vcc_lo, v84, v86
	v_add_co_ci_u32_e64 v87, null, v85, v87, vcc_lo
	flat_load_dwordx2 v[86:87], v[86:87]
	s_waitcnt vmcnt(0) lgkmcnt(0)
	v_mul_f64 v[86:87], s[10:11], v[86:87]
	v_cvt_f32_f64_e32 v86, v[86:87]
	s_branch .LBB116_254
.LBB116_253:
	v_mov_b32_e32 v86, 0
.LBB116_254:
	s_waitcnt lgkmcnt(11)
	v_add_f64 v[87:88], v[26:27], v[78:79]
	v_add_f64 v[89:90], v[28:29], v[80:81]
	s_waitcnt lgkmcnt(10)
	v_add_f64 v[91:92], v[30:31], v[74:75]
	v_add_f64 v[93:94], v[32:33], v[76:77]
	v_cvt_f32_f64_e32 v87, v[87:88]
	v_cvt_f32_f64_e32 v88, v[89:90]
	;; [unrolled: 1-line block ×4, first 2 shown]
	v_min3_f32 v87, v87, v88, v202
	v_min_f32_e32 v88, v89, v90
	v_min3_f32 v86, v86, v88, v87
	v_lshlrev_b64 v[88:89], 3, v[162:163]
	v_cvt_f64_f32_e32 v[86:87], v86
	v_add_co_u32 v88, vcc_lo, v82, v88
	v_add_co_ci_u32_e64 v89, null, v83, v89, vcc_lo
	flat_store_dwordx2 v[88:89], v[86:87]
	s_or_b32 exec_lo, exec_lo, s7
	s_and_b32 s12, s2, s4
	s_and_saveexec_b32 s7, s12
	s_cbranch_execz .LBB116_246
.LBB116_255:
	v_cmp_ne_u32_e32 vcc_lo, 1, v168
	s_cbranch_vccnz .LBB116_257
; %bb.256:
	v_lshlrev_b64 v[86:87], 3, v[164:165]
	v_add_co_u32 v86, vcc_lo, v84, v86
	v_add_co_ci_u32_e64 v87, null, v85, v87, vcc_lo
	flat_load_dwordx2 v[86:87], v[86:87]
	s_waitcnt vmcnt(0) lgkmcnt(0)
	v_mul_f64 v[86:87], s[10:11], v[86:87]
	v_cvt_f32_f64_e32 v86, v[86:87]
	s_branch .LBB116_258
.LBB116_257:
	v_mov_b32_e32 v86, 0
.LBB116_258:
	s_waitcnt lgkmcnt(11)
	v_add_f64 v[87:88], v[22:23], v[78:79]
	v_add_f64 v[89:90], v[24:25], v[80:81]
	s_waitcnt lgkmcnt(10)
	v_add_f64 v[91:92], v[18:19], v[74:75]
	v_add_f64 v[93:94], v[20:21], v[76:77]
	v_cvt_f32_f64_e32 v87, v[87:88]
	v_cvt_f32_f64_e32 v88, v[89:90]
	;; [unrolled: 1-line block ×4, first 2 shown]
	v_min3_f32 v87, v87, v88, v212
	v_min_f32_e32 v88, v89, v90
	v_min3_f32 v86, v86, v88, v87
	v_lshlrev_b64 v[88:89], 3, v[164:165]
	v_cvt_f64_f32_e32 v[86:87], v86
	v_add_co_u32 v88, vcc_lo, v82, v88
	v_add_co_ci_u32_e64 v89, null, v83, v89, vcc_lo
	flat_store_dwordx2 v[88:89], v[86:87]
	s_or_b32 exec_lo, exec_lo, s7
	s_and_b32 s7, s3, s4
	s_and_saveexec_b32 s4, s7
	s_cbranch_execz .LBB116_263
.LBB116_259:
	v_cmp_ne_u32_e32 vcc_lo, 1, v168
	s_cbranch_vccnz .LBB116_261
; %bb.260:
	v_lshlrev_b64 v[86:87], 3, v[166:167]
	v_add_co_u32 v84, vcc_lo, v84, v86
	v_add_co_ci_u32_e64 v85, null, v85, v87, vcc_lo
	flat_load_dwordx2 v[84:85], v[84:85]
	s_waitcnt vmcnt(0) lgkmcnt(0)
	v_mul_f64 v[84:85], s[10:11], v[84:85]
	v_cvt_f32_f64_e32 v84, v[84:85]
	s_branch .LBB116_262
.LBB116_261:
	v_mov_b32_e32 v84, 0
.LBB116_262:
	s_waitcnt lgkmcnt(11)
	v_add_f64 v[78:79], v[6:7], v[78:79]
	v_add_f64 v[80:81], v[8:9], v[80:81]
	s_waitcnt lgkmcnt(10)
	v_add_f64 v[74:75], v[2:3], v[74:75]
	v_add_f64 v[76:77], v[4:5], v[76:77]
	v_cvt_f32_f64_e32 v78, v[78:79]
	v_cvt_f32_f64_e32 v79, v[80:81]
	;; [unrolled: 1-line block ×4, first 2 shown]
	v_min3_f32 v76, v78, v79, v210
	v_min_f32_e32 v74, v74, v75
	v_min3_f32 v74, v84, v74, v76
	v_lshlrev_b64 v[76:77], 3, v[166:167]
	v_cvt_f64_f32_e32 v[74:75], v74
	v_add_co_u32 v76, vcc_lo, v82, v76
	v_add_co_ci_u32_e64 v77, null, v83, v77, vcc_lo
	flat_store_dwordx2 v[76:77], v[74:75]
.LBB116_263:
	s_or_b32 exec_lo, exec_lo, s4
	s_waitcnt lgkmcnt(11)
	v_add_nc_u32_e32 v78, 0x58, v169
	s_waitcnt lgkmcnt(10)
	v_mad_i64_i32 v[74:75], null, v78, s6, 0
	v_mad_i64_i32 v[76:77], null, v78, s5, 0
	v_cmp_gt_i32_e64 s4, s13, v78
	v_lshlrev_b64 v[74:75], 3, v[74:75]
	s_and_b32 s12, s0, s4
	v_lshlrev_b64 v[78:79], 3, v[76:77]
	v_add_co_u32 v76, vcc_lo, s18, v74
	v_add_co_ci_u32_e64 v77, null, s19, v75, vcc_lo
	v_add_co_u32 v74, vcc_lo, s8, v78
	v_add_co_ci_u32_e64 v75, null, s9, v79, vcc_lo
	s_and_saveexec_b32 s7, s12
	s_cbranch_execnz .LBB116_267
; %bb.264:
	s_or_b32 exec_lo, exec_lo, s7
	s_and_b32 s12, s1, s4
	s_and_saveexec_b32 s7, s12
	s_cbranch_execnz .LBB116_271
.LBB116_265:
	s_or_b32 exec_lo, exec_lo, s7
	s_and_b32 s12, s2, s4
	s_and_saveexec_b32 s7, s12
	s_cbranch_execnz .LBB116_275
.LBB116_266:
	s_or_b32 exec_lo, exec_lo, s7
	s_and_b32 s7, s3, s4
	s_and_saveexec_b32 s4, s7
	s_cbranch_execnz .LBB116_279
	s_branch .LBB116_283
.LBB116_267:
	v_cmp_ne_u32_e32 vcc_lo, 1, v168
	s_cbranch_vccnz .LBB116_269
; %bb.268:
	v_lshlrev_b64 v[78:79], 3, v[0:1]
	v_add_co_u32 v78, vcc_lo, v76, v78
	v_add_co_ci_u32_e64 v79, null, v77, v79, vcc_lo
	flat_load_dwordx2 v[78:79], v[78:79]
	s_waitcnt vmcnt(0) lgkmcnt(0)
	v_mul_f64 v[78:79], s[10:11], v[78:79]
	v_cvt_f32_f64_e32 v78, v[78:79]
	s_branch .LBB116_270
.LBB116_269:
	v_mov_b32_e32 v78, 0
.LBB116_270:
	s_waitcnt lgkmcnt(9)
	v_add_f64 v[79:80], v[38:39], v[70:71]
	v_add_f64 v[81:82], v[40:41], v[72:73]
	s_waitcnt lgkmcnt(8)
	v_add_f64 v[83:84], v[34:35], v[66:67]
	v_add_f64 v[85:86], v[36:37], v[68:69]
	v_cvt_f32_f64_e32 v79, v[79:80]
	v_cvt_f32_f64_e32 v80, v[81:82]
	;; [unrolled: 1-line block ×3, first 2 shown]
	buffer_load_dword v83, off, s[36:39], 0 ; 4-byte Folded Reload
	v_cvt_f32_f64_e32 v82, v[85:86]
	s_waitcnt vmcnt(0)
	v_min3_f32 v79, v79, v80, v83
	v_min_f32_e32 v80, v81, v82
	v_min3_f32 v78, v78, v80, v79
	v_lshlrev_b64 v[80:81], 3, v[0:1]
	v_cvt_f64_f32_e32 v[78:79], v78
	v_add_co_u32 v80, vcc_lo, v74, v80
	v_add_co_ci_u32_e64 v81, null, v75, v81, vcc_lo
	flat_store_dwordx2 v[80:81], v[78:79]
	s_or_b32 exec_lo, exec_lo, s7
	s_and_b32 s12, s1, s4
	s_and_saveexec_b32 s7, s12
	s_cbranch_execz .LBB116_265
.LBB116_271:
	v_cmp_ne_u32_e32 vcc_lo, 1, v168
	s_cbranch_vccnz .LBB116_273
; %bb.272:
	v_lshlrev_b64 v[78:79], 3, v[162:163]
	v_add_co_u32 v78, vcc_lo, v76, v78
	v_add_co_ci_u32_e64 v79, null, v77, v79, vcc_lo
	flat_load_dwordx2 v[78:79], v[78:79]
	s_waitcnt vmcnt(0) lgkmcnt(0)
	v_mul_f64 v[78:79], s[10:11], v[78:79]
	v_cvt_f32_f64_e32 v78, v[78:79]
	s_branch .LBB116_274
.LBB116_273:
	v_mov_b32_e32 v78, 0
.LBB116_274:
	s_waitcnt lgkmcnt(9)
	v_add_f64 v[79:80], v[26:27], v[70:71]
	v_add_f64 v[81:82], v[28:29], v[72:73]
	s_waitcnt lgkmcnt(8)
	v_add_f64 v[83:84], v[30:31], v[66:67]
	v_add_f64 v[85:86], v[32:33], v[68:69]
	v_cvt_f32_f64_e32 v79, v[79:80]
	v_cvt_f32_f64_e32 v80, v[81:82]
	;; [unrolled: 1-line block ×4, first 2 shown]
	v_min3_f32 v79, v79, v80, v200
	v_min_f32_e32 v80, v81, v82
	v_min3_f32 v78, v78, v80, v79
	v_lshlrev_b64 v[80:81], 3, v[162:163]
	v_cvt_f64_f32_e32 v[78:79], v78
	v_add_co_u32 v80, vcc_lo, v74, v80
	v_add_co_ci_u32_e64 v81, null, v75, v81, vcc_lo
	flat_store_dwordx2 v[80:81], v[78:79]
	s_or_b32 exec_lo, exec_lo, s7
	s_and_b32 s12, s2, s4
	s_and_saveexec_b32 s7, s12
	s_cbranch_execz .LBB116_266
.LBB116_275:
	v_cmp_ne_u32_e32 vcc_lo, 1, v168
	s_cbranch_vccnz .LBB116_277
; %bb.276:
	v_lshlrev_b64 v[78:79], 3, v[164:165]
	v_add_co_u32 v78, vcc_lo, v76, v78
	v_add_co_ci_u32_e64 v79, null, v77, v79, vcc_lo
	flat_load_dwordx2 v[78:79], v[78:79]
	s_waitcnt vmcnt(0) lgkmcnt(0)
	v_mul_f64 v[78:79], s[10:11], v[78:79]
	v_cvt_f32_f64_e32 v78, v[78:79]
	s_branch .LBB116_278
.LBB116_277:
	v_mov_b32_e32 v78, 0
.LBB116_278:
	s_waitcnt lgkmcnt(9)
	v_add_f64 v[79:80], v[22:23], v[70:71]
	v_add_f64 v[81:82], v[24:25], v[72:73]
	s_waitcnt lgkmcnt(8)
	v_add_f64 v[83:84], v[18:19], v[66:67]
	v_add_f64 v[85:86], v[20:21], v[68:69]
	v_cvt_f32_f64_e32 v79, v[79:80]
	v_cvt_f32_f64_e32 v80, v[81:82]
	;; [unrolled: 1-line block ×4, first 2 shown]
	v_min3_f32 v79, v79, v80, v199
	v_min_f32_e32 v80, v81, v82
	v_min3_f32 v78, v78, v80, v79
	v_lshlrev_b64 v[80:81], 3, v[164:165]
	v_cvt_f64_f32_e32 v[78:79], v78
	v_add_co_u32 v80, vcc_lo, v74, v80
	v_add_co_ci_u32_e64 v81, null, v75, v81, vcc_lo
	flat_store_dwordx2 v[80:81], v[78:79]
	s_or_b32 exec_lo, exec_lo, s7
	s_and_b32 s7, s3, s4
	s_and_saveexec_b32 s4, s7
	s_cbranch_execz .LBB116_283
.LBB116_279:
	v_cmp_ne_u32_e32 vcc_lo, 1, v168
	s_cbranch_vccnz .LBB116_281
; %bb.280:
	v_lshlrev_b64 v[78:79], 3, v[166:167]
	v_add_co_u32 v76, vcc_lo, v76, v78
	v_add_co_ci_u32_e64 v77, null, v77, v79, vcc_lo
	flat_load_dwordx2 v[76:77], v[76:77]
	s_waitcnt vmcnt(0) lgkmcnt(0)
	v_mul_f64 v[76:77], s[10:11], v[76:77]
	v_cvt_f32_f64_e32 v76, v[76:77]
	s_branch .LBB116_282
.LBB116_281:
	v_mov_b32_e32 v76, 0
.LBB116_282:
	s_waitcnt lgkmcnt(9)
	v_add_f64 v[70:71], v[6:7], v[70:71]
	v_add_f64 v[72:73], v[8:9], v[72:73]
	s_waitcnt lgkmcnt(8)
	v_add_f64 v[66:67], v[2:3], v[66:67]
	v_add_f64 v[68:69], v[4:5], v[68:69]
	v_cvt_f32_f64_e32 v70, v[70:71]
	v_cvt_f32_f64_e32 v71, v[72:73]
	v_cvt_f32_f64_e32 v66, v[66:67]
	v_cvt_f32_f64_e32 v67, v[68:69]
	v_min3_f32 v68, v70, v71, v198
	v_min_f32_e32 v66, v66, v67
	v_min3_f32 v66, v76, v66, v68
	v_lshlrev_b64 v[68:69], 3, v[166:167]
	v_cvt_f64_f32_e32 v[66:67], v66
	v_add_co_u32 v68, vcc_lo, v74, v68
	v_add_co_ci_u32_e64 v69, null, v75, v69, vcc_lo
	flat_store_dwordx2 v[68:69], v[66:67]
.LBB116_283:
	s_or_b32 exec_lo, exec_lo, s4
	s_waitcnt lgkmcnt(9)
	v_add_nc_u32_e32 v70, 0x60, v169
	s_waitcnt lgkmcnt(8)
	v_mad_i64_i32 v[66:67], null, v70, s6, 0
	v_mad_i64_i32 v[68:69], null, v70, s5, 0
	v_cmp_gt_i32_e64 s4, s13, v70
	v_lshlrev_b64 v[66:67], 3, v[66:67]
	s_and_b32 s12, s0, s4
	v_lshlrev_b64 v[70:71], 3, v[68:69]
	v_add_co_u32 v68, vcc_lo, s18, v66
	v_add_co_ci_u32_e64 v69, null, s19, v67, vcc_lo
	v_add_co_u32 v66, vcc_lo, s8, v70
	v_add_co_ci_u32_e64 v67, null, s9, v71, vcc_lo
	s_and_saveexec_b32 s7, s12
	s_cbranch_execnz .LBB116_287
; %bb.284:
	s_or_b32 exec_lo, exec_lo, s7
	s_and_b32 s12, s1, s4
	s_and_saveexec_b32 s7, s12
	s_cbranch_execnz .LBB116_291
.LBB116_285:
	s_or_b32 exec_lo, exec_lo, s7
	s_and_b32 s12, s2, s4
	s_and_saveexec_b32 s7, s12
	s_cbranch_execnz .LBB116_295
.LBB116_286:
	s_or_b32 exec_lo, exec_lo, s7
	s_and_b32 s7, s3, s4
	s_and_saveexec_b32 s4, s7
	s_cbranch_execnz .LBB116_299
	s_branch .LBB116_303
.LBB116_287:
	v_cmp_ne_u32_e32 vcc_lo, 1, v168
	s_cbranch_vccnz .LBB116_289
; %bb.288:
	v_lshlrev_b64 v[70:71], 3, v[0:1]
	v_add_co_u32 v70, vcc_lo, v68, v70
	v_add_co_ci_u32_e64 v71, null, v69, v71, vcc_lo
	flat_load_dwordx2 v[70:71], v[70:71]
	s_waitcnt vmcnt(0) lgkmcnt(0)
	v_mul_f64 v[70:71], s[10:11], v[70:71]
	v_cvt_f32_f64_e32 v70, v[70:71]
	s_branch .LBB116_290
.LBB116_289:
	v_mov_b32_e32 v70, 0
.LBB116_290:
	s_waitcnt lgkmcnt(7)
	v_add_f64 v[71:72], v[38:39], v[62:63]
	v_add_f64 v[73:74], v[40:41], v[64:65]
	s_waitcnt lgkmcnt(6)
	v_add_f64 v[75:76], v[34:35], v[58:59]
	v_add_f64 v[77:78], v[36:37], v[60:61]
	v_cvt_f32_f64_e32 v71, v[71:72]
	v_cvt_f32_f64_e32 v72, v[73:74]
	;; [unrolled: 1-line block ×4, first 2 shown]
	v_min3_f32 v71, v71, v72, v255
	v_min_f32_e32 v72, v73, v74
	v_min3_f32 v70, v70, v72, v71
	v_lshlrev_b64 v[72:73], 3, v[0:1]
	v_cvt_f64_f32_e32 v[70:71], v70
	v_add_co_u32 v72, vcc_lo, v66, v72
	v_add_co_ci_u32_e64 v73, null, v67, v73, vcc_lo
	flat_store_dwordx2 v[72:73], v[70:71]
	s_or_b32 exec_lo, exec_lo, s7
	s_and_b32 s12, s1, s4
	s_and_saveexec_b32 s7, s12
	s_cbranch_execz .LBB116_285
.LBB116_291:
	v_cmp_ne_u32_e32 vcc_lo, 1, v168
	s_cbranch_vccnz .LBB116_293
; %bb.292:
	v_lshlrev_b64 v[70:71], 3, v[162:163]
	v_add_co_u32 v70, vcc_lo, v68, v70
	v_add_co_ci_u32_e64 v71, null, v69, v71, vcc_lo
	flat_load_dwordx2 v[70:71], v[70:71]
	s_waitcnt vmcnt(0) lgkmcnt(0)
	v_mul_f64 v[70:71], s[10:11], v[70:71]
	v_cvt_f32_f64_e32 v70, v[70:71]
	s_branch .LBB116_294
.LBB116_293:
	v_mov_b32_e32 v70, 0
.LBB116_294:
	s_waitcnt lgkmcnt(7)
	v_add_f64 v[71:72], v[26:27], v[62:63]
	v_add_f64 v[73:74], v[28:29], v[64:65]
	s_waitcnt lgkmcnt(6)
	v_add_f64 v[75:76], v[30:31], v[58:59]
	v_add_f64 v[77:78], v[32:33], v[60:61]
	v_cvt_f32_f64_e32 v71, v[71:72]
	v_cvt_f32_f64_e32 v72, v[73:74]
	;; [unrolled: 1-line block ×4, first 2 shown]
	v_min3_f32 v71, v71, v72, v196
	v_min_f32_e32 v72, v73, v74
	v_min3_f32 v70, v70, v72, v71
	v_lshlrev_b64 v[72:73], 3, v[162:163]
	v_cvt_f64_f32_e32 v[70:71], v70
	v_add_co_u32 v72, vcc_lo, v66, v72
	v_add_co_ci_u32_e64 v73, null, v67, v73, vcc_lo
	flat_store_dwordx2 v[72:73], v[70:71]
	s_or_b32 exec_lo, exec_lo, s7
	s_and_b32 s12, s2, s4
	s_and_saveexec_b32 s7, s12
	s_cbranch_execz .LBB116_286
.LBB116_295:
	v_cmp_ne_u32_e32 vcc_lo, 1, v168
	s_cbranch_vccnz .LBB116_297
; %bb.296:
	v_lshlrev_b64 v[70:71], 3, v[164:165]
	v_add_co_u32 v70, vcc_lo, v68, v70
	v_add_co_ci_u32_e64 v71, null, v69, v71, vcc_lo
	flat_load_dwordx2 v[70:71], v[70:71]
	s_waitcnt vmcnt(0) lgkmcnt(0)
	v_mul_f64 v[70:71], s[10:11], v[70:71]
	v_cvt_f32_f64_e32 v70, v[70:71]
	s_branch .LBB116_298
.LBB116_297:
	v_mov_b32_e32 v70, 0
.LBB116_298:
	s_waitcnt lgkmcnt(7)
	v_add_f64 v[71:72], v[22:23], v[62:63]
	v_add_f64 v[73:74], v[24:25], v[64:65]
	s_waitcnt lgkmcnt(6)
	v_add_f64 v[75:76], v[18:19], v[58:59]
	v_add_f64 v[77:78], v[20:21], v[60:61]
	v_cvt_f32_f64_e32 v71, v[71:72]
	v_cvt_f32_f64_e32 v72, v[73:74]
	;; [unrolled: 1-line block ×4, first 2 shown]
	v_min3_f32 v71, v71, v72, v248
	v_min_f32_e32 v72, v73, v74
	v_min3_f32 v70, v70, v72, v71
	v_lshlrev_b64 v[72:73], 3, v[164:165]
	v_cvt_f64_f32_e32 v[70:71], v70
	v_add_co_u32 v72, vcc_lo, v66, v72
	v_add_co_ci_u32_e64 v73, null, v67, v73, vcc_lo
	flat_store_dwordx2 v[72:73], v[70:71]
	s_or_b32 exec_lo, exec_lo, s7
	s_and_b32 s7, s3, s4
	s_and_saveexec_b32 s4, s7
	s_cbranch_execz .LBB116_303
.LBB116_299:
	v_cmp_ne_u32_e32 vcc_lo, 1, v168
	s_cbranch_vccnz .LBB116_301
; %bb.300:
	v_lshlrev_b64 v[70:71], 3, v[166:167]
	v_add_co_u32 v68, vcc_lo, v68, v70
	v_add_co_ci_u32_e64 v69, null, v69, v71, vcc_lo
	flat_load_dwordx2 v[68:69], v[68:69]
	s_waitcnt vmcnt(0) lgkmcnt(0)
	v_mul_f64 v[68:69], s[10:11], v[68:69]
	v_cvt_f32_f64_e32 v68, v[68:69]
	s_branch .LBB116_302
.LBB116_301:
	v_mov_b32_e32 v68, 0
.LBB116_302:
	s_waitcnt lgkmcnt(7)
	v_add_f64 v[62:63], v[6:7], v[62:63]
	v_add_f64 v[64:65], v[8:9], v[64:65]
	s_waitcnt lgkmcnt(6)
	v_add_f64 v[58:59], v[2:3], v[58:59]
	v_add_f64 v[60:61], v[4:5], v[60:61]
	v_cvt_f32_f64_e32 v62, v[62:63]
	v_cvt_f32_f64_e32 v63, v[64:65]
	;; [unrolled: 1-line block ×4, first 2 shown]
	v_min3_f32 v60, v62, v63, v247
	v_min_f32_e32 v58, v58, v59
	v_min3_f32 v58, v68, v58, v60
	v_lshlrev_b64 v[60:61], 3, v[166:167]
	v_cvt_f64_f32_e32 v[58:59], v58
	v_add_co_u32 v60, vcc_lo, v66, v60
	v_add_co_ci_u32_e64 v61, null, v67, v61, vcc_lo
	flat_store_dwordx2 v[60:61], v[58:59]
.LBB116_303:
	s_or_b32 exec_lo, exec_lo, s4
	s_waitcnt lgkmcnt(7)
	v_add_nc_u32_e32 v62, 0x68, v169
	s_waitcnt lgkmcnt(6)
	v_mad_i64_i32 v[58:59], null, v62, s6, 0
	v_mad_i64_i32 v[60:61], null, v62, s5, 0
	v_cmp_gt_i32_e64 s4, s13, v62
	v_lshlrev_b64 v[58:59], 3, v[58:59]
	s_and_b32 s12, s0, s4
	v_lshlrev_b64 v[62:63], 3, v[60:61]
	v_add_co_u32 v60, vcc_lo, s18, v58
	v_add_co_ci_u32_e64 v61, null, s19, v59, vcc_lo
	v_add_co_u32 v58, vcc_lo, s8, v62
	v_add_co_ci_u32_e64 v59, null, s9, v63, vcc_lo
	s_and_saveexec_b32 s7, s12
	s_cbranch_execnz .LBB116_307
; %bb.304:
	s_or_b32 exec_lo, exec_lo, s7
	s_and_b32 s12, s1, s4
	s_and_saveexec_b32 s7, s12
	s_cbranch_execnz .LBB116_311
.LBB116_305:
	s_or_b32 exec_lo, exec_lo, s7
	s_and_b32 s12, s2, s4
	s_and_saveexec_b32 s7, s12
	s_cbranch_execnz .LBB116_315
.LBB116_306:
	s_or_b32 exec_lo, exec_lo, s7
	s_and_b32 s7, s3, s4
	s_and_saveexec_b32 s4, s7
	s_cbranch_execnz .LBB116_319
	s_branch .LBB116_323
.LBB116_307:
	v_cmp_ne_u32_e32 vcc_lo, 1, v168
	s_cbranch_vccnz .LBB116_309
; %bb.308:
	v_lshlrev_b64 v[62:63], 3, v[0:1]
	v_add_co_u32 v62, vcc_lo, v60, v62
	v_add_co_ci_u32_e64 v63, null, v61, v63, vcc_lo
	flat_load_dwordx2 v[62:63], v[62:63]
	s_waitcnt vmcnt(0) lgkmcnt(0)
	v_mul_f64 v[62:63], s[10:11], v[62:63]
	v_cvt_f32_f64_e32 v62, v[62:63]
	s_branch .LBB116_310
.LBB116_309:
	v_mov_b32_e32 v62, 0
.LBB116_310:
	s_waitcnt lgkmcnt(5)
	v_add_f64 v[63:64], v[38:39], v[54:55]
	v_add_f64 v[65:66], v[40:41], v[56:57]
	s_waitcnt lgkmcnt(4)
	v_add_f64 v[67:68], v[34:35], v[50:51]
	v_add_f64 v[69:70], v[36:37], v[52:53]
	v_cvt_f32_f64_e32 v63, v[63:64]
	v_cvt_f32_f64_e32 v64, v[65:66]
	v_cvt_f32_f64_e32 v65, v[67:68]
	v_cvt_f32_f64_e32 v66, v[69:70]
	v_min3_f32 v63, v63, v64, v193
	v_min_f32_e32 v64, v65, v66
	v_min3_f32 v62, v62, v64, v63
	v_lshlrev_b64 v[64:65], 3, v[0:1]
	v_cvt_f64_f32_e32 v[62:63], v62
	v_add_co_u32 v64, vcc_lo, v58, v64
	v_add_co_ci_u32_e64 v65, null, v59, v65, vcc_lo
	flat_store_dwordx2 v[64:65], v[62:63]
	s_or_b32 exec_lo, exec_lo, s7
	s_and_b32 s12, s1, s4
	s_and_saveexec_b32 s7, s12
	s_cbranch_execz .LBB116_305
.LBB116_311:
	v_cmp_ne_u32_e32 vcc_lo, 1, v168
	s_cbranch_vccnz .LBB116_313
; %bb.312:
	v_lshlrev_b64 v[62:63], 3, v[162:163]
	v_add_co_u32 v62, vcc_lo, v60, v62
	v_add_co_ci_u32_e64 v63, null, v61, v63, vcc_lo
	flat_load_dwordx2 v[62:63], v[62:63]
	s_waitcnt vmcnt(0) lgkmcnt(0)
	v_mul_f64 v[62:63], s[10:11], v[62:63]
	v_cvt_f32_f64_e32 v62, v[62:63]
	s_branch .LBB116_314
.LBB116_313:
	v_mov_b32_e32 v62, 0
.LBB116_314:
	s_waitcnt lgkmcnt(5)
	v_add_f64 v[63:64], v[26:27], v[54:55]
	v_add_f64 v[65:66], v[28:29], v[56:57]
	s_waitcnt lgkmcnt(4)
	v_add_f64 v[67:68], v[30:31], v[50:51]
	v_add_f64 v[69:70], v[32:33], v[52:53]
	v_cvt_f32_f64_e32 v63, v[63:64]
	v_cvt_f32_f64_e32 v64, v[65:66]
	;; [unrolled: 1-line block ×4, first 2 shown]
	v_min3_f32 v63, v63, v64, v192
	v_min_f32_e32 v64, v65, v66
	v_min3_f32 v62, v62, v64, v63
	v_lshlrev_b64 v[64:65], 3, v[162:163]
	v_cvt_f64_f32_e32 v[62:63], v62
	v_add_co_u32 v64, vcc_lo, v58, v64
	v_add_co_ci_u32_e64 v65, null, v59, v65, vcc_lo
	flat_store_dwordx2 v[64:65], v[62:63]
	s_or_b32 exec_lo, exec_lo, s7
	s_and_b32 s12, s2, s4
	s_and_saveexec_b32 s7, s12
	s_cbranch_execz .LBB116_306
.LBB116_315:
	v_cmp_ne_u32_e32 vcc_lo, 1, v168
	s_cbranch_vccnz .LBB116_317
; %bb.316:
	v_lshlrev_b64 v[62:63], 3, v[164:165]
	v_add_co_u32 v62, vcc_lo, v60, v62
	v_add_co_ci_u32_e64 v63, null, v61, v63, vcc_lo
	flat_load_dwordx2 v[62:63], v[62:63]
	s_waitcnt vmcnt(0) lgkmcnt(0)
	v_mul_f64 v[62:63], s[10:11], v[62:63]
	v_cvt_f32_f64_e32 v62, v[62:63]
	s_branch .LBB116_318
.LBB116_317:
	v_mov_b32_e32 v62, 0
.LBB116_318:
	s_waitcnt lgkmcnt(5)
	v_add_f64 v[63:64], v[22:23], v[54:55]
	v_add_f64 v[65:66], v[24:25], v[56:57]
	s_waitcnt lgkmcnt(4)
	v_add_f64 v[67:68], v[18:19], v[50:51]
	v_add_f64 v[69:70], v[20:21], v[52:53]
	v_cvt_f32_f64_e32 v63, v[63:64]
	v_cvt_f32_f64_e32 v64, v[65:66]
	;; [unrolled: 1-line block ×4, first 2 shown]
	v_min3_f32 v63, v63, v64, v191
	v_min_f32_e32 v64, v65, v66
	v_min3_f32 v62, v62, v64, v63
	v_lshlrev_b64 v[64:65], 3, v[164:165]
	v_cvt_f64_f32_e32 v[62:63], v62
	v_add_co_u32 v64, vcc_lo, v58, v64
	v_add_co_ci_u32_e64 v65, null, v59, v65, vcc_lo
	flat_store_dwordx2 v[64:65], v[62:63]
	s_or_b32 exec_lo, exec_lo, s7
	s_and_b32 s7, s3, s4
	s_and_saveexec_b32 s4, s7
	s_cbranch_execz .LBB116_323
.LBB116_319:
	v_cmp_ne_u32_e32 vcc_lo, 1, v168
	s_cbranch_vccnz .LBB116_321
; %bb.320:
	v_lshlrev_b64 v[62:63], 3, v[166:167]
	v_add_co_u32 v60, vcc_lo, v60, v62
	v_add_co_ci_u32_e64 v61, null, v61, v63, vcc_lo
	flat_load_dwordx2 v[60:61], v[60:61]
	s_waitcnt vmcnt(0) lgkmcnt(0)
	v_mul_f64 v[60:61], s[10:11], v[60:61]
	v_cvt_f32_f64_e32 v60, v[60:61]
	s_branch .LBB116_322
.LBB116_321:
	v_mov_b32_e32 v60, 0
.LBB116_322:
	s_waitcnt lgkmcnt(5)
	v_add_f64 v[54:55], v[6:7], v[54:55]
	v_add_f64 v[56:57], v[8:9], v[56:57]
	s_waitcnt lgkmcnt(4)
	v_add_f64 v[50:51], v[2:3], v[50:51]
	v_add_f64 v[52:53], v[4:5], v[52:53]
	v_cvt_f32_f64_e32 v54, v[54:55]
	v_cvt_f32_f64_e32 v55, v[56:57]
	;; [unrolled: 1-line block ×4, first 2 shown]
	v_min3_f32 v52, v54, v55, v190
	v_min_f32_e32 v50, v50, v51
	v_min3_f32 v50, v60, v50, v52
	v_lshlrev_b64 v[52:53], 3, v[166:167]
	v_cvt_f64_f32_e32 v[50:51], v50
	v_add_co_u32 v52, vcc_lo, v58, v52
	v_add_co_ci_u32_e64 v53, null, v59, v53, vcc_lo
	flat_store_dwordx2 v[52:53], v[50:51]
.LBB116_323:
	s_or_b32 exec_lo, exec_lo, s4
	s_waitcnt lgkmcnt(5)
	v_add_nc_u32_e32 v54, 0x70, v169
	s_waitcnt lgkmcnt(4)
	v_mad_i64_i32 v[50:51], null, v54, s6, 0
	v_mad_i64_i32 v[52:53], null, v54, s5, 0
	v_cmp_gt_i32_e64 s4, s13, v54
	v_lshlrev_b64 v[50:51], 3, v[50:51]
	s_and_b32 s12, s0, s4
	v_lshlrev_b64 v[54:55], 3, v[52:53]
	v_add_co_u32 v52, vcc_lo, s18, v50
	v_add_co_ci_u32_e64 v53, null, s19, v51, vcc_lo
	v_add_co_u32 v50, vcc_lo, s8, v54
	v_add_co_ci_u32_e64 v51, null, s9, v55, vcc_lo
	s_and_saveexec_b32 s7, s12
	s_cbranch_execnz .LBB116_327
; %bb.324:
	s_or_b32 exec_lo, exec_lo, s7
	s_and_b32 s12, s1, s4
	s_and_saveexec_b32 s7, s12
	s_cbranch_execnz .LBB116_331
.LBB116_325:
	s_or_b32 exec_lo, exec_lo, s7
	s_and_b32 s12, s2, s4
	s_and_saveexec_b32 s7, s12
	s_cbranch_execnz .LBB116_335
.LBB116_326:
	s_or_b32 exec_lo, exec_lo, s7
	s_and_b32 s7, s3, s4
	s_and_saveexec_b32 s4, s7
	s_cbranch_execnz .LBB116_339
	s_branch .LBB116_343
.LBB116_327:
	v_cmp_ne_u32_e32 vcc_lo, 1, v168
	s_cbranch_vccnz .LBB116_329
; %bb.328:
	v_lshlrev_b64 v[54:55], 3, v[0:1]
	v_add_co_u32 v54, vcc_lo, v52, v54
	v_add_co_ci_u32_e64 v55, null, v53, v55, vcc_lo
	flat_load_dwordx2 v[54:55], v[54:55]
	s_waitcnt vmcnt(0) lgkmcnt(0)
	v_mul_f64 v[54:55], s[10:11], v[54:55]
	v_cvt_f32_f64_e32 v54, v[54:55]
	s_branch .LBB116_330
.LBB116_329:
	v_mov_b32_e32 v54, 0
.LBB116_330:
	s_waitcnt lgkmcnt(3)
	v_add_f64 v[55:56], v[38:39], v[46:47]
	v_add_f64 v[57:58], v[40:41], v[48:49]
	s_waitcnt lgkmcnt(2)
	v_add_f64 v[59:60], v[34:35], v[42:43]
	v_add_f64 v[61:62], v[36:37], v[44:45]
	v_cvt_f32_f64_e32 v55, v[55:56]
	v_cvt_f32_f64_e32 v56, v[57:58]
	;; [unrolled: 1-line block ×4, first 2 shown]
	v_min3_f32 v55, v55, v56, v189
	v_min_f32_e32 v56, v57, v58
	v_min3_f32 v54, v54, v56, v55
	v_lshlrev_b64 v[56:57], 3, v[0:1]
	v_cvt_f64_f32_e32 v[54:55], v54
	v_add_co_u32 v56, vcc_lo, v50, v56
	v_add_co_ci_u32_e64 v57, null, v51, v57, vcc_lo
	flat_store_dwordx2 v[56:57], v[54:55]
	s_or_b32 exec_lo, exec_lo, s7
	s_and_b32 s12, s1, s4
	s_and_saveexec_b32 s7, s12
	s_cbranch_execz .LBB116_325
.LBB116_331:
	v_cmp_ne_u32_e32 vcc_lo, 1, v168
	s_cbranch_vccnz .LBB116_333
; %bb.332:
	v_lshlrev_b64 v[54:55], 3, v[162:163]
	v_add_co_u32 v54, vcc_lo, v52, v54
	v_add_co_ci_u32_e64 v55, null, v53, v55, vcc_lo
	flat_load_dwordx2 v[54:55], v[54:55]
	s_waitcnt vmcnt(0) lgkmcnt(0)
	v_mul_f64 v[54:55], s[10:11], v[54:55]
	v_cvt_f32_f64_e32 v54, v[54:55]
	s_branch .LBB116_334
.LBB116_333:
	v_mov_b32_e32 v54, 0
.LBB116_334:
	s_waitcnt lgkmcnt(3)
	v_add_f64 v[55:56], v[26:27], v[46:47]
	v_add_f64 v[57:58], v[28:29], v[48:49]
	s_waitcnt lgkmcnt(2)
	v_add_f64 v[59:60], v[30:31], v[42:43]
	v_add_f64 v[61:62], v[32:33], v[44:45]
	v_cvt_f32_f64_e32 v55, v[55:56]
	v_cvt_f32_f64_e32 v56, v[57:58]
	;; [unrolled: 1-line block ×4, first 2 shown]
	v_min3_f32 v55, v55, v56, v188
	v_min_f32_e32 v56, v57, v58
	v_min3_f32 v54, v54, v56, v55
	v_lshlrev_b64 v[56:57], 3, v[162:163]
	v_cvt_f64_f32_e32 v[54:55], v54
	v_add_co_u32 v56, vcc_lo, v50, v56
	v_add_co_ci_u32_e64 v57, null, v51, v57, vcc_lo
	flat_store_dwordx2 v[56:57], v[54:55]
	s_or_b32 exec_lo, exec_lo, s7
	s_and_b32 s12, s2, s4
	s_and_saveexec_b32 s7, s12
	s_cbranch_execz .LBB116_326
.LBB116_335:
	v_cmp_ne_u32_e32 vcc_lo, 1, v168
	s_cbranch_vccnz .LBB116_337
; %bb.336:
	v_lshlrev_b64 v[54:55], 3, v[164:165]
	v_add_co_u32 v54, vcc_lo, v52, v54
	v_add_co_ci_u32_e64 v55, null, v53, v55, vcc_lo
	flat_load_dwordx2 v[54:55], v[54:55]
	s_waitcnt vmcnt(0) lgkmcnt(0)
	v_mul_f64 v[54:55], s[10:11], v[54:55]
	v_cvt_f32_f64_e32 v54, v[54:55]
	s_branch .LBB116_338
.LBB116_337:
	v_mov_b32_e32 v54, 0
.LBB116_338:
	s_waitcnt lgkmcnt(3)
	v_add_f64 v[55:56], v[22:23], v[46:47]
	v_add_f64 v[57:58], v[24:25], v[48:49]
	s_waitcnt lgkmcnt(2)
	v_add_f64 v[59:60], v[18:19], v[42:43]
	v_add_f64 v[61:62], v[20:21], v[44:45]
	v_cvt_f32_f64_e32 v55, v[55:56]
	v_cvt_f32_f64_e32 v56, v[57:58]
	;; [unrolled: 1-line block ×4, first 2 shown]
	v_min3_f32 v55, v55, v56, v187
	v_min_f32_e32 v56, v57, v58
	v_min3_f32 v54, v54, v56, v55
	v_lshlrev_b64 v[56:57], 3, v[164:165]
	v_cvt_f64_f32_e32 v[54:55], v54
	v_add_co_u32 v56, vcc_lo, v50, v56
	v_add_co_ci_u32_e64 v57, null, v51, v57, vcc_lo
	flat_store_dwordx2 v[56:57], v[54:55]
	s_or_b32 exec_lo, exec_lo, s7
	s_and_b32 s7, s3, s4
	s_and_saveexec_b32 s4, s7
	s_cbranch_execz .LBB116_343
.LBB116_339:
	v_cmp_ne_u32_e32 vcc_lo, 1, v168
	s_cbranch_vccnz .LBB116_341
; %bb.340:
	v_lshlrev_b64 v[54:55], 3, v[166:167]
	v_add_co_u32 v52, vcc_lo, v52, v54
	v_add_co_ci_u32_e64 v53, null, v53, v55, vcc_lo
	flat_load_dwordx2 v[52:53], v[52:53]
	s_waitcnt vmcnt(0) lgkmcnt(0)
	v_mul_f64 v[52:53], s[10:11], v[52:53]
	v_cvt_f32_f64_e32 v52, v[52:53]
	s_branch .LBB116_342
.LBB116_341:
	v_mov_b32_e32 v52, 0
.LBB116_342:
	s_waitcnt lgkmcnt(3)
	v_add_f64 v[46:47], v[6:7], v[46:47]
	v_add_f64 v[48:49], v[8:9], v[48:49]
	s_waitcnt lgkmcnt(2)
	v_add_f64 v[42:43], v[2:3], v[42:43]
	v_add_f64 v[44:45], v[4:5], v[44:45]
	v_cvt_f32_f64_e32 v46, v[46:47]
	v_cvt_f32_f64_e32 v47, v[48:49]
	;; [unrolled: 1-line block ×4, first 2 shown]
	v_min3_f32 v44, v46, v47, v186
	v_min_f32_e32 v42, v42, v43
	v_min3_f32 v42, v52, v42, v44
	v_lshlrev_b64 v[44:45], 3, v[166:167]
	v_cvt_f64_f32_e32 v[42:43], v42
	v_add_co_u32 v44, vcc_lo, v50, v44
	v_add_co_ci_u32_e64 v45, null, v51, v45, vcc_lo
	flat_store_dwordx2 v[44:45], v[42:43]
.LBB116_343:
	s_or_b32 exec_lo, exec_lo, s4
	s_waitcnt lgkmcnt(3)
	v_add_nc_u32_e32 v46, 0x78, v169
	s_waitcnt lgkmcnt(2)
	v_mad_i64_i32 v[42:43], null, v46, s6, 0
	v_mad_i64_i32 v[44:45], null, v46, s5, 0
	v_cmp_gt_i32_e64 s4, s13, v46
	v_lshlrev_b64 v[42:43], 3, v[42:43]
	s_and_b32 s5, s0, s4
	v_lshlrev_b64 v[46:47], 3, v[44:45]
	v_add_co_u32 v44, vcc_lo, s18, v42
	v_add_co_ci_u32_e64 v45, null, s19, v43, vcc_lo
	v_add_co_u32 v42, vcc_lo, s8, v46
	v_add_co_ci_u32_e64 v43, null, s9, v47, vcc_lo
	s_and_saveexec_b32 s0, s5
	s_cbranch_execnz .LBB116_348
; %bb.344:
	s_or_b32 exec_lo, exec_lo, s0
	s_and_b32 s1, s1, s4
	s_and_saveexec_b32 s0, s1
	s_cbranch_execnz .LBB116_352
.LBB116_345:
	s_or_b32 exec_lo, exec_lo, s0
	s_and_b32 s1, s2, s4
	s_and_saveexec_b32 s0, s1
	s_cbranch_execnz .LBB116_356
.LBB116_346:
	s_or_b32 exec_lo, exec_lo, s0
	s_and_b32 s0, s3, s4
	s_and_saveexec_b32 s1, s0
	s_cbranch_execnz .LBB116_360
.LBB116_347:
	s_endpgm
.LBB116_348:
	v_cmp_ne_u32_e32 vcc_lo, 1, v168
	v_lshlrev_b64 v[0:1], 3, v[0:1]
	s_cbranch_vccnz .LBB116_350
; %bb.349:
	v_add_co_u32 v46, vcc_lo, v44, v0
	v_add_co_ci_u32_e64 v47, null, v45, v1, vcc_lo
	flat_load_dwordx2 v[46:47], v[46:47]
	s_waitcnt vmcnt(0) lgkmcnt(0)
	v_mul_f64 v[46:47], s[10:11], v[46:47]
	v_cvt_f32_f64_e32 v46, v[46:47]
	s_branch .LBB116_351
.LBB116_350:
	v_mov_b32_e32 v46, 0
.LBB116_351:
	s_waitcnt lgkmcnt(1)
	v_add_f64 v[38:39], v[38:39], v[14:15]
	v_add_f64 v[40:41], v[40:41], v[16:17]
	s_waitcnt lgkmcnt(0)
	v_add_f64 v[34:35], v[34:35], v[10:11]
	v_add_f64 v[36:37], v[36:37], v[12:13]
	v_add_co_u32 v0, vcc_lo, v42, v0
	v_add_co_ci_u32_e64 v1, null, v43, v1, vcc_lo
	v_cvt_f32_f64_e32 v38, v[38:39]
	v_cvt_f32_f64_e32 v39, v[40:41]
	v_cvt_f32_f64_e32 v34, v[34:35]
	v_cvt_f32_f64_e32 v35, v[36:37]
	v_min3_f32 v36, v38, v39, v185
	v_min_f32_e32 v34, v34, v35
	v_min3_f32 v34, v46, v34, v36
	v_cvt_f64_f32_e32 v[34:35], v34
	flat_store_dwordx2 v[0:1], v[34:35]
	s_or_b32 exec_lo, exec_lo, s0
	s_and_b32 s1, s1, s4
	s_and_saveexec_b32 s0, s1
	s_cbranch_execz .LBB116_345
.LBB116_352:
	v_cmp_ne_u32_e32 vcc_lo, 1, v168
	v_lshlrev_b64 v[0:1], 3, v[162:163]
	s_cbranch_vccnz .LBB116_354
; %bb.353:
	v_add_co_u32 v34, vcc_lo, v44, v0
	v_add_co_ci_u32_e64 v35, null, v45, v1, vcc_lo
	flat_load_dwordx2 v[34:35], v[34:35]
	s_waitcnt vmcnt(0) lgkmcnt(0)
	v_mul_f64 v[34:35], s[10:11], v[34:35]
	v_cvt_f32_f64_e32 v34, v[34:35]
	s_branch .LBB116_355
.LBB116_354:
	v_mov_b32_e32 v34, 0
.LBB116_355:
	s_waitcnt lgkmcnt(1)
	v_add_f64 v[26:27], v[26:27], v[14:15]
	v_add_f64 v[28:29], v[28:29], v[16:17]
	s_waitcnt lgkmcnt(0)
	v_add_f64 v[30:31], v[30:31], v[10:11]
	v_add_f64 v[32:33], v[32:33], v[12:13]
	v_add_co_u32 v0, vcc_lo, v42, v0
	v_add_co_ci_u32_e64 v1, null, v43, v1, vcc_lo
	v_cvt_f32_f64_e32 v26, v[26:27]
	v_cvt_f32_f64_e32 v27, v[28:29]
	v_cvt_f32_f64_e32 v28, v[30:31]
	v_cvt_f32_f64_e32 v29, v[32:33]
	v_min3_f32 v26, v26, v27, v184
	v_min_f32_e32 v27, v28, v29
	v_min3_f32 v26, v34, v27, v26
	v_cvt_f64_f32_e32 v[26:27], v26
	flat_store_dwordx2 v[0:1], v[26:27]
	s_or_b32 exec_lo, exec_lo, s0
	s_and_b32 s1, s2, s4
	s_and_saveexec_b32 s0, s1
	s_cbranch_execz .LBB116_346
.LBB116_356:
	v_cmp_ne_u32_e32 vcc_lo, 1, v168
	v_lshlrev_b64 v[0:1], 3, v[164:165]
	s_cbranch_vccnz .LBB116_358
; %bb.357:
	v_add_co_u32 v26, vcc_lo, v44, v0
	v_add_co_ci_u32_e64 v27, null, v45, v1, vcc_lo
	flat_load_dwordx2 v[26:27], v[26:27]
	s_waitcnt vmcnt(0) lgkmcnt(0)
	v_mul_f64 v[26:27], s[10:11], v[26:27]
	v_cvt_f32_f64_e32 v26, v[26:27]
	s_branch .LBB116_359
.LBB116_358:
	v_mov_b32_e32 v26, 0
.LBB116_359:
	s_waitcnt lgkmcnt(1)
	v_add_f64 v[22:23], v[22:23], v[14:15]
	v_add_f64 v[24:25], v[24:25], v[16:17]
	s_waitcnt lgkmcnt(0)
	v_add_f64 v[18:19], v[18:19], v[10:11]
	v_add_f64 v[20:21], v[20:21], v[12:13]
	v_add_co_u32 v0, vcc_lo, v42, v0
	v_add_co_ci_u32_e64 v1, null, v43, v1, vcc_lo
	v_cvt_f32_f64_e32 v22, v[22:23]
	v_cvt_f32_f64_e32 v23, v[24:25]
	;; [unrolled: 1-line block ×4, first 2 shown]
	v_min3_f32 v20, v22, v23, v183
	v_min_f32_e32 v18, v18, v19
	v_min3_f32 v18, v26, v18, v20
	v_cvt_f64_f32_e32 v[18:19], v18
	flat_store_dwordx2 v[0:1], v[18:19]
	s_or_b32 exec_lo, exec_lo, s0
	s_and_b32 s0, s3, s4
	s_and_saveexec_b32 s1, s0
	s_cbranch_execz .LBB116_347
.LBB116_360:
	v_cmp_ne_u32_e32 vcc_lo, 1, v168
	v_lshlrev_b64 v[0:1], 3, v[166:167]
	s_cbranch_vccnz .LBB116_362
; %bb.361:
	v_add_co_u32 v18, vcc_lo, v44, v0
	v_add_co_ci_u32_e64 v19, null, v45, v1, vcc_lo
	flat_load_dwordx2 v[18:19], v[18:19]
	s_waitcnt vmcnt(0) lgkmcnt(0)
	v_mul_f64 v[18:19], s[10:11], v[18:19]
	v_cvt_f32_f64_e32 v18, v[18:19]
	s_branch .LBB116_363
.LBB116_362:
	v_mov_b32_e32 v18, 0
.LBB116_363:
	s_waitcnt lgkmcnt(1)
	v_add_f64 v[6:7], v[6:7], v[14:15]
	v_add_f64 v[8:9], v[8:9], v[16:17]
	s_waitcnt lgkmcnt(0)
	v_add_f64 v[2:3], v[2:3], v[10:11]
	v_add_f64 v[4:5], v[4:5], v[12:13]
	v_add_co_u32 v0, vcc_lo, v42, v0
	v_add_co_ci_u32_e64 v1, null, v43, v1, vcc_lo
	v_cvt_f32_f64_e32 v6, v[6:7]
	v_cvt_f32_f64_e32 v7, v[8:9]
	;; [unrolled: 1-line block ×4, first 2 shown]
	v_min3_f32 v4, v6, v7, v182
	v_min_f32_e32 v2, v2, v3
	v_min3_f32 v2, v18, v2, v4
	v_cvt_f64_f32_e32 v[2:3], v2
	flat_store_dwordx2 v[0:1], v[2:3]
	s_endpgm
	.section	.rodata,"a",@progbits
	.p2align	6, 0x0
	.amdhsa_kernel _ZN12_GLOBAL__N_120geam_min_plus_kernelId15HIP_vector_typeIdLj2EEdLi32ELi8ELi128ELi128ELi4ELi4ELi64ELi4ELi64ELc84ELc78ELb0ELb1ELb1EdKPKdKPdEEviiiT16_PT17_ilSA_ilS8_SA_ilPT18_ili26rocblas_geam_ex_operation_
		.amdhsa_group_segment_fixed_size 16384
		.amdhsa_private_segment_fixed_size 120
		.amdhsa_kernarg_size 136
		.amdhsa_user_sgpr_count 6
		.amdhsa_user_sgpr_private_segment_buffer 1
		.amdhsa_user_sgpr_dispatch_ptr 0
		.amdhsa_user_sgpr_queue_ptr 0
		.amdhsa_user_sgpr_kernarg_segment_ptr 1
		.amdhsa_user_sgpr_dispatch_id 0
		.amdhsa_user_sgpr_flat_scratch_init 0
		.amdhsa_user_sgpr_private_segment_size 0
		.amdhsa_wavefront_size32 1
		.amdhsa_uses_dynamic_stack 0
		.amdhsa_system_sgpr_private_segment_wavefront_offset 1
		.amdhsa_system_sgpr_workgroup_id_x 1
		.amdhsa_system_sgpr_workgroup_id_y 0
		.amdhsa_system_sgpr_workgroup_id_z 1
		.amdhsa_system_sgpr_workgroup_info 0
		.amdhsa_system_vgpr_workitem_id 1
		.amdhsa_next_free_vgpr 256
		.amdhsa_next_free_sgpr 40
		.amdhsa_reserve_vcc 1
		.amdhsa_reserve_flat_scratch 0
		.amdhsa_float_round_mode_32 0
		.amdhsa_float_round_mode_16_64 0
		.amdhsa_float_denorm_mode_32 3
		.amdhsa_float_denorm_mode_16_64 3
		.amdhsa_dx10_clamp 1
		.amdhsa_ieee_mode 1
		.amdhsa_fp16_overflow 0
		.amdhsa_workgroup_processor_mode 1
		.amdhsa_memory_ordered 1
		.amdhsa_forward_progress 1
		.amdhsa_shared_vgpr_count 0
		.amdhsa_exception_fp_ieee_invalid_op 0
		.amdhsa_exception_fp_denorm_src 0
		.amdhsa_exception_fp_ieee_div_zero 0
		.amdhsa_exception_fp_ieee_overflow 0
		.amdhsa_exception_fp_ieee_underflow 0
		.amdhsa_exception_fp_ieee_inexact 0
		.amdhsa_exception_int_div_zero 0
	.end_amdhsa_kernel
	.section	.text._ZN12_GLOBAL__N_120geam_min_plus_kernelId15HIP_vector_typeIdLj2EEdLi32ELi8ELi128ELi128ELi4ELi4ELi64ELi4ELi64ELc84ELc78ELb0ELb1ELb1EdKPKdKPdEEviiiT16_PT17_ilSA_ilS8_SA_ilPT18_ili26rocblas_geam_ex_operation_,"axG",@progbits,_ZN12_GLOBAL__N_120geam_min_plus_kernelId15HIP_vector_typeIdLj2EEdLi32ELi8ELi128ELi128ELi4ELi4ELi64ELi4ELi64ELc84ELc78ELb0ELb1ELb1EdKPKdKPdEEviiiT16_PT17_ilSA_ilS8_SA_ilPT18_ili26rocblas_geam_ex_operation_,comdat
.Lfunc_end116:
	.size	_ZN12_GLOBAL__N_120geam_min_plus_kernelId15HIP_vector_typeIdLj2EEdLi32ELi8ELi128ELi128ELi4ELi4ELi64ELi4ELi64ELc84ELc78ELb0ELb1ELb1EdKPKdKPdEEviiiT16_PT17_ilSA_ilS8_SA_ilPT18_ili26rocblas_geam_ex_operation_, .Lfunc_end116-_ZN12_GLOBAL__N_120geam_min_plus_kernelId15HIP_vector_typeIdLj2EEdLi32ELi8ELi128ELi128ELi4ELi4ELi64ELi4ELi64ELc84ELc78ELb0ELb1ELb1EdKPKdKPdEEviiiT16_PT17_ilSA_ilS8_SA_ilPT18_ili26rocblas_geam_ex_operation_
                                        ; -- End function
	.set _ZN12_GLOBAL__N_120geam_min_plus_kernelId15HIP_vector_typeIdLj2EEdLi32ELi8ELi128ELi128ELi4ELi4ELi64ELi4ELi64ELc84ELc78ELb0ELb1ELb1EdKPKdKPdEEviiiT16_PT17_ilSA_ilS8_SA_ilPT18_ili26rocblas_geam_ex_operation_.num_vgpr, 256
	.set _ZN12_GLOBAL__N_120geam_min_plus_kernelId15HIP_vector_typeIdLj2EEdLi32ELi8ELi128ELi128ELi4ELi4ELi64ELi4ELi64ELc84ELc78ELb0ELb1ELb1EdKPKdKPdEEviiiT16_PT17_ilSA_ilS8_SA_ilPT18_ili26rocblas_geam_ex_operation_.num_agpr, 0
	.set _ZN12_GLOBAL__N_120geam_min_plus_kernelId15HIP_vector_typeIdLj2EEdLi32ELi8ELi128ELi128ELi4ELi4ELi64ELi4ELi64ELc84ELc78ELb0ELb1ELb1EdKPKdKPdEEviiiT16_PT17_ilSA_ilS8_SA_ilPT18_ili26rocblas_geam_ex_operation_.numbered_sgpr, 40
	.set _ZN12_GLOBAL__N_120geam_min_plus_kernelId15HIP_vector_typeIdLj2EEdLi32ELi8ELi128ELi128ELi4ELi4ELi64ELi4ELi64ELc84ELc78ELb0ELb1ELb1EdKPKdKPdEEviiiT16_PT17_ilSA_ilS8_SA_ilPT18_ili26rocblas_geam_ex_operation_.num_named_barrier, 0
	.set _ZN12_GLOBAL__N_120geam_min_plus_kernelId15HIP_vector_typeIdLj2EEdLi32ELi8ELi128ELi128ELi4ELi4ELi64ELi4ELi64ELc84ELc78ELb0ELb1ELb1EdKPKdKPdEEviiiT16_PT17_ilSA_ilS8_SA_ilPT18_ili26rocblas_geam_ex_operation_.private_seg_size, 120
	.set _ZN12_GLOBAL__N_120geam_min_plus_kernelId15HIP_vector_typeIdLj2EEdLi32ELi8ELi128ELi128ELi4ELi4ELi64ELi4ELi64ELc84ELc78ELb0ELb1ELb1EdKPKdKPdEEviiiT16_PT17_ilSA_ilS8_SA_ilPT18_ili26rocblas_geam_ex_operation_.uses_vcc, 1
	.set _ZN12_GLOBAL__N_120geam_min_plus_kernelId15HIP_vector_typeIdLj2EEdLi32ELi8ELi128ELi128ELi4ELi4ELi64ELi4ELi64ELc84ELc78ELb0ELb1ELb1EdKPKdKPdEEviiiT16_PT17_ilSA_ilS8_SA_ilPT18_ili26rocblas_geam_ex_operation_.uses_flat_scratch, 0
	.set _ZN12_GLOBAL__N_120geam_min_plus_kernelId15HIP_vector_typeIdLj2EEdLi32ELi8ELi128ELi128ELi4ELi4ELi64ELi4ELi64ELc84ELc78ELb0ELb1ELb1EdKPKdKPdEEviiiT16_PT17_ilSA_ilS8_SA_ilPT18_ili26rocblas_geam_ex_operation_.has_dyn_sized_stack, 0
	.set _ZN12_GLOBAL__N_120geam_min_plus_kernelId15HIP_vector_typeIdLj2EEdLi32ELi8ELi128ELi128ELi4ELi4ELi64ELi4ELi64ELc84ELc78ELb0ELb1ELb1EdKPKdKPdEEviiiT16_PT17_ilSA_ilS8_SA_ilPT18_ili26rocblas_geam_ex_operation_.has_recursion, 0
	.set _ZN12_GLOBAL__N_120geam_min_plus_kernelId15HIP_vector_typeIdLj2EEdLi32ELi8ELi128ELi128ELi4ELi4ELi64ELi4ELi64ELc84ELc78ELb0ELb1ELb1EdKPKdKPdEEviiiT16_PT17_ilSA_ilS8_SA_ilPT18_ili26rocblas_geam_ex_operation_.has_indirect_call, 0
	.section	.AMDGPU.csdata,"",@progbits
; Kernel info:
; codeLenInByte = 31844
; TotalNumSgprs: 42
; NumVgprs: 256
; ScratchSize: 120
; MemoryBound: 0
; FloatMode: 240
; IeeeMode: 1
; LDSByteSize: 16384 bytes/workgroup (compile time only)
; SGPRBlocks: 0
; VGPRBlocks: 31
; NumSGPRsForWavesPerEU: 42
; NumVGPRsForWavesPerEU: 256
; Occupancy: 4
; WaveLimiterHint : 1
; COMPUTE_PGM_RSRC2:SCRATCH_EN: 1
; COMPUTE_PGM_RSRC2:USER_SGPR: 6
; COMPUTE_PGM_RSRC2:TRAP_HANDLER: 0
; COMPUTE_PGM_RSRC2:TGID_X_EN: 1
; COMPUTE_PGM_RSRC2:TGID_Y_EN: 0
; COMPUTE_PGM_RSRC2:TGID_Z_EN: 1
; COMPUTE_PGM_RSRC2:TIDIG_COMP_CNT: 1
	.section	.text._ZN12_GLOBAL__N_120geam_min_plus_kernelId15HIP_vector_typeIdLj2EEdLi8ELi32ELi64ELi256ELi4ELi64ELi4ELi64ELi4ELc78ELc84ELb0ELb0ELb1EPKdKS4_KPdEEviiiT16_PT17_ilSA_ilS8_SA_ilPT18_ili26rocblas_geam_ex_operation_,"axG",@progbits,_ZN12_GLOBAL__N_120geam_min_plus_kernelId15HIP_vector_typeIdLj2EEdLi8ELi32ELi64ELi256ELi4ELi64ELi4ELi64ELi4ELc78ELc84ELb0ELb0ELb1EPKdKS4_KPdEEviiiT16_PT17_ilSA_ilS8_SA_ilPT18_ili26rocblas_geam_ex_operation_,comdat
	.globl	_ZN12_GLOBAL__N_120geam_min_plus_kernelId15HIP_vector_typeIdLj2EEdLi8ELi32ELi64ELi256ELi4ELi64ELi4ELi64ELi4ELc78ELc84ELb0ELb0ELb1EPKdKS4_KPdEEviiiT16_PT17_ilSA_ilS8_SA_ilPT18_ili26rocblas_geam_ex_operation_ ; -- Begin function _ZN12_GLOBAL__N_120geam_min_plus_kernelId15HIP_vector_typeIdLj2EEdLi8ELi32ELi64ELi256ELi4ELi64ELi4ELi64ELi4ELc78ELc84ELb0ELb0ELb1EPKdKS4_KPdEEviiiT16_PT17_ilSA_ilS8_SA_ilPT18_ili26rocblas_geam_ex_operation_
	.p2align	8
	.type	_ZN12_GLOBAL__N_120geam_min_plus_kernelId15HIP_vector_typeIdLj2EEdLi8ELi32ELi64ELi256ELi4ELi64ELi4ELi64ELi4ELc78ELc84ELb0ELb0ELb1EPKdKS4_KPdEEviiiT16_PT17_ilSA_ilS8_SA_ilPT18_ili26rocblas_geam_ex_operation_,@function
_ZN12_GLOBAL__N_120geam_min_plus_kernelId15HIP_vector_typeIdLj2EEdLi8ELi32ELi64ELi256ELi4ELi64ELi4ELi64ELi4ELc78ELc84ELb0ELb0ELb1EPKdKS4_KPdEEviiiT16_PT17_ilSA_ilS8_SA_ilPT18_ili26rocblas_geam_ex_operation_: ; @_ZN12_GLOBAL__N_120geam_min_plus_kernelId15HIP_vector_typeIdLj2EEdLi8ELi32ELi64ELi256ELi4ELi64ELi4ELi64ELi4ELc78ELc84ELb0ELb0ELb1EPKdKS4_KPdEEviiiT16_PT17_ilSA_ilS8_SA_ilPT18_ili26rocblas_geam_ex_operation_
; %bb.0:
	s_load_dwordx4 s[12:15], s[4:5], 0x10
	s_mov_b32 s0, s7
	s_mov_b32 s1, 0
	s_load_dwordx2 s[24:25], s[4:5], 0x50
	s_lshl_b64 s[22:23], s[0:1], 3
	s_load_dwordx4 s[0:3], s[4:5], 0x28
	s_mov_b64 s[18:19], 0
	s_mov_b64 s[20:21], 0
	s_waitcnt lgkmcnt(0)
	s_add_u32 s8, s12, s22
	s_addc_u32 s9, s13, s23
	s_load_dwordx2 s[16:17], s[8:9], 0x0
	s_load_dwordx4 s[8:11], s[4:5], 0x40
	s_waitcnt lgkmcnt(0)
	v_cmp_eq_f64_e64 s12, s[16:17], 0
	v_cmp_neq_f64_e64 s7, s[16:17], 0
	s_add_u32 s10, s10, s22
	s_addc_u32 s11, s11, s23
	s_and_b32 vcc_lo, exec_lo, s12
	s_cbranch_vccnz .LBB117_2
; %bb.1:
	s_add_u32 s12, s14, s22
	s_addc_u32 s13, s15, s23
	s_lshl_b64 s[0:1], s[0:1], 3
	s_load_dwordx2 s[12:13], s[12:13], 0x0
	s_waitcnt lgkmcnt(0)
	s_add_u32 s20, s12, s0
	s_addc_u32 s21, s13, s1
.LBB117_2:
	s_load_dwordx2 s[12:13], s[10:11], 0x0
	v_cndmask_b32_e64 v2, 0, 1, s7
	s_andn2_b32 vcc_lo, exec_lo, s7
	v_cmp_ne_u32_e64 s1, 1, v2
	s_cbranch_vccnz .LBB117_4
; %bb.3:
	s_add_u32 s2, s2, s22
	s_addc_u32 s3, s3, s23
	s_lshl_b64 s[8:9], s[8:9], 3
	s_load_dwordx2 s[2:3], s[2:3], 0x0
	s_waitcnt lgkmcnt(0)
	s_add_u32 s18, s2, s8
	s_addc_u32 s19, s3, s9
.LBB117_4:
	s_waitcnt lgkmcnt(0)
	v_cmp_eq_f64_e64 s0, s[12:13], 0
	s_load_dwordx4 s[8:11], s[4:5], 0x60
	s_mov_b64 s[2:3], 0
	s_and_b32 s0, exec_lo, s0
	s_mov_b32 vcc_lo, s0
	s_cbranch_vccnz .LBB117_6
; %bb.5:
	s_add_u32 s2, s24, s22
	s_addc_u32 s3, s25, s23
	s_waitcnt lgkmcnt(0)
	s_lshl_b64 s[8:9], s[8:9], 3
	s_load_dwordx2 s[2:3], s[2:3], 0x0
	s_waitcnt lgkmcnt(0)
	s_add_u32 s2, s2, s8
	s_addc_u32 s3, s3, s9
.LBB117_6:
	s_clause 0x1
	s_load_dword s14, s[4:5], 0x20
	s_load_dword s7, s[4:5], 0x0
	v_mov_b32_e32 v4, 0
	v_mov_b32_e32 v5, 0
	s_waitcnt lgkmcnt(0)
	s_ashr_i32 s15, s14, 31
	s_add_u32 s8, s10, s22
	s_addc_u32 s9, s11, s23
	s_add_i32 s7, s7, -1
	s_ashr_i32 s10, s7, 31
	s_lshr_b32 s10, s10, 26
	s_add_i32 s7, s7, s10
	s_ashr_i32 s7, s7, 6
	s_add_i32 s10, s7, 1
	s_not_b32 s7, s7
	v_cvt_f32_u32_e32 v2, s10
	v_rcp_iflag_f32_e32 v2, v2
	v_mul_f32_e32 v2, 0x4f7ffffe, v2
	v_cvt_u32_f32_e32 v2, v2
	v_readfirstlane_b32 s11, v2
	v_lshl_add_u32 v2, v1, 3, v0
	s_mul_i32 s7, s7, s11
	v_and_b32_e32 v77, 63, v2
	s_mul_hi_u32 s7, s11, s7
	v_lshrrev_b32_e32 v76, 6, v2
	s_add_i32 s11, s11, s7
	v_mov_b32_e32 v2, 0
	s_mul_hi_u32 s7, s6, s11
	v_mov_b32_e32 v3, 0
	s_mul_i32 s11, s7, s10
	s_add_i32 s22, s7, 1
	s_sub_i32 s11, s6, s11
	s_sub_i32 s23, s11, s10
	s_cmp_ge_u32 s11, s10
	s_cselect_b32 s7, s22, s7
	s_cselect_b32 s11, s23, s11
	s_add_i32 s22, s7, 1
	s_cmp_ge_u32 s11, s10
	s_cselect_b32 s11, s22, s7
	s_and_b32 vcc_lo, exec_lo, s1
	s_mul_i32 s7, s11, s10
	s_sub_i32 s10, s6, s7
	s_lshl_b32 s22, s10, 6
	v_or_b32_e32 v10, s22, v77
	v_ashrrev_i32_e32 v11, 31, v10
	s_cbranch_vccnz .LBB117_8
; %bb.7:
	v_mad_i64_i32 v[4:5], null, s14, v76, 0
	v_lshlrev_b64 v[6:7], 3, v[10:11]
	v_lshlrev_b64 v[4:5], 3, v[4:5]
	v_add_co_u32 v4, vcc_lo, s20, v4
	v_add_co_ci_u32_e64 v5, null, s21, v5, vcc_lo
	v_add_co_u32 v4, vcc_lo, v4, v6
	v_add_co_ci_u32_e64 v5, null, v5, v7, vcc_lo
	flat_load_dwordx2 v[4:5], v[4:5]
	s_waitcnt vmcnt(0) lgkmcnt(0)
	v_mul_f64 v[4:5], s[16:17], v[4:5]
.LBB117_8:
	s_load_dword s10, s[4:5], 0x38
	s_lshl_b32 s23, s11, 8
	v_or_b32_e32 v8, s23, v77
	v_ashrrev_i32_e32 v9, 31, v8
	s_waitcnt lgkmcnt(0)
	v_mad_i64_i32 v[6:7], null, v76, s10, 0
	s_ashr_i32 s11, s10, 31
	v_lshlrev_b64 v[12:13], 3, v[6:7]
	v_mov_b32_e32 v6, 0
	v_mov_b32_e32 v7, 0
	v_add_co_u32 v16, vcc_lo, s18, v12
	v_add_co_ci_u32_e64 v17, null, s19, v13, vcc_lo
	s_and_b32 vcc_lo, exec_lo, s1
	s_cbranch_vccnz .LBB117_10
; %bb.9:
	v_lshlrev_b64 v[2:3], 3, v[8:9]
	v_add_co_u32 v2, vcc_lo, v16, v2
	v_add_co_ci_u32_e64 v3, null, v17, v3, vcc_lo
	s_clause 0x1
	flat_load_dwordx2 v[6:7], v[2:3]
	flat_load_dwordx2 v[12:13], v[2:3] offset:512
	s_waitcnt vmcnt(1) lgkmcnt(1)
	v_mul_f64 v[2:3], s[16:17], v[6:7]
	s_waitcnt vmcnt(0) lgkmcnt(0)
	v_mul_f64 v[6:7], s[16:17], v[12:13]
.LBB117_10:
	v_mov_b32_e32 v70, 0
	v_mov_b32_e32 v12, 0
	;; [unrolled: 1-line block ×6, first 2 shown]
	s_and_b32 vcc_lo, exec_lo, s1
	s_cbranch_vccnz .LBB117_12
; %bb.11:
	v_lshlrev_b64 v[12:13], 3, v[8:9]
	v_add_co_u32 v12, vcc_lo, v16, v12
	v_add_co_ci_u32_e64 v13, null, v17, v13, vcc_lo
	s_clause 0x1
	flat_load_dwordx2 v[14:15], v[12:13] offset:1024
	flat_load_dwordx2 v[16:17], v[12:13] offset:1536
	s_waitcnt vmcnt(1) lgkmcnt(1)
	v_mul_f64 v[12:13], s[16:17], v[14:15]
	s_waitcnt vmcnt(0) lgkmcnt(0)
	v_mul_f64 v[14:15], s[16:17], v[16:17]
.LBB117_12:
	v_add_nc_u32_e32 v16, 4, v76
	s_and_b32 vcc_lo, exec_lo, s1
	s_cbranch_vccnz .LBB117_14
; %bb.13:
	v_mad_i64_i32 v[17:18], null, s14, v16, 0
	v_lshlrev_b64 v[10:11], 3, v[10:11]
	v_lshlrev_b64 v[17:18], 3, v[17:18]
	v_add_co_u32 v17, vcc_lo, s20, v17
	v_add_co_ci_u32_e64 v18, null, s21, v18, vcc_lo
	v_add_co_u32 v10, vcc_lo, v17, v10
	v_add_co_ci_u32_e64 v11, null, v18, v11, vcc_lo
	flat_load_dwordx2 v[10:11], v[10:11]
	s_waitcnt vmcnt(0) lgkmcnt(0)
	v_mul_f64 v[70:71], s[16:17], v[10:11]
.LBB117_14:
	v_mad_i64_i32 v[10:11], null, v16, s10, 0
	v_mov_b32_e32 v66, 0
	v_mov_b32_e32 v72, 0
	;; [unrolled: 1-line block ×6, first 2 shown]
	v_lshlrev_b64 v[10:11], 3, v[10:11]
	v_add_co_u32 v10, vcc_lo, s18, v10
	v_add_co_ci_u32_e64 v11, null, s19, v11, vcc_lo
	s_and_b32 vcc_lo, exec_lo, s1
	s_cbranch_vccnz .LBB117_16
; %bb.15:
	v_lshlrev_b64 v[16:17], 3, v[8:9]
	v_add_co_u32 v16, vcc_lo, v10, v16
	v_add_co_ci_u32_e64 v17, null, v11, v17, vcc_lo
	s_clause 0x1
	flat_load_dwordx2 v[18:19], v[16:17]
	flat_load_dwordx2 v[16:17], v[16:17] offset:512
	s_waitcnt vmcnt(1) lgkmcnt(1)
	v_mul_f64 v[72:73], s[16:17], v[18:19]
	s_waitcnt vmcnt(0) lgkmcnt(0)
	v_mul_f64 v[74:75], s[16:17], v[16:17]
.LBB117_16:
	v_mov_b32_e32 v68, 0
	v_mov_b32_e32 v69, 0
	s_and_b32 vcc_lo, exec_lo, s1
	s_cbranch_vccnz .LBB117_18
; %bb.17:
	v_lshlrev_b64 v[8:9], 3, v[8:9]
	v_add_co_u32 v8, vcc_lo, v10, v8
	v_add_co_ci_u32_e64 v9, null, v11, v9, vcc_lo
	s_clause 0x1
	flat_load_dwordx2 v[10:11], v[8:9] offset:1024
	flat_load_dwordx2 v[8:9], v[8:9] offset:1536
	s_waitcnt vmcnt(1) lgkmcnt(1)
	v_mul_f64 v[66:67], s[16:17], v[10:11]
	s_waitcnt vmcnt(0) lgkmcnt(0)
	v_mul_f64 v[68:69], s[16:17], v[8:9]
.LBB117_18:
	v_lshlrev_b32_e32 v8, 5, v77
	v_lshlrev_b32_e32 v151, 5, v0
	s_load_dwordx2 s[8:9], s[8:9], 0x0
	s_load_dword s24, s[4:5], 0x8
	v_lshlrev_b32_e32 v150, 5, v1
	v_lshl_add_u32 v152, v76, 3, v8
	ds_write_b64 v152, v[4:5] offset:16384
	ds_write2st64_b64 v152, v[2:3], v[6:7] offset1:4
	ds_write2st64_b64 v152, v[12:13], v[14:15] offset0:8 offset1:12
	s_waitcnt lgkmcnt(0)
	s_barrier
	buffer_gl0_inv
	ds_read_b128 v[10:13], v151 offset:16640
	ds_read_b128 v[14:17], v151 offset:16896
	;; [unrolled: 1-line block ×16, first 2 shown]
	ds_read_b128 v[82:85], v150
	ds_read_b128 v[6:9], v150 offset:16
	s_cmp_lt_i32 s24, 9
	s_waitcnt lgkmcnt(1)
	v_add_f64 v[86:87], v[80:81], v[84:85]
	v_add_f64 v[88:89], v[78:79], v[82:83]
	s_waitcnt lgkmcnt(0)
	v_add_f64 v[142:143], v[4:5], v[8:9]
	v_add_f64 v[144:145], v[2:3], v[6:7]
	v_cvt_f32_f64_e32 v86, v[86:87]
	v_cvt_f32_f64_e32 v88, v[88:89]
	;; [unrolled: 1-line block ×4, first 2 shown]
	v_min3_f32 v141, v88, v86, 0x7f800000
	v_add_f64 v[86:87], v[12:13], v[84:85]
	v_add_f64 v[88:89], v[10:11], v[82:83]
	v_min3_f32 v226, v144, v142, v141
	v_cvt_f32_f64_e32 v86, v[86:87]
	v_cvt_f32_f64_e32 v88, v[88:89]
	v_min3_f32 v140, v88, v86, 0x7f800000
	v_add_f64 v[86:87], v[16:17], v[84:85]
	v_add_f64 v[88:89], v[14:15], v[82:83]
	v_cvt_f32_f64_e32 v86, v[86:87]
	v_cvt_f32_f64_e32 v88, v[88:89]
	v_min3_f32 v139, v88, v86, 0x7f800000
	v_add_f64 v[86:87], v[20:21], v[84:85]
	v_add_f64 v[88:89], v[18:19], v[82:83]
	;; [unrolled: 5-line block ×5, first 2 shown]
	v_add_f64 v[84:85], v[36:37], v[84:85]
	v_add_f64 v[82:83], v[34:35], v[82:83]
	v_cvt_f32_f64_e32 v86, v[86:87]
	v_cvt_f32_f64_e32 v88, v[88:89]
	v_cvt_f32_f64_e32 v82, v[82:83]
	v_cvt_f32_f64_e32 v83, v[84:85]
	v_add_f64 v[84:85], v[78:79], v[38:39]
	v_min3_f32 v135, v88, v86, 0x7f800000
	v_min3_f32 v134, v82, v83, 0x7f800000
	v_add_f64 v[82:83], v[80:81], v[40:41]
	v_cvt_f32_f64_e32 v84, v[84:85]
	v_cvt_f32_f64_e32 v82, v[82:83]
	v_min3_f32 v133, v84, v82, 0x7f800000
	v_add_f64 v[82:83], v[12:13], v[40:41]
	v_add_f64 v[84:85], v[10:11], v[38:39]
	v_cvt_f32_f64_e32 v82, v[82:83]
	v_cvt_f32_f64_e32 v84, v[84:85]
	v_min3_f32 v132, v84, v82, 0x7f800000
	v_add_f64 v[82:83], v[16:17], v[40:41]
	;; [unrolled: 5-line block ×6, first 2 shown]
	v_add_f64 v[84:85], v[30:31], v[38:39]
	v_add_f64 v[40:41], v[36:37], v[40:41]
	;; [unrolled: 1-line block ×3, first 2 shown]
	v_cvt_f32_f64_e32 v82, v[82:83]
	v_cvt_f32_f64_e32 v84, v[84:85]
	;; [unrolled: 1-line block ×4, first 2 shown]
	v_add_f64 v[40:41], v[78:79], v[42:43]
	v_min3_f32 v127, v84, v82, 0x7f800000
	v_min3_f32 v126, v38, v39, 0x7f800000
	v_add_f64 v[38:39], v[80:81], v[44:45]
	v_cvt_f32_f64_e32 v40, v[40:41]
	v_cvt_f32_f64_e32 v38, v[38:39]
	v_min3_f32 v125, v40, v38, 0x7f800000
	v_add_f64 v[38:39], v[12:13], v[44:45]
	v_add_f64 v[40:41], v[10:11], v[42:43]
	v_cvt_f32_f64_e32 v38, v[38:39]
	v_cvt_f32_f64_e32 v40, v[40:41]
	v_min3_f32 v124, v40, v38, 0x7f800000
	v_add_f64 v[38:39], v[16:17], v[44:45]
	v_add_f64 v[40:41], v[14:15], v[42:43]
	v_cvt_f32_f64_e32 v38, v[38:39]
	v_cvt_f32_f64_e32 v40, v[40:41]
	v_min3_f32 v123, v40, v38, 0x7f800000
	v_add_f64 v[38:39], v[20:21], v[44:45]
	v_add_f64 v[40:41], v[18:19], v[42:43]
	v_cvt_f32_f64_e32 v38, v[38:39]
	v_cvt_f32_f64_e32 v40, v[40:41]
	v_min3_f32 v122, v40, v38, 0x7f800000
	v_add_f64 v[38:39], v[24:25], v[44:45]
	v_add_f64 v[40:41], v[22:23], v[42:43]
	v_cvt_f32_f64_e32 v38, v[38:39]
	v_cvt_f32_f64_e32 v40, v[40:41]
	v_min3_f32 v121, v40, v38, 0x7f800000
	v_add_f64 v[38:39], v[28:29], v[44:45]
	v_add_f64 v[40:41], v[26:27], v[42:43]
	v_cvt_f32_f64_e32 v38, v[38:39]
	v_cvt_f32_f64_e32 v40, v[40:41]
	v_min3_f32 v120, v40, v38, 0x7f800000
	v_add_f64 v[38:39], v[32:33], v[44:45]
	v_add_f64 v[40:41], v[30:31], v[42:43]
	v_cvt_f32_f64_e32 v38, v[38:39]
	v_cvt_f32_f64_e32 v40, v[40:41]
	v_min3_f32 v119, v40, v38, 0x7f800000
	v_add_f64 v[38:39], v[36:37], v[44:45]
	v_add_f64 v[40:41], v[34:35], v[42:43]
	v_cvt_f32_f64_e32 v38, v[38:39]
	v_cvt_f32_f64_e32 v40, v[40:41]
	v_min3_f32 v118, v40, v38, 0x7f800000
	v_add_f64 v[38:39], v[80:81], v[48:49]
	v_add_f64 v[40:41], v[78:79], v[46:47]
	v_cvt_f32_f64_e32 v38, v[38:39]
	v_cvt_f32_f64_e32 v40, v[40:41]
	v_min3_f32 v117, v40, v38, 0x7f800000
	v_add_f64 v[38:39], v[12:13], v[48:49]
	v_add_f64 v[40:41], v[10:11], v[46:47]
	v_cvt_f32_f64_e32 v38, v[38:39]
	v_cvt_f32_f64_e32 v40, v[40:41]
	v_min3_f32 v116, v40, v38, 0x7f800000
	v_add_f64 v[38:39], v[16:17], v[48:49]
	v_add_f64 v[40:41], v[14:15], v[46:47]
	v_cvt_f32_f64_e32 v38, v[38:39]
	v_cvt_f32_f64_e32 v40, v[40:41]
	v_min3_f32 v115, v40, v38, 0x7f800000
	v_add_f64 v[38:39], v[20:21], v[48:49]
	v_add_f64 v[40:41], v[18:19], v[46:47]
	v_cvt_f32_f64_e32 v38, v[38:39]
	v_cvt_f32_f64_e32 v40, v[40:41]
	v_min3_f32 v114, v40, v38, 0x7f800000
	v_add_f64 v[38:39], v[24:25], v[48:49]
	v_add_f64 v[40:41], v[22:23], v[46:47]
	v_cvt_f32_f64_e32 v38, v[38:39]
	v_cvt_f32_f64_e32 v40, v[40:41]
	v_min3_f32 v113, v40, v38, 0x7f800000
	v_add_f64 v[38:39], v[28:29], v[48:49]
	v_add_f64 v[40:41], v[26:27], v[46:47]
	v_cvt_f32_f64_e32 v38, v[38:39]
	v_cvt_f32_f64_e32 v40, v[40:41]
	v_min3_f32 v112, v40, v38, 0x7f800000
	v_add_f64 v[38:39], v[32:33], v[48:49]
	v_add_f64 v[40:41], v[30:31], v[46:47]
	v_cvt_f32_f64_e32 v38, v[38:39]
	v_cvt_f32_f64_e32 v40, v[40:41]
	v_min3_f32 v111, v40, v38, 0x7f800000
	v_add_f64 v[38:39], v[36:37], v[48:49]
	v_add_f64 v[40:41], v[34:35], v[46:47]
	v_cvt_f32_f64_e32 v38, v[38:39]
	v_cvt_f32_f64_e32 v40, v[40:41]
	v_min3_f32 v110, v40, v38, 0x7f800000
	v_add_f64 v[38:39], v[80:81], v[52:53]
	v_add_f64 v[40:41], v[78:79], v[50:51]
	v_cvt_f32_f64_e32 v38, v[38:39]
	v_cvt_f32_f64_e32 v40, v[40:41]
	v_min3_f32 v109, v40, v38, 0x7f800000
	v_add_f64 v[38:39], v[12:13], v[52:53]
	v_add_f64 v[40:41], v[10:11], v[50:51]
	v_cvt_f32_f64_e32 v38, v[38:39]
	v_cvt_f32_f64_e32 v40, v[40:41]
	v_min3_f32 v108, v40, v38, 0x7f800000
	v_add_f64 v[38:39], v[16:17], v[52:53]
	v_add_f64 v[40:41], v[14:15], v[50:51]
	v_cvt_f32_f64_e32 v38, v[38:39]
	v_cvt_f32_f64_e32 v40, v[40:41]
	v_min3_f32 v107, v40, v38, 0x7f800000
	v_add_f64 v[38:39], v[20:21], v[52:53]
	v_add_f64 v[40:41], v[18:19], v[50:51]
	v_cvt_f32_f64_e32 v38, v[38:39]
	v_cvt_f32_f64_e32 v40, v[40:41]
	v_min3_f32 v106, v40, v38, 0x7f800000
	v_add_f64 v[38:39], v[24:25], v[52:53]
	v_add_f64 v[40:41], v[22:23], v[50:51]
	v_cvt_f32_f64_e32 v38, v[38:39]
	v_cvt_f32_f64_e32 v40, v[40:41]
	v_min3_f32 v105, v40, v38, 0x7f800000
	v_add_f64 v[38:39], v[28:29], v[52:53]
	v_add_f64 v[40:41], v[26:27], v[50:51]
	v_cvt_f32_f64_e32 v38, v[38:39]
	v_cvt_f32_f64_e32 v40, v[40:41]
	v_min3_f32 v104, v40, v38, 0x7f800000
	v_add_f64 v[38:39], v[32:33], v[52:53]
	v_add_f64 v[40:41], v[30:31], v[50:51]
	v_cvt_f32_f64_e32 v38, v[38:39]
	v_cvt_f32_f64_e32 v40, v[40:41]
	v_min3_f32 v103, v40, v38, 0x7f800000
	v_add_f64 v[38:39], v[36:37], v[52:53]
	v_add_f64 v[40:41], v[34:35], v[50:51]
	v_cvt_f32_f64_e32 v38, v[38:39]
	v_cvt_f32_f64_e32 v40, v[40:41]
	v_min3_f32 v102, v40, v38, 0x7f800000
	v_add_f64 v[38:39], v[80:81], v[56:57]
	v_add_f64 v[40:41], v[78:79], v[54:55]
	v_cvt_f32_f64_e32 v38, v[38:39]
	v_cvt_f32_f64_e32 v40, v[40:41]
	v_min3_f32 v101, v40, v38, 0x7f800000
	v_add_f64 v[38:39], v[12:13], v[56:57]
	v_add_f64 v[40:41], v[10:11], v[54:55]
	v_cvt_f32_f64_e32 v38, v[38:39]
	v_cvt_f32_f64_e32 v40, v[40:41]
	v_min3_f32 v100, v40, v38, 0x7f800000
	v_add_f64 v[38:39], v[16:17], v[56:57]
	v_add_f64 v[40:41], v[14:15], v[54:55]
	v_cvt_f32_f64_e32 v38, v[38:39]
	v_cvt_f32_f64_e32 v40, v[40:41]
	v_min3_f32 v99, v40, v38, 0x7f800000
	v_add_f64 v[38:39], v[20:21], v[56:57]
	v_add_f64 v[40:41], v[18:19], v[54:55]
	v_cvt_f32_f64_e32 v38, v[38:39]
	v_cvt_f32_f64_e32 v40, v[40:41]
	v_min3_f32 v98, v40, v38, 0x7f800000
	v_add_f64 v[38:39], v[24:25], v[56:57]
	v_add_f64 v[40:41], v[22:23], v[54:55]
	v_cvt_f32_f64_e32 v38, v[38:39]
	v_cvt_f32_f64_e32 v40, v[40:41]
	v_min3_f32 v97, v40, v38, 0x7f800000
	v_add_f64 v[38:39], v[28:29], v[56:57]
	v_add_f64 v[40:41], v[26:27], v[54:55]
	v_cvt_f32_f64_e32 v38, v[38:39]
	v_cvt_f32_f64_e32 v40, v[40:41]
	v_min3_f32 v96, v40, v38, 0x7f800000
	v_add_f64 v[38:39], v[32:33], v[56:57]
	v_add_f64 v[40:41], v[30:31], v[54:55]
	v_cvt_f32_f64_e32 v38, v[38:39]
	v_cvt_f32_f64_e32 v40, v[40:41]
	v_min3_f32 v95, v40, v38, 0x7f800000
	v_add_f64 v[38:39], v[36:37], v[56:57]
	v_add_f64 v[40:41], v[34:35], v[54:55]
	v_cvt_f32_f64_e32 v38, v[38:39]
	v_cvt_f32_f64_e32 v40, v[40:41]
	v_min3_f32 v94, v40, v38, 0x7f800000
	v_add_f64 v[38:39], v[80:81], v[60:61]
	v_add_f64 v[40:41], v[78:79], v[58:59]
	v_cvt_f32_f64_e32 v38, v[38:39]
	v_cvt_f32_f64_e32 v40, v[40:41]
	v_min3_f32 v93, v40, v38, 0x7f800000
	v_add_f64 v[38:39], v[12:13], v[60:61]
	v_add_f64 v[40:41], v[10:11], v[58:59]
	v_add_f64 v[12:13], v[12:13], v[64:65]
	;; [unrolled: 1-line block ×3, first 2 shown]
	v_cvt_f32_f64_e32 v38, v[38:39]
	v_cvt_f32_f64_e32 v40, v[40:41]
	;; [unrolled: 1-line block ×4, first 2 shown]
	v_add_f64 v[12:13], v[14:15], v[62:63]
	v_min3_f32 v92, v40, v38, 0x7f800000
	v_add_f64 v[38:39], v[16:17], v[60:61]
	v_add_f64 v[40:41], v[14:15], v[58:59]
	v_min3_f32 v84, v10, v11, 0x7f800000
	v_add_f64 v[10:11], v[16:17], v[64:65]
	v_cvt_f32_f64_e32 v12, v[12:13]
	v_cvt_f32_f64_e32 v38, v[38:39]
	;; [unrolled: 1-line block ×4, first 2 shown]
	v_min3_f32 v91, v40, v38, 0x7f800000
	v_add_f64 v[38:39], v[20:21], v[60:61]
	v_add_f64 v[40:41], v[18:19], v[58:59]
	v_min3_f32 v83, v12, v10, 0x7f800000
	v_add_f64 v[10:11], v[20:21], v[64:65]
	v_add_f64 v[12:13], v[18:19], v[62:63]
	v_cvt_f32_f64_e32 v38, v[38:39]
	v_cvt_f32_f64_e32 v40, v[40:41]
	v_cvt_f32_f64_e32 v10, v[10:11]
	v_cvt_f32_f64_e32 v12, v[12:13]
	v_min3_f32 v90, v40, v38, 0x7f800000
	v_add_f64 v[38:39], v[24:25], v[60:61]
	v_add_f64 v[40:41], v[22:23], v[58:59]
	v_min3_f32 v82, v12, v10, 0x7f800000
	v_add_f64 v[10:11], v[24:25], v[64:65]
	v_add_f64 v[12:13], v[22:23], v[62:63]
	v_cvt_f32_f64_e32 v38, v[38:39]
	v_cvt_f32_f64_e32 v40, v[40:41]
	;; [unrolled: 1-line block ×4, first 2 shown]
	v_min3_f32 v89, v40, v38, 0x7f800000
	v_add_f64 v[38:39], v[28:29], v[60:61]
	v_add_f64 v[40:41], v[26:27], v[58:59]
	v_cvt_f32_f64_e32 v38, v[38:39]
	v_cvt_f32_f64_e32 v40, v[40:41]
	v_min3_f32 v88, v40, v38, 0x7f800000
	v_add_f64 v[38:39], v[32:33], v[60:61]
	v_add_f64 v[40:41], v[30:31], v[58:59]
	v_cvt_f32_f64_e32 v38, v[38:39]
	v_cvt_f32_f64_e32 v40, v[40:41]
	;; [unrolled: 5-line block ×3, first 2 shown]
	v_min3_f32 v86, v40, v38, 0x7f800000
	v_add_f64 v[38:39], v[80:81], v[64:65]
	v_min3_f32 v81, v12, v10, 0x7f800000
	v_add_f64 v[10:11], v[28:29], v[64:65]
	v_add_f64 v[12:13], v[26:27], v[62:63]
	;; [unrolled: 1-line block ×3, first 2 shown]
	v_cvt_f32_f64_e32 v38, v[38:39]
	v_cvt_f32_f64_e32 v10, v[10:11]
	;; [unrolled: 1-line block ×4, first 2 shown]
	v_min3_f32 v80, v12, v10, 0x7f800000
	v_add_f64 v[10:11], v[32:33], v[64:65]
	v_add_f64 v[12:13], v[30:31], v[62:63]
	v_min3_f32 v85, v40, v38, 0x7f800000
	v_cvt_f32_f64_e32 v10, v[10:11]
	v_cvt_f32_f64_e32 v12, v[12:13]
	v_min3_f32 v79, v12, v10, 0x7f800000
	v_add_f64 v[10:11], v[36:37], v[64:65]
	v_add_f64 v[12:13], v[34:35], v[62:63]
	v_cvt_f32_f64_e32 v10, v[10:11]
	v_cvt_f32_f64_e32 v12, v[12:13]
	v_min3_f32 v78, v12, v10, 0x7f800000
	ds_read_b128 v[34:37], v151 offset:16656
	ds_read_b128 v[30:33], v151 offset:16912
	;; [unrolled: 1-line block ×14, first 2 shown]
	ds_write_b64 v152, v[70:71] offset:18432
	ds_write2st64_b64 v152, v[72:73], v[74:75] offset0:16 offset1:20
	ds_write2st64_b64 v152, v[66:67], v[68:69] offset0:24 offset1:28
	s_waitcnt lgkmcnt(0)
	s_barrier
	buffer_gl0_inv
	v_add_f64 v[141:142], v[36:37], v[8:9]
	v_add_f64 v[143:144], v[34:35], v[6:7]
	v_cvt_f32_f64_e32 v141, v[141:142]
	v_cvt_f32_f64_e32 v143, v[143:144]
	v_min3_f32 v224, v143, v141, v140
	v_add_f64 v[140:141], v[32:33], v[8:9]
	v_add_f64 v[142:143], v[30:31], v[6:7]
	v_cvt_f32_f64_e32 v140, v[140:141]
	v_cvt_f32_f64_e32 v142, v[142:143]
	v_min3_f32 v225, v142, v140, v139
	;; [unrolled: 5-line block ×5, first 2 shown]
	v_add_f64 v[136:137], v[16:17], v[8:9]
	v_add_f64 v[138:139], v[14:15], v[6:7]
	;; [unrolled: 1-line block ×4, first 2 shown]
	v_cvt_f32_f64_e32 v136, v[136:137]
	v_cvt_f32_f64_e32 v138, v[138:139]
	;; [unrolled: 1-line block ×4, first 2 shown]
	v_add_f64 v[8:9], v[2:3], v[62:63]
	v_min3_f32 v221, v138, v136, v135
	v_min3_f32 v218, v6, v7, v134
	v_add_f64 v[6:7], v[4:5], v[64:65]
	v_cvt_f32_f64_e32 v8, v[8:9]
	v_cvt_f32_f64_e32 v6, v[6:7]
	v_min3_f32 v219, v8, v6, v133
	v_add_f64 v[6:7], v[36:37], v[64:65]
	v_add_f64 v[8:9], v[34:35], v[62:63]
	v_cvt_f32_f64_e32 v6, v[6:7]
	v_cvt_f32_f64_e32 v8, v[8:9]
	v_min3_f32 v216, v8, v6, v132
	v_add_f64 v[6:7], v[32:33], v[64:65]
	;; [unrolled: 5-line block ×40, first 2 shown]
	v_add_f64 v[8:9], v[2:3], v[42:43]
	v_add_f64 v[4:5], v[4:5], v[40:41]
	;; [unrolled: 1-line block ×3, first 2 shown]
	v_cvt_f32_f64_e32 v6, v[6:7]
	v_cvt_f32_f64_e32 v8, v[8:9]
	v_cvt_f32_f64_e32 v2, v[2:3]
	v_cvt_f32_f64_e32 v3, v[4:5]
	v_add_f64 v[4:5], v[34:35], v[38:39]
	v_min3_f32 v175, v8, v6, v93
	v_add_f64 v[6:7], v[36:37], v[44:45]
	v_add_f64 v[8:9], v[34:35], v[42:43]
	v_min3_f32 v160, v2, v3, v85
	v_add_f64 v[2:3], v[36:37], v[40:41]
	v_cvt_f32_f64_e32 v4, v[4:5]
	v_cvt_f32_f64_e32 v6, v[6:7]
	v_cvt_f32_f64_e32 v8, v[8:9]
	v_cvt_f32_f64_e32 v2, v[2:3]
	v_min3_f32 v166, v8, v6, v92
	v_add_f64 v[6:7], v[32:33], v[44:45]
	v_add_f64 v[8:9], v[30:31], v[42:43]
	v_min3_f32 v159, v4, v2, v84
	v_add_f64 v[2:3], v[32:33], v[40:41]
	v_add_f64 v[4:5], v[30:31], v[38:39]
	v_cvt_f32_f64_e32 v6, v[6:7]
	v_cvt_f32_f64_e32 v8, v[8:9]
	v_cvt_f32_f64_e32 v2, v[2:3]
	v_cvt_f32_f64_e32 v4, v[4:5]
	v_min3_f32 v167, v8, v6, v91
	v_add_f64 v[6:7], v[28:29], v[44:45]
	v_add_f64 v[8:9], v[26:27], v[42:43]
	v_min3_f32 v158, v4, v2, v83
	v_add_f64 v[2:3], v[28:29], v[40:41]
	;; [unrolled: 10-line block ×6, first 2 shown]
	v_add_f64 v[4:5], v[10:11], v[38:39]
	v_cvt_f32_f64_e32 v6, v[6:7]
	v_cvt_f32_f64_e32 v8, v[8:9]
	;; [unrolled: 1-line block ×4, first 2 shown]
	v_min3_f32 v161, v8, v6, v86
	v_min3_f32 v153, v4, v2, v78
	s_cbranch_scc1 .LBB117_33
; %bb.19:
	v_add_nc_u32_e32 v6, 12, v76
	v_lshl_or_b32 v4, s6, 6, v77
	s_lshl_b32 s6, s7, 6
	v_add_nc_u32_e32 v10, 8, v76
	v_or_b32_e32 v168, 0x4000, v152
	v_mad_i64_i32 v[2:3], null, v6, s14, 0
	v_subrev_nc_u32_e32 v4, s6, v4
	v_mad_i64_i32 v[6:7], null, v6, s10, 0
	v_mad_i64_i32 v[8:9], null, v10, s10, 0
	v_ashrrev_i32_e32 v5, 31, v4
	v_lshlrev_b64 v[130:131], 3, v[2:3]
	v_add_nc_u32_e32 v2, s23, v77
	v_mad_i64_i32 v[10:11], null, v10, s14, 0
	v_lshlrev_b64 v[4:5], 3, v[4:5]
	v_lshlrev_b64 v[132:133], 3, v[6:7]
	v_ashrrev_i32_e32 v3, 31, v2
	v_lshlrev_b64 v[134:135], 3, v[8:9]
	v_or_b32_e32 v170, 0x4000, v151
	v_add_nc_u32_e32 v171, 0x4800, v152
	v_add_co_u32 v176, vcc_lo, s20, v4
	v_lshlrev_b64 v[2:3], 3, v[2:3]
	v_add_co_ci_u32_e64 v177, null, s21, v5, vcc_lo
	v_lshlrev_b64 v[136:137], 3, v[10:11]
	v_or_b32_e32 v172, 0x2000, v152
	v_lshl_add_u32 v173, v0, 5, 0x4800
	v_add_co_u32 v178, vcc_lo, s18, v2
	v_lshl_or_b32 v174, v1, 5, 0x2000
	v_add_co_ci_u32_e64 v179, null, s19, v3, vcc_lo
	s_add_i32 s24, s24, -8
	s_lshl_b64 s[6:7], s[14:15], 6
	s_lshl_b64 s[10:11], s[10:11], 6
	s_mov_b32 s14, 0
	s_branch .LBB117_21
.LBB117_20:                             ;   in Loop: Header=BB117_21 Depth=1
	v_add_f64 v[148:149], v[100:101], v[128:129]
	v_add_f64 v[227:228], v[98:99], v[126:127]
	v_add_co_u32 v176, vcc_lo, v176, s6
	v_add_co_ci_u32_e64 v177, null, s7, v177, vcc_lo
	v_add_co_u32 v178, vcc_lo, v178, s10
	v_add_co_ci_u32_e64 v179, null, s11, v179, vcc_lo
	s_add_i32 s14, s14, 8
	s_cmp_ge_i32 s14, s24
	v_cvt_f32_f64_e32 v148, v[148:149]
	v_cvt_f32_f64_e32 v227, v[227:228]
	v_min3_f32 v226, v227, v148, v226
	v_add_f64 v[148:149], v[96:97], v[128:129]
	v_add_f64 v[227:228], v[94:95], v[126:127]
	v_cvt_f32_f64_e32 v148, v[148:149]
	v_cvt_f32_f64_e32 v227, v[227:228]
	v_min3_f32 v224, v227, v148, v224
	v_add_f64 v[148:149], v[92:93], v[128:129]
	v_add_f64 v[227:228], v[90:91], v[126:127]
	v_cvt_f32_f64_e32 v148, v[148:149]
	v_cvt_f32_f64_e32 v227, v[227:228]
	v_min3_f32 v225, v227, v148, v225
	v_add_f64 v[148:149], v[88:89], v[128:129]
	v_add_f64 v[227:228], v[86:87], v[126:127]
	v_cvt_f32_f64_e32 v148, v[148:149]
	v_cvt_f32_f64_e32 v227, v[227:228]
	v_add_f64 v[228:229], v[82:83], v[126:127]
	v_min3_f32 v227, v227, v148, v222
	v_add_f64 v[148:149], v[84:85], v[128:129]
	v_cvt_f32_f64_e32 v222, v[228:229]
	v_add_f64 v[228:229], v[78:79], v[126:127]
	v_cvt_f32_f64_e32 v148, v[148:149]
	v_min3_f32 v223, v222, v148, v223
	v_add_f64 v[148:149], v[80:81], v[128:129]
	v_cvt_f32_f64_e32 v222, v[228:229]
	v_add_f64 v[228:229], v[70:71], v[126:127]
	v_add_f64 v[126:127], v[66:67], v[126:127]
	v_cvt_f32_f64_e32 v148, v[148:149]
	v_cvt_f32_f64_e32 v126, v[126:127]
	v_min3_f32 v220, v222, v148, v220
	v_add_f64 v[148:149], v[72:73], v[128:129]
	v_add_f64 v[128:129], v[68:69], v[128:129]
	v_cvt_f32_f64_e32 v222, v[228:229]
	v_cvt_f32_f64_e32 v148, v[148:149]
	;; [unrolled: 1-line block ×3, first 2 shown]
	v_add_f64 v[128:129], v[98:99], v[122:123]
	v_min3_f32 v221, v222, v148, v221
	v_min3_f32 v218, v126, v127, v218
	v_add_f64 v[126:127], v[100:101], v[124:125]
	v_cvt_f32_f64_e32 v128, v[128:129]
	v_add_f64 v[148:149], v[82:83], v[106:107]
	v_cvt_f32_f64_e32 v126, v[126:127]
	v_min3_f32 v222, v128, v126, v219
	v_add_f64 v[126:127], v[96:97], v[124:125]
	v_add_f64 v[128:129], v[94:95], v[122:123]
	v_cvt_f32_f64_e32 v126, v[126:127]
	v_cvt_f32_f64_e32 v128, v[128:129]
	v_min3_f32 v219, v128, v126, v216
	v_add_f64 v[126:127], v[92:93], v[124:125]
	v_add_f64 v[128:129], v[90:91], v[122:123]
	v_cvt_f32_f64_e32 v126, v[126:127]
	;; [unrolled: 5-line block ×5, first 2 shown]
	v_cvt_f32_f64_e32 v128, v[128:129]
	v_min3_f32 v212, v128, v126, v212
	v_add_f64 v[126:127], v[72:73], v[124:125]
	v_add_f64 v[128:129], v[70:71], v[122:123]
	;; [unrolled: 1-line block ×4, first 2 shown]
	v_cvt_f32_f64_e32 v126, v[126:127]
	v_cvt_f32_f64_e32 v128, v[128:129]
	;; [unrolled: 1-line block ×4, first 2 shown]
	v_add_f64 v[124:125], v[98:99], v[118:119]
	v_min3_f32 v213, v128, v126, v213
	v_min3_f32 v211, v122, v123, v211
	v_add_f64 v[122:123], v[100:101], v[120:121]
	v_cvt_f32_f64_e32 v124, v[124:125]
	v_cvt_f32_f64_e32 v122, v[122:123]
	v_min3_f32 v210, v124, v122, v210
	v_add_f64 v[122:123], v[96:97], v[120:121]
	v_add_f64 v[124:125], v[94:95], v[118:119]
	v_cvt_f32_f64_e32 v122, v[122:123]
	v_cvt_f32_f64_e32 v124, v[124:125]
	v_min3_f32 v208, v124, v122, v208
	v_add_f64 v[122:123], v[92:93], v[120:121]
	;; [unrolled: 5-line block ×6, first 2 shown]
	v_add_f64 v[124:125], v[70:71], v[118:119]
	v_add_f64 v[120:121], v[68:69], v[120:121]
	;; [unrolled: 1-line block ×3, first 2 shown]
	v_cvt_f32_f64_e32 v122, v[122:123]
	v_cvt_f32_f64_e32 v124, v[124:125]
	;; [unrolled: 1-line block ×4, first 2 shown]
	v_add_f64 v[120:121], v[98:99], v[114:115]
	v_min3_f32 v205, v124, v122, v205
	v_min3_f32 v202, v118, v119, v202
	v_add_f64 v[118:119], v[100:101], v[116:117]
	v_cvt_f32_f64_e32 v120, v[120:121]
	v_cvt_f32_f64_e32 v118, v[118:119]
	v_min3_f32 v203, v120, v118, v203
	v_add_f64 v[118:119], v[96:97], v[116:117]
	v_add_f64 v[120:121], v[94:95], v[114:115]
	v_cvt_f32_f64_e32 v118, v[118:119]
	v_cvt_f32_f64_e32 v120, v[120:121]
	v_min3_f32 v200, v120, v118, v200
	v_add_f64 v[118:119], v[92:93], v[116:117]
	;; [unrolled: 5-line block ×3, first 2 shown]
	v_add_f64 v[120:121], v[86:87], v[114:115]
	v_cvt_f32_f64_e32 v118, v[118:119]
	v_cvt_f32_f64_e32 v120, v[120:121]
	v_add_f64 v[121:122], v[82:83], v[114:115]
	v_min3_f32 v118, v120, v118, v198
	v_add_f64 v[119:120], v[84:85], v[116:117]
	v_cvt_f32_f64_e32 v121, v[121:122]
	v_add_f64 v[122:123], v[78:79], v[114:115]
	v_cvt_f32_f64_e32 v119, v[119:120]
	v_cvt_f32_f64_e32 v122, v[122:123]
	v_add_f64 v[123:124], v[70:71], v[114:115]
	v_add_f64 v[114:115], v[66:67], v[114:115]
	v_min3_f32 v119, v121, v119, v199
	v_add_f64 v[120:121], v[80:81], v[116:117]
	v_cvt_f32_f64_e32 v123, v[123:124]
	v_cvt_f32_f64_e32 v114, v[114:115]
	v_add_f64 v[124:125], v[90:91], v[110:111]
	v_cvt_f32_f64_e32 v120, v[120:121]
	v_min3_f32 v120, v122, v120, v196
	v_add_f64 v[121:122], v[72:73], v[116:117]
	v_add_f64 v[116:117], v[68:69], v[116:117]
	v_cvt_f32_f64_e32 v121, v[121:122]
	v_cvt_f32_f64_e32 v115, v[116:117]
	v_min3_f32 v121, v123, v121, v197
	v_min3_f32 v114, v114, v115, v194
	v_add_f64 v[115:116], v[100:101], v[112:113]
	v_add_f64 v[122:123], v[98:99], v[110:111]
	v_cvt_f32_f64_e32 v115, v[115:116]
	v_cvt_f32_f64_e32 v117, v[122:123]
	v_add_f64 v[122:123], v[94:95], v[110:111]
	v_min3_f32 v115, v117, v115, v195
	v_add_f64 v[116:117], v[96:97], v[112:113]
	v_cvt_f32_f64_e32 v122, v[122:123]
	v_cvt_f32_f64_e32 v116, v[116:117]
	;; [unrolled: 1-line block ×3, first 2 shown]
	v_add_f64 v[124:125], v[86:87], v[110:111]
	v_min3_f32 v116, v122, v116, v192
	v_add_f64 v[122:123], v[92:93], v[112:113]
	v_cvt_f32_f64_e32 v124, v[124:125]
	v_add_f64 v[125:126], v[82:83], v[110:111]
	v_cvt_f32_f64_e32 v122, v[122:123]
	v_cvt_f32_f64_e32 v125, v[125:126]
	v_add_f64 v[126:127], v[78:79], v[110:111]
	v_min3_f32 v117, v117, v122, v193
	v_add_f64 v[122:123], v[88:89], v[112:113]
	v_cvt_f32_f64_e32 v126, v[126:127]
	v_add_f64 v[127:128], v[70:71], v[110:111]
	v_add_f64 v[110:111], v[66:67], v[110:111]
	v_cvt_f32_f64_e32 v122, v[122:123]
	v_cvt_f32_f64_e32 v127, v[127:128]
	;; [unrolled: 1-line block ×3, first 2 shown]
	v_min3_f32 v122, v124, v122, v190
	v_add_f64 v[123:124], v[84:85], v[112:113]
	v_cvt_f32_f64_e32 v123, v[123:124]
	v_min3_f32 v123, v125, v123, v191
	v_add_f64 v[124:125], v[80:81], v[112:113]
	v_cvt_f32_f64_e32 v124, v[124:125]
	v_min3_f32 v124, v126, v124, v189
	v_add_f64 v[125:126], v[72:73], v[112:113]
	v_add_f64 v[112:113], v[68:69], v[112:113]
	v_cvt_f32_f64_e32 v125, v[125:126]
	v_cvt_f32_f64_e32 v111, v[112:113]
	v_min3_f32 v125, v127, v125, v188
	v_min3_f32 v112, v110, v111, v186
	v_add_f64 v[110:111], v[100:101], v[108:109]
	v_add_f64 v[126:127], v[98:99], v[106:107]
	v_cvt_f32_f64_e32 v110, v[110:111]
	v_cvt_f32_f64_e32 v113, v[126:127]
	v_add_f64 v[126:127], v[94:95], v[106:107]
	v_min3_f32 v113, v113, v110, v187
	v_add_f64 v[110:111], v[96:97], v[108:109]
	v_cvt_f32_f64_e32 v126, v[126:127]
	v_add_f64 v[127:128], v[90:91], v[106:107]
	v_cvt_f32_f64_e32 v110, v[110:111]
	v_cvt_f32_f64_e32 v127, v[127:128]
	v_add_f64 v[128:129], v[86:87], v[106:107]
	v_min3_f32 v126, v126, v110, v184
	v_add_f64 v[110:111], v[92:93], v[108:109]
	v_cvt_f32_f64_e32 v128, v[128:129]
	v_cvt_f32_f64_e32 v129, v[148:149]
	v_add_f64 v[148:149], v[78:79], v[106:107]
	v_cvt_f32_f64_e32 v110, v[110:111]
	v_cvt_f32_f64_e32 v148, v[148:149]
	v_min3_f32 v127, v127, v110, v185
	v_add_f64 v[110:111], v[88:89], v[108:109]
	v_cvt_f32_f64_e32 v110, v[110:111]
	v_min3_f32 v128, v128, v110, v182
	v_add_f64 v[110:111], v[84:85], v[108:109]
	v_cvt_f32_f64_e32 v110, v[110:111]
	v_min3_f32 v129, v129, v110, v183
	v_add_f64 v[110:111], v[80:81], v[108:109]
	v_add_f64 v[182:183], v[70:71], v[106:107]
	v_add_f64 v[106:107], v[66:67], v[106:107]
	v_cvt_f32_f64_e32 v110, v[110:111]
	v_cvt_f32_f64_e32 v149, v[182:183]
	;; [unrolled: 1-line block ×3, first 2 shown]
	v_min3_f32 v148, v148, v110, v180
	v_add_f64 v[110:111], v[72:73], v[108:109]
	v_add_f64 v[108:109], v[68:69], v[108:109]
	v_cvt_f32_f64_e32 v110, v[110:111]
	v_cvt_f32_f64_e32 v107, v[108:109]
	v_add_f64 v[108:109], v[98:99], v[102:103]
	v_add_f64 v[98:99], v[98:99], v[74:75]
	v_min3_f32 v149, v149, v110, v181
	v_min3_f32 v169, v106, v107, v169
	v_add_f64 v[106:107], v[100:101], v[104:105]
	v_cvt_f32_f64_e32 v108, v[108:109]
	v_add_f64 v[100:101], v[100:101], v[76:77]
	v_cvt_f32_f64_e32 v98, v[98:99]
	v_cvt_f32_f64_e32 v106, v[106:107]
	;; [unrolled: 1-line block ×3, first 2 shown]
	v_min3_f32 v175, v108, v106, v175
	v_add_f64 v[106:107], v[96:97], v[104:105]
	v_add_f64 v[108:109], v[94:95], v[102:103]
	;; [unrolled: 1-line block ×4, first 2 shown]
	v_min3_f32 v98, v98, v99, v160
	v_add_f64 v[99:100], v[10:11], v[46:47]
	v_cvt_f32_f64_e32 v106, v[106:107]
	v_cvt_f32_f64_e32 v108, v[108:109]
	v_add_f64 v[109:110], v[90:91], v[102:103]
	v_add_f64 v[90:91], v[90:91], v[74:75]
	v_cvt_f32_f64_e32 v94, v[94:95]
	v_cvt_f32_f64_e32 v95, v[96:97]
	v_min3_f32 v106, v108, v106, v166
	v_add_f64 v[107:108], v[92:93], v[104:105]
	v_cvt_f32_f64_e32 v109, v[109:110]
	v_add_f64 v[110:111], v[86:87], v[102:103]
	v_add_f64 v[86:87], v[86:87], v[74:75]
	;; [unrolled: 1-line block ×3, first 2 shown]
	v_cvt_f32_f64_e32 v90, v[90:91]
	v_min3_f32 v94, v94, v95, v159
	v_add_f64 v[95:96], v[6:7], v[50:51]
	v_cvt_f32_f64_e32 v107, v[107:108]
	v_cvt_f32_f64_e32 v110, v[110:111]
	;; [unrolled: 1-line block ×4, first 2 shown]
	v_min3_f32 v107, v109, v107, v167
	v_add_f64 v[108:109], v[88:89], v[104:105]
	v_add_f64 v[166:167], v[82:83], v[102:103]
	;; [unrolled: 1-line block ×4, first 2 shown]
	v_min3_f32 v90, v90, v91, v158
	v_add_f64 v[91:92], v[26:27], v[50:51]
	v_cvt_f32_f64_e32 v108, v[108:109]
	v_cvt_f32_f64_e32 v111, v[166:167]
	v_add_f64 v[166:167], v[70:71], v[102:103]
	v_add_f64 v[70:71], v[70:71], v[74:75]
	v_cvt_f32_f64_e32 v82, v[82:83]
	v_cvt_f32_f64_e32 v87, v[88:89]
	v_min3_f32 v108, v110, v108, v164
	v_add_f64 v[109:110], v[84:85], v[104:105]
	v_add_f64 v[84:85], v[84:85], v[76:77]
	v_cvt_f32_f64_e32 v70, v[70:71]
	v_min3_f32 v86, v86, v87, v156
	v_add_f64 v[87:88], v[14:15], v[54:55]
	v_cvt_f32_f64_e32 v109, v[109:110]
	v_cvt_f32_f64_e32 v83, v[84:85]
	v_min3_f32 v109, v111, v109, v165
	v_add_f64 v[110:111], v[80:81], v[104:105]
	v_add_f64 v[164:165], v[78:79], v[102:103]
	;; [unrolled: 1-line block ×7, first 2 shown]
	v_min3_f32 v82, v82, v83, v157
	v_add_f64 v[83:84], v[10:11], v[58:59]
	v_cvt_f32_f64_e32 v110, v[110:111]
	v_cvt_f32_f64_e32 v164, v[164:165]
	;; [unrolled: 1-line block ×7, first 2 shown]
	v_min3_f32 v110, v164, v110, v162
	v_add_f64 v[164:165], v[72:73], v[104:105]
	v_add_f64 v[104:105], v[68:69], v[104:105]
	;; [unrolled: 1-line block ×5, first 2 shown]
	v_min3_f32 v78, v78, v79, v154
	v_add_f64 v[79:80], v[26:27], v[58:59]
	v_cvt_f32_f64_e32 v162, v[164:165]
	v_cvt_f32_f64_e32 v103, v[104:105]
	v_cvt_f32_f64_e32 v67, v[68:69]
	v_cvt_f32_f64_e32 v71, v[72:73]
	v_add_f64 v[68:69], v[34:35], v[62:63]
	v_min3_f32 v111, v111, v162, v163
	v_min3_f32 v102, v102, v103, v161
	;; [unrolled: 1-line block ×3, first 2 shown]
	v_add_f64 v[66:67], v[36:37], v[64:65]
	v_cvt_f32_f64_e32 v68, v[68:69]
	v_min3_f32 v71, v70, v71, v155
	v_add_f64 v[69:70], v[30:31], v[62:63]
	v_cvt_f32_f64_e32 v66, v[66:67]
	v_cvt_f32_f64_e32 v69, v[69:70]
	v_cvt_f32_f64_e32 v70, v[74:75]
	v_add_f64 v[74:75], v[18:19], v[62:63]
	v_min3_f32 v66, v68, v66, v226
	v_add_f64 v[67:68], v[32:33], v[64:65]
	v_cvt_f32_f64_e32 v72, v[74:75]
	v_add_f64 v[74:75], v[16:17], v[64:65]
	v_cvt_f32_f64_e32 v67, v[67:68]
	v_min3_f32 v67, v69, v67, v224
	v_add_f64 v[68:69], v[28:29], v[64:65]
	v_cvt_f32_f64_e32 v68, v[68:69]
	v_min3_f32 v68, v70, v68, v225
	v_add_f64 v[69:70], v[20:21], v[64:65]
	v_cvt_f32_f64_e32 v69, v[69:70]
	v_cvt_f32_f64_e32 v70, v[76:77]
	v_add_f64 v[76:77], v[10:11], v[62:63]
	v_min3_f32 v69, v72, v69, v227
	v_cvt_f32_f64_e32 v72, v[74:75]
	v_add_f64 v[74:75], v[12:13], v[64:65]
	v_min3_f32 v70, v70, v72, v223
	v_cvt_f32_f64_e32 v72, v[76:77]
	v_cvt_f32_f64_e32 v74, v[74:75]
	v_add_f64 v[76:77], v[6:7], v[62:63]
	v_add_f64 v[62:63], v[2:3], v[62:63]
	v_min3_f32 v72, v72, v74, v220
	v_add_f64 v[74:75], v[8:9], v[64:65]
	v_add_f64 v[64:65], v[4:5], v[64:65]
	v_cvt_f32_f64_e32 v76, v[76:77]
	v_cvt_f32_f64_e32 v62, v[62:63]
	;; [unrolled: 1-line block ×4, first 2 shown]
	v_min3_f32 v74, v76, v74, v221
	v_min3_f32 v62, v62, v63, v218
	v_add_f64 v[63:64], v[36:37], v[60:61]
	v_add_f64 v[75:76], v[34:35], v[58:59]
	v_cvt_f32_f64_e32 v63, v[63:64]
	v_cvt_f32_f64_e32 v65, v[75:76]
	v_add_f64 v[75:76], v[30:31], v[58:59]
	v_min3_f32 v63, v65, v63, v222
	v_add_f64 v[64:65], v[32:33], v[60:61]
	v_cvt_f32_f64_e32 v75, v[75:76]
	v_cvt_f32_f64_e32 v64, v[64:65]
	;; [unrolled: 1-line block ×3, first 2 shown]
	v_add_f64 v[79:80], v[18:19], v[58:59]
	v_min3_f32 v64, v75, v64, v219
	v_add_f64 v[75:76], v[28:29], v[60:61]
	v_cvt_f32_f64_e32 v77, v[79:80]
	v_add_f64 v[79:80], v[14:15], v[58:59]
	v_cvt_f32_f64_e32 v75, v[75:76]
	v_cvt_f32_f64_e32 v79, v[79:80]
	v_min3_f32 v65, v65, v75, v217
	v_add_f64 v[75:76], v[20:21], v[60:61]
	v_cvt_f32_f64_e32 v75, v[75:76]
	v_min3_f32 v75, v77, v75, v216
	v_add_f64 v[76:77], v[16:17], v[60:61]
	v_cvt_f32_f64_e32 v76, v[76:77]
	v_cvt_f32_f64_e32 v77, v[83:84]
	v_add_f64 v[83:84], v[6:7], v[58:59]
	v_add_f64 v[58:59], v[2:3], v[58:59]
	v_min3_f32 v76, v79, v76, v214
	v_add_f64 v[79:80], v[12:13], v[60:61]
	v_cvt_f32_f64_e32 v81, v[83:84]
	v_cvt_f32_f64_e32 v58, v[58:59]
	v_add_f64 v[83:84], v[26:27], v[54:55]
	v_cvt_f32_f64_e32 v79, v[79:80]
	v_min3_f32 v77, v77, v79, v212
	v_add_f64 v[79:80], v[8:9], v[60:61]
	v_add_f64 v[60:61], v[4:5], v[60:61]
	v_cvt_f32_f64_e32 v79, v[79:80]
	v_cvt_f32_f64_e32 v59, v[60:61]
	v_min3_f32 v79, v81, v79, v213
	v_min3_f32 v58, v58, v59, v211
	v_add_f64 v[59:60], v[36:37], v[56:57]
	v_add_f64 v[80:81], v[34:35], v[54:55]
	v_cvt_f32_f64_e32 v59, v[59:60]
	v_cvt_f32_f64_e32 v61, v[80:81]
	v_add_f64 v[80:81], v[30:31], v[54:55]
	v_min3_f32 v59, v61, v59, v210
	v_add_f64 v[60:61], v[32:33], v[56:57]
	v_cvt_f32_f64_e32 v80, v[80:81]
	v_cvt_f32_f64_e32 v60, v[60:61]
	;; [unrolled: 1-line block ×3, first 2 shown]
	v_add_f64 v[83:84], v[18:19], v[54:55]
	v_min3_f32 v60, v80, v60, v208
	v_add_f64 v[80:81], v[28:29], v[56:57]
	v_cvt_f32_f64_e32 v83, v[83:84]
	v_cvt_f32_f64_e32 v80, v[80:81]
	v_min3_f32 v61, v61, v80, v209
	v_add_f64 v[80:81], v[20:21], v[56:57]
	v_cvt_f32_f64_e32 v80, v[80:81]
	v_cvt_f32_f64_e32 v81, v[87:88]
	v_add_f64 v[87:88], v[10:11], v[54:55]
	v_min3_f32 v80, v83, v80, v206
	v_add_f64 v[83:84], v[16:17], v[56:57]
	v_cvt_f32_f64_e32 v85, v[87:88]
	v_add_f64 v[87:88], v[6:7], v[54:55]
	v_add_f64 v[54:55], v[2:3], v[54:55]
	v_cvt_f32_f64_e32 v83, v[83:84]
	v_cvt_f32_f64_e32 v87, v[87:88]
	;; [unrolled: 1-line block ×3, first 2 shown]
	v_min3_f32 v81, v81, v83, v207
	v_add_f64 v[83:84], v[12:13], v[56:57]
	v_cvt_f32_f64_e32 v83, v[83:84]
	v_min3_f32 v83, v85, v83, v204
	v_add_f64 v[84:85], v[8:9], v[56:57]
	v_add_f64 v[56:57], v[4:5], v[56:57]
	v_cvt_f32_f64_e32 v84, v[84:85]
	v_cvt_f32_f64_e32 v55, v[56:57]
	v_min3_f32 v84, v87, v84, v205
	v_min3_f32 v54, v54, v55, v202
	v_add_f64 v[55:56], v[36:37], v[52:53]
	v_add_f64 v[87:88], v[34:35], v[50:51]
	v_cvt_f32_f64_e32 v55, v[55:56]
	v_cvt_f32_f64_e32 v57, v[87:88]
	v_add_f64 v[87:88], v[30:31], v[50:51]
	v_min3_f32 v55, v57, v55, v203
	v_add_f64 v[56:57], v[32:33], v[52:53]
	v_cvt_f32_f64_e32 v85, v[87:88]
	v_add_f64 v[87:88], v[28:29], v[52:53]
	v_cvt_f32_f64_e32 v56, v[56:57]
	v_cvt_f32_f64_e32 v57, v[91:92]
	v_add_f64 v[91:92], v[18:19], v[50:51]
	v_min3_f32 v56, v85, v56, v200
	v_cvt_f32_f64_e32 v85, v[87:88]
	v_add_f64 v[87:88], v[20:21], v[52:53]
	v_min3_f32 v57, v57, v85, v201
	v_cvt_f32_f64_e32 v85, v[91:92]
	v_cvt_f32_f64_e32 v87, v[87:88]
	v_add_f64 v[91:92], v[14:15], v[50:51]
	v_min3_f32 v85, v85, v87, v118
	v_add_f64 v[87:88], v[16:17], v[52:53]
	v_cvt_f32_f64_e32 v89, v[91:92]
	v_add_f64 v[91:92], v[10:11], v[50:51]
	v_add_f64 v[50:51], v[2:3], v[50:51]
	v_cvt_f32_f64_e32 v87, v[87:88]
	v_cvt_f32_f64_e32 v91, v[91:92]
	;; [unrolled: 1-line block ×3, first 2 shown]
	v_min3_f32 v87, v89, v87, v119
	v_add_f64 v[88:89], v[12:13], v[52:53]
	v_cvt_f32_f64_e32 v88, v[88:89]
	v_cvt_f32_f64_e32 v89, v[95:96]
	v_add_f64 v[95:96], v[26:27], v[46:47]
	v_min3_f32 v88, v91, v88, v120
	v_add_f64 v[91:92], v[8:9], v[52:53]
	v_add_f64 v[52:53], v[4:5], v[52:53]
	v_cvt_f32_f64_e32 v91, v[91:92]
	v_cvt_f32_f64_e32 v51, v[52:53]
	v_min3_f32 v89, v89, v91, v121
	v_min3_f32 v50, v50, v51, v114
	v_add_f64 v[51:52], v[36:37], v[48:49]
	v_add_f64 v[91:92], v[34:35], v[46:47]
	v_cvt_f32_f64_e32 v51, v[51:52]
	v_cvt_f32_f64_e32 v53, v[91:92]
	v_add_f64 v[91:92], v[30:31], v[46:47]
	v_min3_f32 v51, v53, v51, v115
	v_add_f64 v[52:53], v[32:33], v[48:49]
	v_cvt_f32_f64_e32 v91, v[91:92]
	v_cvt_f32_f64_e32 v52, v[52:53]
	;; [unrolled: 1-line block ×3, first 2 shown]
	v_add_f64 v[95:96], v[18:19], v[46:47]
	v_min3_f32 v52, v91, v52, v116
	v_add_f64 v[91:92], v[28:29], v[48:49]
	v_cvt_f32_f64_e32 v93, v[95:96]
	v_add_f64 v[95:96], v[14:15], v[46:47]
	v_cvt_f32_f64_e32 v91, v[91:92]
	v_cvt_f32_f64_e32 v95, v[95:96]
	v_min3_f32 v53, v53, v91, v117
	v_add_f64 v[91:92], v[20:21], v[48:49]
	v_cvt_f32_f64_e32 v91, v[91:92]
	v_min3_f32 v91, v93, v91, v122
	v_add_f64 v[92:93], v[16:17], v[48:49]
	v_cvt_f32_f64_e32 v92, v[92:93]
	v_cvt_f32_f64_e32 v93, v[99:100]
	v_add_f64 v[99:100], v[6:7], v[46:47]
	v_add_f64 v[46:47], v[2:3], v[46:47]
	v_min3_f32 v92, v95, v92, v123
	v_add_f64 v[95:96], v[12:13], v[48:49]
	v_cvt_f32_f64_e32 v46, v[46:47]
	v_cvt_f32_f64_e32 v95, v[95:96]
	v_min3_f32 v153, v93, v95, v124
	v_add_f64 v[95:96], v[8:9], v[48:49]
	v_add_f64 v[48:49], v[4:5], v[48:49]
	v_cvt_f32_f64_e32 v93, v[99:100]
	v_add_f64 v[99:100], v[26:27], v[42:43]
	v_cvt_f32_f64_e32 v95, v[95:96]
	v_cvt_f32_f64_e32 v47, v[48:49]
	v_min3_f32 v154, v93, v95, v125
	v_min3_f32 v46, v46, v47, v112
	v_add_f64 v[47:48], v[36:37], v[44:45]
	v_add_f64 v[95:96], v[34:35], v[42:43]
	v_cvt_f32_f64_e32 v47, v[47:48]
	v_cvt_f32_f64_e32 v49, v[95:96]
	v_add_f64 v[95:96], v[30:31], v[42:43]
	v_min3_f32 v47, v49, v47, v113
	v_add_f64 v[48:49], v[32:33], v[44:45]
	v_cvt_f32_f64_e32 v93, v[95:96]
	v_add_f64 v[95:96], v[28:29], v[44:45]
	v_cvt_f32_f64_e32 v48, v[48:49]
	v_cvt_f32_f64_e32 v49, v[99:100]
	v_add_f64 v[99:100], v[18:19], v[42:43]
	v_min3_f32 v48, v93, v48, v126
	v_cvt_f32_f64_e32 v93, v[95:96]
	v_add_f64 v[95:96], v[20:21], v[44:45]
	v_min3_f32 v49, v49, v93, v127
	v_cvt_f32_f64_e32 v93, v[99:100]
	v_cvt_f32_f64_e32 v95, v[95:96]
	v_add_f64 v[99:100], v[14:15], v[42:43]
	v_min3_f32 v155, v93, v95, v128
	v_add_f64 v[95:96], v[16:17], v[44:45]
	v_cvt_f32_f64_e32 v93, v[99:100]
	v_add_f64 v[99:100], v[10:11], v[42:43]
	v_cvt_f32_f64_e32 v95, v[95:96]
	v_min3_f32 v156, v93, v95, v129
	v_add_f64 v[95:96], v[12:13], v[44:45]
	v_cvt_f32_f64_e32 v93, v[99:100]
	v_add_f64 v[99:100], v[6:7], v[42:43]
	v_add_f64 v[42:43], v[2:3], v[42:43]
	v_cvt_f32_f64_e32 v95, v[95:96]
	v_cvt_f32_f64_e32 v42, v[42:43]
	v_min3_f32 v148, v93, v95, v148
	v_add_f64 v[95:96], v[8:9], v[44:45]
	v_add_f64 v[44:45], v[4:5], v[44:45]
	v_cvt_f32_f64_e32 v93, v[99:100]
	v_add_f64 v[99:100], v[26:27], v[38:39]
	v_add_f64 v[26:27], v[26:27], v[22:23]
	v_cvt_f32_f64_e32 v95, v[95:96]
	v_cvt_f32_f64_e32 v43, v[44:45]
	;; [unrolled: 1-line block ×3, first 2 shown]
	v_min3_f32 v149, v93, v95, v149
	v_min3_f32 v42, v42, v43, v169
	v_add_f64 v[43:44], v[36:37], v[40:41]
	v_add_f64 v[95:96], v[34:35], v[38:39]
	;; [unrolled: 1-line block ×4, first 2 shown]
	v_cvt_f32_f64_e32 v43, v[43:44]
	v_cvt_f32_f64_e32 v45, v[95:96]
	v_add_f64 v[95:96], v[30:31], v[38:39]
	v_add_f64 v[30:31], v[30:31], v[22:23]
	v_cvt_f32_f64_e32 v34, v[34:35]
	v_cvt_f32_f64_e32 v35, v[36:37]
	v_min3_f32 v43, v45, v43, v175
	v_add_f64 v[44:45], v[32:33], v[40:41]
	v_cvt_f32_f64_e32 v93, v[95:96]
	v_add_f64 v[95:96], v[28:29], v[40:41]
	v_add_f64 v[32:33], v[32:33], v[24:25]
	;; [unrolled: 1-line block ×3, first 2 shown]
	v_cvt_f32_f64_e32 v30, v[30:31]
	v_min3_f32 v196, v34, v35, v98
	v_cvt_f32_f64_e32 v44, v[44:45]
	v_cvt_f32_f64_e32 v45, v[99:100]
	v_add_f64 v[99:100], v[18:19], v[38:39]
	v_add_f64 v[18:19], v[18:19], v[22:23]
	v_cvt_f32_f64_e32 v31, v[32:33]
	v_cvt_f32_f64_e32 v27, v[28:29]
	v_min3_f32 v44, v93, v44, v106
	v_cvt_f32_f64_e32 v93, v[95:96]
	v_add_f64 v[95:96], v[20:21], v[40:41]
	v_add_f64 v[20:21], v[20:21], v[24:25]
	v_cvt_f32_f64_e32 v18, v[18:19]
	v_min3_f32 v197, v30, v31, v94
	v_min3_f32 v198, v26, v27, v90
	;; [unrolled: 1-line block ×3, first 2 shown]
	v_cvt_f32_f64_e32 v93, v[99:100]
	v_cvt_f32_f64_e32 v95, v[95:96]
	v_add_f64 v[99:100], v[14:15], v[38:39]
	v_add_f64 v[14:15], v[14:15], v[22:23]
	v_cvt_f32_f64_e32 v19, v[20:21]
	v_min3_f32 v157, v93, v95, v108
	v_add_f64 v[95:96], v[16:17], v[40:41]
	v_cvt_f32_f64_e32 v93, v[99:100]
	v_add_f64 v[99:100], v[10:11], v[38:39]
	v_add_f64 v[16:17], v[16:17], v[24:25]
	;; [unrolled: 1-line block ×3, first 2 shown]
	v_cvt_f32_f64_e32 v14, v[14:15]
	v_min3_f32 v199, v18, v19, v86
	v_cvt_f32_f64_e32 v95, v[95:96]
	v_cvt_f32_f64_e32 v15, v[16:17]
	;; [unrolled: 1-line block ×3, first 2 shown]
	v_min3_f32 v158, v93, v95, v109
	v_add_f64 v[95:96], v[12:13], v[40:41]
	v_cvt_f32_f64_e32 v93, v[99:100]
	v_add_f64 v[99:100], v[6:7], v[38:39]
	v_add_f64 v[38:39], v[2:3], v[38:39]
	;; [unrolled: 1-line block ×5, first 2 shown]
	v_min3_f32 v200, v14, v15, v82
	v_cvt_f32_f64_e32 v95, v[95:96]
	v_cvt_f32_f64_e32 v38, v[38:39]
	;; [unrolled: 1-line block ×5, first 2 shown]
	v_min3_f32 v159, v93, v95, v110
	v_add_f64 v[95:96], v[8:9], v[40:41]
	v_add_f64 v[40:41], v[4:5], v[40:41]
	;; [unrolled: 1-line block ×4, first 2 shown]
	v_cvt_f32_f64_e32 v93, v[99:100]
	v_min3_f32 v201, v10, v11, v78
	v_cvt_f32_f64_e32 v95, v[95:96]
	v_cvt_f32_f64_e32 v39, v[40:41]
	;; [unrolled: 1-line block ×4, first 2 shown]
	v_min3_f32 v169, v93, v95, v111
	v_min3_f32 v175, v38, v39, v102
	v_min3_f32 v202, v6, v7, v71
	v_min3_f32 v203, v2, v3, v73
	ds_read_b128 v[6:9], v170 offset:256
	ds_read_b128 v[10:13], v170 offset:512
	;; [unrolled: 1-line block ×14, first 2 shown]
	ds_read_b128 v[97:100], v150
	ds_read_b128 v[34:37], v150 offset:16
	ds_read_b128 v[192:195], v170
	ds_read_b128 v[2:5], v170 offset:16
	s_waitcnt lgkmcnt(1)
	v_add_f64 v[101:102], v[194:195], v[99:100]
	v_add_f64 v[103:104], v[192:193], v[97:98]
	v_cvt_f32_f64_e32 v73, v[101:102]
	v_cvt_f32_f64_e32 v71, v[103:104]
	v_add_f64 v[101:102], v[8:9], v[99:100]
	v_add_f64 v[103:104], v[6:7], v[97:98]
	v_min3_f32 v129, v71, v73, v66
	v_cvt_f32_f64_e32 v71, v[101:102]
	v_cvt_f32_f64_e32 v66, v[103:104]
	v_add_f64 v[101:102], v[10:11], v[97:98]
	v_min3_f32 v128, v66, v71, v67
	v_add_f64 v[66:67], v[12:13], v[99:100]
	v_cvt_f32_f64_e32 v71, v[101:102]
	v_add_f64 v[101:102], v[14:15], v[97:98]
	v_cvt_f32_f64_e32 v66, v[66:67]
	v_min3_f32 v127, v71, v66, v68
	v_add_f64 v[66:67], v[16:17], v[99:100]
	v_cvt_f32_f64_e32 v68, v[101:102]
	v_cvt_f32_f64_e32 v66, v[66:67]
	v_min3_f32 v126, v68, v66, v69
	v_add_f64 v[66:67], v[20:21], v[99:100]
	v_add_f64 v[68:69], v[18:19], v[97:98]
	v_cvt_f32_f64_e32 v66, v[66:67]
	v_cvt_f32_f64_e32 v68, v[68:69]
	v_min3_f32 v125, v68, v66, v70
	v_add_f64 v[66:67], v[24:25], v[99:100]
	;; [unrolled: 5-line block ×11, first 2 shown]
	v_add_f64 v[64:65], v[26:27], v[38:39]
	v_add_f64 v[40:41], v[32:33], v[40:41]
	;; [unrolled: 1-line block ×3, first 2 shown]
	v_cvt_f32_f64_e32 v62, v[62:63]
	v_cvt_f32_f64_e32 v64, v[64:65]
	;; [unrolled: 1-line block ×4, first 2 shown]
	v_add_f64 v[40:41], v[192:193], v[93:94]
	v_min3_f32 v115, v64, v62, v79
	v_min3_f32 v114, v38, v39, v58
	v_add_f64 v[38:39], v[194:195], v[95:96]
	v_cvt_f32_f64_e32 v40, v[40:41]
	v_cvt_f32_f64_e32 v38, v[38:39]
	v_min3_f32 v113, v40, v38, v59
	v_add_f64 v[38:39], v[8:9], v[95:96]
	v_add_f64 v[40:41], v[6:7], v[93:94]
	v_cvt_f32_f64_e32 v38, v[38:39]
	v_cvt_f32_f64_e32 v40, v[40:41]
	v_min3_f32 v112, v40, v38, v60
	v_add_f64 v[38:39], v[12:13], v[95:96]
	;; [unrolled: 5-line block ×23, first 2 shown]
	v_add_f64 v[40:41], v[30:31], v[164:165]
	s_waitcnt lgkmcnt(0)
	v_add_f64 v[153:154], v[2:3], v[34:35]
	v_cvt_f32_f64_e32 v38, v[38:39]
	v_cvt_f32_f64_e32 v40, v[40:41]
	;; [unrolled: 1-line block ×3, first 2 shown]
	v_min3_f32 v90, v40, v38, v46
	v_add_f64 v[38:39], v[194:195], v[182:183]
	v_add_f64 v[40:41], v[192:193], v[180:181]
	v_cvt_f32_f64_e32 v38, v[38:39]
	v_cvt_f32_f64_e32 v40, v[40:41]
	v_min3_f32 v89, v40, v38, v47
	v_add_f64 v[38:39], v[8:9], v[182:183]
	v_add_f64 v[40:41], v[6:7], v[180:181]
	v_cvt_f32_f64_e32 v38, v[38:39]
	v_cvt_f32_f64_e32 v40, v[40:41]
	v_min3_f32 v88, v40, v38, v48
	v_add_f64 v[38:39], v[12:13], v[182:183]
	v_add_f64 v[40:41], v[10:11], v[180:181]
	v_cvt_f32_f64_e32 v38, v[38:39]
	v_cvt_f32_f64_e32 v40, v[40:41]
	v_min3_f32 v87, v40, v38, v49
	v_add_f64 v[38:39], v[16:17], v[182:183]
	v_add_f64 v[40:41], v[14:15], v[180:181]
	v_cvt_f32_f64_e32 v38, v[38:39]
	v_cvt_f32_f64_e32 v40, v[40:41]
	v_min3_f32 v86, v40, v38, v155
	v_add_f64 v[38:39], v[20:21], v[182:183]
	v_add_f64 v[40:41], v[18:19], v[180:181]
	v_cvt_f32_f64_e32 v38, v[38:39]
	v_cvt_f32_f64_e32 v40, v[40:41]
	v_min3_f32 v85, v40, v38, v156
	v_add_f64 v[38:39], v[24:25], v[182:183]
	v_add_f64 v[40:41], v[22:23], v[180:181]
	v_cvt_f32_f64_e32 v38, v[38:39]
	v_cvt_f32_f64_e32 v40, v[40:41]
	v_min3_f32 v84, v40, v38, v148
	v_add_f64 v[38:39], v[28:29], v[182:183]
	v_add_f64 v[40:41], v[26:27], v[180:181]
	v_cvt_f32_f64_e32 v38, v[38:39]
	v_cvt_f32_f64_e32 v40, v[40:41]
	v_min3_f32 v83, v40, v38, v149
	v_add_f64 v[38:39], v[32:33], v[182:183]
	v_add_f64 v[40:41], v[30:31], v[180:181]
	;; [unrolled: 1-line block ×3, first 2 shown]
	v_cvt_f32_f64_e32 v38, v[38:39]
	v_cvt_f32_f64_e32 v40, v[40:41]
	;; [unrolled: 1-line block ×3, first 2 shown]
	v_min3_f32 v82, v40, v38, v42
	v_add_f64 v[38:39], v[194:195], v[186:187]
	v_add_f64 v[40:41], v[192:193], v[184:185]
	v_min3_f32 v226, v153, v148, v129
	v_cvt_f32_f64_e32 v38, v[38:39]
	v_cvt_f32_f64_e32 v40, v[40:41]
	v_min3_f32 v81, v40, v38, v43
	v_add_f64 v[38:39], v[8:9], v[186:187]
	v_add_f64 v[40:41], v[6:7], v[184:185]
	v_add_f64 v[8:9], v[8:9], v[190:191]
	v_add_f64 v[6:7], v[6:7], v[188:189]
	v_cvt_f32_f64_e32 v38, v[38:39]
	v_cvt_f32_f64_e32 v40, v[40:41]
	v_cvt_f32_f64_e32 v6, v[6:7]
	v_cvt_f32_f64_e32 v7, v[8:9]
	v_add_f64 v[8:9], v[10:11], v[188:189]
	v_min3_f32 v80, v40, v38, v44
	v_add_f64 v[38:39], v[12:13], v[186:187]
	v_add_f64 v[40:41], v[10:11], v[184:185]
	v_min3_f32 v72, v6, v7, v197
	v_add_f64 v[6:7], v[12:13], v[190:191]
	v_cvt_f32_f64_e32 v8, v[8:9]
	v_cvt_f32_f64_e32 v38, v[38:39]
	v_cvt_f32_f64_e32 v40, v[40:41]
	v_cvt_f32_f64_e32 v6, v[6:7]
	v_min3_f32 v79, v40, v38, v45
	v_add_f64 v[38:39], v[16:17], v[186:187]
	v_add_f64 v[40:41], v[14:15], v[184:185]
	v_min3_f32 v71, v8, v6, v198
	v_add_f64 v[6:7], v[16:17], v[190:191]
	v_add_f64 v[8:9], v[14:15], v[188:189]
	v_cvt_f32_f64_e32 v38, v[38:39]
	v_cvt_f32_f64_e32 v40, v[40:41]
	v_cvt_f32_f64_e32 v6, v[6:7]
	v_cvt_f32_f64_e32 v8, v[8:9]
	v_min3_f32 v78, v40, v38, v157
	v_add_f64 v[38:39], v[20:21], v[186:187]
	v_add_f64 v[40:41], v[18:19], v[184:185]
	v_min3_f32 v70, v8, v6, v199
	v_add_f64 v[6:7], v[20:21], v[190:191]
	;; [unrolled: 10-line block ×5, first 2 shown]
	v_add_f64 v[8:9], v[30:31], v[188:189]
	v_cvt_f32_f64_e32 v38, v[38:39]
	v_cvt_f32_f64_e32 v40, v[40:41]
	;; [unrolled: 1-line block ×4, first 2 shown]
	v_min3_f32 v74, v40, v38, v175
	v_add_f64 v[38:39], v[194:195], v[190:191]
	v_add_f64 v[40:41], v[192:193], v[188:189]
	v_min3_f32 v66, v8, v6, v203
	v_cvt_f32_f64_e32 v38, v[38:39]
	v_cvt_f32_f64_e32 v40, v[40:41]
	v_min3_f32 v73, v40, v38, v196
	ds_read_b128 v[22:25], v170 offset:272
	ds_read_b128 v[18:21], v170 offset:528
	;; [unrolled: 1-line block ×14, first 2 shown]
	ds_write_b64 v171, v[138:139]
	ds_write2st64_b64 v172, v[142:143], v[144:145] offset1:4
	ds_write2st64_b64 v172, v[140:141], v[146:147] offset0:8 offset1:12
	s_waitcnt lgkmcnt(0)
	s_barrier
	buffer_gl0_inv
	v_add_f64 v[148:149], v[24:25], v[36:37]
	v_add_f64 v[153:154], v[22:23], v[34:35]
	v_cvt_f32_f64_e32 v148, v[148:149]
	v_cvt_f32_f64_e32 v129, v[153:154]
	v_min3_f32 v224, v129, v148, v128
	v_add_f64 v[128:129], v[20:21], v[36:37]
	v_add_f64 v[148:149], v[18:19], v[34:35]
	v_cvt_f32_f64_e32 v128, v[128:129]
	v_cvt_f32_f64_e32 v148, v[148:149]
	v_min3_f32 v225, v148, v128, v127
	;; [unrolled: 5-line block ×5, first 2 shown]
	v_add_f64 v[124:125], v[32:33], v[36:37]
	v_add_f64 v[126:127], v[30:31], v[34:35]
	;; [unrolled: 1-line block ×4, first 2 shown]
	v_cvt_f32_f64_e32 v124, v[124:125]
	v_cvt_f32_f64_e32 v126, v[126:127]
	;; [unrolled: 1-line block ×4, first 2 shown]
	v_add_f64 v[36:37], v[2:3], v[62:63]
	v_min3_f32 v221, v126, v124, v123
	v_min3_f32 v218, v34, v35, v122
	v_add_f64 v[34:35], v[4:5], v[64:65]
	v_cvt_f32_f64_e32 v36, v[36:37]
	v_cvt_f32_f64_e32 v34, v[34:35]
	v_min3_f32 v219, v36, v34, v121
	v_add_f64 v[34:35], v[24:25], v[64:65]
	v_add_f64 v[36:37], v[22:23], v[62:63]
	v_cvt_f32_f64_e32 v34, v[34:35]
	v_cvt_f32_f64_e32 v36, v[36:37]
	v_min3_f32 v216, v36, v34, v120
	v_add_f64 v[34:35], v[20:21], v[64:65]
	;; [unrolled: 5-line block ×40, first 2 shown]
	v_add_f64 v[36:37], v[2:3], v[42:43]
	v_add_f64 v[4:5], v[4:5], v[40:41]
	;; [unrolled: 1-line block ×3, first 2 shown]
	v_cvt_f32_f64_e32 v34, v[34:35]
	v_cvt_f32_f64_e32 v36, v[36:37]
	;; [unrolled: 1-line block ×4, first 2 shown]
	v_add_f64 v[4:5], v[22:23], v[38:39]
	v_min3_f32 v175, v36, v34, v81
	v_add_f64 v[34:35], v[24:25], v[44:45]
	v_add_f64 v[36:37], v[22:23], v[42:43]
	v_min3_f32 v160, v2, v3, v73
	v_add_f64 v[2:3], v[24:25], v[40:41]
	v_cvt_f32_f64_e32 v4, v[4:5]
	v_cvt_f32_f64_e32 v34, v[34:35]
	v_cvt_f32_f64_e32 v36, v[36:37]
	v_cvt_f32_f64_e32 v2, v[2:3]
	v_min3_f32 v166, v36, v34, v80
	v_add_f64 v[34:35], v[20:21], v[44:45]
	v_add_f64 v[36:37], v[18:19], v[42:43]
	v_min3_f32 v159, v4, v2, v72
	v_add_f64 v[2:3], v[20:21], v[40:41]
	v_add_f64 v[4:5], v[18:19], v[38:39]
	v_cvt_f32_f64_e32 v34, v[34:35]
	v_cvt_f32_f64_e32 v36, v[36:37]
	v_cvt_f32_f64_e32 v2, v[2:3]
	v_cvt_f32_f64_e32 v4, v[4:5]
	v_min3_f32 v167, v36, v34, v79
	v_add_f64 v[34:35], v[16:17], v[44:45]
	v_add_f64 v[36:37], v[14:15], v[42:43]
	v_min3_f32 v158, v4, v2, v71
	v_add_f64 v[2:3], v[16:17], v[40:41]
	v_add_f64 v[4:5], v[14:15], v[38:39]
	v_cvt_f32_f64_e32 v34, v[34:35]
	v_cvt_f32_f64_e32 v36, v[36:37]
	v_cvt_f32_f64_e32 v2, v[2:3]
	v_cvt_f32_f64_e32 v4, v[4:5]
	v_min3_f32 v164, v36, v34, v78
	v_add_f64 v[34:35], v[12:13], v[44:45]
	v_add_f64 v[36:37], v[10:11], v[42:43]
	v_min3_f32 v156, v4, v2, v70
	v_add_f64 v[2:3], v[12:13], v[40:41]
	v_add_f64 v[4:5], v[10:11], v[38:39]
	v_cvt_f32_f64_e32 v34, v[34:35]
	v_cvt_f32_f64_e32 v36, v[36:37]
	v_cvt_f32_f64_e32 v2, v[2:3]
	v_cvt_f32_f64_e32 v4, v[4:5]
	v_min3_f32 v165, v36, v34, v77
	v_add_f64 v[34:35], v[8:9], v[44:45]
	v_add_f64 v[36:37], v[6:7], v[42:43]
	v_min3_f32 v157, v4, v2, v69
	v_add_f64 v[2:3], v[8:9], v[40:41]
	v_add_f64 v[4:5], v[6:7], v[38:39]
	v_cvt_f32_f64_e32 v34, v[34:35]
	v_cvt_f32_f64_e32 v36, v[36:37]
	v_cvt_f32_f64_e32 v2, v[2:3]
	v_cvt_f32_f64_e32 v4, v[4:5]
	v_min3_f32 v162, v36, v34, v76
	v_add_f64 v[34:35], v[32:33], v[44:45]
	v_add_f64 v[36:37], v[30:31], v[42:43]
	v_min3_f32 v154, v4, v2, v68
	v_add_f64 v[2:3], v[32:33], v[40:41]
	v_add_f64 v[4:5], v[30:31], v[38:39]
	v_cvt_f32_f64_e32 v34, v[34:35]
	v_cvt_f32_f64_e32 v36, v[36:37]
	v_cvt_f32_f64_e32 v2, v[2:3]
	v_cvt_f32_f64_e32 v4, v[4:5]
	v_min3_f32 v163, v36, v34, v75
	v_add_f64 v[34:35], v[28:29], v[44:45]
	v_add_f64 v[36:37], v[26:27], v[42:43]
	v_min3_f32 v155, v4, v2, v67
	v_add_f64 v[2:3], v[28:29], v[40:41]
	v_add_f64 v[4:5], v[26:27], v[38:39]
	v_cvt_f32_f64_e32 v34, v[34:35]
	v_cvt_f32_f64_e32 v36, v[36:37]
	;; [unrolled: 1-line block ×4, first 2 shown]
	v_min3_f32 v161, v36, v34, v74
	v_min3_f32 v153, v4, v2, v66
	s_cbranch_scc1 .LBB117_33
.LBB117_21:                             ; =>This Inner Loop Header: Depth=1
	v_mov_b32_e32 v140, 0
	v_mov_b32_e32 v142, 0
	;; [unrolled: 1-line block ×4, first 2 shown]
	s_and_b32 vcc_lo, exec_lo, s1
	s_cbranch_vccnz .LBB117_23
; %bb.22:                               ;   in Loop: Header=BB117_21 Depth=1
	v_add_co_u32 v2, vcc_lo, v176, v136
	v_add_co_ci_u32_e64 v3, null, v177, v137, vcc_lo
	flat_load_dwordx2 v[2:3], v[2:3]
	s_waitcnt vmcnt(0) lgkmcnt(0)
	v_mul_f64 v[142:143], s[16:17], v[2:3]
.LBB117_23:                             ;   in Loop: Header=BB117_21 Depth=1
	v_mov_b32_e32 v144, 0
	v_mov_b32_e32 v145, 0
	s_and_b32 vcc_lo, exec_lo, s1
	s_cbranch_vccnz .LBB117_25
; %bb.24:                               ;   in Loop: Header=BB117_21 Depth=1
	v_add_co_u32 v2, vcc_lo, v178, v134
	v_add_co_ci_u32_e64 v3, null, v179, v135, vcc_lo
	s_clause 0x1
	flat_load_dwordx2 v[4:5], v[2:3]
	flat_load_dwordx2 v[2:3], v[2:3] offset:512
	s_waitcnt vmcnt(1) lgkmcnt(1)
	v_mul_f64 v[140:141], s[16:17], v[4:5]
	s_waitcnt vmcnt(0) lgkmcnt(0)
	v_mul_f64 v[144:145], s[16:17], v[2:3]
.LBB117_25:                             ;   in Loop: Header=BB117_21 Depth=1
	v_mov_b32_e32 v138, 0
	v_mov_b32_e32 v146, 0
	;; [unrolled: 1-line block ×6, first 2 shown]
	s_and_b32 vcc_lo, exec_lo, s1
	s_cbranch_vccnz .LBB117_27
; %bb.26:                               ;   in Loop: Header=BB117_21 Depth=1
	v_add_co_u32 v2, vcc_lo, v178, v134
	v_add_co_ci_u32_e64 v3, null, v179, v135, vcc_lo
	s_clause 0x1
	flat_load_dwordx2 v[4:5], v[2:3] offset:1024
	flat_load_dwordx2 v[2:3], v[2:3] offset:1536
	s_waitcnt vmcnt(1) lgkmcnt(1)
	v_mul_f64 v[146:147], s[16:17], v[4:5]
	s_waitcnt vmcnt(0) lgkmcnt(0)
	v_mul_f64 v[148:149], s[16:17], v[2:3]
.LBB117_27:                             ;   in Loop: Header=BB117_21 Depth=1
	ds_read_b128 v[126:129], v174
	ds_read_b128 v[62:65], v174 offset:16
	ds_read_b128 v[98:101], v173
	ds_read_b128 v[34:37], v173 offset:16
	ds_read_b128 v[94:97], v173 offset:256
	;; [unrolled: 1-line block ×29, first 2 shown]
	s_and_b32 vcc_lo, exec_lo, s1
	ds_write_b64 v168, v[142:143]
	ds_write2st64_b64 v152, v[140:141], v[144:145] offset1:4
	ds_write2st64_b64 v152, v[146:147], v[148:149] offset0:8 offset1:12
	s_waitcnt lgkmcnt(0)
	s_barrier
	buffer_gl0_inv
	s_cbranch_vccnz .LBB117_29
; %bb.28:                               ;   in Loop: Header=BB117_21 Depth=1
	v_add_co_u32 v138, vcc_lo, v176, v130
	v_add_co_ci_u32_e64 v139, null, v177, v131, vcc_lo
	flat_load_dwordx2 v[138:139], v[138:139]
	s_waitcnt vmcnt(0) lgkmcnt(0)
	v_mul_f64 v[138:139], s[16:17], v[138:139]
.LBB117_29:                             ;   in Loop: Header=BB117_21 Depth=1
	v_mov_b32_e32 v140, 0
	v_mov_b32_e32 v142, 0
	v_mov_b32_e32 v144, 0
	v_mov_b32_e32 v141, 0
	v_mov_b32_e32 v143, 0
	v_mov_b32_e32 v145, 0
	s_and_b32 vcc_lo, exec_lo, s1
	s_cbranch_vccnz .LBB117_31
; %bb.30:                               ;   in Loop: Header=BB117_21 Depth=1
	v_add_co_u32 v142, vcc_lo, v178, v132
	v_add_co_ci_u32_e64 v143, null, v179, v133, vcc_lo
	s_clause 0x1
	flat_load_dwordx2 v[144:145], v[142:143]
	flat_load_dwordx2 v[146:147], v[142:143] offset:512
	s_waitcnt vmcnt(1) lgkmcnt(1)
	v_mul_f64 v[142:143], s[16:17], v[144:145]
	s_waitcnt vmcnt(0) lgkmcnt(0)
	v_mul_f64 v[144:145], s[16:17], v[146:147]
.LBB117_31:                             ;   in Loop: Header=BB117_21 Depth=1
	v_mov_b32_e32 v146, 0
	v_mov_b32_e32 v147, 0
	s_and_b32 vcc_lo, exec_lo, s1
	s_cbranch_vccnz .LBB117_20
; %bb.32:                               ;   in Loop: Header=BB117_21 Depth=1
	v_add_co_u32 v140, vcc_lo, v178, v132
	v_add_co_ci_u32_e64 v141, null, v179, v133, vcc_lo
	s_clause 0x1
	flat_load_dwordx2 v[146:147], v[140:141] offset:1024
	flat_load_dwordx2 v[148:149], v[140:141] offset:1536
	s_waitcnt vmcnt(1) lgkmcnt(1)
	v_mul_f64 v[140:141], s[16:17], v[146:147]
	s_waitcnt vmcnt(0) lgkmcnt(0)
	v_mul_f64 v[146:147], s[16:17], v[148:149]
	s_branch .LBB117_20
.LBB117_33:
	ds_read_b128 v[126:129], v150 offset:8192
	ds_read_b128 v[70:73], v151 offset:18432
	;; [unrolled: 1-line block ×4, first 2 shown]
	s_clause 0x2
	s_load_dword s1, s[4:5], 0x58
	s_load_dword s6, s[4:5], 0x70
	s_load_dwordx2 s[4:5], s[4:5], 0x78
	ds_read_b128 v[62:65], v151 offset:18688
	ds_read_b128 v[58:61], v151 offset:18704
	;; [unrolled: 1-line block ×23, first 2 shown]
	v_add_nc_u32_e32 v144, s23, v1
	ds_read_b128 v[82:85], v150 offset:13328
	v_add_nc_u32_e32 v138, s22, v0
	s_mov_b32 s7, -1
	v_ashrrev_i32_e32 v139, 31, v138
	v_add_nc_u32_e32 v0, 8, v138
	v_ashrrev_i32_e32 v1, 31, v0
	s_waitcnt lgkmcnt(0)
	v_add_f64 v[10:11], v[70:71], v[126:127]
	v_add_f64 v[12:13], v[72:73], v[128:129]
	;; [unrolled: 1-line block ×4, first 2 shown]
	v_mad_i64_i32 v[130:131], null, v144, s6, 0
	v_mad_i64_i32 v[132:133], null, v144, s1, 0
	s_lshl_b64 s[4:5], s[4:5], 3
	s_add_u32 s4, s8, s4
	s_addc_u32 s5, s9, s5
	v_lshlrev_b64 v[130:131], 3, v[130:131]
	v_lshlrev_b64 v[132:133], 3, v[132:133]
	v_add_co_u32 v145, vcc_lo, s4, v130
	v_add_co_ci_u32_e64 v146, null, s5, v131, vcc_lo
	v_cvt_f32_f64_e32 v134, v[10:11]
	v_cvt_f32_f64_e32 v135, v[12:13]
	;; [unrolled: 1-line block ×4, first 2 shown]
	ds_read_b128 v[78:81], v150 offset:14336
	ds_read_b128 v[74:77], v150 offset:14352
	;; [unrolled: 1-line block ×4, first 2 shown]
	v_add_co_u32 v147, vcc_lo, s2, v132
	v_add_co_ci_u32_e64 v148, null, s3, v133, vcc_lo
	s_mov_b32 vcc_lo, s0
	v_min3_f32 v134, v134, v135, v226
	v_min3_f32 v130, v136, v137, v134
	v_lshlrev_b64 v[134:135], 3, v[138:139]
	v_max_f32_e32 v131, v130, v130
	s_cbranch_vccz .LBB117_35
; %bb.34:
	v_min_f32_e32 v130, 0, v131
	v_add_co_u32 v136, vcc_lo, v145, v134
	v_add_co_ci_u32_e64 v137, null, v146, v135, vcc_lo
	v_cvt_f64_f32_e32 v[132:133], v130
	s_mov_b32 s7, 0
	flat_store_dwordx2 v[136:137], v[132:133]
.LBB117_35:
	v_lshlrev_b64 v[0:1], 3, v[0:1]
	v_mov_b32_e32 v130, 0
	s_andn2_b32 vcc_lo, exec_lo, s7
	s_cbranch_vccnz .LBB117_37
; %bb.36:
	v_add_co_u32 v132, vcc_lo, v147, v134
	v_add_co_ci_u32_e64 v133, null, v148, v135, vcc_lo
	flat_load_dwordx2 v[132:133], v[132:133]
	s_waitcnt vmcnt(0) lgkmcnt(0)
	v_mul_f64 v[132:133], s[12:13], v[132:133]
	v_cvt_f32_f64_e32 v130, v[132:133]
	v_add_co_u32 v132, vcc_lo, v145, v134
	v_add_co_ci_u32_e64 v133, null, v146, v135, vcc_lo
	v_add_co_u32 v136, vcc_lo, v147, v0
	v_add_co_ci_u32_e64 v137, null, v148, v1, vcc_lo
	v_min_f32_e32 v130, v130, v131
	v_cvt_f64_f32_e32 v[130:131], v130
	flat_store_dwordx2 v[132:133], v[130:131]
	flat_load_dwordx2 v[130:131], v[136:137]
	s_waitcnt vmcnt(0) lgkmcnt(0)
	v_mul_f64 v[130:131], s[12:13], v[130:131]
	v_cvt_f32_f64_e32 v130, v[130:131]
.LBB117_37:
	v_add_f64 v[131:132], v[62:63], v[126:127]
	v_add_f64 v[136:137], v[64:65], v[128:129]
	;; [unrolled: 1-line block ×7, first 2 shown]
	s_mov_b32 s7, -1
	v_cvt_f32_f64_e32 v133, v[131:132]
	v_cvt_f32_f64_e32 v136, v[136:137]
	;; [unrolled: 1-line block ×4, first 2 shown]
	v_add_f64 v[131:132], v[52:53], v[124:125]
	v_cvt_f32_f64_e32 v141, v[151:152]
	v_cvt_f32_f64_e32 v142, v[149:150]
	;; [unrolled: 1-line block ×3, first 2 shown]
	v_min3_f32 v133, v133, v136, v224
	v_min_f32_e32 v136, v137, v139
	v_cvt_f32_f64_e32 v131, v[131:132]
	v_add_nc_u32_e32 v132, 16, v138
	v_min3_f32 v130, v130, v136, v133
	v_min3_f32 v136, v141, v142, v225
	v_ashrrev_i32_e32 v133, 31, v132
	v_add_co_u32 v141, vcc_lo, v145, v0
	v_cvt_f64_f32_e32 v[139:140], v130
	v_add_nc_u32_e32 v130, 24, v138
	v_add_co_ci_u32_e64 v142, null, v146, v1, vcc_lo
	s_mov_b32 vcc_lo, s0
	v_min3_f32 v143, v143, v131, v136
	v_lshlrev_b64 v[136:137], 3, v[132:133]
	v_ashrrev_i32_e32 v131, 31, v130
	v_max_f32_e32 v133, v143, v143
	flat_store_dwordx2 v[141:142], v[139:140]
	s_cbranch_vccz .LBB117_39
; %bb.38:
	v_min_f32_e32 v132, 0, v133
	v_add_co_u32 v141, vcc_lo, v145, v136
	v_add_co_ci_u32_e64 v142, null, v146, v137, vcc_lo
	v_cvt_f64_f32_e32 v[139:140], v132
	s_mov_b32 s7, 0
	flat_store_dwordx2 v[141:142], v[139:140]
.LBB117_39:
	v_lshlrev_b64 v[130:131], 3, v[130:131]
	v_mov_b32_e32 v132, 0
	s_andn2_b32 vcc_lo, exec_lo, s7
	s_cbranch_vccnz .LBB117_41
; %bb.40:
	v_add_co_u32 v139, vcc_lo, v147, v136
	v_add_co_ci_u32_e64 v140, null, v148, v137, vcc_lo
	flat_load_dwordx2 v[139:140], v[139:140]
	s_waitcnt vmcnt(0) lgkmcnt(0)
	v_mul_f64 v[139:140], s[12:13], v[139:140]
	v_cvt_f32_f64_e32 v132, v[139:140]
	v_add_co_u32 v139, vcc_lo, v145, v136
	v_add_co_ci_u32_e64 v140, null, v146, v137, vcc_lo
	v_add_co_u32 v141, vcc_lo, v147, v130
	v_add_co_ci_u32_e64 v142, null, v148, v131, vcc_lo
	v_min_f32_e32 v132, v132, v133
	v_cvt_f64_f32_e32 v[132:133], v132
	flat_store_dwordx2 v[139:140], v[132:133]
	flat_load_dwordx2 v[132:133], v[141:142]
	s_waitcnt vmcnt(0) lgkmcnt(0)
	v_mul_f64 v[132:133], s[12:13], v[132:133]
	v_cvt_f32_f64_e32 v132, v[132:133]
.LBB117_41:
	v_add_f64 v[139:140], v[46:47], v[126:127]
	v_add_f64 v[141:142], v[48:49], v[128:129]
	;; [unrolled: 1-line block ×7, first 2 shown]
	s_mov_b32 s7, -1
	v_cvt_f32_f64_e32 v133, v[139:140]
	v_cvt_f32_f64_e32 v141, v[141:142]
	;; [unrolled: 1-line block ×4, first 2 shown]
	v_add_f64 v[139:140], v[36:37], v[124:125]
	v_cvt_f32_f64_e32 v151, v[172:173]
	v_cvt_f32_f64_e32 v152, v[170:171]
	;; [unrolled: 1-line block ×3, first 2 shown]
	v_min3_f32 v133, v133, v141, v222
	v_min_f32_e32 v141, v142, v143
	v_cvt_f32_f64_e32 v142, v[139:140]
	v_add_nc_u32_e32 v139, 32, v138
	v_min3_f32 v132, v132, v141, v133
	v_min3_f32 v133, v151, v152, v223
	v_ashrrev_i32_e32 v140, 31, v139
	v_add_co_u32 v151, vcc_lo, v145, v130
	v_cvt_f64_f32_e32 v[149:150], v132
	v_add_nc_u32_e32 v132, 40, v138
	v_lshlrev_b64 v[140:141], 3, v[139:140]
	v_add_co_ci_u32_e64 v152, null, v146, v131, vcc_lo
	s_mov_b32 vcc_lo, s0
	v_min3_f32 v142, v168, v142, v133
	v_ashrrev_i32_e32 v133, 31, v132
	v_max_f32_e32 v142, v142, v142
	flat_store_dwordx2 v[151:152], v[149:150]
	s_cbranch_vccz .LBB117_43
; %bb.42:
	v_min_f32_e32 v139, 0, v142
	v_add_co_u32 v151, vcc_lo, v145, v140
	v_add_co_ci_u32_e64 v152, null, v146, v141, vcc_lo
	v_cvt_f64_f32_e32 v[149:150], v139
	s_mov_b32 s7, 0
	flat_store_dwordx2 v[151:152], v[149:150]
.LBB117_43:
	v_lshlrev_b64 v[132:133], 3, v[132:133]
	v_mov_b32_e32 v139, 0
	s_andn2_b32 vcc_lo, exec_lo, s7
	s_cbranch_vccnz .LBB117_45
; %bb.44:
	v_add_co_u32 v149, vcc_lo, v147, v140
	v_add_co_ci_u32_e64 v150, null, v148, v141, vcc_lo
	flat_load_dwordx2 v[149:150], v[149:150]
	s_waitcnt vmcnt(0) lgkmcnt(0)
	v_mul_f64 v[149:150], s[12:13], v[149:150]
	v_cvt_f32_f64_e32 v139, v[149:150]
	v_add_co_u32 v149, vcc_lo, v145, v140
	v_add_co_ci_u32_e64 v150, null, v146, v141, vcc_lo
	v_add_co_u32 v151, vcc_lo, v147, v132
	v_add_co_ci_u32_e64 v152, null, v148, v133, vcc_lo
	v_min_f32_e32 v139, v139, v142
	v_cvt_f64_f32_e32 v[142:143], v139
	flat_store_dwordx2 v[149:150], v[142:143]
	flat_load_dwordx2 v[142:143], v[151:152]
	s_waitcnt vmcnt(0) lgkmcnt(0)
	v_mul_f64 v[142:143], s[12:13], v[142:143]
	v_cvt_f32_f64_e32 v139, v[142:143]
.LBB117_45:
	v_add_f64 v[142:143], v[30:31], v[126:127]
	v_add_f64 v[149:150], v[32:33], v[128:129]
	;; [unrolled: 1-line block ×7, first 2 shown]
	s_mov_b32 s7, -1
	v_cvt_f32_f64_e32 v168, v[142:143]
	v_cvt_f32_f64_e32 v149, v[149:150]
	;; [unrolled: 1-line block ×4, first 2 shown]
	v_add_f64 v[142:143], v[20:21], v[124:125]
	v_cvt_f32_f64_e32 v170, v[176:177]
	v_cvt_f32_f64_e32 v171, v[172:173]
	v_cvt_f32_f64_e32 v172, v[178:179]
	v_min3_f32 v149, v168, v149, v220
	v_min_f32_e32 v150, v150, v151
	v_cvt_f32_f64_e32 v168, v[142:143]
	v_add_nc_u32_e32 v142, 48, v138
	v_add_nc_u32_e32 v138, 56, v138
	v_min3_f32 v139, v139, v150, v149
	v_ashrrev_i32_e32 v143, 31, v142
	v_cvt_f64_f32_e32 v[151:152], v139
	v_min3_f32 v139, v170, v171, v221
	v_add_co_u32 v170, vcc_lo, v145, v132
	v_lshlrev_b64 v[142:143], 3, v[142:143]
	v_add_co_ci_u32_e64 v171, null, v146, v133, vcc_lo
	s_mov_b32 vcc_lo, s0
	v_min3_f32 v149, v172, v168, v139
	v_ashrrev_i32_e32 v139, 31, v138
	v_max_f32_e32 v150, v149, v149
	flat_store_dwordx2 v[170:171], v[151:152]
	s_cbranch_vccz .LBB117_47
; %bb.46:
	v_min_f32_e32 v149, 0, v150
	v_add_co_u32 v170, vcc_lo, v145, v142
	v_add_co_ci_u32_e64 v171, null, v146, v143, vcc_lo
	v_cvt_f64_f32_e32 v[151:152], v149
	s_mov_b32 s7, 0
	flat_store_dwordx2 v[170:171], v[151:152]
.LBB117_47:
	v_lshlrev_b64 v[138:139], 3, v[138:139]
	v_mov_b32_e32 v149, 0
	s_andn2_b32 vcc_lo, exec_lo, s7
	s_cbranch_vccnz .LBB117_49
; %bb.48:
	v_add_co_u32 v151, vcc_lo, v147, v142
	v_add_co_ci_u32_e64 v152, null, v148, v143, vcc_lo
	flat_load_dwordx2 v[151:152], v[151:152]
	s_waitcnt vmcnt(0) lgkmcnt(0)
	v_mul_f64 v[151:152], s[12:13], v[151:152]
	v_cvt_f32_f64_e32 v149, v[151:152]
	v_add_co_u32 v151, vcc_lo, v145, v142
	v_add_co_ci_u32_e64 v152, null, v146, v143, vcc_lo
	v_add_co_u32 v147, vcc_lo, v147, v138
	v_add_co_ci_u32_e64 v148, null, v148, v139, vcc_lo
	v_min_f32_e32 v149, v149, v150
	v_cvt_f64_f32_e32 v[149:150], v149
	flat_store_dwordx2 v[151:152], v[149:150]
	flat_load_dwordx2 v[147:148], v[147:148]
	s_waitcnt vmcnt(0) lgkmcnt(0)
	v_mul_f64 v[147:148], s[12:13], v[147:148]
	v_cvt_f32_f64_e32 v149, v[147:148]
.LBB117_49:
	v_add_f64 v[126:127], v[2:3], v[126:127]
	v_add_f64 v[128:129], v[4:5], v[128:129]
	;; [unrolled: 1-line block ×6, first 2 shown]
	v_add_co_u32 v145, vcc_lo, v145, v138
	v_add_co_ci_u32_e64 v146, null, v146, v139, vcc_lo
	s_mov_b32 s7, -1
	v_cvt_f32_f64_e32 v126, v[126:127]
	v_cvt_f32_f64_e32 v127, v[128:129]
	;; [unrolled: 1-line block ×4, first 2 shown]
	v_add_f64 v[122:123], v[66:67], v[114:115]
	v_add_f64 v[124:125], v[68:69], v[116:117]
	v_cvt_f32_f64_e32 v150, v[150:151]
	v_cvt_f32_f64_e32 v147, v[147:148]
	v_add_nc_u32_e32 v148, 32, v144
	v_min3_f32 v126, v126, v127, v218
	v_min_f32_e32 v127, v128, v129
	v_cvt_f32_f64_e32 v151, v[122:123]
	v_cvt_f32_f64_e32 v152, v[124:125]
	v_mad_i64_i32 v[122:123], null, v148, s6, 0
	v_min3_f32 v124, v149, v127, v126
	v_min3_f32 v126, v150, v147, v219
	v_cvt_f64_f32_e32 v[128:129], v124
	v_mad_i64_i32 v[124:125], null, v148, s1, 0
	v_lshlrev_b64 v[122:123], 3, v[122:123]
	v_add_co_u32 v122, vcc_lo, s4, v122
	v_lshlrev_b64 v[124:125], 3, v[124:125]
	v_add_co_ci_u32_e64 v123, null, s5, v123, vcc_lo
	v_min3_f32 v126, v151, v152, v126
	v_add_co_u32 v124, vcc_lo, s2, v124
	v_add_co_ci_u32_e64 v125, null, s3, v125, vcc_lo
	v_max_f32_e32 v127, v126, v126
	s_mov_b32 vcc_lo, s0
	flat_store_dwordx2 v[145:146], v[128:129]
	s_cbranch_vccz .LBB117_51
; %bb.50:
	v_min_f32_e32 v126, 0, v127
	v_add_co_u32 v145, vcc_lo, v122, v134
	v_add_co_ci_u32_e64 v146, null, v123, v135, vcc_lo
	v_cvt_f64_f32_e32 v[128:129], v126
	s_mov_b32 s7, 0
	flat_store_dwordx2 v[145:146], v[128:129]
.LBB117_51:
	v_mov_b32_e32 v126, 0
	s_andn2_b32 vcc_lo, exec_lo, s7
	s_cbranch_vccnz .LBB117_53
; %bb.52:
	v_add_co_u32 v128, vcc_lo, v124, v134
	v_add_co_ci_u32_e64 v129, null, v125, v135, vcc_lo
	flat_load_dwordx2 v[128:129], v[128:129]
	s_waitcnt vmcnt(0) lgkmcnt(0)
	v_mul_f64 v[128:129], s[12:13], v[128:129]
	v_cvt_f32_f64_e32 v126, v[128:129]
	v_add_co_u32 v128, vcc_lo, v122, v134
	v_add_co_ci_u32_e64 v129, null, v123, v135, vcc_lo
	v_add_co_u32 v145, vcc_lo, v124, v0
	v_add_co_ci_u32_e64 v146, null, v125, v1, vcc_lo
	v_min_f32_e32 v126, v126, v127
	v_cvt_f64_f32_e32 v[126:127], v126
	flat_store_dwordx2 v[128:129], v[126:127]
	flat_load_dwordx2 v[126:127], v[145:146]
	s_waitcnt vmcnt(0) lgkmcnt(0)
	v_mul_f64 v[126:127], s[12:13], v[126:127]
	v_cvt_f32_f64_e32 v126, v[126:127]
.LBB117_53:
	v_add_f64 v[127:128], v[62:63], v[118:119]
	v_add_f64 v[145:146], v[64:65], v[120:121]
	v_add_f64 v[147:148], v[58:59], v[114:115]
	v_add_f64 v[149:150], v[60:61], v[116:117]
	v_add_f64 v[151:152], v[56:57], v[120:121]
	v_add_f64 v[170:171], v[54:55], v[118:119]
	v_add_f64 v[172:173], v[50:51], v[114:115]
	s_mov_b32 s7, -1
	v_cvt_f32_f64_e32 v129, v[127:128]
	v_cvt_f32_f64_e32 v145, v[145:146]
	v_cvt_f32_f64_e32 v146, v[147:148]
	v_cvt_f32_f64_e32 v147, v[149:150]
	v_add_f64 v[127:128], v[52:53], v[116:117]
	v_cvt_f32_f64_e32 v148, v[170:171]
	v_cvt_f32_f64_e32 v149, v[151:152]
	v_cvt_f32_f64_e32 v150, v[172:173]
	v_min3_f32 v129, v129, v145, v216
	v_min_f32_e32 v145, v146, v147
	v_cvt_f32_f64_e32 v127, v[127:128]
	v_min3_f32 v126, v126, v145, v129
	v_add_co_u32 v145, vcc_lo, v122, v0
	v_add_co_ci_u32_e64 v146, null, v123, v1, vcc_lo
	v_cvt_f64_f32_e32 v[128:129], v126
	v_min3_f32 v126, v148, v149, v217
	s_mov_b32 vcc_lo, s0
	v_min3_f32 v126, v150, v127, v126
	v_max_f32_e32 v127, v126, v126
	flat_store_dwordx2 v[145:146], v[128:129]
	s_cbranch_vccz .LBB117_55
; %bb.54:
	v_min_f32_e32 v126, 0, v127
	v_add_co_u32 v145, vcc_lo, v122, v136
	v_add_co_ci_u32_e64 v146, null, v123, v137, vcc_lo
	v_cvt_f64_f32_e32 v[128:129], v126
	s_mov_b32 s7, 0
	flat_store_dwordx2 v[145:146], v[128:129]
.LBB117_55:
	v_mov_b32_e32 v126, 0
	s_andn2_b32 vcc_lo, exec_lo, s7
	s_cbranch_vccnz .LBB117_57
; %bb.56:
	v_add_co_u32 v128, vcc_lo, v124, v136
	v_add_co_ci_u32_e64 v129, null, v125, v137, vcc_lo
	flat_load_dwordx2 v[128:129], v[128:129]
	s_waitcnt vmcnt(0) lgkmcnt(0)
	v_mul_f64 v[128:129], s[12:13], v[128:129]
	v_cvt_f32_f64_e32 v126, v[128:129]
	v_add_co_u32 v128, vcc_lo, v122, v136
	v_add_co_ci_u32_e64 v129, null, v123, v137, vcc_lo
	v_add_co_u32 v145, vcc_lo, v124, v130
	v_add_co_ci_u32_e64 v146, null, v125, v131, vcc_lo
	v_min_f32_e32 v126, v126, v127
	v_cvt_f64_f32_e32 v[126:127], v126
	flat_store_dwordx2 v[128:129], v[126:127]
	flat_load_dwordx2 v[126:127], v[145:146]
	s_waitcnt vmcnt(0) lgkmcnt(0)
	v_mul_f64 v[126:127], s[12:13], v[126:127]
	v_cvt_f32_f64_e32 v126, v[126:127]
.LBB117_57:
	v_add_f64 v[127:128], v[46:47], v[118:119]
	v_add_f64 v[145:146], v[48:49], v[120:121]
	v_add_f64 v[147:148], v[42:43], v[114:115]
	v_add_f64 v[149:150], v[44:45], v[116:117]
	v_add_f64 v[151:152], v[40:41], v[120:121]
	v_add_f64 v[170:171], v[38:39], v[118:119]
	v_add_f64 v[172:173], v[34:35], v[114:115]
	s_mov_b32 s7, -1
	v_cvt_f32_f64_e32 v129, v[127:128]
	v_cvt_f32_f64_e32 v145, v[145:146]
	v_cvt_f32_f64_e32 v146, v[147:148]
	v_cvt_f32_f64_e32 v147, v[149:150]
	v_add_f64 v[127:128], v[36:37], v[116:117]
	v_cvt_f32_f64_e32 v148, v[170:171]
	v_cvt_f32_f64_e32 v149, v[151:152]
	v_cvt_f32_f64_e32 v150, v[172:173]
	v_min3_f32 v129, v129, v145, v214
	v_min_f32_e32 v145, v146, v147
	v_cvt_f32_f64_e32 v127, v[127:128]
	v_min3_f32 v126, v126, v145, v129
	v_add_co_u32 v145, vcc_lo, v122, v130
	v_add_co_ci_u32_e64 v146, null, v123, v131, vcc_lo
	v_cvt_f64_f32_e32 v[128:129], v126
	v_min3_f32 v126, v148, v149, v215
	s_mov_b32 vcc_lo, s0
	v_min3_f32 v126, v150, v127, v126
	v_max_f32_e32 v127, v126, v126
	;; [unrolled: 59-line block ×3, first 2 shown]
	flat_store_dwordx2 v[145:146], v[128:129]
	s_cbranch_vccz .LBB117_63
; %bb.62:
	v_min_f32_e32 v126, 0, v127
	v_add_co_u32 v145, vcc_lo, v122, v142
	v_add_co_ci_u32_e64 v146, null, v123, v143, vcc_lo
	v_cvt_f64_f32_e32 v[128:129], v126
	s_mov_b32 s7, 0
	flat_store_dwordx2 v[145:146], v[128:129]
.LBB117_63:
	v_mov_b32_e32 v126, 0
	s_andn2_b32 vcc_lo, exec_lo, s7
	s_cbranch_vccnz .LBB117_65
; %bb.64:
	v_add_co_u32 v128, vcc_lo, v124, v142
	v_add_co_ci_u32_e64 v129, null, v125, v143, vcc_lo
	flat_load_dwordx2 v[128:129], v[128:129]
	s_waitcnt vmcnt(0) lgkmcnt(0)
	v_mul_f64 v[128:129], s[12:13], v[128:129]
	v_cvt_f32_f64_e32 v126, v[128:129]
	v_add_co_u32 v128, vcc_lo, v122, v142
	v_add_co_ci_u32_e64 v129, null, v123, v143, vcc_lo
	v_add_co_u32 v124, vcc_lo, v124, v138
	v_add_co_ci_u32_e64 v125, null, v125, v139, vcc_lo
	v_min_f32_e32 v126, v126, v127
	v_cvt_f64_f32_e32 v[126:127], v126
	flat_store_dwordx2 v[128:129], v[126:127]
	flat_load_dwordx2 v[124:125], v[124:125]
	s_waitcnt vmcnt(0) lgkmcnt(0)
	v_mul_f64 v[124:125], s[12:13], v[124:125]
	v_cvt_f32_f64_e32 v126, v[124:125]
.LBB117_65:
	v_add_f64 v[118:119], v[2:3], v[118:119]
	v_add_f64 v[120:121], v[4:5], v[120:121]
	;; [unrolled: 1-line block ×6, first 2 shown]
	v_add_co_u32 v122, vcc_lo, v122, v138
	v_add_co_ci_u32_e64 v123, null, v123, v139, vcc_lo
	s_mov_b32 s7, -1
	v_cvt_f32_f64_e32 v118, v[118:119]
	v_cvt_f32_f64_e32 v119, v[120:121]
	;; [unrolled: 1-line block ×4, first 2 shown]
	v_add_f64 v[114:115], v[66:67], v[106:107]
	v_add_f64 v[116:117], v[68:69], v[108:109]
	v_cvt_f32_f64_e32 v127, v[127:128]
	v_cvt_f32_f64_e32 v124, v[124:125]
	v_add_nc_u32_e32 v125, 64, v144
	v_min3_f32 v118, v118, v119, v211
	v_min_f32_e32 v119, v120, v121
	v_cvt_f32_f64_e32 v128, v[114:115]
	v_cvt_f32_f64_e32 v129, v[116:117]
	v_mad_i64_i32 v[114:115], null, v125, s6, 0
	v_min3_f32 v116, v126, v119, v118
	v_min3_f32 v118, v127, v124, v210
	v_cvt_f64_f32_e32 v[120:121], v116
	v_mad_i64_i32 v[116:117], null, v125, s1, 0
	v_lshlrev_b64 v[114:115], 3, v[114:115]
	v_add_co_u32 v114, vcc_lo, s4, v114
	v_lshlrev_b64 v[116:117], 3, v[116:117]
	v_add_co_ci_u32_e64 v115, null, s5, v115, vcc_lo
	v_min3_f32 v118, v128, v129, v118
	v_add_co_u32 v116, vcc_lo, s2, v116
	v_add_co_ci_u32_e64 v117, null, s3, v117, vcc_lo
	v_max_f32_e32 v119, v118, v118
	s_mov_b32 vcc_lo, s0
	flat_store_dwordx2 v[122:123], v[120:121]
	s_cbranch_vccz .LBB117_67
; %bb.66:
	v_min_f32_e32 v118, 0, v119
	v_add_co_u32 v122, vcc_lo, v114, v134
	v_add_co_ci_u32_e64 v123, null, v115, v135, vcc_lo
	v_cvt_f64_f32_e32 v[120:121], v118
	s_mov_b32 s7, 0
	flat_store_dwordx2 v[122:123], v[120:121]
.LBB117_67:
	v_mov_b32_e32 v118, 0
	s_andn2_b32 vcc_lo, exec_lo, s7
	s_cbranch_vccnz .LBB117_69
; %bb.68:
	v_add_co_u32 v120, vcc_lo, v116, v134
	v_add_co_ci_u32_e64 v121, null, v117, v135, vcc_lo
	flat_load_dwordx2 v[120:121], v[120:121]
	s_waitcnt vmcnt(0) lgkmcnt(0)
	v_mul_f64 v[120:121], s[12:13], v[120:121]
	v_cvt_f32_f64_e32 v118, v[120:121]
	v_add_co_u32 v120, vcc_lo, v114, v134
	v_add_co_ci_u32_e64 v121, null, v115, v135, vcc_lo
	v_add_co_u32 v122, vcc_lo, v116, v0
	v_add_co_ci_u32_e64 v123, null, v117, v1, vcc_lo
	v_min_f32_e32 v118, v118, v119
	v_cvt_f64_f32_e32 v[118:119], v118
	flat_store_dwordx2 v[120:121], v[118:119]
	flat_load_dwordx2 v[118:119], v[122:123]
	s_waitcnt vmcnt(0) lgkmcnt(0)
	v_mul_f64 v[118:119], s[12:13], v[118:119]
	v_cvt_f32_f64_e32 v118, v[118:119]
.LBB117_69:
	v_add_f64 v[119:120], v[62:63], v[110:111]
	v_add_f64 v[121:122], v[64:65], v[112:113]
	v_add_f64 v[123:124], v[58:59], v[106:107]
	v_add_f64 v[125:126], v[60:61], v[108:109]
	v_add_f64 v[127:128], v[56:57], v[112:113]
	v_add_f64 v[145:146], v[54:55], v[110:111]
	v_add_f64 v[147:148], v[50:51], v[106:107]
	s_mov_b32 s7, -1
	v_cvt_f32_f64_e32 v129, v[119:120]
	v_cvt_f32_f64_e32 v121, v[121:122]
	v_cvt_f32_f64_e32 v122, v[123:124]
	v_cvt_f32_f64_e32 v123, v[125:126]
	v_add_f64 v[119:120], v[52:53], v[108:109]
	v_cvt_f32_f64_e32 v124, v[145:146]
	v_cvt_f32_f64_e32 v125, v[127:128]
	v_cvt_f32_f64_e32 v126, v[147:148]
	v_min3_f32 v121, v129, v121, v208
	v_min_f32_e32 v122, v122, v123
	v_cvt_f32_f64_e32 v119, v[119:120]
	v_min3_f32 v118, v118, v122, v121
	v_add_co_u32 v122, vcc_lo, v114, v0
	v_add_co_ci_u32_e64 v123, null, v115, v1, vcc_lo
	v_cvt_f64_f32_e32 v[120:121], v118
	v_min3_f32 v118, v124, v125, v209
	s_mov_b32 vcc_lo, s0
	v_min3_f32 v118, v126, v119, v118
	v_max_f32_e32 v119, v118, v118
	flat_store_dwordx2 v[122:123], v[120:121]
	s_cbranch_vccz .LBB117_71
; %bb.70:
	v_min_f32_e32 v118, 0, v119
	v_add_co_u32 v122, vcc_lo, v114, v136
	v_add_co_ci_u32_e64 v123, null, v115, v137, vcc_lo
	v_cvt_f64_f32_e32 v[120:121], v118
	s_mov_b32 s7, 0
	flat_store_dwordx2 v[122:123], v[120:121]
.LBB117_71:
	v_mov_b32_e32 v118, 0
	s_andn2_b32 vcc_lo, exec_lo, s7
	s_cbranch_vccnz .LBB117_73
; %bb.72:
	v_add_co_u32 v120, vcc_lo, v116, v136
	v_add_co_ci_u32_e64 v121, null, v117, v137, vcc_lo
	flat_load_dwordx2 v[120:121], v[120:121]
	s_waitcnt vmcnt(0) lgkmcnt(0)
	v_mul_f64 v[120:121], s[12:13], v[120:121]
	v_cvt_f32_f64_e32 v118, v[120:121]
	v_add_co_u32 v120, vcc_lo, v114, v136
	v_add_co_ci_u32_e64 v121, null, v115, v137, vcc_lo
	v_add_co_u32 v122, vcc_lo, v116, v130
	v_add_co_ci_u32_e64 v123, null, v117, v131, vcc_lo
	v_min_f32_e32 v118, v118, v119
	v_cvt_f64_f32_e32 v[118:119], v118
	flat_store_dwordx2 v[120:121], v[118:119]
	flat_load_dwordx2 v[118:119], v[122:123]
	s_waitcnt vmcnt(0) lgkmcnt(0)
	v_mul_f64 v[118:119], s[12:13], v[118:119]
	v_cvt_f32_f64_e32 v118, v[118:119]
.LBB117_73:
	v_add_f64 v[119:120], v[46:47], v[110:111]
	v_add_f64 v[121:122], v[48:49], v[112:113]
	v_add_f64 v[123:124], v[42:43], v[106:107]
	v_add_f64 v[125:126], v[44:45], v[108:109]
	v_add_f64 v[127:128], v[40:41], v[112:113]
	v_add_f64 v[145:146], v[38:39], v[110:111]
	v_add_f64 v[147:148], v[34:35], v[106:107]
	s_mov_b32 s7, -1
	v_cvt_f32_f64_e32 v129, v[119:120]
	v_cvt_f32_f64_e32 v121, v[121:122]
	v_cvt_f32_f64_e32 v122, v[123:124]
	v_cvt_f32_f64_e32 v123, v[125:126]
	v_add_f64 v[119:120], v[36:37], v[108:109]
	v_cvt_f32_f64_e32 v124, v[145:146]
	v_cvt_f32_f64_e32 v125, v[127:128]
	v_cvt_f32_f64_e32 v126, v[147:148]
	v_min3_f32 v121, v129, v121, v206
	v_min_f32_e32 v122, v122, v123
	v_cvt_f32_f64_e32 v119, v[119:120]
	v_min3_f32 v118, v118, v122, v121
	v_add_co_u32 v122, vcc_lo, v114, v130
	v_add_co_ci_u32_e64 v123, null, v115, v131, vcc_lo
	v_cvt_f64_f32_e32 v[120:121], v118
	v_min3_f32 v118, v124, v125, v207
	s_mov_b32 vcc_lo, s0
	v_min3_f32 v118, v126, v119, v118
	v_max_f32_e32 v119, v118, v118
	;; [unrolled: 59-line block ×3, first 2 shown]
	flat_store_dwordx2 v[122:123], v[120:121]
	s_cbranch_vccz .LBB117_79
; %bb.78:
	v_min_f32_e32 v118, 0, v119
	v_add_co_u32 v122, vcc_lo, v114, v142
	v_add_co_ci_u32_e64 v123, null, v115, v143, vcc_lo
	v_cvt_f64_f32_e32 v[120:121], v118
	s_mov_b32 s7, 0
	flat_store_dwordx2 v[122:123], v[120:121]
.LBB117_79:
	v_mov_b32_e32 v118, 0
	s_andn2_b32 vcc_lo, exec_lo, s7
	s_cbranch_vccnz .LBB117_81
; %bb.80:
	v_add_co_u32 v120, vcc_lo, v116, v142
	v_add_co_ci_u32_e64 v121, null, v117, v143, vcc_lo
	flat_load_dwordx2 v[120:121], v[120:121]
	s_waitcnt vmcnt(0) lgkmcnt(0)
	v_mul_f64 v[120:121], s[12:13], v[120:121]
	v_cvt_f32_f64_e32 v118, v[120:121]
	v_add_co_u32 v120, vcc_lo, v114, v142
	v_add_co_ci_u32_e64 v121, null, v115, v143, vcc_lo
	v_add_co_u32 v116, vcc_lo, v116, v138
	v_add_co_ci_u32_e64 v117, null, v117, v139, vcc_lo
	v_min_f32_e32 v118, v118, v119
	v_cvt_f64_f32_e32 v[118:119], v118
	flat_store_dwordx2 v[120:121], v[118:119]
	flat_load_dwordx2 v[116:117], v[116:117]
	s_waitcnt vmcnt(0) lgkmcnt(0)
	v_mul_f64 v[116:117], s[12:13], v[116:117]
	v_cvt_f32_f64_e32 v118, v[116:117]
.LBB117_81:
	v_add_f64 v[110:111], v[2:3], v[110:111]
	v_add_f64 v[112:113], v[4:5], v[112:113]
	;; [unrolled: 1-line block ×6, first 2 shown]
	v_add_co_u32 v114, vcc_lo, v114, v138
	v_add_co_ci_u32_e64 v115, null, v115, v139, vcc_lo
	s_mov_b32 s7, -1
	v_cvt_f32_f64_e32 v110, v[110:111]
	v_cvt_f32_f64_e32 v111, v[112:113]
	;; [unrolled: 1-line block ×4, first 2 shown]
	v_add_f64 v[106:107], v[66:67], v[98:99]
	v_add_f64 v[108:109], v[68:69], v[100:101]
	v_cvt_f32_f64_e32 v119, v[119:120]
	v_cvt_f32_f64_e32 v116, v[116:117]
	v_add_nc_u32_e32 v117, 0x60, v144
	v_min3_f32 v110, v110, v111, v202
	v_min_f32_e32 v111, v112, v113
	v_cvt_f32_f64_e32 v120, v[106:107]
	v_cvt_f32_f64_e32 v121, v[108:109]
	v_mad_i64_i32 v[106:107], null, v117, s6, 0
	v_min3_f32 v108, v118, v111, v110
	v_min3_f32 v110, v119, v116, v203
	v_cvt_f64_f32_e32 v[112:113], v108
	v_mad_i64_i32 v[108:109], null, v117, s1, 0
	v_lshlrev_b64 v[106:107], 3, v[106:107]
	v_add_co_u32 v106, vcc_lo, s4, v106
	v_lshlrev_b64 v[108:109], 3, v[108:109]
	v_add_co_ci_u32_e64 v107, null, s5, v107, vcc_lo
	v_min3_f32 v110, v120, v121, v110
	v_add_co_u32 v108, vcc_lo, s2, v108
	v_add_co_ci_u32_e64 v109, null, s3, v109, vcc_lo
	v_max_f32_e32 v111, v110, v110
	s_mov_b32 vcc_lo, s0
	flat_store_dwordx2 v[114:115], v[112:113]
	s_cbranch_vccz .LBB117_83
; %bb.82:
	v_min_f32_e32 v110, 0, v111
	v_add_co_u32 v114, vcc_lo, v106, v134
	v_add_co_ci_u32_e64 v115, null, v107, v135, vcc_lo
	v_cvt_f64_f32_e32 v[112:113], v110
	s_mov_b32 s7, 0
	flat_store_dwordx2 v[114:115], v[112:113]
.LBB117_83:
	v_mov_b32_e32 v110, 0
	s_andn2_b32 vcc_lo, exec_lo, s7
	s_cbranch_vccnz .LBB117_85
; %bb.84:
	v_add_co_u32 v112, vcc_lo, v108, v134
	v_add_co_ci_u32_e64 v113, null, v109, v135, vcc_lo
	flat_load_dwordx2 v[112:113], v[112:113]
	s_waitcnt vmcnt(0) lgkmcnt(0)
	v_mul_f64 v[112:113], s[12:13], v[112:113]
	v_cvt_f32_f64_e32 v110, v[112:113]
	v_add_co_u32 v112, vcc_lo, v106, v134
	v_add_co_ci_u32_e64 v113, null, v107, v135, vcc_lo
	v_add_co_u32 v114, vcc_lo, v108, v0
	v_add_co_ci_u32_e64 v115, null, v109, v1, vcc_lo
	v_min_f32_e32 v110, v110, v111
	v_cvt_f64_f32_e32 v[110:111], v110
	flat_store_dwordx2 v[112:113], v[110:111]
	flat_load_dwordx2 v[110:111], v[114:115]
	s_waitcnt vmcnt(0) lgkmcnt(0)
	v_mul_f64 v[110:111], s[12:13], v[110:111]
	v_cvt_f32_f64_e32 v110, v[110:111]
.LBB117_85:
	v_add_f64 v[111:112], v[62:63], v[102:103]
	v_add_f64 v[113:114], v[64:65], v[104:105]
	v_add_f64 v[115:116], v[58:59], v[98:99]
	v_add_f64 v[117:118], v[60:61], v[100:101]
	v_add_f64 v[119:120], v[56:57], v[104:105]
	v_add_f64 v[121:122], v[54:55], v[102:103]
	v_add_f64 v[123:124], v[50:51], v[98:99]
	s_mov_b32 s7, -1
	v_cvt_f32_f64_e32 v125, v[111:112]
	v_cvt_f32_f64_e32 v113, v[113:114]
	v_cvt_f32_f64_e32 v114, v[115:116]
	v_cvt_f32_f64_e32 v115, v[117:118]
	v_add_f64 v[111:112], v[52:53], v[100:101]
	v_cvt_f32_f64_e32 v116, v[121:122]
	v_cvt_f32_f64_e32 v117, v[119:120]
	v_cvt_f32_f64_e32 v118, v[123:124]
	v_min3_f32 v113, v125, v113, v200
	v_min_f32_e32 v114, v114, v115
	v_cvt_f32_f64_e32 v111, v[111:112]
	v_min3_f32 v110, v110, v114, v113
	v_add_co_u32 v114, vcc_lo, v106, v0
	v_add_co_ci_u32_e64 v115, null, v107, v1, vcc_lo
	v_cvt_f64_f32_e32 v[112:113], v110
	v_min3_f32 v110, v116, v117, v201
	s_mov_b32 vcc_lo, s0
	v_min3_f32 v110, v118, v111, v110
	v_max_f32_e32 v111, v110, v110
	flat_store_dwordx2 v[114:115], v[112:113]
	s_cbranch_vccz .LBB117_87
; %bb.86:
	v_min_f32_e32 v110, 0, v111
	v_add_co_u32 v114, vcc_lo, v106, v136
	v_add_co_ci_u32_e64 v115, null, v107, v137, vcc_lo
	v_cvt_f64_f32_e32 v[112:113], v110
	s_mov_b32 s7, 0
	flat_store_dwordx2 v[114:115], v[112:113]
.LBB117_87:
	v_mov_b32_e32 v110, 0
	s_andn2_b32 vcc_lo, exec_lo, s7
	s_cbranch_vccnz .LBB117_89
; %bb.88:
	v_add_co_u32 v112, vcc_lo, v108, v136
	v_add_co_ci_u32_e64 v113, null, v109, v137, vcc_lo
	flat_load_dwordx2 v[112:113], v[112:113]
	s_waitcnt vmcnt(0) lgkmcnt(0)
	v_mul_f64 v[112:113], s[12:13], v[112:113]
	v_cvt_f32_f64_e32 v110, v[112:113]
	v_add_co_u32 v112, vcc_lo, v106, v136
	v_add_co_ci_u32_e64 v113, null, v107, v137, vcc_lo
	v_add_co_u32 v114, vcc_lo, v108, v130
	v_add_co_ci_u32_e64 v115, null, v109, v131, vcc_lo
	v_min_f32_e32 v110, v110, v111
	v_cvt_f64_f32_e32 v[110:111], v110
	flat_store_dwordx2 v[112:113], v[110:111]
	flat_load_dwordx2 v[110:111], v[114:115]
	s_waitcnt vmcnt(0) lgkmcnt(0)
	v_mul_f64 v[110:111], s[12:13], v[110:111]
	v_cvt_f32_f64_e32 v110, v[110:111]
.LBB117_89:
	v_add_f64 v[111:112], v[46:47], v[102:103]
	v_add_f64 v[113:114], v[48:49], v[104:105]
	v_add_f64 v[115:116], v[42:43], v[98:99]
	v_add_f64 v[117:118], v[44:45], v[100:101]
	v_add_f64 v[119:120], v[40:41], v[104:105]
	v_add_f64 v[121:122], v[38:39], v[102:103]
	v_add_f64 v[123:124], v[34:35], v[98:99]
	s_mov_b32 s7, -1
	v_cvt_f32_f64_e32 v125, v[111:112]
	v_cvt_f32_f64_e32 v113, v[113:114]
	v_cvt_f32_f64_e32 v114, v[115:116]
	v_cvt_f32_f64_e32 v115, v[117:118]
	v_add_f64 v[111:112], v[36:37], v[100:101]
	v_cvt_f32_f64_e32 v116, v[121:122]
	v_cvt_f32_f64_e32 v117, v[119:120]
	v_cvt_f32_f64_e32 v118, v[123:124]
	v_min3_f32 v113, v125, v113, v198
	v_min_f32_e32 v114, v114, v115
	v_cvt_f32_f64_e32 v111, v[111:112]
	v_min3_f32 v110, v110, v114, v113
	v_add_co_u32 v114, vcc_lo, v106, v130
	v_add_co_ci_u32_e64 v115, null, v107, v131, vcc_lo
	v_cvt_f64_f32_e32 v[112:113], v110
	v_min3_f32 v110, v116, v117, v199
	s_mov_b32 vcc_lo, s0
	v_min3_f32 v110, v118, v111, v110
	v_max_f32_e32 v111, v110, v110
	;; [unrolled: 59-line block ×3, first 2 shown]
	flat_store_dwordx2 v[114:115], v[112:113]
	s_cbranch_vccz .LBB117_95
; %bb.94:
	v_min_f32_e32 v110, 0, v111
	v_add_co_u32 v114, vcc_lo, v106, v142
	v_add_co_ci_u32_e64 v115, null, v107, v143, vcc_lo
	v_cvt_f64_f32_e32 v[112:113], v110
	s_mov_b32 s7, 0
	flat_store_dwordx2 v[114:115], v[112:113]
.LBB117_95:
	v_mov_b32_e32 v110, 0
	s_andn2_b32 vcc_lo, exec_lo, s7
	s_cbranch_vccnz .LBB117_97
; %bb.96:
	v_add_co_u32 v112, vcc_lo, v108, v142
	v_add_co_ci_u32_e64 v113, null, v109, v143, vcc_lo
	flat_load_dwordx2 v[112:113], v[112:113]
	s_waitcnt vmcnt(0) lgkmcnt(0)
	v_mul_f64 v[112:113], s[12:13], v[112:113]
	v_cvt_f32_f64_e32 v110, v[112:113]
	v_add_co_u32 v112, vcc_lo, v106, v142
	v_add_co_ci_u32_e64 v113, null, v107, v143, vcc_lo
	v_add_co_u32 v108, vcc_lo, v108, v138
	v_add_co_ci_u32_e64 v109, null, v109, v139, vcc_lo
	v_min_f32_e32 v110, v110, v111
	v_cvt_f64_f32_e32 v[110:111], v110
	flat_store_dwordx2 v[112:113], v[110:111]
	flat_load_dwordx2 v[108:109], v[108:109]
	s_waitcnt vmcnt(0) lgkmcnt(0)
	v_mul_f64 v[108:109], s[12:13], v[108:109]
	v_cvt_f32_f64_e32 v110, v[108:109]
.LBB117_97:
	v_add_f64 v[102:103], v[2:3], v[102:103]
	v_add_f64 v[104:105], v[4:5], v[104:105]
	;; [unrolled: 1-line block ×6, first 2 shown]
	v_add_co_u32 v106, vcc_lo, v106, v138
	v_add_co_ci_u32_e64 v107, null, v107, v139, vcc_lo
	s_mov_b32 s7, -1
	v_cvt_f32_f64_e32 v102, v[102:103]
	v_cvt_f32_f64_e32 v103, v[104:105]
	;; [unrolled: 1-line block ×4, first 2 shown]
	v_add_f64 v[98:99], v[66:67], v[90:91]
	v_add_f64 v[100:101], v[68:69], v[92:93]
	v_cvt_f32_f64_e32 v111, v[111:112]
	v_cvt_f32_f64_e32 v108, v[108:109]
	v_add_nc_u32_e32 v109, 0x80, v144
	v_min3_f32 v102, v102, v103, v194
	v_min_f32_e32 v103, v104, v105
	v_cvt_f32_f64_e32 v112, v[98:99]
	v_cvt_f32_f64_e32 v113, v[100:101]
	v_mad_i64_i32 v[98:99], null, v109, s6, 0
	v_min3_f32 v100, v110, v103, v102
	v_min3_f32 v102, v111, v108, v195
	v_cvt_f64_f32_e32 v[104:105], v100
	v_mad_i64_i32 v[100:101], null, v109, s1, 0
	v_lshlrev_b64 v[98:99], 3, v[98:99]
	v_add_co_u32 v98, vcc_lo, s4, v98
	v_lshlrev_b64 v[100:101], 3, v[100:101]
	v_add_co_ci_u32_e64 v99, null, s5, v99, vcc_lo
	v_min3_f32 v102, v112, v113, v102
	v_add_co_u32 v100, vcc_lo, s2, v100
	v_add_co_ci_u32_e64 v101, null, s3, v101, vcc_lo
	v_max_f32_e32 v103, v102, v102
	s_mov_b32 vcc_lo, s0
	flat_store_dwordx2 v[106:107], v[104:105]
	s_cbranch_vccz .LBB117_99
; %bb.98:
	v_min_f32_e32 v102, 0, v103
	v_add_co_u32 v106, vcc_lo, v98, v134
	v_add_co_ci_u32_e64 v107, null, v99, v135, vcc_lo
	v_cvt_f64_f32_e32 v[104:105], v102
	s_mov_b32 s7, 0
	flat_store_dwordx2 v[106:107], v[104:105]
.LBB117_99:
	v_mov_b32_e32 v102, 0
	s_andn2_b32 vcc_lo, exec_lo, s7
	s_cbranch_vccnz .LBB117_101
; %bb.100:
	v_add_co_u32 v104, vcc_lo, v100, v134
	v_add_co_ci_u32_e64 v105, null, v101, v135, vcc_lo
	flat_load_dwordx2 v[104:105], v[104:105]
	s_waitcnt vmcnt(0) lgkmcnt(0)
	v_mul_f64 v[104:105], s[12:13], v[104:105]
	v_cvt_f32_f64_e32 v102, v[104:105]
	v_add_co_u32 v104, vcc_lo, v98, v134
	v_add_co_ci_u32_e64 v105, null, v99, v135, vcc_lo
	v_add_co_u32 v106, vcc_lo, v100, v0
	v_add_co_ci_u32_e64 v107, null, v101, v1, vcc_lo
	v_min_f32_e32 v102, v102, v103
	v_cvt_f64_f32_e32 v[102:103], v102
	flat_store_dwordx2 v[104:105], v[102:103]
	flat_load_dwordx2 v[102:103], v[106:107]
	s_waitcnt vmcnt(0) lgkmcnt(0)
	v_mul_f64 v[102:103], s[12:13], v[102:103]
	v_cvt_f32_f64_e32 v102, v[102:103]
.LBB117_101:
	v_add_f64 v[103:104], v[62:63], v[94:95]
	v_add_f64 v[105:106], v[64:65], v[96:97]
	v_add_f64 v[107:108], v[58:59], v[90:91]
	v_add_f64 v[109:110], v[60:61], v[92:93]
	v_add_f64 v[111:112], v[56:57], v[96:97]
	v_add_f64 v[113:114], v[54:55], v[94:95]
	v_add_f64 v[115:116], v[50:51], v[90:91]
	s_mov_b32 s7, -1
	v_cvt_f32_f64_e32 v117, v[103:104]
	v_cvt_f32_f64_e32 v105, v[105:106]
	v_cvt_f32_f64_e32 v106, v[107:108]
	v_cvt_f32_f64_e32 v107, v[109:110]
	v_add_f64 v[103:104], v[52:53], v[92:93]
	v_cvt_f32_f64_e32 v108, v[113:114]
	v_cvt_f32_f64_e32 v109, v[111:112]
	v_cvt_f32_f64_e32 v110, v[115:116]
	v_min3_f32 v105, v117, v105, v192
	v_min_f32_e32 v106, v106, v107
	v_cvt_f32_f64_e32 v103, v[103:104]
	v_min3_f32 v102, v102, v106, v105
	v_add_co_u32 v106, vcc_lo, v98, v0
	v_add_co_ci_u32_e64 v107, null, v99, v1, vcc_lo
	v_cvt_f64_f32_e32 v[104:105], v102
	v_min3_f32 v102, v108, v109, v193
	s_mov_b32 vcc_lo, s0
	v_min3_f32 v102, v110, v103, v102
	v_max_f32_e32 v103, v102, v102
	flat_store_dwordx2 v[106:107], v[104:105]
	s_cbranch_vccz .LBB117_103
; %bb.102:
	v_min_f32_e32 v102, 0, v103
	v_add_co_u32 v106, vcc_lo, v98, v136
	v_add_co_ci_u32_e64 v107, null, v99, v137, vcc_lo
	v_cvt_f64_f32_e32 v[104:105], v102
	s_mov_b32 s7, 0
	flat_store_dwordx2 v[106:107], v[104:105]
.LBB117_103:
	v_mov_b32_e32 v102, 0
	s_andn2_b32 vcc_lo, exec_lo, s7
	s_cbranch_vccnz .LBB117_105
; %bb.104:
	v_add_co_u32 v104, vcc_lo, v100, v136
	v_add_co_ci_u32_e64 v105, null, v101, v137, vcc_lo
	flat_load_dwordx2 v[104:105], v[104:105]
	s_waitcnt vmcnt(0) lgkmcnt(0)
	v_mul_f64 v[104:105], s[12:13], v[104:105]
	v_cvt_f32_f64_e32 v102, v[104:105]
	v_add_co_u32 v104, vcc_lo, v98, v136
	v_add_co_ci_u32_e64 v105, null, v99, v137, vcc_lo
	v_add_co_u32 v106, vcc_lo, v100, v130
	v_add_co_ci_u32_e64 v107, null, v101, v131, vcc_lo
	v_min_f32_e32 v102, v102, v103
	v_cvt_f64_f32_e32 v[102:103], v102
	flat_store_dwordx2 v[104:105], v[102:103]
	flat_load_dwordx2 v[102:103], v[106:107]
	s_waitcnt vmcnt(0) lgkmcnt(0)
	v_mul_f64 v[102:103], s[12:13], v[102:103]
	v_cvt_f32_f64_e32 v102, v[102:103]
.LBB117_105:
	v_add_f64 v[103:104], v[46:47], v[94:95]
	v_add_f64 v[105:106], v[48:49], v[96:97]
	v_add_f64 v[107:108], v[42:43], v[90:91]
	v_add_f64 v[109:110], v[44:45], v[92:93]
	v_add_f64 v[111:112], v[40:41], v[96:97]
	v_add_f64 v[113:114], v[38:39], v[94:95]
	v_add_f64 v[115:116], v[34:35], v[90:91]
	s_mov_b32 s7, -1
	v_cvt_f32_f64_e32 v117, v[103:104]
	v_cvt_f32_f64_e32 v105, v[105:106]
	v_cvt_f32_f64_e32 v106, v[107:108]
	v_cvt_f32_f64_e32 v107, v[109:110]
	v_add_f64 v[103:104], v[36:37], v[92:93]
	v_cvt_f32_f64_e32 v108, v[113:114]
	v_cvt_f32_f64_e32 v109, v[111:112]
	v_cvt_f32_f64_e32 v110, v[115:116]
	v_min3_f32 v105, v117, v105, v190
	v_min_f32_e32 v106, v106, v107
	v_cvt_f32_f64_e32 v103, v[103:104]
	v_min3_f32 v102, v102, v106, v105
	v_add_co_u32 v106, vcc_lo, v98, v130
	v_add_co_ci_u32_e64 v107, null, v99, v131, vcc_lo
	v_cvt_f64_f32_e32 v[104:105], v102
	v_min3_f32 v102, v108, v109, v191
	s_mov_b32 vcc_lo, s0
	v_min3_f32 v102, v110, v103, v102
	v_max_f32_e32 v103, v102, v102
	;; [unrolled: 59-line block ×3, first 2 shown]
	flat_store_dwordx2 v[106:107], v[104:105]
	s_cbranch_vccz .LBB117_111
; %bb.110:
	v_min_f32_e32 v102, 0, v103
	v_add_co_u32 v106, vcc_lo, v98, v142
	v_add_co_ci_u32_e64 v107, null, v99, v143, vcc_lo
	v_cvt_f64_f32_e32 v[104:105], v102
	s_mov_b32 s7, 0
	flat_store_dwordx2 v[106:107], v[104:105]
.LBB117_111:
	v_mov_b32_e32 v102, 0
	s_andn2_b32 vcc_lo, exec_lo, s7
	s_cbranch_vccnz .LBB117_113
; %bb.112:
	v_add_co_u32 v104, vcc_lo, v100, v142
	v_add_co_ci_u32_e64 v105, null, v101, v143, vcc_lo
	flat_load_dwordx2 v[104:105], v[104:105]
	s_waitcnt vmcnt(0) lgkmcnt(0)
	v_mul_f64 v[104:105], s[12:13], v[104:105]
	v_cvt_f32_f64_e32 v102, v[104:105]
	v_add_co_u32 v104, vcc_lo, v98, v142
	v_add_co_ci_u32_e64 v105, null, v99, v143, vcc_lo
	v_add_co_u32 v100, vcc_lo, v100, v138
	v_add_co_ci_u32_e64 v101, null, v101, v139, vcc_lo
	v_min_f32_e32 v102, v102, v103
	v_cvt_f64_f32_e32 v[102:103], v102
	flat_store_dwordx2 v[104:105], v[102:103]
	flat_load_dwordx2 v[100:101], v[100:101]
	s_waitcnt vmcnt(0) lgkmcnt(0)
	v_mul_f64 v[100:101], s[12:13], v[100:101]
	v_cvt_f32_f64_e32 v102, v[100:101]
.LBB117_113:
	v_add_f64 v[94:95], v[2:3], v[94:95]
	v_add_f64 v[96:97], v[4:5], v[96:97]
	v_add_f64 v[90:91], v[6:7], v[90:91]
	v_add_f64 v[92:93], v[8:9], v[92:93]
	v_add_f64 v[100:101], v[72:73], v[88:89]
	v_add_f64 v[103:104], v[70:71], v[86:87]
	v_add_co_u32 v98, vcc_lo, v98, v138
	v_add_co_ci_u32_e64 v99, null, v99, v139, vcc_lo
	s_mov_b32 s7, -1
	v_cvt_f32_f64_e32 v94, v[94:95]
	v_cvt_f32_f64_e32 v95, v[96:97]
	;; [unrolled: 1-line block ×4, first 2 shown]
	v_add_f64 v[90:91], v[66:67], v[82:83]
	v_add_f64 v[92:93], v[68:69], v[84:85]
	v_cvt_f32_f64_e32 v103, v[103:104]
	v_cvt_f32_f64_e32 v100, v[100:101]
	v_add_nc_u32_e32 v101, 0xa0, v144
	v_min3_f32 v94, v94, v95, v186
	v_min_f32_e32 v95, v96, v97
	v_cvt_f32_f64_e32 v104, v[90:91]
	v_cvt_f32_f64_e32 v105, v[92:93]
	v_mad_i64_i32 v[90:91], null, v101, s6, 0
	v_min3_f32 v92, v102, v95, v94
	v_min3_f32 v94, v103, v100, v187
	v_cvt_f64_f32_e32 v[96:97], v92
	v_mad_i64_i32 v[92:93], null, v101, s1, 0
	v_lshlrev_b64 v[90:91], 3, v[90:91]
	v_add_co_u32 v90, vcc_lo, s4, v90
	v_lshlrev_b64 v[92:93], 3, v[92:93]
	v_add_co_ci_u32_e64 v91, null, s5, v91, vcc_lo
	v_min3_f32 v94, v104, v105, v94
	v_add_co_u32 v92, vcc_lo, s2, v92
	v_add_co_ci_u32_e64 v93, null, s3, v93, vcc_lo
	v_max_f32_e32 v95, v94, v94
	s_mov_b32 vcc_lo, s0
	flat_store_dwordx2 v[98:99], v[96:97]
	s_cbranch_vccz .LBB117_115
; %bb.114:
	v_min_f32_e32 v94, 0, v95
	v_add_co_u32 v98, vcc_lo, v90, v134
	v_add_co_ci_u32_e64 v99, null, v91, v135, vcc_lo
	v_cvt_f64_f32_e32 v[96:97], v94
	s_mov_b32 s7, 0
	flat_store_dwordx2 v[98:99], v[96:97]
.LBB117_115:
	v_mov_b32_e32 v94, 0
	s_andn2_b32 vcc_lo, exec_lo, s7
	s_cbranch_vccnz .LBB117_117
; %bb.116:
	v_add_co_u32 v96, vcc_lo, v92, v134
	v_add_co_ci_u32_e64 v97, null, v93, v135, vcc_lo
	flat_load_dwordx2 v[96:97], v[96:97]
	s_waitcnt vmcnt(0) lgkmcnt(0)
	v_mul_f64 v[96:97], s[12:13], v[96:97]
	v_cvt_f32_f64_e32 v94, v[96:97]
	v_add_co_u32 v96, vcc_lo, v90, v134
	v_add_co_ci_u32_e64 v97, null, v91, v135, vcc_lo
	v_add_co_u32 v98, vcc_lo, v92, v0
	v_add_co_ci_u32_e64 v99, null, v93, v1, vcc_lo
	v_min_f32_e32 v94, v94, v95
	v_cvt_f64_f32_e32 v[94:95], v94
	flat_store_dwordx2 v[96:97], v[94:95]
	flat_load_dwordx2 v[94:95], v[98:99]
	s_waitcnt vmcnt(0) lgkmcnt(0)
	v_mul_f64 v[94:95], s[12:13], v[94:95]
	v_cvt_f32_f64_e32 v94, v[94:95]
.LBB117_117:
	v_add_f64 v[95:96], v[62:63], v[86:87]
	v_add_f64 v[97:98], v[64:65], v[88:89]
	v_add_f64 v[99:100], v[58:59], v[82:83]
	v_add_f64 v[101:102], v[60:61], v[84:85]
	v_add_f64 v[103:104], v[56:57], v[88:89]
	v_add_f64 v[105:106], v[54:55], v[86:87]
	v_add_f64 v[107:108], v[50:51], v[82:83]
	s_mov_b32 s7, -1
	v_cvt_f32_f64_e32 v109, v[95:96]
	v_cvt_f32_f64_e32 v97, v[97:98]
	v_cvt_f32_f64_e32 v98, v[99:100]
	v_cvt_f32_f64_e32 v99, v[101:102]
	v_add_f64 v[95:96], v[52:53], v[84:85]
	v_cvt_f32_f64_e32 v100, v[105:106]
	v_cvt_f32_f64_e32 v101, v[103:104]
	v_cvt_f32_f64_e32 v102, v[107:108]
	v_min3_f32 v97, v109, v97, v184
	v_min_f32_e32 v98, v98, v99
	v_cvt_f32_f64_e32 v95, v[95:96]
	v_min3_f32 v94, v94, v98, v97
	v_add_co_u32 v98, vcc_lo, v90, v0
	v_add_co_ci_u32_e64 v99, null, v91, v1, vcc_lo
	v_cvt_f64_f32_e32 v[96:97], v94
	v_min3_f32 v94, v100, v101, v185
	s_mov_b32 vcc_lo, s0
	v_min3_f32 v94, v102, v95, v94
	v_max_f32_e32 v95, v94, v94
	flat_store_dwordx2 v[98:99], v[96:97]
	s_cbranch_vccz .LBB117_119
; %bb.118:
	v_min_f32_e32 v94, 0, v95
	v_add_co_u32 v98, vcc_lo, v90, v136
	v_add_co_ci_u32_e64 v99, null, v91, v137, vcc_lo
	v_cvt_f64_f32_e32 v[96:97], v94
	s_mov_b32 s7, 0
	flat_store_dwordx2 v[98:99], v[96:97]
.LBB117_119:
	v_mov_b32_e32 v94, 0
	s_andn2_b32 vcc_lo, exec_lo, s7
	s_cbranch_vccnz .LBB117_121
; %bb.120:
	v_add_co_u32 v96, vcc_lo, v92, v136
	v_add_co_ci_u32_e64 v97, null, v93, v137, vcc_lo
	flat_load_dwordx2 v[96:97], v[96:97]
	s_waitcnt vmcnt(0) lgkmcnt(0)
	v_mul_f64 v[96:97], s[12:13], v[96:97]
	v_cvt_f32_f64_e32 v94, v[96:97]
	v_add_co_u32 v96, vcc_lo, v90, v136
	v_add_co_ci_u32_e64 v97, null, v91, v137, vcc_lo
	v_add_co_u32 v98, vcc_lo, v92, v130
	v_add_co_ci_u32_e64 v99, null, v93, v131, vcc_lo
	v_min_f32_e32 v94, v94, v95
	v_cvt_f64_f32_e32 v[94:95], v94
	flat_store_dwordx2 v[96:97], v[94:95]
	flat_load_dwordx2 v[94:95], v[98:99]
	s_waitcnt vmcnt(0) lgkmcnt(0)
	v_mul_f64 v[94:95], s[12:13], v[94:95]
	v_cvt_f32_f64_e32 v94, v[94:95]
.LBB117_121:
	v_add_f64 v[95:96], v[46:47], v[86:87]
	v_add_f64 v[97:98], v[48:49], v[88:89]
	v_add_f64 v[99:100], v[42:43], v[82:83]
	v_add_f64 v[101:102], v[44:45], v[84:85]
	v_add_f64 v[103:104], v[40:41], v[88:89]
	v_add_f64 v[105:106], v[38:39], v[86:87]
	v_add_f64 v[107:108], v[34:35], v[82:83]
	s_mov_b32 s7, -1
	v_cvt_f32_f64_e32 v109, v[95:96]
	v_cvt_f32_f64_e32 v97, v[97:98]
	v_cvt_f32_f64_e32 v98, v[99:100]
	v_cvt_f32_f64_e32 v99, v[101:102]
	v_add_f64 v[95:96], v[36:37], v[84:85]
	v_cvt_f32_f64_e32 v100, v[105:106]
	v_cvt_f32_f64_e32 v101, v[103:104]
	v_cvt_f32_f64_e32 v102, v[107:108]
	v_min3_f32 v97, v109, v97, v182
	v_min_f32_e32 v98, v98, v99
	v_cvt_f32_f64_e32 v95, v[95:96]
	v_min3_f32 v94, v94, v98, v97
	v_add_co_u32 v98, vcc_lo, v90, v130
	v_add_co_ci_u32_e64 v99, null, v91, v131, vcc_lo
	v_cvt_f64_f32_e32 v[96:97], v94
	v_min3_f32 v94, v100, v101, v183
	s_mov_b32 vcc_lo, s0
	v_min3_f32 v94, v102, v95, v94
	v_max_f32_e32 v95, v94, v94
	;; [unrolled: 59-line block ×3, first 2 shown]
	flat_store_dwordx2 v[98:99], v[96:97]
	s_cbranch_vccz .LBB117_127
; %bb.126:
	v_min_f32_e32 v94, 0, v95
	v_add_co_u32 v98, vcc_lo, v90, v142
	v_add_co_ci_u32_e64 v99, null, v91, v143, vcc_lo
	v_cvt_f64_f32_e32 v[96:97], v94
	s_mov_b32 s7, 0
	flat_store_dwordx2 v[98:99], v[96:97]
.LBB117_127:
	v_mov_b32_e32 v94, 0
	s_andn2_b32 vcc_lo, exec_lo, s7
	s_cbranch_vccnz .LBB117_129
; %bb.128:
	v_add_co_u32 v96, vcc_lo, v92, v142
	v_add_co_ci_u32_e64 v97, null, v93, v143, vcc_lo
	flat_load_dwordx2 v[96:97], v[96:97]
	s_waitcnt vmcnt(0) lgkmcnt(0)
	v_mul_f64 v[96:97], s[12:13], v[96:97]
	v_cvt_f32_f64_e32 v94, v[96:97]
	v_add_co_u32 v96, vcc_lo, v90, v142
	v_add_co_ci_u32_e64 v97, null, v91, v143, vcc_lo
	v_add_co_u32 v92, vcc_lo, v92, v138
	v_add_co_ci_u32_e64 v93, null, v93, v139, vcc_lo
	v_min_f32_e32 v94, v94, v95
	v_cvt_f64_f32_e32 v[94:95], v94
	flat_store_dwordx2 v[96:97], v[94:95]
	flat_load_dwordx2 v[92:93], v[92:93]
	s_waitcnt vmcnt(0) lgkmcnt(0)
	v_mul_f64 v[92:93], s[12:13], v[92:93]
	v_cvt_f32_f64_e32 v94, v[92:93]
.LBB117_129:
	v_add_f64 v[86:87], v[2:3], v[86:87]
	v_add_f64 v[88:89], v[4:5], v[88:89]
	;; [unrolled: 1-line block ×4, first 2 shown]
	s_waitcnt lgkmcnt(26)
	v_add_f64 v[92:93], v[72:73], v[80:81]
	v_add_f64 v[95:96], v[70:71], v[78:79]
	v_add_co_u32 v90, vcc_lo, v90, v138
	v_add_co_ci_u32_e64 v91, null, v91, v139, vcc_lo
	s_mov_b32 s7, -1
	v_cvt_f32_f64_e32 v86, v[86:87]
	v_cvt_f32_f64_e32 v87, v[88:89]
	;; [unrolled: 1-line block ×4, first 2 shown]
	s_waitcnt lgkmcnt(25)
	v_add_f64 v[82:83], v[66:67], v[74:75]
	v_add_f64 v[84:85], v[68:69], v[76:77]
	v_cvt_f32_f64_e32 v95, v[95:96]
	v_cvt_f32_f64_e32 v92, v[92:93]
	v_add_nc_u32_e32 v93, 0xc0, v144
	v_min3_f32 v86, v86, v87, v169
	v_min_f32_e32 v87, v88, v89
	v_cvt_f32_f64_e32 v96, v[82:83]
	v_cvt_f32_f64_e32 v97, v[84:85]
	v_mad_i64_i32 v[82:83], null, v93, s6, 0
	v_min3_f32 v84, v94, v87, v86
	v_min3_f32 v86, v95, v92, v175
	v_cvt_f64_f32_e32 v[88:89], v84
	v_mad_i64_i32 v[84:85], null, v93, s1, 0
	v_lshlrev_b64 v[82:83], 3, v[82:83]
	v_add_co_u32 v82, vcc_lo, s4, v82
	v_lshlrev_b64 v[84:85], 3, v[84:85]
	v_add_co_ci_u32_e64 v83, null, s5, v83, vcc_lo
	v_min3_f32 v86, v96, v97, v86
	v_add_co_u32 v84, vcc_lo, s2, v84
	v_add_co_ci_u32_e64 v85, null, s3, v85, vcc_lo
	v_max_f32_e32 v87, v86, v86
	s_mov_b32 vcc_lo, s0
	flat_store_dwordx2 v[90:91], v[88:89]
	s_cbranch_vccz .LBB117_131
; %bb.130:
	v_min_f32_e32 v86, 0, v87
	v_add_co_u32 v90, vcc_lo, v82, v134
	v_add_co_ci_u32_e64 v91, null, v83, v135, vcc_lo
	v_cvt_f64_f32_e32 v[88:89], v86
	s_mov_b32 s7, 0
	flat_store_dwordx2 v[90:91], v[88:89]
.LBB117_131:
	v_mov_b32_e32 v86, 0
	s_andn2_b32 vcc_lo, exec_lo, s7
	s_cbranch_vccnz .LBB117_133
; %bb.132:
	v_add_co_u32 v88, vcc_lo, v84, v134
	v_add_co_ci_u32_e64 v89, null, v85, v135, vcc_lo
	flat_load_dwordx2 v[88:89], v[88:89]
	s_waitcnt vmcnt(0) lgkmcnt(0)
	v_mul_f64 v[88:89], s[12:13], v[88:89]
	v_cvt_f32_f64_e32 v86, v[88:89]
	v_add_co_u32 v88, vcc_lo, v82, v134
	v_add_co_ci_u32_e64 v89, null, v83, v135, vcc_lo
	v_add_co_u32 v90, vcc_lo, v84, v0
	v_add_co_ci_u32_e64 v91, null, v85, v1, vcc_lo
	v_min_f32_e32 v86, v86, v87
	v_cvt_f64_f32_e32 v[86:87], v86
	flat_store_dwordx2 v[88:89], v[86:87]
	flat_load_dwordx2 v[86:87], v[90:91]
	s_waitcnt vmcnt(0) lgkmcnt(0)
	v_mul_f64 v[86:87], s[12:13], v[86:87]
	v_cvt_f32_f64_e32 v86, v[86:87]
.LBB117_133:
	v_add_f64 v[87:88], v[62:63], v[78:79]
	v_add_f64 v[89:90], v[64:65], v[80:81]
	v_add_f64 v[91:92], v[58:59], v[74:75]
	v_add_f64 v[93:94], v[60:61], v[76:77]
	v_add_f64 v[95:96], v[56:57], v[80:81]
	v_add_f64 v[97:98], v[54:55], v[78:79]
	v_add_f64 v[99:100], v[50:51], v[74:75]
	s_mov_b32 s7, -1
	v_cvt_f32_f64_e32 v101, v[87:88]
	v_cvt_f32_f64_e32 v89, v[89:90]
	v_cvt_f32_f64_e32 v90, v[91:92]
	v_cvt_f32_f64_e32 v91, v[93:94]
	v_add_f64 v[87:88], v[52:53], v[76:77]
	v_cvt_f32_f64_e32 v92, v[97:98]
	v_cvt_f32_f64_e32 v93, v[95:96]
	v_cvt_f32_f64_e32 v94, v[99:100]
	v_min3_f32 v89, v101, v89, v166
	v_min_f32_e32 v90, v90, v91
	v_cvt_f32_f64_e32 v87, v[87:88]
	v_min3_f32 v86, v86, v90, v89
	v_add_co_u32 v90, vcc_lo, v82, v0
	v_add_co_ci_u32_e64 v91, null, v83, v1, vcc_lo
	v_cvt_f64_f32_e32 v[88:89], v86
	v_min3_f32 v86, v92, v93, v167
	s_mov_b32 vcc_lo, s0
	v_min3_f32 v86, v94, v87, v86
	v_max_f32_e32 v87, v86, v86
	flat_store_dwordx2 v[90:91], v[88:89]
	s_cbranch_vccz .LBB117_135
; %bb.134:
	v_min_f32_e32 v86, 0, v87
	v_add_co_u32 v90, vcc_lo, v82, v136
	v_add_co_ci_u32_e64 v91, null, v83, v137, vcc_lo
	v_cvt_f64_f32_e32 v[88:89], v86
	s_mov_b32 s7, 0
	flat_store_dwordx2 v[90:91], v[88:89]
.LBB117_135:
	v_mov_b32_e32 v86, 0
	s_andn2_b32 vcc_lo, exec_lo, s7
	s_cbranch_vccnz .LBB117_137
; %bb.136:
	v_add_co_u32 v88, vcc_lo, v84, v136
	v_add_co_ci_u32_e64 v89, null, v85, v137, vcc_lo
	flat_load_dwordx2 v[88:89], v[88:89]
	s_waitcnt vmcnt(0) lgkmcnt(0)
	v_mul_f64 v[88:89], s[12:13], v[88:89]
	v_cvt_f32_f64_e32 v86, v[88:89]
	v_add_co_u32 v88, vcc_lo, v82, v136
	v_add_co_ci_u32_e64 v89, null, v83, v137, vcc_lo
	v_add_co_u32 v90, vcc_lo, v84, v130
	v_add_co_ci_u32_e64 v91, null, v85, v131, vcc_lo
	v_min_f32_e32 v86, v86, v87
	v_cvt_f64_f32_e32 v[86:87], v86
	flat_store_dwordx2 v[88:89], v[86:87]
	flat_load_dwordx2 v[86:87], v[90:91]
	s_waitcnt vmcnt(0) lgkmcnt(0)
	v_mul_f64 v[86:87], s[12:13], v[86:87]
	v_cvt_f32_f64_e32 v86, v[86:87]
.LBB117_137:
	v_add_f64 v[87:88], v[46:47], v[78:79]
	v_add_f64 v[89:90], v[48:49], v[80:81]
	v_add_f64 v[91:92], v[42:43], v[74:75]
	v_add_f64 v[93:94], v[44:45], v[76:77]
	v_add_f64 v[95:96], v[40:41], v[80:81]
	v_add_f64 v[97:98], v[38:39], v[78:79]
	v_add_f64 v[99:100], v[34:35], v[74:75]
	s_mov_b32 s7, -1
	v_cvt_f32_f64_e32 v101, v[87:88]
	v_cvt_f32_f64_e32 v89, v[89:90]
	v_cvt_f32_f64_e32 v90, v[91:92]
	v_cvt_f32_f64_e32 v91, v[93:94]
	v_add_f64 v[87:88], v[36:37], v[76:77]
	v_cvt_f32_f64_e32 v92, v[97:98]
	v_cvt_f32_f64_e32 v93, v[95:96]
	v_cvt_f32_f64_e32 v94, v[99:100]
	v_min3_f32 v89, v101, v89, v164
	v_min_f32_e32 v90, v90, v91
	v_cvt_f32_f64_e32 v87, v[87:88]
	v_min3_f32 v86, v86, v90, v89
	v_add_co_u32 v90, vcc_lo, v82, v130
	v_add_co_ci_u32_e64 v91, null, v83, v131, vcc_lo
	v_cvt_f64_f32_e32 v[88:89], v86
	v_min3_f32 v86, v92, v93, v165
	s_mov_b32 vcc_lo, s0
	v_min3_f32 v86, v94, v87, v86
	v_max_f32_e32 v87, v86, v86
	flat_store_dwordx2 v[90:91], v[88:89]
	s_cbranch_vccz .LBB117_139
; %bb.138:
	v_min_f32_e32 v86, 0, v87
	v_add_co_u32 v90, vcc_lo, v82, v140
	v_add_co_ci_u32_e64 v91, null, v83, v141, vcc_lo
	v_cvt_f64_f32_e32 v[88:89], v86
	s_mov_b32 s7, 0
	flat_store_dwordx2 v[90:91], v[88:89]
.LBB117_139:
	v_mov_b32_e32 v86, 0
	s_andn2_b32 vcc_lo, exec_lo, s7
	s_cbranch_vccnz .LBB117_141
; %bb.140:
	v_add_co_u32 v88, vcc_lo, v84, v140
	v_add_co_ci_u32_e64 v89, null, v85, v141, vcc_lo
	flat_load_dwordx2 v[88:89], v[88:89]
	s_waitcnt vmcnt(0) lgkmcnt(0)
	v_mul_f64 v[88:89], s[12:13], v[88:89]
	v_cvt_f32_f64_e32 v86, v[88:89]
	v_add_co_u32 v88, vcc_lo, v82, v140
	v_add_co_ci_u32_e64 v89, null, v83, v141, vcc_lo
	v_add_co_u32 v90, vcc_lo, v84, v132
	v_add_co_ci_u32_e64 v91, null, v85, v133, vcc_lo
	v_min_f32_e32 v86, v86, v87
	v_cvt_f64_f32_e32 v[86:87], v86
	flat_store_dwordx2 v[88:89], v[86:87]
	flat_load_dwordx2 v[86:87], v[90:91]
	s_waitcnt vmcnt(0) lgkmcnt(0)
	v_mul_f64 v[86:87], s[12:13], v[86:87]
	v_cvt_f32_f64_e32 v86, v[86:87]
.LBB117_141:
	v_add_f64 v[87:88], v[30:31], v[78:79]
	v_add_f64 v[89:90], v[32:33], v[80:81]
	v_add_f64 v[91:92], v[26:27], v[74:75]
	v_add_f64 v[93:94], v[28:29], v[76:77]
	v_add_f64 v[95:96], v[24:25], v[80:81]
	v_add_f64 v[97:98], v[22:23], v[78:79]
	v_add_f64 v[99:100], v[18:19], v[74:75]
	s_mov_b32 s7, -1
	v_cvt_f32_f64_e32 v101, v[87:88]
	v_cvt_f32_f64_e32 v89, v[89:90]
	v_cvt_f32_f64_e32 v90, v[91:92]
	v_cvt_f32_f64_e32 v91, v[93:94]
	v_add_f64 v[87:88], v[20:21], v[76:77]
	v_cvt_f32_f64_e32 v92, v[97:98]
	v_cvt_f32_f64_e32 v93, v[95:96]
	v_cvt_f32_f64_e32 v94, v[99:100]
	v_min3_f32 v89, v101, v89, v162
	v_min_f32_e32 v90, v90, v91
	v_cvt_f32_f64_e32 v87, v[87:88]
	v_min3_f32 v86, v86, v90, v89
	v_add_co_u32 v90, vcc_lo, v82, v132
	v_add_co_ci_u32_e64 v91, null, v83, v133, vcc_lo
	v_cvt_f64_f32_e32 v[88:89], v86
	v_min3_f32 v86, v92, v93, v163
	s_mov_b32 vcc_lo, s0
	v_min3_f32 v86, v94, v87, v86
	v_max_f32_e32 v87, v86, v86
	flat_store_dwordx2 v[90:91], v[88:89]
	s_cbranch_vccz .LBB117_143
; %bb.142:
	v_min_f32_e32 v86, 0, v87
	v_add_co_u32 v90, vcc_lo, v82, v142
	v_add_co_ci_u32_e64 v91, null, v83, v143, vcc_lo
	v_cvt_f64_f32_e32 v[88:89], v86
	s_mov_b32 s7, 0
	flat_store_dwordx2 v[90:91], v[88:89]
.LBB117_143:
	v_mov_b32_e32 v86, 0
	s_andn2_b32 vcc_lo, exec_lo, s7
	s_cbranch_vccnz .LBB117_145
; %bb.144:
	v_add_co_u32 v88, vcc_lo, v84, v142
	v_add_co_ci_u32_e64 v89, null, v85, v143, vcc_lo
	flat_load_dwordx2 v[88:89], v[88:89]
	s_waitcnt vmcnt(0) lgkmcnt(0)
	v_mul_f64 v[88:89], s[12:13], v[88:89]
	v_cvt_f32_f64_e32 v86, v[88:89]
	v_add_co_u32 v88, vcc_lo, v82, v142
	v_add_co_ci_u32_e64 v89, null, v83, v143, vcc_lo
	v_add_co_u32 v84, vcc_lo, v84, v138
	v_add_co_ci_u32_e64 v85, null, v85, v139, vcc_lo
	v_min_f32_e32 v86, v86, v87
	v_cvt_f64_f32_e32 v[86:87], v86
	flat_store_dwordx2 v[88:89], v[86:87]
	flat_load_dwordx2 v[84:85], v[84:85]
	s_waitcnt vmcnt(0) lgkmcnt(0)
	v_mul_f64 v[84:85], s[12:13], v[84:85]
	v_cvt_f32_f64_e32 v86, v[84:85]
.LBB117_145:
	v_add_f64 v[78:79], v[2:3], v[78:79]
	v_add_f64 v[80:81], v[4:5], v[80:81]
	;; [unrolled: 1-line block ×4, first 2 shown]
	s_waitcnt lgkmcnt(28)
	v_add_f64 v[72:73], v[72:73], v[12:13]
	v_add_f64 v[70:71], v[70:71], v[10:11]
	s_waitcnt lgkmcnt(27)
	v_add_f64 v[66:67], v[66:67], v[14:15]
	v_add_f64 v[68:69], v[68:69], v[16:17]
	v_cvt_f32_f64_e32 v78, v[78:79]
	v_cvt_f32_f64_e32 v79, v[80:81]
	;; [unrolled: 1-line block ×8, first 2 shown]
	v_min3_f32 v72, v78, v79, v161
	v_min_f32_e32 v73, v74, v75
	v_add_nc_u32_e32 v74, 0xe0, v144
	v_min3_f32 v70, v70, v71, v160
	v_min3_f32 v68, v86, v73, v72
	v_mad_i64_i32 v[66:67], null, v74, s6, 0
	v_min3_f32 v70, v76, v77, v70
	v_cvt_f64_f32_e32 v[72:73], v68
	v_mad_i64_i32 v[68:69], null, v74, s1, 0
	v_add_co_u32 v74, vcc_lo, v82, v138
	v_lshlrev_b64 v[66:67], 3, v[66:67]
	v_add_co_ci_u32_e64 v75, null, v83, v139, vcc_lo
	v_max_f32_e32 v71, v70, v70
	v_lshlrev_b64 v[68:69], 3, v[68:69]
	s_mov_b32 s1, -1
	v_add_co_u32 v66, vcc_lo, s4, v66
	v_add_co_ci_u32_e64 v67, null, s5, v67, vcc_lo
	v_add_co_u32 v68, vcc_lo, s2, v68
	v_add_co_ci_u32_e64 v69, null, s3, v69, vcc_lo
	s_mov_b32 vcc_lo, s0
	flat_store_dwordx2 v[74:75], v[72:73]
	s_cbranch_vccz .LBB117_147
; %bb.146:
	v_min_f32_e32 v70, 0, v71
	v_add_co_u32 v74, vcc_lo, v66, v134
	v_add_co_ci_u32_e64 v75, null, v67, v135, vcc_lo
	v_cvt_f64_f32_e32 v[72:73], v70
	s_mov_b32 s1, 0
	flat_store_dwordx2 v[74:75], v[72:73]
.LBB117_147:
	v_mov_b32_e32 v70, 0
	s_andn2_b32 vcc_lo, exec_lo, s1
	s_cbranch_vccnz .LBB117_149
; %bb.148:
	v_add_co_u32 v72, vcc_lo, v68, v134
	v_add_co_ci_u32_e64 v73, null, v69, v135, vcc_lo
	flat_load_dwordx2 v[72:73], v[72:73]
	s_waitcnt vmcnt(0) lgkmcnt(0)
	v_mul_f64 v[72:73], s[12:13], v[72:73]
	v_cvt_f32_f64_e32 v70, v[72:73]
	v_add_co_u32 v72, vcc_lo, v66, v134
	v_add_co_ci_u32_e64 v73, null, v67, v135, vcc_lo
	v_add_co_u32 v74, vcc_lo, v68, v0
	v_add_co_ci_u32_e64 v75, null, v69, v1, vcc_lo
	v_min_f32_e32 v70, v70, v71
	v_cvt_f64_f32_e32 v[70:71], v70
	flat_store_dwordx2 v[72:73], v[70:71]
	flat_load_dwordx2 v[70:71], v[74:75]
	s_waitcnt vmcnt(0) lgkmcnt(0)
	v_mul_f64 v[70:71], s[12:13], v[70:71]
	v_cvt_f32_f64_e32 v70, v[70:71]
.LBB117_149:
	v_add_f64 v[62:63], v[62:63], v[10:11]
	v_add_f64 v[64:65], v[64:65], v[12:13]
	;; [unrolled: 1-line block ×8, first 2 shown]
	s_mov_b32 s1, -1
	v_cvt_f32_f64_e32 v62, v[62:63]
	v_cvt_f32_f64_e32 v63, v[64:65]
	;; [unrolled: 1-line block ×8, first 2 shown]
	v_min3_f32 v50, v62, v63, v159
	v_min_f32_e32 v51, v58, v59
	v_min3_f32 v53, v54, v55, v158
	v_min3_f32 v50, v70, v51, v50
	;; [unrolled: 1-line block ×3, first 2 shown]
	v_add_co_u32 v52, vcc_lo, v66, v0
	v_cvt_f64_f32_e32 v[50:51], v50
	v_add_co_ci_u32_e64 v53, null, v67, v1, vcc_lo
	v_max_f32_e32 v1, v54, v54
	s_mov_b32 vcc_lo, s0
	flat_store_dwordx2 v[52:53], v[50:51]
	s_cbranch_vccz .LBB117_151
; %bb.150:
	v_min_f32_e32 v0, 0, v1
	v_add_co_u32 v52, vcc_lo, v66, v136
	v_add_co_ci_u32_e64 v53, null, v67, v137, vcc_lo
	v_cvt_f64_f32_e32 v[50:51], v0
	s_mov_b32 s1, 0
	flat_store_dwordx2 v[52:53], v[50:51]
.LBB117_151:
	v_mov_b32_e32 v0, 0
	s_andn2_b32 vcc_lo, exec_lo, s1
	s_cbranch_vccnz .LBB117_153
; %bb.152:
	v_add_co_u32 v50, vcc_lo, v68, v136
	v_add_co_ci_u32_e64 v51, null, v69, v137, vcc_lo
	flat_load_dwordx2 v[50:51], v[50:51]
	s_waitcnt vmcnt(0) lgkmcnt(0)
	v_mul_f64 v[50:51], s[12:13], v[50:51]
	v_cvt_f32_f64_e32 v0, v[50:51]
	v_add_co_u32 v50, vcc_lo, v66, v136
	v_add_co_ci_u32_e64 v51, null, v67, v137, vcc_lo
	v_add_co_u32 v52, vcc_lo, v68, v130
	v_add_co_ci_u32_e64 v53, null, v69, v131, vcc_lo
	v_min_f32_e32 v0, v0, v1
	v_cvt_f64_f32_e32 v[0:1], v0
	flat_store_dwordx2 v[50:51], v[0:1]
	flat_load_dwordx2 v[0:1], v[52:53]
	s_waitcnt vmcnt(0) lgkmcnt(0)
	v_mul_f64 v[0:1], s[12:13], v[0:1]
	v_cvt_f32_f64_e32 v0, v[0:1]
.LBB117_153:
	v_add_f64 v[46:47], v[46:47], v[10:11]
	v_add_f64 v[48:49], v[48:49], v[12:13]
	;; [unrolled: 1-line block ×8, first 2 shown]
	s_mov_b32 s1, -1
	v_cvt_f32_f64_e32 v1, v[46:47]
	v_cvt_f32_f64_e32 v46, v[48:49]
	;; [unrolled: 1-line block ×8, first 2 shown]
	v_min3_f32 v1, v1, v46, v156
	v_min_f32_e32 v34, v42, v43
	v_min3_f32 v0, v0, v34, v1
	v_cvt_f64_f32_e32 v[34:35], v0
	v_min3_f32 v0, v38, v39, v157
	v_min3_f32 v0, v40, v36, v0
	v_add_co_u32 v36, vcc_lo, v66, v130
	v_add_co_ci_u32_e64 v37, null, v67, v131, vcc_lo
	v_max_f32_e32 v1, v0, v0
	s_mov_b32 vcc_lo, s0
	flat_store_dwordx2 v[36:37], v[34:35]
	s_cbranch_vccz .LBB117_155
; %bb.154:
	v_min_f32_e32 v0, 0, v1
	v_add_co_u32 v36, vcc_lo, v66, v140
	v_add_co_ci_u32_e64 v37, null, v67, v141, vcc_lo
	v_cvt_f64_f32_e32 v[34:35], v0
	s_mov_b32 s1, 0
	flat_store_dwordx2 v[36:37], v[34:35]
.LBB117_155:
	v_mov_b32_e32 v0, 0
	s_andn2_b32 vcc_lo, exec_lo, s1
	s_cbranch_vccnz .LBB117_157
; %bb.156:
	v_add_co_u32 v34, vcc_lo, v68, v140
	v_add_co_ci_u32_e64 v35, null, v69, v141, vcc_lo
	flat_load_dwordx2 v[34:35], v[34:35]
	s_waitcnt vmcnt(0) lgkmcnt(0)
	v_mul_f64 v[34:35], s[12:13], v[34:35]
	v_cvt_f32_f64_e32 v0, v[34:35]
	v_add_co_u32 v34, vcc_lo, v66, v140
	v_add_co_ci_u32_e64 v35, null, v67, v141, vcc_lo
	v_add_co_u32 v36, vcc_lo, v68, v132
	v_add_co_ci_u32_e64 v37, null, v69, v133, vcc_lo
	v_min_f32_e32 v0, v0, v1
	v_cvt_f64_f32_e32 v[0:1], v0
	flat_store_dwordx2 v[34:35], v[0:1]
	flat_load_dwordx2 v[0:1], v[36:37]
	s_waitcnt vmcnt(0) lgkmcnt(0)
	v_mul_f64 v[0:1], s[12:13], v[0:1]
	v_cvt_f32_f64_e32 v0, v[0:1]
.LBB117_157:
	v_add_f64 v[30:31], v[30:31], v[10:11]
	v_add_f64 v[32:33], v[32:33], v[12:13]
	;; [unrolled: 1-line block ×8, first 2 shown]
	s_mov_b32 s1, -1
	v_cvt_f32_f64_e32 v1, v[30:31]
	v_cvt_f32_f64_e32 v30, v[32:33]
	;; [unrolled: 1-line block ×8, first 2 shown]
	v_min3_f32 v1, v1, v30, v154
	v_min_f32_e32 v18, v26, v27
	v_min3_f32 v0, v0, v18, v1
	v_cvt_f64_f32_e32 v[18:19], v0
	v_min3_f32 v0, v22, v23, v155
	v_min3_f32 v0, v24, v20, v0
	v_add_co_u32 v20, vcc_lo, v66, v132
	v_add_co_ci_u32_e64 v21, null, v67, v133, vcc_lo
	v_max_f32_e32 v1, v0, v0
	s_mov_b32 vcc_lo, s0
	flat_store_dwordx2 v[20:21], v[18:19]
	s_cbranch_vccz .LBB117_159
; %bb.158:
	v_min_f32_e32 v0, 0, v1
	v_add_co_u32 v20, vcc_lo, v66, v142
	v_add_co_ci_u32_e64 v21, null, v67, v143, vcc_lo
	v_cvt_f64_f32_e32 v[18:19], v0
	s_mov_b32 s1, 0
	flat_store_dwordx2 v[20:21], v[18:19]
.LBB117_159:
	v_mov_b32_e32 v0, 0
	s_andn2_b32 vcc_lo, exec_lo, s1
	s_cbranch_vccnz .LBB117_161
; %bb.160:
	v_add_co_u32 v18, vcc_lo, v68, v142
	v_add_co_ci_u32_e64 v19, null, v69, v143, vcc_lo
	flat_load_dwordx2 v[18:19], v[18:19]
	s_waitcnt vmcnt(0) lgkmcnt(0)
	v_mul_f64 v[18:19], s[12:13], v[18:19]
	v_cvt_f32_f64_e32 v0, v[18:19]
	v_add_co_u32 v18, vcc_lo, v66, v142
	v_add_co_ci_u32_e64 v19, null, v67, v143, vcc_lo
	v_add_co_u32 v20, vcc_lo, v68, v138
	v_add_co_ci_u32_e64 v21, null, v69, v139, vcc_lo
	v_min_f32_e32 v0, v0, v1
	v_cvt_f64_f32_e32 v[0:1], v0
	flat_store_dwordx2 v[18:19], v[0:1]
	flat_load_dwordx2 v[0:1], v[20:21]
	s_waitcnt vmcnt(0) lgkmcnt(0)
	v_mul_f64 v[0:1], s[12:13], v[0:1]
	v_cvt_f32_f64_e32 v0, v[0:1]
.LBB117_161:
	v_add_f64 v[6:7], v[6:7], v[14:15]
	v_add_f64 v[8:9], v[8:9], v[16:17]
	;; [unrolled: 1-line block ×4, first 2 shown]
	v_cvt_f32_f64_e32 v5, v[6:7]
	v_cvt_f32_f64_e32 v6, v[8:9]
	;; [unrolled: 1-line block ×4, first 2 shown]
	v_min_f32_e32 v3, v5, v6
	v_min3_f32 v1, v1, v2, v153
	v_add_co_u32 v2, vcc_lo, v66, v138
	v_min3_f32 v0, v0, v3, v1
	v_add_co_ci_u32_e64 v3, null, v67, v139, vcc_lo
	v_cvt_f64_f32_e32 v[0:1], v0
	flat_store_dwordx2 v[2:3], v[0:1]
	s_endpgm
	.section	.rodata,"a",@progbits
	.p2align	6, 0x0
	.amdhsa_kernel _ZN12_GLOBAL__N_120geam_min_plus_kernelId15HIP_vector_typeIdLj2EEdLi8ELi32ELi64ELi256ELi4ELi64ELi4ELi64ELi4ELc78ELc84ELb0ELb0ELb1EPKdKS4_KPdEEviiiT16_PT17_ilSA_ilS8_SA_ilPT18_ili26rocblas_geam_ex_operation_
		.amdhsa_group_segment_fixed_size 20480
		.amdhsa_private_segment_fixed_size 0
		.amdhsa_kernarg_size 136
		.amdhsa_user_sgpr_count 6
		.amdhsa_user_sgpr_private_segment_buffer 1
		.amdhsa_user_sgpr_dispatch_ptr 0
		.amdhsa_user_sgpr_queue_ptr 0
		.amdhsa_user_sgpr_kernarg_segment_ptr 1
		.amdhsa_user_sgpr_dispatch_id 0
		.amdhsa_user_sgpr_flat_scratch_init 0
		.amdhsa_user_sgpr_private_segment_size 0
		.amdhsa_wavefront_size32 1
		.amdhsa_uses_dynamic_stack 0
		.amdhsa_system_sgpr_private_segment_wavefront_offset 0
		.amdhsa_system_sgpr_workgroup_id_x 1
		.amdhsa_system_sgpr_workgroup_id_y 0
		.amdhsa_system_sgpr_workgroup_id_z 1
		.amdhsa_system_sgpr_workgroup_info 0
		.amdhsa_system_vgpr_workitem_id 1
		.amdhsa_next_free_vgpr 230
		.amdhsa_next_free_sgpr 26
		.amdhsa_reserve_vcc 1
		.amdhsa_reserve_flat_scratch 1
		.amdhsa_float_round_mode_32 0
		.amdhsa_float_round_mode_16_64 0
		.amdhsa_float_denorm_mode_32 3
		.amdhsa_float_denorm_mode_16_64 3
		.amdhsa_dx10_clamp 1
		.amdhsa_ieee_mode 1
		.amdhsa_fp16_overflow 0
		.amdhsa_workgroup_processor_mode 1
		.amdhsa_memory_ordered 1
		.amdhsa_forward_progress 1
		.amdhsa_shared_vgpr_count 0
		.amdhsa_exception_fp_ieee_invalid_op 0
		.amdhsa_exception_fp_denorm_src 0
		.amdhsa_exception_fp_ieee_div_zero 0
		.amdhsa_exception_fp_ieee_overflow 0
		.amdhsa_exception_fp_ieee_underflow 0
		.amdhsa_exception_fp_ieee_inexact 0
		.amdhsa_exception_int_div_zero 0
	.end_amdhsa_kernel
	.section	.text._ZN12_GLOBAL__N_120geam_min_plus_kernelId15HIP_vector_typeIdLj2EEdLi8ELi32ELi64ELi256ELi4ELi64ELi4ELi64ELi4ELc78ELc84ELb0ELb0ELb1EPKdKS4_KPdEEviiiT16_PT17_ilSA_ilS8_SA_ilPT18_ili26rocblas_geam_ex_operation_,"axG",@progbits,_ZN12_GLOBAL__N_120geam_min_plus_kernelId15HIP_vector_typeIdLj2EEdLi8ELi32ELi64ELi256ELi4ELi64ELi4ELi64ELi4ELc78ELc84ELb0ELb0ELb1EPKdKS4_KPdEEviiiT16_PT17_ilSA_ilS8_SA_ilPT18_ili26rocblas_geam_ex_operation_,comdat
.Lfunc_end117:
	.size	_ZN12_GLOBAL__N_120geam_min_plus_kernelId15HIP_vector_typeIdLj2EEdLi8ELi32ELi64ELi256ELi4ELi64ELi4ELi64ELi4ELc78ELc84ELb0ELb0ELb1EPKdKS4_KPdEEviiiT16_PT17_ilSA_ilS8_SA_ilPT18_ili26rocblas_geam_ex_operation_, .Lfunc_end117-_ZN12_GLOBAL__N_120geam_min_plus_kernelId15HIP_vector_typeIdLj2EEdLi8ELi32ELi64ELi256ELi4ELi64ELi4ELi64ELi4ELc78ELc84ELb0ELb0ELb1EPKdKS4_KPdEEviiiT16_PT17_ilSA_ilS8_SA_ilPT18_ili26rocblas_geam_ex_operation_
                                        ; -- End function
	.set _ZN12_GLOBAL__N_120geam_min_plus_kernelId15HIP_vector_typeIdLj2EEdLi8ELi32ELi64ELi256ELi4ELi64ELi4ELi64ELi4ELc78ELc84ELb0ELb0ELb1EPKdKS4_KPdEEviiiT16_PT17_ilSA_ilS8_SA_ilPT18_ili26rocblas_geam_ex_operation_.num_vgpr, 230
	.set _ZN12_GLOBAL__N_120geam_min_plus_kernelId15HIP_vector_typeIdLj2EEdLi8ELi32ELi64ELi256ELi4ELi64ELi4ELi64ELi4ELc78ELc84ELb0ELb0ELb1EPKdKS4_KPdEEviiiT16_PT17_ilSA_ilS8_SA_ilPT18_ili26rocblas_geam_ex_operation_.num_agpr, 0
	.set _ZN12_GLOBAL__N_120geam_min_plus_kernelId15HIP_vector_typeIdLj2EEdLi8ELi32ELi64ELi256ELi4ELi64ELi4ELi64ELi4ELc78ELc84ELb0ELb0ELb1EPKdKS4_KPdEEviiiT16_PT17_ilSA_ilS8_SA_ilPT18_ili26rocblas_geam_ex_operation_.numbered_sgpr, 26
	.set _ZN12_GLOBAL__N_120geam_min_plus_kernelId15HIP_vector_typeIdLj2EEdLi8ELi32ELi64ELi256ELi4ELi64ELi4ELi64ELi4ELc78ELc84ELb0ELb0ELb1EPKdKS4_KPdEEviiiT16_PT17_ilSA_ilS8_SA_ilPT18_ili26rocblas_geam_ex_operation_.num_named_barrier, 0
	.set _ZN12_GLOBAL__N_120geam_min_plus_kernelId15HIP_vector_typeIdLj2EEdLi8ELi32ELi64ELi256ELi4ELi64ELi4ELi64ELi4ELc78ELc84ELb0ELb0ELb1EPKdKS4_KPdEEviiiT16_PT17_ilSA_ilS8_SA_ilPT18_ili26rocblas_geam_ex_operation_.private_seg_size, 0
	.set _ZN12_GLOBAL__N_120geam_min_plus_kernelId15HIP_vector_typeIdLj2EEdLi8ELi32ELi64ELi256ELi4ELi64ELi4ELi64ELi4ELc78ELc84ELb0ELb0ELb1EPKdKS4_KPdEEviiiT16_PT17_ilSA_ilS8_SA_ilPT18_ili26rocblas_geam_ex_operation_.uses_vcc, 1
	.set _ZN12_GLOBAL__N_120geam_min_plus_kernelId15HIP_vector_typeIdLj2EEdLi8ELi32ELi64ELi256ELi4ELi64ELi4ELi64ELi4ELc78ELc84ELb0ELb0ELb1EPKdKS4_KPdEEviiiT16_PT17_ilSA_ilS8_SA_ilPT18_ili26rocblas_geam_ex_operation_.uses_flat_scratch, 1
	.set _ZN12_GLOBAL__N_120geam_min_plus_kernelId15HIP_vector_typeIdLj2EEdLi8ELi32ELi64ELi256ELi4ELi64ELi4ELi64ELi4ELc78ELc84ELb0ELb0ELb1EPKdKS4_KPdEEviiiT16_PT17_ilSA_ilS8_SA_ilPT18_ili26rocblas_geam_ex_operation_.has_dyn_sized_stack, 0
	.set _ZN12_GLOBAL__N_120geam_min_plus_kernelId15HIP_vector_typeIdLj2EEdLi8ELi32ELi64ELi256ELi4ELi64ELi4ELi64ELi4ELc78ELc84ELb0ELb0ELb1EPKdKS4_KPdEEviiiT16_PT17_ilSA_ilS8_SA_ilPT18_ili26rocblas_geam_ex_operation_.has_recursion, 0
	.set _ZN12_GLOBAL__N_120geam_min_plus_kernelId15HIP_vector_typeIdLj2EEdLi8ELi32ELi64ELi256ELi4ELi64ELi4ELi64ELi4ELc78ELc84ELb0ELb0ELb1EPKdKS4_KPdEEviiiT16_PT17_ilSA_ilS8_SA_ilPT18_ili26rocblas_geam_ex_operation_.has_indirect_call, 0
	.section	.AMDGPU.csdata,"",@progbits
; Kernel info:
; codeLenInByte = 27112
; TotalNumSgprs: 28
; NumVgprs: 230
; ScratchSize: 0
; MemoryBound: 1
; FloatMode: 240
; IeeeMode: 1
; LDSByteSize: 20480 bytes/workgroup (compile time only)
; SGPRBlocks: 0
; VGPRBlocks: 28
; NumSGPRsForWavesPerEU: 28
; NumVGPRsForWavesPerEU: 230
; Occupancy: 4
; WaveLimiterHint : 1
; COMPUTE_PGM_RSRC2:SCRATCH_EN: 0
; COMPUTE_PGM_RSRC2:USER_SGPR: 6
; COMPUTE_PGM_RSRC2:TRAP_HANDLER: 0
; COMPUTE_PGM_RSRC2:TGID_X_EN: 1
; COMPUTE_PGM_RSRC2:TGID_Y_EN: 0
; COMPUTE_PGM_RSRC2:TGID_Z_EN: 1
; COMPUTE_PGM_RSRC2:TIDIG_COMP_CNT: 1
	.section	.text._ZN12_GLOBAL__N_120geam_min_plus_kernelId15HIP_vector_typeIdLj2EEdLi8ELi32ELi64ELi256ELi4ELi64ELi4ELi64ELi4ELc78ELc84ELb1ELb0ELb1EdKPKdKPdEEviiiT16_PT17_ilSA_ilS8_SA_ilPT18_ili26rocblas_geam_ex_operation_,"axG",@progbits,_ZN12_GLOBAL__N_120geam_min_plus_kernelId15HIP_vector_typeIdLj2EEdLi8ELi32ELi64ELi256ELi4ELi64ELi4ELi64ELi4ELc78ELc84ELb1ELb0ELb1EdKPKdKPdEEviiiT16_PT17_ilSA_ilS8_SA_ilPT18_ili26rocblas_geam_ex_operation_,comdat
	.globl	_ZN12_GLOBAL__N_120geam_min_plus_kernelId15HIP_vector_typeIdLj2EEdLi8ELi32ELi64ELi256ELi4ELi64ELi4ELi64ELi4ELc78ELc84ELb1ELb0ELb1EdKPKdKPdEEviiiT16_PT17_ilSA_ilS8_SA_ilPT18_ili26rocblas_geam_ex_operation_ ; -- Begin function _ZN12_GLOBAL__N_120geam_min_plus_kernelId15HIP_vector_typeIdLj2EEdLi8ELi32ELi64ELi256ELi4ELi64ELi4ELi64ELi4ELc78ELc84ELb1ELb0ELb1EdKPKdKPdEEviiiT16_PT17_ilSA_ilS8_SA_ilPT18_ili26rocblas_geam_ex_operation_
	.p2align	8
	.type	_ZN12_GLOBAL__N_120geam_min_plus_kernelId15HIP_vector_typeIdLj2EEdLi8ELi32ELi64ELi256ELi4ELi64ELi4ELi64ELi4ELc78ELc84ELb1ELb0ELb1EdKPKdKPdEEviiiT16_PT17_ilSA_ilS8_SA_ilPT18_ili26rocblas_geam_ex_operation_,@function
_ZN12_GLOBAL__N_120geam_min_plus_kernelId15HIP_vector_typeIdLj2EEdLi8ELi32ELi64ELi256ELi4ELi64ELi4ELi64ELi4ELc78ELc84ELb1ELb0ELb1EdKPKdKPdEEviiiT16_PT17_ilSA_ilS8_SA_ilPT18_ili26rocblas_geam_ex_operation_: ; @_ZN12_GLOBAL__N_120geam_min_plus_kernelId15HIP_vector_typeIdLj2EEdLi8ELi32ELi64ELi256ELi4ELi64ELi4ELi64ELi4ELc78ELc84ELb1ELb0ELb1EdKPKdKPdEEviiiT16_PT17_ilSA_ilS8_SA_ilPT18_ili26rocblas_geam_ex_operation_
; %bb.0:
	s_clause 0x1
	s_load_dwordx4 s[0:3], s[4:5], 0x10
	s_load_dwordx4 s[8:11], s[4:5], 0x28
	s_mov_b32 s22, s7
	s_mov_b64 s[14:15], 0
	s_waitcnt lgkmcnt(0)
	v_cmp_eq_f64_e64 s7, s[0:1], 0
	s_and_b32 vcc_lo, exec_lo, s7
	s_cbranch_vccnz .LBB118_2
; %bb.1:
	s_mov_b32 s23, 0
	s_lshl_b64 s[0:1], s[22:23], 3
	s_add_u32 s0, s2, s0
	s_addc_u32 s1, s3, s1
	s_lshl_b64 s[2:3], s[8:9], 3
	s_load_dwordx2 s[0:1], s[0:1], 0x0
	s_waitcnt lgkmcnt(0)
	s_add_u32 s14, s0, s2
	s_addc_u32 s15, s1, s3
.LBB118_2:
	s_clause 0x1
	s_load_dwordx4 s[0:3], s[4:5], 0x40
	s_load_dwordx2 s[18:19], s[4:5], 0x50
	s_andn2_b32 vcc_lo, exec_lo, s7
	s_mov_b32 s23, 0
	s_cbranch_vccnz .LBB118_4
; %bb.3:
	s_mov_b32 s7, s23
	s_mov_b64 s[12:13], 0
	s_andn2_b32 vcc_lo, exec_lo, s7
	s_mov_b64 s[16:17], 0
	s_cbranch_vccz .LBB118_5
	s_branch .LBB118_6
.LBB118_4:
	s_mov_b64 s[12:13], 0
	s_mov_b64 s[16:17], 0
.LBB118_5:
	s_lshl_b64 s[8:9], s[22:23], 3
	s_add_u32 s8, s10, s8
	s_addc_u32 s9, s11, s9
	s_waitcnt lgkmcnt(0)
	s_lshl_b64 s[0:1], s[0:1], 3
	s_load_dwordx2 s[8:9], s[8:9], 0x0
	s_waitcnt lgkmcnt(0)
	s_add_u32 s16, s8, s0
	s_addc_u32 s17, s9, s1
.LBB118_6:
	s_waitcnt lgkmcnt(0)
	v_cmp_eq_f64_e64 s0, s[2:3], 0
	s_load_dwordx4 s[8:11], s[4:5], 0x60
	s_and_b32 s0, exec_lo, s0
	s_mov_b32 vcc_lo, s0
	s_cbranch_vccnz .LBB118_8
; %bb.7:
	s_lshl_b64 s[12:13], s[22:23], 3
	s_add_u32 s12, s18, s12
	s_addc_u32 s13, s19, s13
	s_waitcnt lgkmcnt(0)
	s_lshl_b64 s[8:9], s[8:9], 3
	s_load_dwordx2 s[12:13], s[12:13], 0x0
	s_waitcnt lgkmcnt(0)
	s_add_u32 s12, s12, s8
	s_addc_u32 s13, s13, s9
.LBB118_8:
	s_clause 0x3
	s_load_dword s1, s[4:5], 0x0
	s_load_dword s7, s[4:5], 0x8
	;; [unrolled: 1-line block ×4, first 2 shown]
	s_waitcnt lgkmcnt(0)
	s_lshl_b64 s[8:9], s[22:23], 3
	v_lshlrev_b32_e32 v84, 5, v0
	s_add_u32 s8, s10, s8
	s_addc_u32 s9, s11, s9
	v_lshlrev_b32_e32 v130, 5, v1
	s_load_dwordx2 s[8:9], s[8:9], 0x0
	s_add_i32 s1, s1, -1
	s_ashr_i32 s10, s1, 31
	s_lshr_b32 s10, s10, 26
	s_add_i32 s1, s1, s10
	s_ashr_i32 s1, s1, 6
	s_add_i32 s10, s1, 1
	s_not_b32 s1, s1
	v_cvt_f32_u32_e32 v2, s10
	v_rcp_iflag_f32_e32 v2, v2
	v_mul_f32_e32 v2, 0x4f7ffffe, v2
	v_cvt_u32_f32_e32 v2, v2
	v_readfirstlane_b32 s11, v2
	v_lshl_add_u32 v2, v1, 3, v0
	s_mul_i32 s1, s1, s11
	v_lshrrev_b32_e32 v80, 6, v2
	s_mul_hi_u32 s1, s11, s1
	v_and_b32_e32 v14, 63, v2
	s_add_i32 s11, s11, s1
	v_mad_i64_i32 v[4:5], null, s18, v80, 0
	s_mul_hi_u32 s1, s6, s11
	v_add_nc_u32_e32 v15, 4, v80
	s_mul_i32 s11, s1, s10
	s_add_i32 s19, s1, 1
	s_sub_i32 s11, s6, s11
	s_sub_i32 s21, s11, s10
	s_cmp_ge_u32 s11, s10
	v_lshlrev_b64 v[4:5], 3, v[4:5]
	s_cselect_b32 s1, s19, s1
	s_cselect_b32 s11, s21, s11
	s_add_i32 s19, s1, 1
	s_cmp_ge_u32 s11, s10
	v_mad_i64_i32 v[12:13], null, s18, v15, 0
	s_cselect_b32 s11, s19, s1
	v_add_co_u32 v4, vcc_lo, s14, v4
	s_mul_i32 s1, s11, s10
	v_add_co_ci_u32_e64 v5, null, s15, v5, vcc_lo
	s_sub_i32 s1, s6, s1
	s_lshl_b32 s22, s11, 8
	s_lshl_b32 s1, s1, 6
	v_lshlrev_b64 v[12:13], 3, v[12:13]
	v_or_b32_e32 v2, s1, v14
	s_cmp_lt_i32 s7, 9
	v_ashrrev_i32_e32 v3, 31, v2
	v_lshlrev_b64 v[66:67], 3, v[2:3]
	v_add_co_u32 v2, vcc_lo, v4, v66
	v_add_co_ci_u32_e64 v3, null, v5, v67, vcc_lo
	v_mad_i64_i32 v[5:6], null, s20, v80, 0
	v_or_b32_e32 v4, s22, v14
	flat_load_dwordx2 v[2:3], v[2:3]
	v_lshlrev_b64 v[5:6], 3, v[5:6]
	v_add_co_u32 v7, vcc_lo, s16, v5
	v_ashrrev_i32_e32 v5, 31, v4
	v_add_co_ci_u32_e64 v6, null, s17, v6, vcc_lo
	v_lshlrev_b64 v[74:75], 3, v[4:5]
	v_add_co_u32 v4, vcc_lo, v7, v74
	v_add_co_ci_u32_e64 v5, null, v6, v75, vcc_lo
	s_clause 0x3
	flat_load_dwordx2 v[6:7], v[4:5]
	flat_load_dwordx2 v[8:9], v[4:5] offset:512
	flat_load_dwordx2 v[10:11], v[4:5] offset:1024
	;; [unrolled: 1-line block ×3, first 2 shown]
	v_add_co_u32 v12, vcc_lo, s14, v12
	v_add_co_ci_u32_e64 v13, null, s15, v13, vcc_lo
	v_add_co_u32 v12, vcc_lo, v12, v66
	v_add_co_ci_u32_e64 v13, null, v13, v67, vcc_lo
	flat_load_dwordx2 v[68:69], v[12:13]
	v_mad_i64_i32 v[12:13], null, s20, v15, 0
	v_lshlrev_b64 v[12:13], 3, v[12:13]
	v_add_co_u32 v12, vcc_lo, s16, v12
	v_add_co_ci_u32_e64 v13, null, s17, v13, vcc_lo
	v_add_co_u32 v12, vcc_lo, v12, v74
	v_add_co_ci_u32_e64 v13, null, v13, v75, vcc_lo
	s_clause 0x3
	flat_load_dwordx2 v[76:77], v[12:13]
	flat_load_dwordx2 v[78:79], v[12:13] offset:512
	flat_load_dwordx2 v[70:71], v[12:13] offset:1024
	flat_load_dwordx2 v[72:73], v[12:13] offset:1536
	v_lshlrev_b32_e32 v12, 5, v14
	v_lshl_add_u32 v85, v80, 3, v12
	s_waitcnt vmcnt(9) lgkmcnt(0)
	ds_write_b64 v85, v[2:3] offset:16384
	s_waitcnt vmcnt(7)
	ds_write2st64_b64 v85, v[6:7], v[8:9] offset1:4
	s_waitcnt vmcnt(5)
	ds_write2st64_b64 v85, v[10:11], v[4:5] offset0:8 offset1:12
	s_waitcnt vmcnt(0) lgkmcnt(0)
	s_barrier
	buffer_gl0_inv
	ds_read_b128 v[10:13], v84 offset:16640
	ds_read_b128 v[14:17], v84 offset:16896
	;; [unrolled: 1-line block ×16, first 2 shown]
	ds_read_b128 v[90:93], v130
	ds_read_b128 v[6:9], v130 offset:16
	s_waitcnt lgkmcnt(1)
	v_add_f64 v[81:82], v[88:89], v[92:93]
	v_add_f64 v[94:95], v[86:87], v[90:91]
	s_waitcnt lgkmcnt(0)
	v_add_f64 v[148:149], v[4:5], v[8:9]
	v_add_f64 v[150:151], v[2:3], v[6:7]
	v_cvt_f32_f64_e32 v81, v[81:82]
	v_cvt_f32_f64_e32 v83, v[94:95]
	v_add_f64 v[94:95], v[10:11], v[90:91]
	v_cvt_f32_f64_e32 v150, v[150:151]
	v_cvt_f32_f64_e32 v148, v[148:149]
	v_min3_f32 v134, v83, v81, 0x7f800000
	v_add_f64 v[81:82], v[12:13], v[92:93]
	v_cvt_f32_f64_e32 v83, v[94:95]
	v_add_f64 v[94:95], v[14:15], v[90:91]
	v_min3_f32 v134, v150, v148, v134
	v_cvt_f32_f64_e32 v81, v[81:82]
	v_min3_f32 v131, v83, v81, 0x7f800000
	v_add_f64 v[81:82], v[16:17], v[92:93]
	v_cvt_f32_f64_e32 v83, v[94:95]
	v_add_f64 v[94:95], v[18:19], v[90:91]
	v_cvt_f32_f64_e32 v81, v[81:82]
	v_min3_f32 v136, v83, v81, 0x7f800000
	v_add_f64 v[81:82], v[20:21], v[92:93]
	v_cvt_f32_f64_e32 v83, v[94:95]
	v_add_f64 v[94:95], v[22:23], v[90:91]
	;; [unrolled: 5-line block ×4, first 2 shown]
	v_add_f64 v[90:91], v[34:35], v[90:91]
	v_cvt_f32_f64_e32 v81, v[81:82]
	v_min3_f32 v142, v83, v81, 0x7f800000
	v_add_f64 v[81:82], v[32:33], v[92:93]
	v_cvt_f32_f64_e32 v83, v[94:95]
	v_cvt_f32_f64_e32 v81, v[81:82]
	v_min3_f32 v143, v83, v81, 0x7f800000
	v_add_f64 v[81:82], v[36:37], v[92:93]
	v_cvt_f32_f64_e32 v83, v[90:91]
	v_add_f64 v[90:91], v[86:87], v[38:39]
	v_cvt_f32_f64_e32 v81, v[81:82]
	v_min3_f32 v147, v83, v81, 0x7f800000
	v_add_f64 v[81:82], v[88:89], v[40:41]
	v_cvt_f32_f64_e32 v83, v[90:91]
	v_add_f64 v[90:91], v[10:11], v[38:39]
	;; [unrolled: 5-line block ×7, first 2 shown]
	v_add_f64 v[38:39], v[34:35], v[38:39]
	v_cvt_f32_f64_e32 v81, v[81:82]
	v_cvt_f32_f64_e32 v38, v[38:39]
	v_min3_f32 v139, v83, v81, 0x7f800000
	v_add_f64 v[81:82], v[32:33], v[40:41]
	v_add_f64 v[40:41], v[36:37], v[40:41]
	v_cvt_f32_f64_e32 v83, v[90:91]
	v_cvt_f32_f64_e32 v81, v[81:82]
	;; [unrolled: 1-line block ×3, first 2 shown]
	v_add_f64 v[40:41], v[86:87], v[42:43]
	v_min3_f32 v138, v83, v81, 0x7f800000
	v_min3_f32 v137, v38, v39, 0x7f800000
	v_add_f64 v[38:39], v[88:89], v[44:45]
	v_cvt_f32_f64_e32 v40, v[40:41]
	v_cvt_f32_f64_e32 v38, v[38:39]
	v_min3_f32 v135, v40, v38, 0x7f800000
	v_add_f64 v[38:39], v[12:13], v[44:45]
	v_add_f64 v[40:41], v[10:11], v[42:43]
	v_cvt_f32_f64_e32 v38, v[38:39]
	v_cvt_f32_f64_e32 v40, v[40:41]
	v_min3_f32 v129, v40, v38, 0x7f800000
	v_add_f64 v[38:39], v[16:17], v[44:45]
	;; [unrolled: 5-line block ×33, first 2 shown]
	v_add_f64 v[40:41], v[10:11], v[58:59]
	v_add_f64 v[12:13], v[12:13], v[64:65]
	;; [unrolled: 1-line block ×3, first 2 shown]
	v_cvt_f32_f64_e32 v38, v[38:39]
	v_cvt_f32_f64_e32 v40, v[40:41]
	;; [unrolled: 1-line block ×4, first 2 shown]
	v_add_f64 v[12:13], v[14:15], v[62:63]
	v_min3_f32 v97, v40, v38, 0x7f800000
	v_add_f64 v[38:39], v[16:17], v[60:61]
	v_add_f64 v[40:41], v[14:15], v[58:59]
	v_cvt_f32_f64_e32 v12, v[12:13]
	v_cvt_f32_f64_e32 v38, v[38:39]
	;; [unrolled: 1-line block ×3, first 2 shown]
	v_min3_f32 v96, v40, v38, 0x7f800000
	v_add_f64 v[38:39], v[20:21], v[60:61]
	v_add_f64 v[40:41], v[18:19], v[58:59]
	v_cvt_f32_f64_e32 v38, v[38:39]
	v_cvt_f32_f64_e32 v40, v[40:41]
	v_min3_f32 v95, v40, v38, 0x7f800000
	v_add_f64 v[38:39], v[24:25], v[60:61]
	v_add_f64 v[40:41], v[22:23], v[58:59]
	v_cvt_f32_f64_e32 v38, v[38:39]
	v_cvt_f32_f64_e32 v40, v[40:41]
	v_min3_f32 v94, v40, v38, 0x7f800000
	v_add_f64 v[38:39], v[28:29], v[60:61]
	v_add_f64 v[40:41], v[26:27], v[58:59]
	v_cvt_f32_f64_e32 v38, v[38:39]
	v_cvt_f32_f64_e32 v40, v[40:41]
	v_min3_f32 v93, v40, v38, 0x7f800000
	v_add_f64 v[38:39], v[32:33], v[60:61]
	v_add_f64 v[40:41], v[30:31], v[58:59]
	v_cvt_f32_f64_e32 v38, v[38:39]
	v_cvt_f32_f64_e32 v40, v[40:41]
	v_min3_f32 v92, v40, v38, 0x7f800000
	v_add_f64 v[38:39], v[36:37], v[60:61]
	v_add_f64 v[40:41], v[34:35], v[58:59]
	v_cvt_f32_f64_e32 v38, v[38:39]
	v_cvt_f32_f64_e32 v40, v[40:41]
	v_min3_f32 v91, v40, v38, 0x7f800000
	v_add_f64 v[38:39], v[88:89], v[64:65]
	v_min3_f32 v89, v10, v11, 0x7f800000
	v_add_f64 v[10:11], v[16:17], v[64:65]
	v_add_f64 v[40:41], v[86:87], v[62:63]
	v_cvt_f32_f64_e32 v38, v[38:39]
	v_cvt_f32_f64_e32 v10, v[10:11]
	;; [unrolled: 1-line block ×3, first 2 shown]
	v_min3_f32 v88, v12, v10, 0x7f800000
	v_add_f64 v[10:11], v[20:21], v[64:65]
	v_add_f64 v[12:13], v[18:19], v[62:63]
	v_min3_f32 v90, v40, v38, 0x7f800000
	v_cvt_f32_f64_e32 v10, v[10:11]
	v_cvt_f32_f64_e32 v12, v[12:13]
	v_min3_f32 v87, v12, v10, 0x7f800000
	v_add_f64 v[10:11], v[24:25], v[64:65]
	v_add_f64 v[12:13], v[22:23], v[62:63]
	v_cvt_f32_f64_e32 v10, v[10:11]
	v_cvt_f32_f64_e32 v12, v[12:13]
	v_min3_f32 v86, v12, v10, 0x7f800000
	v_add_f64 v[10:11], v[28:29], v[64:65]
	v_add_f64 v[12:13], v[26:27], v[62:63]
	;; [unrolled: 5-line block ×4, first 2 shown]
	v_cvt_f32_f64_e32 v10, v[10:11]
	v_cvt_f32_f64_e32 v12, v[12:13]
	v_min3_f32 v81, v12, v10, 0x7f800000
	ds_read_b128 v[34:37], v84 offset:16656
	ds_read_b128 v[30:33], v84 offset:16912
	;; [unrolled: 1-line block ×14, first 2 shown]
	ds_write_b64 v85, v[68:69] offset:18432
	ds_write2st64_b64 v85, v[76:77], v[78:79] offset0:16 offset1:20
	ds_write2st64_b64 v85, v[70:71], v[72:73] offset0:24 offset1:28
	s_waitcnt lgkmcnt(0)
	s_barrier
	buffer_gl0_inv
	v_add_f64 v[148:149], v[36:37], v[8:9]
	v_add_f64 v[150:151], v[34:35], v[6:7]
	v_cvt_f32_f64_e32 v148, v[148:149]
	v_cvt_f32_f64_e32 v150, v[150:151]
	v_min3_f32 v131, v150, v148, v131
	v_add_f64 v[148:149], v[32:33], v[8:9]
	v_add_f64 v[150:151], v[30:31], v[6:7]
	v_cvt_f32_f64_e32 v148, v[148:149]
	v_cvt_f32_f64_e32 v150, v[150:151]
	v_min3_f32 v136, v150, v148, v136
	;; [unrolled: 5-line block ×5, first 2 shown]
	v_add_f64 v[148:149], v[16:17], v[8:9]
	v_add_f64 v[150:151], v[14:15], v[6:7]
	;; [unrolled: 1-line block ×4, first 2 shown]
	v_cvt_f32_f64_e32 v148, v[148:149]
	v_cvt_f32_f64_e32 v150, v[150:151]
	;; [unrolled: 1-line block ×4, first 2 shown]
	v_add_f64 v[8:9], v[2:3], v[62:63]
	v_min3_f32 v143, v150, v148, v143
	v_min3_f32 v199, v6, v7, v147
	v_add_f64 v[6:7], v[4:5], v[64:65]
	v_cvt_f32_f64_e32 v8, v[8:9]
	v_cvt_f32_f64_e32 v6, v[6:7]
	v_min3_f32 v200, v8, v6, v146
	v_add_f64 v[6:7], v[36:37], v[64:65]
	v_add_f64 v[8:9], v[34:35], v[62:63]
	v_cvt_f32_f64_e32 v6, v[6:7]
	v_cvt_f32_f64_e32 v8, v[8:9]
	v_min3_f32 v197, v8, v6, v145
	v_add_f64 v[6:7], v[32:33], v[64:65]
	;; [unrolled: 5-line block ×40, first 2 shown]
	v_add_f64 v[8:9], v[2:3], v[42:43]
	v_add_f64 v[4:5], v[4:5], v[40:41]
	v_add_f64 v[2:3], v[2:3], v[38:39]
	v_cvt_f32_f64_e32 v6, v[6:7]
	v_cvt_f32_f64_e32 v8, v[8:9]
	;; [unrolled: 1-line block ×4, first 2 shown]
	v_add_f64 v[4:5], v[34:35], v[38:39]
	v_min3_f32 v160, v8, v6, v98
	v_add_f64 v[6:7], v[36:37], v[44:45]
	v_add_f64 v[8:9], v[34:35], v[42:43]
	v_min3_f32 v152, v2, v3, v90
	v_add_f64 v[2:3], v[36:37], v[40:41]
	v_cvt_f32_f64_e32 v4, v[4:5]
	v_cvt_f32_f64_e32 v6, v[6:7]
	v_cvt_f32_f64_e32 v8, v[8:9]
	v_cvt_f32_f64_e32 v2, v[2:3]
	v_min3_f32 v157, v8, v6, v97
	v_add_f64 v[6:7], v[32:33], v[44:45]
	v_add_f64 v[8:9], v[30:31], v[42:43]
	v_min3_f32 v149, v4, v2, v89
	v_add_f64 v[2:3], v[32:33], v[40:41]
	v_add_f64 v[4:5], v[30:31], v[38:39]
	v_cvt_f32_f64_e32 v6, v[6:7]
	v_cvt_f32_f64_e32 v8, v[8:9]
	v_cvt_f32_f64_e32 v2, v[2:3]
	v_cvt_f32_f64_e32 v4, v[4:5]
	v_min3_f32 v158, v8, v6, v96
	v_add_f64 v[6:7], v[28:29], v[44:45]
	v_add_f64 v[8:9], v[26:27], v[42:43]
	v_min3_f32 v150, v4, v2, v88
	v_add_f64 v[2:3], v[28:29], v[40:41]
	;; [unrolled: 10-line block ×6, first 2 shown]
	v_add_f64 v[4:5], v[10:11], v[38:39]
	v_cvt_f32_f64_e32 v6, v[6:7]
	v_cvt_f32_f64_e32 v8, v[8:9]
	;; [unrolled: 1-line block ×4, first 2 shown]
	v_min3_f32 v151, v8, v6, v91
	v_min3_f32 v144, v4, v2, v81
	s_cbranch_scc1 .LBB118_11
; %bb.9:
	v_add_nc_u32_e32 v8, 8, v80
	v_add_nc_u32_e32 v6, 12, v80
	v_add_co_u32 v90, vcc_lo, s14, v66
	v_add_co_ci_u32_e64 v91, null, s15, v67, vcc_lo
	v_mad_i64_i32 v[2:3], null, v8, s20, 0
	v_mad_i64_i32 v[4:5], null, v6, s18, 0
	;; [unrolled: 1-line block ×4, first 2 shown]
	v_add_co_u32 v94, vcc_lo, s16, v74
	v_lshlrev_b64 v[66:67], 3, v[2:3]
	v_lshlrev_b64 v[68:69], 3, v[4:5]
	;; [unrolled: 1-line block ×3, first 2 shown]
	v_or_b32_e32 v86, 0x4000, v85
	v_lshlrev_b64 v[72:73], 3, v[8:9]
	v_or_b32_e32 v87, 0x4000, v84
	v_add_nc_u32_e32 v88, 0x4800, v85
	v_or_b32_e32 v89, 0x2000, v85
	v_lshl_add_u32 v92, v0, 5, 0x4800
	v_lshl_or_b32 v93, v1, 5, 0x2000
	v_add_co_ci_u32_e64 v95, null, s17, v75, vcc_lo
	s_ashr_i32 s19, s18, 31
	s_ashr_i32 s21, s20, 31
	s_add_i32 s23, s7, -8
	s_lshl_b64 s[6:7], s[20:21], 6
	s_lshl_b64 s[10:11], s[18:19], 6
	s_mov_b32 s14, 0
.LBB118_10:                             ; =>This Inner Loop Header: Depth=1
	v_add_co_u32 v2, vcc_lo, v90, v72
	v_add_co_ci_u32_e64 v3, null, v91, v73, vcc_lo
	s_add_i32 s14, s14, 8
	s_cmp_ge_i32 s14, s23
	flat_load_dwordx2 v[82:83], v[2:3]
	v_add_co_u32 v2, vcc_lo, v94, v66
	v_add_co_ci_u32_e64 v3, null, v95, v67, vcc_lo
	s_clause 0x3
	flat_load_dwordx2 v[78:79], v[2:3]
	flat_load_dwordx2 v[80:81], v[2:3] offset:512
	flat_load_dwordx2 v[74:75], v[2:3] offset:1024
	flat_load_dwordx2 v[76:77], v[2:3] offset:1536
	ds_read_b128 v[10:13], v92 offset:256
	ds_read_b128 v[14:17], v92 offset:512
	;; [unrolled: 1-line block ×14, first 2 shown]
	ds_read_b128 v[96:99], v93
	ds_read_b128 v[6:9], v93 offset:16
	ds_read_b128 v[100:103], v92
	ds_read_b128 v[2:5], v92 offset:16
	s_waitcnt lgkmcnt(1)
	v_add_f64 v[104:105], v[102:103], v[98:99]
	v_add_f64 v[106:107], v[100:101], v[96:97]
	v_cvt_f32_f64_e32 v104, v[104:105]
	v_cvt_f32_f64_e32 v106, v[106:107]
	v_min3_f32 v208, v106, v104, v134
	v_add_f64 v[104:105], v[12:13], v[98:99]
	v_add_f64 v[106:107], v[10:11], v[96:97]
	v_cvt_f32_f64_e32 v104, v[104:105]
	v_cvt_f32_f64_e32 v106, v[106:107]
	v_min3_f32 v207, v106, v104, v131
	;; [unrolled: 5-line block ×6, first 2 shown]
	v_add_f64 v[104:105], v[32:33], v[98:99]
	v_add_f64 v[106:107], v[30:31], v[96:97]
	;; [unrolled: 1-line block ×4, first 2 shown]
	v_cvt_f32_f64_e32 v104, v[104:105]
	v_cvt_f32_f64_e32 v106, v[106:107]
	;; [unrolled: 1-line block ×4, first 2 shown]
	v_add_f64 v[98:99], v[100:101], v[38:39]
	v_min3_f32 v202, v106, v104, v143
	v_min3_f32 v201, v96, v97, v199
	v_add_f64 v[96:97], v[102:103], v[40:41]
	v_cvt_f32_f64_e32 v98, v[98:99]
	v_cvt_f32_f64_e32 v96, v[96:97]
	v_min3_f32 v200, v98, v96, v200
	v_add_f64 v[96:97], v[12:13], v[40:41]
	v_add_f64 v[98:99], v[10:11], v[38:39]
	v_cvt_f32_f64_e32 v96, v[96:97]
	v_cvt_f32_f64_e32 v98, v[98:99]
	v_min3_f32 v199, v98, v96, v197
	v_add_f64 v[96:97], v[16:17], v[40:41]
	v_add_f64 v[98:99], v[14:15], v[38:39]
	v_cvt_f32_f64_e32 v96, v[96:97]
	v_cvt_f32_f64_e32 v98, v[98:99]
	v_min3_f32 v198, v98, v96, v198
	v_add_f64 v[96:97], v[20:21], v[40:41]
	v_add_f64 v[98:99], v[18:19], v[38:39]
	v_cvt_f32_f64_e32 v96, v[96:97]
	v_cvt_f32_f64_e32 v98, v[98:99]
	v_min3_f32 v197, v98, v96, v195
	v_add_f64 v[96:97], v[24:25], v[40:41]
	v_add_f64 v[98:99], v[22:23], v[38:39]
	v_cvt_f32_f64_e32 v96, v[96:97]
	v_cvt_f32_f64_e32 v98, v[98:99]
	v_min3_f32 v196, v98, v96, v196
	v_add_f64 v[96:97], v[28:29], v[40:41]
	v_add_f64 v[98:99], v[26:27], v[38:39]
	v_cvt_f32_f64_e32 v96, v[96:97]
	v_cvt_f32_f64_e32 v98, v[98:99]
	v_min3_f32 v195, v98, v96, v193
	v_add_f64 v[96:97], v[32:33], v[40:41]
	v_add_f64 v[98:99], v[30:31], v[38:39]
	v_add_f64 v[40:41], v[36:37], v[40:41]
	;; [unrolled: 1-line block ×3, first 2 shown]
	v_cvt_f32_f64_e32 v96, v[96:97]
	v_cvt_f32_f64_e32 v98, v[98:99]
	;; [unrolled: 1-line block ×4, first 2 shown]
	v_add_f64 v[40:41], v[100:101], v[42:43]
	v_min3_f32 v194, v98, v96, v194
	v_min3_f32 v193, v38, v39, v191
	v_add_f64 v[38:39], v[102:103], v[44:45]
	v_cvt_f32_f64_e32 v40, v[40:41]
	v_cvt_f32_f64_e32 v38, v[38:39]
	v_min3_f32 v191, v40, v38, v192
	v_add_f64 v[38:39], v[12:13], v[44:45]
	v_add_f64 v[40:41], v[10:11], v[42:43]
	v_cvt_f32_f64_e32 v38, v[38:39]
	v_cvt_f32_f64_e32 v40, v[40:41]
	v_min3_f32 v143, v40, v38, v189
	v_add_f64 v[38:39], v[16:17], v[44:45]
	;; [unrolled: 5-line block ×33, first 2 shown]
	v_add_f64 v[40:41], v[10:11], v[58:59]
	v_add_f64 v[12:13], v[12:13], v[64:65]
	;; [unrolled: 1-line block ×3, first 2 shown]
	v_cvt_f32_f64_e32 v38, v[38:39]
	v_cvt_f32_f64_e32 v40, v[40:41]
	;; [unrolled: 1-line block ×4, first 2 shown]
	v_add_f64 v[12:13], v[14:15], v[62:63]
	v_min3_f32 v110, v40, v38, v157
	v_add_f64 v[38:39], v[16:17], v[60:61]
	v_add_f64 v[40:41], v[14:15], v[58:59]
	v_cvt_f32_f64_e32 v12, v[12:13]
	v_cvt_f32_f64_e32 v38, v[38:39]
	;; [unrolled: 1-line block ×3, first 2 shown]
	v_min3_f32 v109, v40, v38, v158
	v_add_f64 v[38:39], v[20:21], v[60:61]
	v_add_f64 v[40:41], v[18:19], v[58:59]
	v_cvt_f32_f64_e32 v38, v[38:39]
	v_cvt_f32_f64_e32 v40, v[40:41]
	v_min3_f32 v108, v40, v38, v155
	v_add_f64 v[38:39], v[24:25], v[60:61]
	v_add_f64 v[40:41], v[22:23], v[58:59]
	v_cvt_f32_f64_e32 v38, v[38:39]
	v_cvt_f32_f64_e32 v40, v[40:41]
	;; [unrolled: 5-line block ×5, first 2 shown]
	v_min3_f32 v104, v40, v38, v151
	v_add_f64 v[38:39], v[102:103], v[64:65]
	v_min3_f32 v102, v10, v11, v149
	v_add_f64 v[10:11], v[16:17], v[64:65]
	v_add_f64 v[40:41], v[100:101], v[62:63]
	v_cvt_f32_f64_e32 v38, v[38:39]
	v_cvt_f32_f64_e32 v10, v[10:11]
	;; [unrolled: 1-line block ×3, first 2 shown]
	v_min3_f32 v101, v12, v10, v150
	v_add_f64 v[10:11], v[20:21], v[64:65]
	v_add_f64 v[12:13], v[18:19], v[62:63]
	v_min3_f32 v103, v40, v38, v152
	v_cvt_f32_f64_e32 v10, v[10:11]
	v_cvt_f32_f64_e32 v12, v[12:13]
	v_min3_f32 v100, v12, v10, v147
	v_add_f64 v[10:11], v[24:25], v[64:65]
	v_add_f64 v[12:13], v[22:23], v[62:63]
	v_cvt_f32_f64_e32 v10, v[10:11]
	v_cvt_f32_f64_e32 v12, v[12:13]
	v_min3_f32 v99, v12, v10, v148
	v_add_f64 v[10:11], v[28:29], v[64:65]
	v_add_f64 v[12:13], v[26:27], v[62:63]
	;; [unrolled: 5-line block ×4, first 2 shown]
	s_waitcnt lgkmcnt(0)
	v_add_f64 v[146:147], v[2:3], v[6:7]
	v_cvt_f32_f64_e32 v10, v[10:11]
	v_cvt_f32_f64_e32 v12, v[12:13]
	;; [unrolled: 1-line block ×3, first 2 shown]
	v_min3_f32 v96, v12, v10, v144
	v_add_f64 v[144:145], v[4:5], v[8:9]
	ds_read_b128 v[34:37], v92 offset:272
	ds_read_b128 v[30:33], v92 offset:528
	;; [unrolled: 1-line block ×14, first 2 shown]
	s_waitcnt vmcnt(4)
	ds_write_b64 v86, v[82:83]
	s_waitcnt vmcnt(2)
	ds_write2st64_b64 v85, v[78:79], v[80:81] offset1:4
	s_waitcnt vmcnt(0)
	ds_write2st64_b64 v85, v[74:75], v[76:77] offset0:8 offset1:12
	s_waitcnt lgkmcnt(0)
	s_barrier
	buffer_gl0_inv
	v_add_f64 v[147:148], v[34:35], v[6:7]
	v_cvt_f32_f64_e32 v144, v[144:145]
	v_cvt_f32_f64_e32 v147, v[147:148]
	v_add_f64 v[148:149], v[30:31], v[6:7]
	v_min3_f32 v144, v146, v144, v208
	v_add_f64 v[145:146], v[36:37], v[8:9]
	v_cvt_f32_f64_e32 v148, v[148:149]
	v_add_f64 v[149:150], v[26:27], v[6:7]
	v_cvt_f32_f64_e32 v145, v[145:146]
	v_cvt_f32_f64_e32 v149, v[149:150]
	v_add_f64 v[150:151], v[22:23], v[6:7]
	v_min3_f32 v145, v147, v145, v207
	v_add_f64 v[146:147], v[32:33], v[8:9]
	v_cvt_f32_f64_e32 v150, v[150:151]
	v_add_f64 v[151:152], v[18:19], v[6:7]
	v_cvt_f32_f64_e32 v146, v[146:147]
	v_cvt_f32_f64_e32 v151, v[151:152]
	v_add_f64 v[152:153], v[14:15], v[6:7]
	v_add_f64 v[6:7], v[10:11], v[6:7]
	v_min3_f32 v146, v148, v146, v206
	v_add_f64 v[147:148], v[28:29], v[8:9]
	v_cvt_f32_f64_e32 v152, v[152:153]
	v_cvt_f32_f64_e32 v6, v[6:7]
	v_add_f64 v[153:154], v[30:31], v[62:63]
	v_cvt_f32_f64_e32 v147, v[147:148]
	v_min3_f32 v147, v149, v147, v205
	v_add_f64 v[148:149], v[24:25], v[8:9]
	v_cvt_f32_f64_e32 v148, v[148:149]
	v_min3_f32 v148, v150, v148, v204
	;; [unrolled: 3-line block ×3, first 2 shown]
	v_add_f64 v[150:151], v[16:17], v[8:9]
	v_add_f64 v[8:9], v[12:13], v[8:9]
	v_cvt_f32_f64_e32 v150, v[150:151]
	v_cvt_f32_f64_e32 v7, v[8:9]
	v_min3_f32 v150, v152, v150, v202
	v_min3_f32 v6, v6, v7, v201
	v_add_f64 v[7:8], v[4:5], v[64:65]
	v_add_f64 v[151:152], v[2:3], v[62:63]
	v_cvt_f32_f64_e32 v7, v[7:8]
	v_cvt_f32_f64_e32 v9, v[151:152]
	v_add_f64 v[151:152], v[34:35], v[62:63]
	v_min3_f32 v7, v9, v7, v200
	v_add_f64 v[8:9], v[36:37], v[64:65]
	v_cvt_f32_f64_e32 v151, v[151:152]
	v_cvt_f32_f64_e32 v8, v[8:9]
	;; [unrolled: 1-line block ×3, first 2 shown]
	v_add_f64 v[153:154], v[26:27], v[62:63]
	v_min3_f32 v8, v151, v8, v199
	v_add_f64 v[151:152], v[32:33], v[64:65]
	v_cvt_f32_f64_e32 v153, v[153:154]
	v_add_f64 v[154:155], v[22:23], v[62:63]
	v_cvt_f32_f64_e32 v151, v[151:152]
	v_cvt_f32_f64_e32 v154, v[154:155]
	v_add_f64 v[155:156], v[18:19], v[62:63]
	v_min3_f32 v9, v9, v151, v198
	v_add_f64 v[151:152], v[28:29], v[64:65]
	v_cvt_f32_f64_e32 v155, v[155:156]
	v_add_f64 v[156:157], v[14:15], v[62:63]
	v_add_f64 v[62:63], v[10:11], v[62:63]
	v_cvt_f32_f64_e32 v151, v[151:152]
	v_cvt_f32_f64_e32 v156, v[156:157]
	;; [unrolled: 1-line block ×3, first 2 shown]
	v_min3_f32 v151, v153, v151, v197
	v_add_f64 v[152:153], v[24:25], v[64:65]
	v_cvt_f32_f64_e32 v152, v[152:153]
	v_min3_f32 v152, v154, v152, v196
	v_add_f64 v[153:154], v[20:21], v[64:65]
	v_cvt_f32_f64_e32 v153, v[153:154]
	v_min3_f32 v153, v155, v153, v195
	v_add_f64 v[154:155], v[16:17], v[64:65]
	v_add_f64 v[64:65], v[12:13], v[64:65]
	v_cvt_f32_f64_e32 v154, v[154:155]
	v_cvt_f32_f64_e32 v63, v[64:65]
	v_min3_f32 v161, v156, v154, v194
	v_min3_f32 v62, v62, v63, v193
	v_add_f64 v[63:64], v[4:5], v[60:61]
	v_add_f64 v[154:155], v[2:3], v[58:59]
	;; [unrolled: 1-line block ×3, first 2 shown]
	v_cvt_f32_f64_e32 v63, v[63:64]
	v_cvt_f32_f64_e32 v65, v[154:155]
	v_add_f64 v[154:155], v[34:35], v[58:59]
	v_min3_f32 v63, v65, v63, v191
	v_add_f64 v[64:65], v[36:37], v[60:61]
	v_cvt_f32_f64_e32 v154, v[154:155]
	v_cvt_f32_f64_e32 v64, v[64:65]
	v_cvt_f32_f64_e32 v65, v[156:157]
	v_min3_f32 v64, v154, v64, v143
	v_add_f64 v[154:155], v[32:33], v[60:61]
	v_cvt_f32_f64_e32 v143, v[154:155]
	v_add_f64 v[154:155], v[26:27], v[58:59]
	v_min3_f32 v65, v65, v143, v142
	v_add_f64 v[142:143], v[28:29], v[60:61]
	v_cvt_f32_f64_e32 v154, v[154:155]
	v_cvt_f32_f64_e32 v142, v[142:143]
	v_min3_f32 v141, v154, v142, v141
	v_add_f64 v[142:143], v[24:25], v[60:61]
	v_add_f64 v[154:155], v[22:23], v[58:59]
	v_cvt_f32_f64_e32 v142, v[142:143]
	v_cvt_f32_f64_e32 v154, v[154:155]
	v_min3_f32 v140, v154, v142, v140
	v_add_f64 v[142:143], v[20:21], v[60:61]
	;; [unrolled: 5-line block ×3, first 2 shown]
	v_add_f64 v[154:155], v[14:15], v[58:59]
	v_add_f64 v[60:61], v[12:13], v[60:61]
	;; [unrolled: 1-line block ×3, first 2 shown]
	v_cvt_f32_f64_e32 v142, v[142:143]
	v_cvt_f32_f64_e32 v154, v[154:155]
	;; [unrolled: 1-line block ×4, first 2 shown]
	v_min3_f32 v138, v154, v142, v138
	v_add_f64 v[142:143], v[2:3], v[54:55]
	v_min3_f32 v58, v58, v59, v137
	v_add_f64 v[59:60], v[4:5], v[56:57]
	v_cvt_f32_f64_e32 v61, v[142:143]
	v_add_f64 v[142:143], v[30:31], v[54:55]
	v_cvt_f32_f64_e32 v59, v[59:60]
	v_min3_f32 v59, v61, v59, v136
	v_add_f64 v[60:61], v[36:37], v[56:57]
	v_add_f64 v[136:137], v[34:35], v[54:55]
	v_cvt_f32_f64_e32 v60, v[60:61]
	v_cvt_f32_f64_e32 v136, v[136:137]
	;; [unrolled: 1-line block ×3, first 2 shown]
	v_add_f64 v[142:143], v[18:19], v[54:55]
	v_min3_f32 v60, v136, v60, v135
	v_add_f64 v[135:136], v[32:33], v[56:57]
	v_cvt_f32_f64_e32 v135, v[135:136]
	v_add_f64 v[136:137], v[26:27], v[54:55]
	v_min3_f32 v61, v61, v135, v134
	v_add_f64 v[134:135], v[28:29], v[56:57]
	v_cvt_f32_f64_e32 v136, v[136:137]
	v_cvt_f32_f64_e32 v134, v[134:135]
	v_min3_f32 v135, v136, v134, v133
	v_add_f64 v[133:134], v[24:25], v[56:57]
	v_add_f64 v[136:137], v[22:23], v[54:55]
	v_cvt_f32_f64_e32 v133, v[133:134]
	v_cvt_f32_f64_e32 v136, v[136:137]
	;; [unrolled: 1-line block ×3, first 2 shown]
	v_min3_f32 v137, v136, v133, v132
	v_add_f64 v[132:133], v[20:21], v[56:57]
	v_cvt_f32_f64_e32 v132, v[132:133]
	v_min3_f32 v162, v134, v132, v131
	v_add_f64 v[131:132], v[16:17], v[56:57]
	v_add_f64 v[133:134], v[14:15], v[54:55]
	;; [unrolled: 1-line block ×4, first 2 shown]
	v_cvt_f32_f64_e32 v131, v[131:132]
	v_cvt_f32_f64_e32 v133, v[133:134]
	;; [unrolled: 1-line block ×4, first 2 shown]
	v_min3_f32 v129, v133, v131, v129
	v_add_f64 v[131:132], v[2:3], v[50:51]
	v_min3_f32 v54, v54, v55, v128
	v_add_f64 v[55:56], v[4:5], v[52:53]
	v_cvt_f32_f64_e32 v57, v[131:132]
	v_add_f64 v[131:132], v[30:31], v[50:51]
	v_cvt_f32_f64_e32 v55, v[55:56]
	v_min3_f32 v55, v57, v55, v127
	v_add_f64 v[56:57], v[36:37], v[52:53]
	v_add_f64 v[127:128], v[34:35], v[50:51]
	v_cvt_f32_f64_e32 v56, v[56:57]
	v_cvt_f32_f64_e32 v127, v[127:128]
	;; [unrolled: 1-line block ×3, first 2 shown]
	v_min3_f32 v56, v127, v56, v126
	v_add_f64 v[126:127], v[32:33], v[52:53]
	v_cvt_f32_f64_e32 v126, v[126:127]
	v_add_f64 v[127:128], v[26:27], v[50:51]
	v_min3_f32 v57, v57, v126, v125
	v_add_f64 v[125:126], v[28:29], v[52:53]
	v_cvt_f32_f64_e32 v127, v[127:128]
	v_cvt_f32_f64_e32 v125, v[125:126]
	v_min3_f32 v124, v127, v125, v124
	v_add_f64 v[125:126], v[24:25], v[52:53]
	v_add_f64 v[127:128], v[22:23], v[50:51]
	v_cvt_f32_f64_e32 v125, v[125:126]
	v_cvt_f32_f64_e32 v127, v[127:128]
	v_min3_f32 v123, v127, v125, v123
	v_add_f64 v[125:126], v[20:21], v[52:53]
	;; [unrolled: 5-line block ×3, first 2 shown]
	v_add_f64 v[127:128], v[14:15], v[50:51]
	v_add_f64 v[52:53], v[12:13], v[52:53]
	;; [unrolled: 1-line block ×3, first 2 shown]
	v_cvt_f32_f64_e32 v125, v[125:126]
	v_cvt_f32_f64_e32 v127, v[127:128]
	;; [unrolled: 1-line block ×4, first 2 shown]
	v_min3_f32 v121, v127, v125, v121
	v_add_f64 v[125:126], v[2:3], v[46:47]
	v_min3_f32 v50, v50, v51, v120
	v_add_f64 v[51:52], v[4:5], v[48:49]
	v_cvt_f32_f64_e32 v53, v[125:126]
	v_add_f64 v[125:126], v[30:31], v[46:47]
	v_cvt_f32_f64_e32 v51, v[51:52]
	v_min3_f32 v51, v53, v51, v119
	v_add_f64 v[52:53], v[36:37], v[48:49]
	v_add_f64 v[119:120], v[34:35], v[46:47]
	v_cvt_f32_f64_e32 v52, v[52:53]
	v_cvt_f32_f64_e32 v119, v[119:120]
	v_cvt_f32_f64_e32 v53, v[125:126]
	v_min3_f32 v52, v119, v52, v118
	v_add_f64 v[118:119], v[32:33], v[48:49]
	v_cvt_f32_f64_e32 v118, v[118:119]
	v_add_f64 v[119:120], v[26:27], v[46:47]
	v_min3_f32 v53, v53, v118, v117
	v_add_f64 v[117:118], v[28:29], v[48:49]
	v_cvt_f32_f64_e32 v119, v[119:120]
	v_cvt_f32_f64_e32 v117, v[117:118]
	v_min3_f32 v116, v119, v117, v116
	v_add_f64 v[117:118], v[24:25], v[48:49]
	v_add_f64 v[119:120], v[22:23], v[46:47]
	v_cvt_f32_f64_e32 v117, v[117:118]
	v_cvt_f32_f64_e32 v119, v[119:120]
	v_min3_f32 v115, v119, v117, v115
	v_add_f64 v[117:118], v[20:21], v[48:49]
	;; [unrolled: 5-line block ×3, first 2 shown]
	v_add_f64 v[119:120], v[14:15], v[46:47]
	v_add_f64 v[48:49], v[12:13], v[48:49]
	;; [unrolled: 1-line block ×3, first 2 shown]
	v_cvt_f32_f64_e32 v117, v[117:118]
	v_cvt_f32_f64_e32 v119, v[119:120]
	;; [unrolled: 1-line block ×4, first 2 shown]
	v_min3_f32 v113, v119, v117, v113
	v_add_f64 v[117:118], v[2:3], v[42:43]
	v_add_f64 v[2:3], v[2:3], v[38:39]
	v_min3_f32 v46, v46, v47, v112
	v_add_f64 v[47:48], v[4:5], v[44:45]
	v_add_f64 v[4:5], v[4:5], v[40:41]
	v_cvt_f32_f64_e32 v49, v[117:118]
	v_add_f64 v[117:118], v[30:31], v[42:43]
	v_cvt_f32_f64_e32 v2, v[2:3]
	v_cvt_f32_f64_e32 v47, v[47:48]
	v_cvt_f32_f64_e32 v3, v[4:5]
	v_add_f64 v[4:5], v[34:35], v[38:39]
	v_min3_f32 v47, v49, v47, v111
	v_add_f64 v[48:49], v[36:37], v[44:45]
	v_add_f64 v[111:112], v[34:35], v[42:43]
	v_cvt_f32_f64_e32 v4, v[4:5]
	v_cvt_f32_f64_e32 v48, v[48:49]
	;; [unrolled: 1-line block ×4, first 2 shown]
	v_min3_f32 v48, v111, v48, v110
	v_add_f64 v[110:111], v[32:33], v[44:45]
	v_cvt_f32_f64_e32 v110, v[110:111]
	v_add_f64 v[111:112], v[26:27], v[42:43]
	v_min3_f32 v49, v49, v110, v109
	v_add_f64 v[109:110], v[28:29], v[44:45]
	v_cvt_f32_f64_e32 v111, v[111:112]
	v_cvt_f32_f64_e32 v109, v[109:110]
	v_min3_f32 v108, v111, v109, v108
	v_add_f64 v[109:110], v[24:25], v[44:45]
	v_add_f64 v[111:112], v[22:23], v[42:43]
	v_cvt_f32_f64_e32 v109, v[109:110]
	v_cvt_f32_f64_e32 v111, v[111:112]
	v_min3_f32 v107, v111, v109, v107
	v_add_f64 v[109:110], v[20:21], v[44:45]
	;; [unrolled: 5-line block ×3, first 2 shown]
	v_add_f64 v[111:112], v[14:15], v[42:43]
	v_add_f64 v[44:45], v[12:13], v[44:45]
	;; [unrolled: 1-line block ×3, first 2 shown]
	v_cvt_f32_f64_e32 v109, v[109:110]
	v_cvt_f32_f64_e32 v111, v[111:112]
	;; [unrolled: 1-line block ×4, first 2 shown]
	v_min3_f32 v105, v111, v109, v105
	v_min3_f32 v42, v42, v43, v104
	;; [unrolled: 1-line block ×3, first 2 shown]
	v_add_f64 v[2:3], v[36:37], v[40:41]
	v_cvt_f32_f64_e32 v2, v[2:3]
	v_min3_f32 v44, v4, v2, v102
	v_add_f64 v[2:3], v[32:33], v[40:41]
	v_add_f64 v[4:5], v[30:31], v[38:39]
	v_cvt_f32_f64_e32 v2, v[2:3]
	v_cvt_f32_f64_e32 v4, v[4:5]
	v_min3_f32 v30, v4, v2, v101
	v_add_f64 v[2:3], v[28:29], v[40:41]
	v_add_f64 v[4:5], v[26:27], v[38:39]
	v_cvt_f32_f64_e32 v2, v[2:3]
	;; [unrolled: 5-line block ×6, first 2 shown]
	v_cvt_f32_f64_e32 v4, v[4:5]
	v_min3_f32 v10, v4, v2, v96
	v_add_co_u32 v2, vcc_lo, v90, v68
	v_add_co_ci_u32_e64 v3, null, v91, v69, vcc_lo
	flat_load_dwordx2 v[82:83], v[2:3]
	v_add_co_u32 v2, vcc_lo, v94, v70
	v_add_co_ci_u32_e64 v3, null, v95, v71, vcc_lo
	s_clause 0x3
	flat_load_dwordx2 v[76:77], v[2:3]
	flat_load_dwordx2 v[80:81], v[2:3] offset:512
	flat_load_dwordx2 v[74:75], v[2:3] offset:1024
	;; [unrolled: 1-line block ×3, first 2 shown]
	ds_read_b128 v[38:41], v87 offset:256
	ds_read_b128 v[96:99], v87 offset:512
	;; [unrolled: 1-line block ×14, first 2 shown]
	ds_read_b128 v[199:202], v87
	ds_read_b128 v[2:5], v87 offset:16
	ds_read_b128 v[125:128], v130
	ds_read_b128 v[34:37], v130 offset:16
	v_add_co_u32 v94, vcc_lo, v94, s6
	v_add_co_ci_u32_e64 v95, null, s7, v95, vcc_lo
	v_add_co_u32 v90, vcc_lo, v90, s10
	v_add_co_ci_u32_e64 v91, null, s11, v91, vcc_lo
	s_waitcnt lgkmcnt(1)
	v_add_f64 v[11:12], v[201:202], v[127:128]
	v_add_f64 v[15:16], v[199:200], v[125:126]
	v_cvt_f32_f64_e32 v11, v[11:12]
	v_cvt_f32_f64_e32 v13, v[15:16]
	v_add_f64 v[15:16], v[38:39], v[125:126]
	v_min3_f32 v134, v13, v11, v144
	v_add_f64 v[11:12], v[40:41], v[127:128]
	v_cvt_f32_f64_e32 v13, v[15:16]
	v_add_f64 v[15:16], v[96:97], v[125:126]
	v_cvt_f32_f64_e32 v11, v[11:12]
	v_min3_f32 v131, v13, v11, v145
	v_add_f64 v[11:12], v[98:99], v[127:128]
	v_cvt_f32_f64_e32 v13, v[15:16]
	v_add_f64 v[15:16], v[163:164], v[125:126]
	v_cvt_f32_f64_e32 v11, v[11:12]
	;; [unrolled: 5-line block ×7, first 2 shown]
	v_min3_f32 v160, v13, v11, v6
	v_add_f64 v[11:12], v[201:202], v[102:103]
	v_cvt_f32_f64_e32 v6, v[15:16]
	v_cvt_f32_f64_e32 v11, v[11:12]
	v_min3_f32 v159, v6, v11, v7
	v_add_f64 v[6:7], v[40:41], v[102:103]
	v_add_f64 v[11:12], v[38:39], v[100:101]
	v_cvt_f32_f64_e32 v6, v[6:7]
	v_cvt_f32_f64_e32 v11, v[11:12]
	v_min3_f32 v158, v11, v6, v8
	v_add_f64 v[6:7], v[98:99], v[102:103]
	;; [unrolled: 5-line block ×22, first 2 shown]
	v_add_f64 v[8:9], v[175:176], v[117:118]
	s_waitcnt lgkmcnt(0)
	v_add_f64 v[161:162], v[4:5], v[36:37]
	v_cvt_f32_f64_e32 v6, v[6:7]
	v_cvt_f32_f64_e32 v8, v[8:9]
	;; [unrolled: 1-line block ×3, first 2 shown]
	v_min3_f32 v129, v8, v6, v129
	v_add_f64 v[6:7], v[181:182], v[119:120]
	v_add_f64 v[8:9], v[179:180], v[117:118]
	v_cvt_f32_f64_e32 v6, v[6:7]
	v_cvt_f32_f64_e32 v8, v[8:9]
	v_min3_f32 v128, v8, v6, v54
	v_add_f64 v[6:7], v[201:202], v[185:186]
	v_add_f64 v[8:9], v[199:200], v[183:184]
	v_cvt_f32_f64_e32 v6, v[6:7]
	v_cvt_f32_f64_e32 v8, v[8:9]
	;; [unrolled: 5-line block ×28, first 2 shown]
	v_min3_f32 v101, v8, v6, v30
	v_add_f64 v[6:7], v[165:166], v[197:198]
	v_add_f64 v[8:9], v[163:164], v[195:196]
	;; [unrolled: 1-line block ×3, first 2 shown]
	v_cvt_f32_f64_e32 v6, v[6:7]
	v_cvt_f32_f64_e32 v8, v[8:9]
	;; [unrolled: 1-line block ×3, first 2 shown]
	v_min3_f32 v100, v8, v6, v26
	v_add_f64 v[6:7], v[169:170], v[197:198]
	v_add_f64 v[8:9], v[167:168], v[195:196]
	v_min3_f32 v134, v163, v161, v134
	v_cvt_f32_f64_e32 v6, v[6:7]
	v_cvt_f32_f64_e32 v8, v[8:9]
	v_min3_f32 v99, v8, v6, v22
	v_add_f64 v[6:7], v[173:174], v[197:198]
	v_add_f64 v[8:9], v[171:172], v[195:196]
	v_cvt_f32_f64_e32 v6, v[6:7]
	v_cvt_f32_f64_e32 v8, v[8:9]
	v_min3_f32 v98, v8, v6, v18
	v_add_f64 v[6:7], v[177:178], v[197:198]
	v_add_f64 v[8:9], v[175:176], v[195:196]
	;; [unrolled: 5-line block ×3, first 2 shown]
	v_cvt_f32_f64_e32 v6, v[6:7]
	v_cvt_f32_f64_e32 v8, v[8:9]
	v_min3_f32 v96, v8, v6, v10
	ds_read_b128 v[30:33], v87 offset:272
	ds_read_b128 v[26:29], v87 offset:528
	;; [unrolled: 1-line block ×14, first 2 shown]
	s_waitcnt vmcnt(4)
	ds_write_b64 v88, v[82:83]
	s_waitcnt vmcnt(2)
	ds_write2st64_b64 v89, v[76:77], v[80:81] offset1:4
	s_waitcnt vmcnt(0)
	ds_write2st64_b64 v89, v[74:75], v[78:79] offset0:8 offset1:12
	s_waitcnt lgkmcnt(0)
	s_barrier
	buffer_gl0_inv
	v_add_f64 v[161:162], v[32:33], v[36:37]
	v_add_f64 v[163:164], v[30:31], v[34:35]
	v_cvt_f32_f64_e32 v161, v[161:162]
	v_cvt_f32_f64_e32 v163, v[163:164]
	v_min3_f32 v131, v163, v161, v131
	v_add_f64 v[161:162], v[28:29], v[36:37]
	v_add_f64 v[163:164], v[26:27], v[34:35]
	v_cvt_f32_f64_e32 v161, v[161:162]
	v_cvt_f32_f64_e32 v163, v[163:164]
	v_min3_f32 v136, v163, v161, v136
	v_add_f64 v[161:162], v[24:25], v[36:37]
	v_add_f64 v[163:164], v[22:23], v[34:35]
	v_cvt_f32_f64_e32 v161, v[161:162]
	v_cvt_f32_f64_e32 v163, v[163:164]
	v_min3_f32 v132, v163, v161, v132
	v_add_f64 v[161:162], v[20:21], v[36:37]
	v_add_f64 v[163:164], v[18:19], v[34:35]
	v_cvt_f32_f64_e32 v161, v[161:162]
	v_cvt_f32_f64_e32 v163, v[163:164]
	v_min3_f32 v133, v163, v161, v133
	v_add_f64 v[161:162], v[16:17], v[36:37]
	v_add_f64 v[163:164], v[14:15], v[34:35]
	v_cvt_f32_f64_e32 v161, v[161:162]
	v_cvt_f32_f64_e32 v163, v[163:164]
	v_min3_f32 v142, v163, v161, v142
	v_add_f64 v[161:162], v[12:13], v[36:37]
	v_add_f64 v[163:164], v[10:11], v[34:35]
	;; [unrolled: 1-line block ×4, first 2 shown]
	v_cvt_f32_f64_e32 v161, v[161:162]
	v_cvt_f32_f64_e32 v163, v[163:164]
	;; [unrolled: 1-line block ×4, first 2 shown]
	v_add_f64 v[36:37], v[2:3], v[62:63]
	v_min3_f32 v143, v163, v161, v143
	v_min3_f32 v199, v34, v35, v160
	v_add_f64 v[34:35], v[4:5], v[64:65]
	v_cvt_f32_f64_e32 v36, v[36:37]
	v_cvt_f32_f64_e32 v34, v[34:35]
	v_min3_f32 v200, v36, v34, v159
	v_add_f64 v[34:35], v[32:33], v[64:65]
	v_add_f64 v[36:37], v[30:31], v[62:63]
	v_cvt_f32_f64_e32 v34, v[34:35]
	v_cvt_f32_f64_e32 v36, v[36:37]
	v_min3_f32 v197, v36, v34, v158
	v_add_f64 v[34:35], v[28:29], v[64:65]
	;; [unrolled: 5-line block ×40, first 2 shown]
	v_add_f64 v[36:37], v[2:3], v[42:43]
	v_add_f64 v[4:5], v[4:5], v[40:41]
	;; [unrolled: 1-line block ×3, first 2 shown]
	v_cvt_f32_f64_e32 v34, v[34:35]
	v_cvt_f32_f64_e32 v36, v[36:37]
	;; [unrolled: 1-line block ×4, first 2 shown]
	v_add_f64 v[4:5], v[30:31], v[38:39]
	v_min3_f32 v160, v36, v34, v111
	v_add_f64 v[34:35], v[32:33], v[44:45]
	v_add_f64 v[36:37], v[30:31], v[42:43]
	v_min3_f32 v152, v2, v3, v103
	v_add_f64 v[2:3], v[32:33], v[40:41]
	v_cvt_f32_f64_e32 v4, v[4:5]
	v_cvt_f32_f64_e32 v34, v[34:35]
	v_cvt_f32_f64_e32 v36, v[36:37]
	v_cvt_f32_f64_e32 v2, v[2:3]
	v_min3_f32 v157, v36, v34, v110
	v_add_f64 v[34:35], v[28:29], v[44:45]
	v_add_f64 v[36:37], v[26:27], v[42:43]
	v_min3_f32 v149, v4, v2, v102
	v_add_f64 v[2:3], v[28:29], v[40:41]
	v_add_f64 v[4:5], v[26:27], v[38:39]
	v_cvt_f32_f64_e32 v34, v[34:35]
	v_cvt_f32_f64_e32 v36, v[36:37]
	v_cvt_f32_f64_e32 v2, v[2:3]
	v_cvt_f32_f64_e32 v4, v[4:5]
	v_min3_f32 v158, v36, v34, v109
	v_add_f64 v[34:35], v[24:25], v[44:45]
	v_add_f64 v[36:37], v[22:23], v[42:43]
	v_min3_f32 v150, v4, v2, v101
	v_add_f64 v[2:3], v[24:25], v[40:41]
	;; [unrolled: 10-line block ×6, first 2 shown]
	v_add_f64 v[4:5], v[6:7], v[38:39]
	v_cvt_f32_f64_e32 v34, v[34:35]
	v_cvt_f32_f64_e32 v36, v[36:37]
	;; [unrolled: 1-line block ×4, first 2 shown]
	v_min3_f32 v151, v36, v34, v104
	v_min3_f32 v144, v4, v2, v96
	s_cbranch_scc0 .LBB118_10
.LBB118_11:
	ds_read_b128 v[126:129], v130 offset:8192
	ds_read_b128 v[70:73], v84 offset:18432
	;; [unrolled: 1-line block ×4, first 2 shown]
	s_clause 0x2
	s_load_dword s6, s[4:5], 0x58
	s_load_dword s7, s[4:5], 0x70
	s_load_dwordx2 s[4:5], s[4:5], 0x78
	ds_read_b128 v[62:65], v84 offset:18688
	ds_read_b128 v[58:61], v84 offset:18704
	;; [unrolled: 1-line block ×23, first 2 shown]
	v_add_nc_u32_e32 v201, s22, v1
	ds_read_b128 v[82:85], v130 offset:13328
	v_add_nc_u32_e32 v138, s1, v0
	v_ashrrev_i32_e32 v139, 31, v138
	v_add_nc_u32_e32 v0, 8, v138
	v_ashrrev_i32_e32 v1, 31, v0
	s_waitcnt lgkmcnt(0)
	v_add_f64 v[10:11], v[70:71], v[126:127]
	v_add_f64 v[12:13], v[72:73], v[128:129]
	;; [unrolled: 1-line block ×4, first 2 shown]
	v_mad_i64_i32 v[140:141], null, v201, s7, 0
	v_mad_i64_i32 v[202:203], null, v201, s6, 0
	s_lshl_b64 s[4:5], s[4:5], 3
	s_add_u32 s1, s8, s4
	s_addc_u32 s4, s9, s5
	v_lshlrev_b64 v[140:141], 3, v[140:141]
	s_mov_b32 s5, -1
	v_lshlrev_b64 v[204:205], 3, v[202:203]
	v_add_co_u32 v202, vcc_lo, s1, v140
	v_add_co_ci_u32_e64 v203, null, s4, v141, vcc_lo
	v_cvt_f32_f64_e32 v135, v[10:11]
	v_cvt_f32_f64_e32 v137, v[12:13]
	;; [unrolled: 1-line block ×4, first 2 shown]
	ds_read_b128 v[78:81], v130 offset:14336
	ds_read_b128 v[74:77], v130 offset:14352
	;; [unrolled: 1-line block ×4, first 2 shown]
	v_add_co_u32 v204, vcc_lo, s12, v204
	v_add_co_ci_u32_e64 v205, null, s13, v205, vcc_lo
	s_mov_b32 vcc_lo, s0
	v_min3_f32 v130, v135, v137, v134
	v_lshlrev_b64 v[134:135], 3, v[138:139]
	v_min3_f32 v130, v206, v207, v130
	v_max_f32_e32 v137, v130, v130
	s_cbranch_vccz .LBB118_13
; %bb.12:
	v_min_f32_e32 v130, 0, v137
	v_add_co_u32 v206, vcc_lo, v202, v134
	v_add_co_ci_u32_e64 v207, null, v203, v135, vcc_lo
	v_cvt_f64_f32_e32 v[139:140], v130
	s_mov_b32 s5, 0
	flat_store_dwordx2 v[206:207], v[139:140]
.LBB118_13:
	v_lshlrev_b64 v[0:1], 3, v[0:1]
	v_mov_b32_e32 v130, 0
	s_andn2_b32 vcc_lo, exec_lo, s5
	s_cbranch_vccnz .LBB118_15
; %bb.14:
	v_add_co_u32 v139, vcc_lo, v204, v134
	v_add_co_ci_u32_e64 v140, null, v205, v135, vcc_lo
	v_add_co_u32 v206, vcc_lo, v202, v134
	v_add_co_ci_u32_e64 v207, null, v203, v135, vcc_lo
	flat_load_dwordx2 v[139:140], v[139:140]
	v_add_co_u32 v208, vcc_lo, v204, v0
	v_add_co_ci_u32_e64 v209, null, v205, v1, vcc_lo
	s_waitcnt vmcnt(0) lgkmcnt(0)
	v_mul_f64 v[139:140], s[2:3], v[139:140]
	v_cvt_f32_f64_e32 v130, v[139:140]
	v_min_f32_e32 v130, v130, v137
	v_cvt_f64_f32_e32 v[139:140], v130
	flat_store_dwordx2 v[206:207], v[139:140]
	flat_load_dwordx2 v[139:140], v[208:209]
	s_waitcnt vmcnt(0) lgkmcnt(0)
	v_mul_f64 v[139:140], s[2:3], v[139:140]
	v_cvt_f32_f64_e32 v130, v[139:140]
.LBB118_15:
	v_add_f64 v[139:140], v[62:63], v[126:127]
	v_add_f64 v[206:207], v[64:65], v[128:129]
	v_add_f64 v[208:209], v[58:59], v[122:123]
	v_add_f64 v[210:211], v[60:61], v[124:125]
	v_add_f64 v[212:213], v[56:57], v[128:129]
	v_add_f64 v[214:215], v[54:55], v[126:127]
	v_add_f64 v[216:217], v[50:51], v[122:123]
	s_mov_b32 s5, -1
	v_cvt_f32_f64_e32 v137, v[139:140]
	v_cvt_f32_f64_e32 v141, v[206:207]
	;; [unrolled: 1-line block ×4, first 2 shown]
	v_add_f64 v[139:140], v[52:53], v[124:125]
	v_cvt_f32_f64_e32 v208, v[214:215]
	v_cvt_f32_f64_e32 v209, v[212:213]
	;; [unrolled: 1-line block ×3, first 2 shown]
	v_min3_f32 v131, v137, v141, v131
	v_min_f32_e32 v137, v206, v207
	v_cvt_f32_f64_e32 v141, v[139:140]
	v_add_nc_u32_e32 v139, 16, v138
	v_min3_f32 v130, v130, v137, v131
	v_min3_f32 v131, v208, v209, v136
	v_ashrrev_i32_e32 v140, 31, v139
	v_add_co_u32 v208, vcc_lo, v202, v0
	v_cvt_f64_f32_e32 v[206:207], v130
	v_add_nc_u32_e32 v130, 24, v138
	v_lshlrev_b64 v[136:137], 3, v[139:140]
	v_add_co_ci_u32_e64 v209, null, v203, v1, vcc_lo
	s_mov_b32 vcc_lo, s0
	v_min3_f32 v141, v210, v141, v131
	v_ashrrev_i32_e32 v131, 31, v130
	v_max_f32_e32 v140, v141, v141
	flat_store_dwordx2 v[208:209], v[206:207]
	s_cbranch_vccz .LBB118_17
; %bb.16:
	v_min_f32_e32 v139, 0, v140
	v_add_co_u32 v208, vcc_lo, v202, v136
	v_add_co_ci_u32_e64 v209, null, v203, v137, vcc_lo
	v_cvt_f64_f32_e32 v[206:207], v139
	s_mov_b32 s5, 0
	flat_store_dwordx2 v[208:209], v[206:207]
.LBB118_17:
	v_lshlrev_b64 v[130:131], 3, v[130:131]
	v_mov_b32_e32 v139, 0
	s_andn2_b32 vcc_lo, exec_lo, s5
	s_cbranch_vccnz .LBB118_19
; %bb.18:
	v_add_co_u32 v206, vcc_lo, v204, v136
	v_add_co_ci_u32_e64 v207, null, v205, v137, vcc_lo
	flat_load_dwordx2 v[206:207], v[206:207]
	s_waitcnt vmcnt(0) lgkmcnt(0)
	v_mul_f64 v[206:207], s[2:3], v[206:207]
	v_cvt_f32_f64_e32 v139, v[206:207]
	v_add_co_u32 v206, vcc_lo, v202, v136
	v_add_co_ci_u32_e64 v207, null, v203, v137, vcc_lo
	v_add_co_u32 v208, vcc_lo, v204, v130
	v_add_co_ci_u32_e64 v209, null, v205, v131, vcc_lo
	v_min_f32_e32 v139, v139, v140
	v_cvt_f64_f32_e32 v[139:140], v139
	flat_store_dwordx2 v[206:207], v[139:140]
	flat_load_dwordx2 v[139:140], v[208:209]
	s_waitcnt vmcnt(0) lgkmcnt(0)
	v_mul_f64 v[139:140], s[2:3], v[139:140]
	v_cvt_f32_f64_e32 v139, v[139:140]
.LBB118_19:
	v_add_f64 v[140:141], v[46:47], v[126:127]
	v_add_f64 v[206:207], v[48:49], v[128:129]
	v_add_f64 v[208:209], v[42:43], v[122:123]
	v_add_f64 v[210:211], v[44:45], v[124:125]
	v_add_f64 v[212:213], v[40:41], v[128:129]
	v_add_f64 v[214:215], v[38:39], v[126:127]
	v_add_f64 v[216:217], v[34:35], v[122:123]
	s_mov_b32 s5, -1
	v_cvt_f32_f64_e32 v218, v[140:141]
	v_cvt_f32_f64_e32 v206, v[206:207]
	v_cvt_f32_f64_e32 v207, v[208:209]
	v_cvt_f32_f64_e32 v208, v[210:211]
	v_add_f64 v[140:141], v[36:37], v[124:125]
	v_cvt_f32_f64_e32 v209, v[214:215]
	v_cvt_f32_f64_e32 v210, v[212:213]
	;; [unrolled: 1-line block ×3, first 2 shown]
	v_min3_f32 v132, v218, v206, v132
	v_min_f32_e32 v206, v207, v208
	v_cvt_f32_f64_e32 v141, v[140:141]
	v_min3_f32 v133, v209, v210, v133
	v_add_co_u32 v209, vcc_lo, v202, v130
	v_min3_f32 v132, v139, v206, v132
	v_add_nc_u32_e32 v139, 32, v138
	v_add_co_ci_u32_e64 v210, null, v203, v131, vcc_lo
	s_mov_b32 vcc_lo, s0
	v_cvt_f64_f32_e32 v[207:208], v132
	v_ashrrev_i32_e32 v140, 31, v139
	v_add_nc_u32_e32 v132, 40, v138
	v_min3_f32 v206, v211, v141, v133
	v_lshlrev_b64 v[140:141], 3, v[139:140]
	v_ashrrev_i32_e32 v133, 31, v132
	v_max_f32_e32 v206, v206, v206
	flat_store_dwordx2 v[209:210], v[207:208]
	s_cbranch_vccz .LBB118_21
; %bb.20:
	v_min_f32_e32 v139, 0, v206
	v_add_co_u32 v209, vcc_lo, v202, v140
	v_add_co_ci_u32_e64 v210, null, v203, v141, vcc_lo
	v_cvt_f64_f32_e32 v[207:208], v139
	s_mov_b32 s5, 0
	flat_store_dwordx2 v[209:210], v[207:208]
.LBB118_21:
	v_lshlrev_b64 v[132:133], 3, v[132:133]
	v_mov_b32_e32 v139, 0
	s_andn2_b32 vcc_lo, exec_lo, s5
	s_cbranch_vccnz .LBB118_23
; %bb.22:
	v_add_co_u32 v207, vcc_lo, v204, v140
	v_add_co_ci_u32_e64 v208, null, v205, v141, vcc_lo
	flat_load_dwordx2 v[207:208], v[207:208]
	s_waitcnt vmcnt(0) lgkmcnt(0)
	v_mul_f64 v[207:208], s[2:3], v[207:208]
	v_cvt_f32_f64_e32 v139, v[207:208]
	v_add_co_u32 v208, vcc_lo, v202, v140
	v_add_co_ci_u32_e64 v209, null, v203, v141, vcc_lo
	v_add_co_u32 v210, vcc_lo, v204, v132
	v_add_co_ci_u32_e64 v211, null, v205, v133, vcc_lo
	v_min_f32_e32 v139, v139, v206
	v_cvt_f64_f32_e32 v[206:207], v139
	flat_store_dwordx2 v[208:209], v[206:207]
	flat_load_dwordx2 v[206:207], v[210:211]
	s_waitcnt vmcnt(0) lgkmcnt(0)
	v_mul_f64 v[206:207], s[2:3], v[206:207]
	v_cvt_f32_f64_e32 v139, v[206:207]
.LBB118_23:
	v_add_f64 v[206:207], v[30:31], v[126:127]
	v_add_f64 v[208:209], v[32:33], v[128:129]
	;; [unrolled: 1-line block ×7, first 2 shown]
	s_mov_b32 s5, -1
	v_cvt_f32_f64_e32 v220, v[206:207]
	v_cvt_f32_f64_e32 v208, v[208:209]
	;; [unrolled: 1-line block ×4, first 2 shown]
	v_add_f64 v[206:207], v[20:21], v[124:125]
	v_cvt_f32_f64_e32 v211, v[216:217]
	v_cvt_f32_f64_e32 v212, v[214:215]
	;; [unrolled: 1-line block ×3, first 2 shown]
	v_min3_f32 v142, v220, v208, v142
	v_min_f32_e32 v208, v209, v210
	v_cvt_f32_f64_e32 v206, v[206:207]
	v_add_co_u32 v210, vcc_lo, v202, v132
	v_min3_f32 v139, v139, v208, v142
	v_add_nc_u32_e32 v142, 48, v138
	v_add_nc_u32_e32 v138, 56, v138
	v_cvt_f64_f32_e32 v[208:209], v139
	v_min3_f32 v139, v211, v212, v143
	v_ashrrev_i32_e32 v143, 31, v142
	v_add_co_ci_u32_e64 v211, null, v203, v133, vcc_lo
	s_mov_b32 vcc_lo, s0
	v_lshlrev_b64 v[142:143], 3, v[142:143]
	v_min3_f32 v206, v213, v206, v139
	v_ashrrev_i32_e32 v139, 31, v138
	v_max_f32_e32 v207, v206, v206
	flat_store_dwordx2 v[210:211], v[208:209]
	s_cbranch_vccz .LBB118_25
; %bb.24:
	v_min_f32_e32 v206, 0, v207
	v_add_co_u32 v210, vcc_lo, v202, v142
	v_add_co_ci_u32_e64 v211, null, v203, v143, vcc_lo
	v_cvt_f64_f32_e32 v[208:209], v206
	s_mov_b32 s5, 0
	flat_store_dwordx2 v[210:211], v[208:209]
.LBB118_25:
	v_lshlrev_b64 v[138:139], 3, v[138:139]
	v_mov_b32_e32 v206, 0
	s_andn2_b32 vcc_lo, exec_lo, s5
	s_cbranch_vccnz .LBB118_27
; %bb.26:
	v_add_co_u32 v208, vcc_lo, v204, v142
	v_add_co_ci_u32_e64 v209, null, v205, v143, vcc_lo
	flat_load_dwordx2 v[208:209], v[208:209]
	s_waitcnt vmcnt(0) lgkmcnt(0)
	v_mul_f64 v[208:209], s[2:3], v[208:209]
	v_cvt_f32_f64_e32 v206, v[208:209]
	v_add_co_u32 v208, vcc_lo, v202, v142
	v_add_co_ci_u32_e64 v209, null, v203, v143, vcc_lo
	v_add_co_u32 v204, vcc_lo, v204, v138
	v_add_co_ci_u32_e64 v205, null, v205, v139, vcc_lo
	v_min_f32_e32 v206, v206, v207
	v_cvt_f64_f32_e32 v[206:207], v206
	flat_store_dwordx2 v[208:209], v[206:207]
	flat_load_dwordx2 v[204:205], v[204:205]
	s_waitcnt vmcnt(0) lgkmcnt(0)
	v_mul_f64 v[204:205], s[2:3], v[204:205]
	v_cvt_f32_f64_e32 v206, v[204:205]
.LBB118_27:
	v_add_f64 v[126:127], v[2:3], v[126:127]
	v_add_f64 v[128:129], v[4:5], v[128:129]
	;; [unrolled: 1-line block ×6, first 2 shown]
	v_add_co_u32 v202, vcc_lo, v202, v138
	v_add_co_ci_u32_e64 v203, null, v203, v139, vcc_lo
	s_mov_b32 s5, -1
	v_cvt_f32_f64_e32 v126, v[126:127]
	v_cvt_f32_f64_e32 v127, v[128:129]
	;; [unrolled: 1-line block ×4, first 2 shown]
	v_add_f64 v[122:123], v[66:67], v[114:115]
	v_add_f64 v[124:125], v[68:69], v[116:117]
	v_cvt_f32_f64_e32 v207, v[207:208]
	v_cvt_f32_f64_e32 v204, v[204:205]
	v_min3_f32 v126, v126, v127, v199
	v_add_nc_u32_e32 v199, 32, v201
	v_min_f32_e32 v127, v128, v129
	v_cvt_f32_f64_e32 v205, v[122:123]
	v_cvt_f32_f64_e32 v208, v[124:125]
	v_mad_i64_i32 v[122:123], null, v199, s7, 0
	v_min3_f32 v124, v206, v127, v126
	v_min3_f32 v126, v207, v204, v200
	v_cvt_f64_f32_e32 v[128:129], v124
	v_mad_i64_i32 v[124:125], null, v199, s6, 0
	v_lshlrev_b64 v[122:123], 3, v[122:123]
	v_lshlrev_b64 v[124:125], 3, v[124:125]
	v_add_co_u32 v122, vcc_lo, s1, v122
	v_add_co_ci_u32_e64 v123, null, s4, v123, vcc_lo
	v_min3_f32 v126, v205, v208, v126
	v_add_co_u32 v124, vcc_lo, s12, v124
	v_add_co_ci_u32_e64 v125, null, s13, v125, vcc_lo
	v_max_f32_e32 v127, v126, v126
	s_mov_b32 vcc_lo, s0
	flat_store_dwordx2 v[202:203], v[128:129]
	s_cbranch_vccz .LBB118_29
; %bb.28:
	v_min_f32_e32 v126, 0, v127
	v_add_co_u32 v199, vcc_lo, v122, v134
	v_add_co_ci_u32_e64 v200, null, v123, v135, vcc_lo
	v_cvt_f64_f32_e32 v[128:129], v126
	s_mov_b32 s5, 0
	flat_store_dwordx2 v[199:200], v[128:129]
.LBB118_29:
	v_mov_b32_e32 v126, 0
	s_andn2_b32 vcc_lo, exec_lo, s5
	s_cbranch_vccnz .LBB118_31
; %bb.30:
	v_add_co_u32 v128, vcc_lo, v124, v134
	v_add_co_ci_u32_e64 v129, null, v125, v135, vcc_lo
	flat_load_dwordx2 v[128:129], v[128:129]
	s_waitcnt vmcnt(0) lgkmcnt(0)
	v_mul_f64 v[128:129], s[2:3], v[128:129]
	v_cvt_f32_f64_e32 v126, v[128:129]
	v_add_co_u32 v128, vcc_lo, v122, v134
	v_add_co_ci_u32_e64 v129, null, v123, v135, vcc_lo
	v_add_co_u32 v199, vcc_lo, v124, v0
	v_add_co_ci_u32_e64 v200, null, v125, v1, vcc_lo
	v_min_f32_e32 v126, v126, v127
	v_cvt_f64_f32_e32 v[126:127], v126
	flat_store_dwordx2 v[128:129], v[126:127]
	flat_load_dwordx2 v[126:127], v[199:200]
	s_waitcnt vmcnt(0) lgkmcnt(0)
	v_mul_f64 v[126:127], s[2:3], v[126:127]
	v_cvt_f32_f64_e32 v126, v[126:127]
.LBB118_31:
	v_add_f64 v[127:128], v[62:63], v[118:119]
	v_add_f64 v[199:200], v[64:65], v[120:121]
	v_add_f64 v[202:203], v[58:59], v[114:115]
	v_add_f64 v[204:205], v[60:61], v[116:117]
	v_add_f64 v[206:207], v[56:57], v[120:121]
	v_add_f64 v[208:209], v[54:55], v[118:119]
	v_add_f64 v[210:211], v[50:51], v[114:115]
	s_mov_b32 s5, -1
	v_cvt_f32_f64_e32 v129, v[127:128]
	v_cvt_f32_f64_e32 v199, v[199:200]
	v_cvt_f32_f64_e32 v200, v[202:203]
	v_cvt_f32_f64_e32 v202, v[204:205]
	v_add_f64 v[127:128], v[52:53], v[116:117]
	v_cvt_f32_f64_e32 v203, v[208:209]
	v_cvt_f32_f64_e32 v204, v[206:207]
	v_cvt_f32_f64_e32 v205, v[210:211]
	v_min3_f32 v129, v129, v199, v197
	v_min_f32_e32 v197, v200, v202
	v_cvt_f32_f64_e32 v127, v[127:128]
	v_min3_f32 v126, v126, v197, v129
	v_add_co_u32 v197, vcc_lo, v122, v0
	v_cvt_f64_f32_e32 v[128:129], v126
	v_min3_f32 v126, v203, v204, v198
	v_add_co_ci_u32_e64 v198, null, v123, v1, vcc_lo
	s_mov_b32 vcc_lo, s0
	v_min3_f32 v126, v205, v127, v126
	v_max_f32_e32 v127, v126, v126
	flat_store_dwordx2 v[197:198], v[128:129]
	s_cbranch_vccz .LBB118_33
; %bb.32:
	v_min_f32_e32 v126, 0, v127
	v_add_co_u32 v197, vcc_lo, v122, v136
	v_add_co_ci_u32_e64 v198, null, v123, v137, vcc_lo
	v_cvt_f64_f32_e32 v[128:129], v126
	s_mov_b32 s5, 0
	flat_store_dwordx2 v[197:198], v[128:129]
.LBB118_33:
	v_mov_b32_e32 v126, 0
	s_andn2_b32 vcc_lo, exec_lo, s5
	s_cbranch_vccnz .LBB118_35
; %bb.34:
	v_add_co_u32 v128, vcc_lo, v124, v136
	v_add_co_ci_u32_e64 v129, null, v125, v137, vcc_lo
	flat_load_dwordx2 v[128:129], v[128:129]
	s_waitcnt vmcnt(0) lgkmcnt(0)
	v_mul_f64 v[128:129], s[2:3], v[128:129]
	v_cvt_f32_f64_e32 v126, v[128:129]
	v_add_co_u32 v128, vcc_lo, v122, v136
	v_add_co_ci_u32_e64 v129, null, v123, v137, vcc_lo
	v_add_co_u32 v197, vcc_lo, v124, v130
	v_add_co_ci_u32_e64 v198, null, v125, v131, vcc_lo
	v_min_f32_e32 v126, v126, v127
	v_cvt_f64_f32_e32 v[126:127], v126
	flat_store_dwordx2 v[128:129], v[126:127]
	flat_load_dwordx2 v[126:127], v[197:198]
	s_waitcnt vmcnt(0) lgkmcnt(0)
	v_mul_f64 v[126:127], s[2:3], v[126:127]
	v_cvt_f32_f64_e32 v126, v[126:127]
.LBB118_35:
	v_add_f64 v[127:128], v[46:47], v[118:119]
	v_add_f64 v[197:198], v[48:49], v[120:121]
	v_add_f64 v[199:200], v[42:43], v[114:115]
	v_add_f64 v[202:203], v[44:45], v[116:117]
	v_add_f64 v[204:205], v[40:41], v[120:121]
	v_add_f64 v[206:207], v[38:39], v[118:119]
	v_add_f64 v[208:209], v[34:35], v[114:115]
	s_mov_b32 s5, -1
	v_cvt_f32_f64_e32 v129, v[127:128]
	v_cvt_f32_f64_e32 v197, v[197:198]
	v_cvt_f32_f64_e32 v198, v[199:200]
	v_cvt_f32_f64_e32 v199, v[202:203]
	v_add_f64 v[127:128], v[36:37], v[116:117]
	v_cvt_f32_f64_e32 v200, v[206:207]
	v_cvt_f32_f64_e32 v202, v[204:205]
	v_cvt_f32_f64_e32 v203, v[208:209]
	v_min3_f32 v129, v129, v197, v195
	v_min_f32_e32 v195, v198, v199
	v_cvt_f32_f64_e32 v127, v[127:128]
	v_min3_f32 v126, v126, v195, v129
	v_add_co_u32 v195, vcc_lo, v122, v130
	v_cvt_f64_f32_e32 v[128:129], v126
	v_min3_f32 v126, v200, v202, v196
	v_add_co_ci_u32_e64 v196, null, v123, v131, vcc_lo
	s_mov_b32 vcc_lo, s0
	v_min3_f32 v126, v203, v127, v126
	v_max_f32_e32 v127, v126, v126
	;; [unrolled: 59-line block ×3, first 2 shown]
	flat_store_dwordx2 v[193:194], v[128:129]
	s_cbranch_vccz .LBB118_41
; %bb.40:
	v_min_f32_e32 v126, 0, v127
	v_add_co_u32 v193, vcc_lo, v122, v142
	v_add_co_ci_u32_e64 v194, null, v123, v143, vcc_lo
	v_cvt_f64_f32_e32 v[128:129], v126
	s_mov_b32 s5, 0
	flat_store_dwordx2 v[193:194], v[128:129]
.LBB118_41:
	v_mov_b32_e32 v126, 0
	s_andn2_b32 vcc_lo, exec_lo, s5
	s_cbranch_vccnz .LBB118_43
; %bb.42:
	v_add_co_u32 v128, vcc_lo, v124, v142
	v_add_co_ci_u32_e64 v129, null, v125, v143, vcc_lo
	flat_load_dwordx2 v[128:129], v[128:129]
	s_waitcnt vmcnt(0) lgkmcnt(0)
	v_mul_f64 v[128:129], s[2:3], v[128:129]
	v_cvt_f32_f64_e32 v126, v[128:129]
	v_add_co_u32 v128, vcc_lo, v122, v142
	v_add_co_ci_u32_e64 v129, null, v123, v143, vcc_lo
	v_add_co_u32 v124, vcc_lo, v124, v138
	v_add_co_ci_u32_e64 v125, null, v125, v139, vcc_lo
	v_min_f32_e32 v126, v126, v127
	v_cvt_f64_f32_e32 v[126:127], v126
	flat_store_dwordx2 v[128:129], v[126:127]
	flat_load_dwordx2 v[124:125], v[124:125]
	s_waitcnt vmcnt(0) lgkmcnt(0)
	v_mul_f64 v[124:125], s[2:3], v[124:125]
	v_cvt_f32_f64_e32 v126, v[124:125]
.LBB118_43:
	v_add_f64 v[118:119], v[2:3], v[118:119]
	v_add_f64 v[120:121], v[4:5], v[120:121]
	;; [unrolled: 1-line block ×6, first 2 shown]
	v_add_co_u32 v122, vcc_lo, v122, v138
	v_add_co_ci_u32_e64 v123, null, v123, v139, vcc_lo
	s_mov_b32 s5, -1
	v_cvt_f32_f64_e32 v118, v[118:119]
	v_cvt_f32_f64_e32 v119, v[120:121]
	;; [unrolled: 1-line block ×4, first 2 shown]
	v_add_f64 v[114:115], v[66:67], v[106:107]
	v_add_f64 v[116:117], v[68:69], v[108:109]
	v_cvt_f32_f64_e32 v127, v[127:128]
	v_cvt_f32_f64_e32 v124, v[124:125]
	v_add_nc_u32_e32 v125, 64, v201
	v_min3_f32 v118, v118, v119, v191
	v_min_f32_e32 v119, v120, v121
	v_cvt_f32_f64_e32 v128, v[114:115]
	v_cvt_f32_f64_e32 v129, v[116:117]
	v_mad_i64_i32 v[114:115], null, v125, s7, 0
	v_min3_f32 v116, v126, v119, v118
	v_min3_f32 v118, v127, v124, v192
	v_cvt_f64_f32_e32 v[120:121], v116
	v_mad_i64_i32 v[116:117], null, v125, s6, 0
	v_lshlrev_b64 v[114:115], 3, v[114:115]
	v_add_co_u32 v114, vcc_lo, s1, v114
	v_lshlrev_b64 v[116:117], 3, v[116:117]
	v_add_co_ci_u32_e64 v115, null, s4, v115, vcc_lo
	v_min3_f32 v118, v128, v129, v118
	v_add_co_u32 v116, vcc_lo, s12, v116
	v_add_co_ci_u32_e64 v117, null, s13, v117, vcc_lo
	v_max_f32_e32 v119, v118, v118
	s_mov_b32 vcc_lo, s0
	flat_store_dwordx2 v[122:123], v[120:121]
	s_cbranch_vccz .LBB118_45
; %bb.44:
	v_min_f32_e32 v118, 0, v119
	v_add_co_u32 v122, vcc_lo, v114, v134
	v_add_co_ci_u32_e64 v123, null, v115, v135, vcc_lo
	v_cvt_f64_f32_e32 v[120:121], v118
	s_mov_b32 s5, 0
	flat_store_dwordx2 v[122:123], v[120:121]
.LBB118_45:
	v_mov_b32_e32 v118, 0
	s_andn2_b32 vcc_lo, exec_lo, s5
	s_cbranch_vccnz .LBB118_47
; %bb.46:
	v_add_co_u32 v120, vcc_lo, v116, v134
	v_add_co_ci_u32_e64 v121, null, v117, v135, vcc_lo
	flat_load_dwordx2 v[120:121], v[120:121]
	s_waitcnt vmcnt(0) lgkmcnt(0)
	v_mul_f64 v[120:121], s[2:3], v[120:121]
	v_cvt_f32_f64_e32 v118, v[120:121]
	v_add_co_u32 v120, vcc_lo, v114, v134
	v_add_co_ci_u32_e64 v121, null, v115, v135, vcc_lo
	v_add_co_u32 v122, vcc_lo, v116, v0
	v_add_co_ci_u32_e64 v123, null, v117, v1, vcc_lo
	v_min_f32_e32 v118, v118, v119
	v_cvt_f64_f32_e32 v[118:119], v118
	flat_store_dwordx2 v[120:121], v[118:119]
	flat_load_dwordx2 v[118:119], v[122:123]
	s_waitcnt vmcnt(0) lgkmcnt(0)
	v_mul_f64 v[118:119], s[2:3], v[118:119]
	v_cvt_f32_f64_e32 v118, v[118:119]
.LBB118_47:
	v_add_f64 v[119:120], v[62:63], v[110:111]
	v_add_f64 v[121:122], v[64:65], v[112:113]
	v_add_f64 v[123:124], v[58:59], v[106:107]
	v_add_f64 v[125:126], v[60:61], v[108:109]
	v_add_f64 v[127:128], v[56:57], v[112:113]
	v_add_f64 v[191:192], v[54:55], v[110:111]
	v_add_f64 v[193:194], v[50:51], v[106:107]
	s_mov_b32 s5, -1
	v_cvt_f32_f64_e32 v129, v[119:120]
	v_cvt_f32_f64_e32 v121, v[121:122]
	v_cvt_f32_f64_e32 v122, v[123:124]
	v_cvt_f32_f64_e32 v123, v[125:126]
	v_add_f64 v[119:120], v[52:53], v[108:109]
	v_cvt_f32_f64_e32 v124, v[191:192]
	v_cvt_f32_f64_e32 v125, v[127:128]
	v_cvt_f32_f64_e32 v126, v[193:194]
	v_min3_f32 v121, v129, v121, v189
	v_min_f32_e32 v122, v122, v123
	v_cvt_f32_f64_e32 v119, v[119:120]
	v_min3_f32 v118, v118, v122, v121
	v_add_co_u32 v122, vcc_lo, v114, v0
	v_add_co_ci_u32_e64 v123, null, v115, v1, vcc_lo
	v_cvt_f64_f32_e32 v[120:121], v118
	v_min3_f32 v118, v124, v125, v190
	s_mov_b32 vcc_lo, s0
	v_min3_f32 v118, v126, v119, v118
	v_max_f32_e32 v119, v118, v118
	flat_store_dwordx2 v[122:123], v[120:121]
	s_cbranch_vccz .LBB118_49
; %bb.48:
	v_min_f32_e32 v118, 0, v119
	v_add_co_u32 v122, vcc_lo, v114, v136
	v_add_co_ci_u32_e64 v123, null, v115, v137, vcc_lo
	v_cvt_f64_f32_e32 v[120:121], v118
	s_mov_b32 s5, 0
	flat_store_dwordx2 v[122:123], v[120:121]
.LBB118_49:
	v_mov_b32_e32 v118, 0
	s_andn2_b32 vcc_lo, exec_lo, s5
	s_cbranch_vccnz .LBB118_51
; %bb.50:
	v_add_co_u32 v120, vcc_lo, v116, v136
	v_add_co_ci_u32_e64 v121, null, v117, v137, vcc_lo
	flat_load_dwordx2 v[120:121], v[120:121]
	s_waitcnt vmcnt(0) lgkmcnt(0)
	v_mul_f64 v[120:121], s[2:3], v[120:121]
	v_cvt_f32_f64_e32 v118, v[120:121]
	v_add_co_u32 v120, vcc_lo, v114, v136
	v_add_co_ci_u32_e64 v121, null, v115, v137, vcc_lo
	v_add_co_u32 v122, vcc_lo, v116, v130
	v_add_co_ci_u32_e64 v123, null, v117, v131, vcc_lo
	v_min_f32_e32 v118, v118, v119
	v_cvt_f64_f32_e32 v[118:119], v118
	flat_store_dwordx2 v[120:121], v[118:119]
	flat_load_dwordx2 v[118:119], v[122:123]
	s_waitcnt vmcnt(0) lgkmcnt(0)
	v_mul_f64 v[118:119], s[2:3], v[118:119]
	v_cvt_f32_f64_e32 v118, v[118:119]
.LBB118_51:
	v_add_f64 v[119:120], v[46:47], v[110:111]
	v_add_f64 v[121:122], v[48:49], v[112:113]
	v_add_f64 v[123:124], v[42:43], v[106:107]
	v_add_f64 v[125:126], v[44:45], v[108:109]
	v_add_f64 v[127:128], v[40:41], v[112:113]
	v_add_f64 v[189:190], v[38:39], v[110:111]
	v_add_f64 v[191:192], v[34:35], v[106:107]
	s_mov_b32 s5, -1
	v_cvt_f32_f64_e32 v129, v[119:120]
	v_cvt_f32_f64_e32 v121, v[121:122]
	v_cvt_f32_f64_e32 v122, v[123:124]
	v_cvt_f32_f64_e32 v123, v[125:126]
	v_add_f64 v[119:120], v[36:37], v[108:109]
	v_cvt_f32_f64_e32 v124, v[189:190]
	v_cvt_f32_f64_e32 v125, v[127:128]
	v_cvt_f32_f64_e32 v126, v[191:192]
	v_min3_f32 v121, v129, v121, v187
	v_min_f32_e32 v122, v122, v123
	v_cvt_f32_f64_e32 v119, v[119:120]
	v_min3_f32 v118, v118, v122, v121
	v_add_co_u32 v122, vcc_lo, v114, v130
	v_add_co_ci_u32_e64 v123, null, v115, v131, vcc_lo
	v_cvt_f64_f32_e32 v[120:121], v118
	v_min3_f32 v118, v124, v125, v188
	s_mov_b32 vcc_lo, s0
	v_min3_f32 v118, v126, v119, v118
	v_max_f32_e32 v119, v118, v118
	;; [unrolled: 59-line block ×3, first 2 shown]
	flat_store_dwordx2 v[122:123], v[120:121]
	s_cbranch_vccz .LBB118_57
; %bb.56:
	v_min_f32_e32 v118, 0, v119
	v_add_co_u32 v122, vcc_lo, v114, v142
	v_add_co_ci_u32_e64 v123, null, v115, v143, vcc_lo
	v_cvt_f64_f32_e32 v[120:121], v118
	s_mov_b32 s5, 0
	flat_store_dwordx2 v[122:123], v[120:121]
.LBB118_57:
	v_mov_b32_e32 v118, 0
	s_andn2_b32 vcc_lo, exec_lo, s5
	s_cbranch_vccnz .LBB118_59
; %bb.58:
	v_add_co_u32 v120, vcc_lo, v116, v142
	v_add_co_ci_u32_e64 v121, null, v117, v143, vcc_lo
	flat_load_dwordx2 v[120:121], v[120:121]
	s_waitcnt vmcnt(0) lgkmcnt(0)
	v_mul_f64 v[120:121], s[2:3], v[120:121]
	v_cvt_f32_f64_e32 v118, v[120:121]
	v_add_co_u32 v120, vcc_lo, v114, v142
	v_add_co_ci_u32_e64 v121, null, v115, v143, vcc_lo
	v_add_co_u32 v116, vcc_lo, v116, v138
	v_add_co_ci_u32_e64 v117, null, v117, v139, vcc_lo
	v_min_f32_e32 v118, v118, v119
	v_cvt_f64_f32_e32 v[118:119], v118
	flat_store_dwordx2 v[120:121], v[118:119]
	flat_load_dwordx2 v[116:117], v[116:117]
	s_waitcnt vmcnt(0) lgkmcnt(0)
	v_mul_f64 v[116:117], s[2:3], v[116:117]
	v_cvt_f32_f64_e32 v118, v[116:117]
.LBB118_59:
	v_add_f64 v[110:111], v[2:3], v[110:111]
	v_add_f64 v[112:113], v[4:5], v[112:113]
	v_add_f64 v[106:107], v[6:7], v[106:107]
	v_add_f64 v[108:109], v[8:9], v[108:109]
	v_add_f64 v[116:117], v[72:73], v[104:105]
	v_add_f64 v[119:120], v[70:71], v[102:103]
	v_add_co_u32 v114, vcc_lo, v114, v138
	v_add_co_ci_u32_e64 v115, null, v115, v139, vcc_lo
	s_mov_b32 s5, -1
	v_cvt_f32_f64_e32 v110, v[110:111]
	v_cvt_f32_f64_e32 v111, v[112:113]
	;; [unrolled: 1-line block ×4, first 2 shown]
	v_add_f64 v[106:107], v[66:67], v[98:99]
	v_add_f64 v[108:109], v[68:69], v[100:101]
	v_cvt_f32_f64_e32 v119, v[119:120]
	v_cvt_f32_f64_e32 v116, v[116:117]
	v_add_nc_u32_e32 v117, 0x60, v201
	v_min3_f32 v110, v110, v111, v183
	v_min_f32_e32 v111, v112, v113
	v_cvt_f32_f64_e32 v120, v[106:107]
	v_cvt_f32_f64_e32 v121, v[108:109]
	v_mad_i64_i32 v[106:107], null, v117, s7, 0
	v_min3_f32 v108, v118, v111, v110
	v_min3_f32 v110, v119, v116, v184
	v_cvt_f64_f32_e32 v[112:113], v108
	v_mad_i64_i32 v[108:109], null, v117, s6, 0
	v_lshlrev_b64 v[106:107], 3, v[106:107]
	v_add_co_u32 v106, vcc_lo, s1, v106
	v_lshlrev_b64 v[108:109], 3, v[108:109]
	v_add_co_ci_u32_e64 v107, null, s4, v107, vcc_lo
	v_min3_f32 v110, v120, v121, v110
	v_add_co_u32 v108, vcc_lo, s12, v108
	v_add_co_ci_u32_e64 v109, null, s13, v109, vcc_lo
	v_max_f32_e32 v111, v110, v110
	s_mov_b32 vcc_lo, s0
	flat_store_dwordx2 v[114:115], v[112:113]
	s_cbranch_vccz .LBB118_61
; %bb.60:
	v_min_f32_e32 v110, 0, v111
	v_add_co_u32 v114, vcc_lo, v106, v134
	v_add_co_ci_u32_e64 v115, null, v107, v135, vcc_lo
	v_cvt_f64_f32_e32 v[112:113], v110
	s_mov_b32 s5, 0
	flat_store_dwordx2 v[114:115], v[112:113]
.LBB118_61:
	v_mov_b32_e32 v110, 0
	s_andn2_b32 vcc_lo, exec_lo, s5
	s_cbranch_vccnz .LBB118_63
; %bb.62:
	v_add_co_u32 v112, vcc_lo, v108, v134
	v_add_co_ci_u32_e64 v113, null, v109, v135, vcc_lo
	flat_load_dwordx2 v[112:113], v[112:113]
	s_waitcnt vmcnt(0) lgkmcnt(0)
	v_mul_f64 v[112:113], s[2:3], v[112:113]
	v_cvt_f32_f64_e32 v110, v[112:113]
	v_add_co_u32 v112, vcc_lo, v106, v134
	v_add_co_ci_u32_e64 v113, null, v107, v135, vcc_lo
	v_add_co_u32 v114, vcc_lo, v108, v0
	v_add_co_ci_u32_e64 v115, null, v109, v1, vcc_lo
	v_min_f32_e32 v110, v110, v111
	v_cvt_f64_f32_e32 v[110:111], v110
	flat_store_dwordx2 v[112:113], v[110:111]
	flat_load_dwordx2 v[110:111], v[114:115]
	s_waitcnt vmcnt(0) lgkmcnt(0)
	v_mul_f64 v[110:111], s[2:3], v[110:111]
	v_cvt_f32_f64_e32 v110, v[110:111]
.LBB118_63:
	v_add_f64 v[111:112], v[62:63], v[102:103]
	v_add_f64 v[113:114], v[64:65], v[104:105]
	v_add_f64 v[115:116], v[58:59], v[98:99]
	v_add_f64 v[117:118], v[60:61], v[100:101]
	v_add_f64 v[119:120], v[56:57], v[104:105]
	v_add_f64 v[121:122], v[54:55], v[102:103]
	v_add_f64 v[123:124], v[50:51], v[98:99]
	s_mov_b32 s5, -1
	v_cvt_f32_f64_e32 v125, v[111:112]
	v_cvt_f32_f64_e32 v113, v[113:114]
	v_cvt_f32_f64_e32 v114, v[115:116]
	v_cvt_f32_f64_e32 v115, v[117:118]
	v_add_f64 v[111:112], v[52:53], v[100:101]
	v_cvt_f32_f64_e32 v116, v[121:122]
	v_cvt_f32_f64_e32 v117, v[119:120]
	v_cvt_f32_f64_e32 v118, v[123:124]
	v_min3_f32 v113, v125, v113, v181
	v_min_f32_e32 v114, v114, v115
	v_cvt_f32_f64_e32 v111, v[111:112]
	v_min3_f32 v110, v110, v114, v113
	v_add_co_u32 v114, vcc_lo, v106, v0
	v_add_co_ci_u32_e64 v115, null, v107, v1, vcc_lo
	v_cvt_f64_f32_e32 v[112:113], v110
	v_min3_f32 v110, v116, v117, v182
	s_mov_b32 vcc_lo, s0
	v_min3_f32 v110, v118, v111, v110
	v_max_f32_e32 v111, v110, v110
	flat_store_dwordx2 v[114:115], v[112:113]
	s_cbranch_vccz .LBB118_65
; %bb.64:
	v_min_f32_e32 v110, 0, v111
	v_add_co_u32 v114, vcc_lo, v106, v136
	v_add_co_ci_u32_e64 v115, null, v107, v137, vcc_lo
	v_cvt_f64_f32_e32 v[112:113], v110
	s_mov_b32 s5, 0
	flat_store_dwordx2 v[114:115], v[112:113]
.LBB118_65:
	v_mov_b32_e32 v110, 0
	s_andn2_b32 vcc_lo, exec_lo, s5
	s_cbranch_vccnz .LBB118_67
; %bb.66:
	v_add_co_u32 v112, vcc_lo, v108, v136
	v_add_co_ci_u32_e64 v113, null, v109, v137, vcc_lo
	flat_load_dwordx2 v[112:113], v[112:113]
	s_waitcnt vmcnt(0) lgkmcnt(0)
	v_mul_f64 v[112:113], s[2:3], v[112:113]
	v_cvt_f32_f64_e32 v110, v[112:113]
	v_add_co_u32 v112, vcc_lo, v106, v136
	v_add_co_ci_u32_e64 v113, null, v107, v137, vcc_lo
	v_add_co_u32 v114, vcc_lo, v108, v130
	v_add_co_ci_u32_e64 v115, null, v109, v131, vcc_lo
	v_min_f32_e32 v110, v110, v111
	v_cvt_f64_f32_e32 v[110:111], v110
	flat_store_dwordx2 v[112:113], v[110:111]
	flat_load_dwordx2 v[110:111], v[114:115]
	s_waitcnt vmcnt(0) lgkmcnt(0)
	v_mul_f64 v[110:111], s[2:3], v[110:111]
	v_cvt_f32_f64_e32 v110, v[110:111]
.LBB118_67:
	v_add_f64 v[111:112], v[46:47], v[102:103]
	v_add_f64 v[113:114], v[48:49], v[104:105]
	v_add_f64 v[115:116], v[42:43], v[98:99]
	v_add_f64 v[117:118], v[44:45], v[100:101]
	v_add_f64 v[119:120], v[40:41], v[104:105]
	v_add_f64 v[121:122], v[38:39], v[102:103]
	v_add_f64 v[123:124], v[34:35], v[98:99]
	s_mov_b32 s5, -1
	v_cvt_f32_f64_e32 v125, v[111:112]
	v_cvt_f32_f64_e32 v113, v[113:114]
	v_cvt_f32_f64_e32 v114, v[115:116]
	v_cvt_f32_f64_e32 v115, v[117:118]
	v_add_f64 v[111:112], v[36:37], v[100:101]
	v_cvt_f32_f64_e32 v116, v[121:122]
	v_cvt_f32_f64_e32 v117, v[119:120]
	v_cvt_f32_f64_e32 v118, v[123:124]
	v_min3_f32 v113, v125, v113, v179
	v_min_f32_e32 v114, v114, v115
	v_cvt_f32_f64_e32 v111, v[111:112]
	v_min3_f32 v110, v110, v114, v113
	v_add_co_u32 v114, vcc_lo, v106, v130
	v_add_co_ci_u32_e64 v115, null, v107, v131, vcc_lo
	v_cvt_f64_f32_e32 v[112:113], v110
	v_min3_f32 v110, v116, v117, v180
	s_mov_b32 vcc_lo, s0
	v_min3_f32 v110, v118, v111, v110
	v_max_f32_e32 v111, v110, v110
	;; [unrolled: 59-line block ×3, first 2 shown]
	flat_store_dwordx2 v[114:115], v[112:113]
	s_cbranch_vccz .LBB118_73
; %bb.72:
	v_min_f32_e32 v110, 0, v111
	v_add_co_u32 v114, vcc_lo, v106, v142
	v_add_co_ci_u32_e64 v115, null, v107, v143, vcc_lo
	v_cvt_f64_f32_e32 v[112:113], v110
	s_mov_b32 s5, 0
	flat_store_dwordx2 v[114:115], v[112:113]
.LBB118_73:
	v_mov_b32_e32 v110, 0
	s_andn2_b32 vcc_lo, exec_lo, s5
	s_cbranch_vccnz .LBB118_75
; %bb.74:
	v_add_co_u32 v112, vcc_lo, v108, v142
	v_add_co_ci_u32_e64 v113, null, v109, v143, vcc_lo
	flat_load_dwordx2 v[112:113], v[112:113]
	s_waitcnt vmcnt(0) lgkmcnt(0)
	v_mul_f64 v[112:113], s[2:3], v[112:113]
	v_cvt_f32_f64_e32 v110, v[112:113]
	v_add_co_u32 v112, vcc_lo, v106, v142
	v_add_co_ci_u32_e64 v113, null, v107, v143, vcc_lo
	v_add_co_u32 v108, vcc_lo, v108, v138
	v_add_co_ci_u32_e64 v109, null, v109, v139, vcc_lo
	v_min_f32_e32 v110, v110, v111
	v_cvt_f64_f32_e32 v[110:111], v110
	flat_store_dwordx2 v[112:113], v[110:111]
	flat_load_dwordx2 v[108:109], v[108:109]
	s_waitcnt vmcnt(0) lgkmcnt(0)
	v_mul_f64 v[108:109], s[2:3], v[108:109]
	v_cvt_f32_f64_e32 v110, v[108:109]
.LBB118_75:
	v_add_f64 v[102:103], v[2:3], v[102:103]
	v_add_f64 v[104:105], v[4:5], v[104:105]
	;; [unrolled: 1-line block ×6, first 2 shown]
	v_add_co_u32 v106, vcc_lo, v106, v138
	v_add_co_ci_u32_e64 v107, null, v107, v139, vcc_lo
	s_mov_b32 s5, -1
	v_cvt_f32_f64_e32 v102, v[102:103]
	v_cvt_f32_f64_e32 v103, v[104:105]
	;; [unrolled: 1-line block ×4, first 2 shown]
	v_add_f64 v[98:99], v[66:67], v[90:91]
	v_add_f64 v[100:101], v[68:69], v[92:93]
	v_cvt_f32_f64_e32 v111, v[111:112]
	v_cvt_f32_f64_e32 v108, v[108:109]
	v_add_nc_u32_e32 v109, 0x80, v201
	v_min3_f32 v102, v102, v103, v175
	v_min_f32_e32 v103, v104, v105
	v_cvt_f32_f64_e32 v112, v[98:99]
	v_cvt_f32_f64_e32 v113, v[100:101]
	v_mad_i64_i32 v[98:99], null, v109, s7, 0
	v_min3_f32 v100, v110, v103, v102
	v_min3_f32 v102, v111, v108, v176
	v_cvt_f64_f32_e32 v[104:105], v100
	v_mad_i64_i32 v[100:101], null, v109, s6, 0
	v_lshlrev_b64 v[98:99], 3, v[98:99]
	v_add_co_u32 v98, vcc_lo, s1, v98
	v_lshlrev_b64 v[100:101], 3, v[100:101]
	v_add_co_ci_u32_e64 v99, null, s4, v99, vcc_lo
	v_min3_f32 v102, v112, v113, v102
	v_add_co_u32 v100, vcc_lo, s12, v100
	v_add_co_ci_u32_e64 v101, null, s13, v101, vcc_lo
	v_max_f32_e32 v103, v102, v102
	s_mov_b32 vcc_lo, s0
	flat_store_dwordx2 v[106:107], v[104:105]
	s_cbranch_vccz .LBB118_77
; %bb.76:
	v_min_f32_e32 v102, 0, v103
	v_add_co_u32 v106, vcc_lo, v98, v134
	v_add_co_ci_u32_e64 v107, null, v99, v135, vcc_lo
	v_cvt_f64_f32_e32 v[104:105], v102
	s_mov_b32 s5, 0
	flat_store_dwordx2 v[106:107], v[104:105]
.LBB118_77:
	v_mov_b32_e32 v102, 0
	s_andn2_b32 vcc_lo, exec_lo, s5
	s_cbranch_vccnz .LBB118_79
; %bb.78:
	v_add_co_u32 v104, vcc_lo, v100, v134
	v_add_co_ci_u32_e64 v105, null, v101, v135, vcc_lo
	flat_load_dwordx2 v[104:105], v[104:105]
	s_waitcnt vmcnt(0) lgkmcnt(0)
	v_mul_f64 v[104:105], s[2:3], v[104:105]
	v_cvt_f32_f64_e32 v102, v[104:105]
	v_add_co_u32 v104, vcc_lo, v98, v134
	v_add_co_ci_u32_e64 v105, null, v99, v135, vcc_lo
	v_add_co_u32 v106, vcc_lo, v100, v0
	v_add_co_ci_u32_e64 v107, null, v101, v1, vcc_lo
	v_min_f32_e32 v102, v102, v103
	v_cvt_f64_f32_e32 v[102:103], v102
	flat_store_dwordx2 v[104:105], v[102:103]
	flat_load_dwordx2 v[102:103], v[106:107]
	s_waitcnt vmcnt(0) lgkmcnt(0)
	v_mul_f64 v[102:103], s[2:3], v[102:103]
	v_cvt_f32_f64_e32 v102, v[102:103]
.LBB118_79:
	v_add_f64 v[103:104], v[62:63], v[94:95]
	v_add_f64 v[105:106], v[64:65], v[96:97]
	v_add_f64 v[107:108], v[58:59], v[90:91]
	v_add_f64 v[109:110], v[60:61], v[92:93]
	v_add_f64 v[111:112], v[56:57], v[96:97]
	v_add_f64 v[113:114], v[54:55], v[94:95]
	v_add_f64 v[115:116], v[50:51], v[90:91]
	s_mov_b32 s5, -1
	v_cvt_f32_f64_e32 v117, v[103:104]
	v_cvt_f32_f64_e32 v105, v[105:106]
	v_cvt_f32_f64_e32 v106, v[107:108]
	v_cvt_f32_f64_e32 v107, v[109:110]
	v_add_f64 v[103:104], v[52:53], v[92:93]
	v_cvt_f32_f64_e32 v108, v[113:114]
	v_cvt_f32_f64_e32 v109, v[111:112]
	v_cvt_f32_f64_e32 v110, v[115:116]
	v_min3_f32 v105, v117, v105, v173
	v_min_f32_e32 v106, v106, v107
	v_cvt_f32_f64_e32 v103, v[103:104]
	v_min3_f32 v102, v102, v106, v105
	v_add_co_u32 v106, vcc_lo, v98, v0
	v_add_co_ci_u32_e64 v107, null, v99, v1, vcc_lo
	v_cvt_f64_f32_e32 v[104:105], v102
	v_min3_f32 v102, v108, v109, v174
	s_mov_b32 vcc_lo, s0
	v_min3_f32 v102, v110, v103, v102
	v_max_f32_e32 v103, v102, v102
	flat_store_dwordx2 v[106:107], v[104:105]
	s_cbranch_vccz .LBB118_81
; %bb.80:
	v_min_f32_e32 v102, 0, v103
	v_add_co_u32 v106, vcc_lo, v98, v136
	v_add_co_ci_u32_e64 v107, null, v99, v137, vcc_lo
	v_cvt_f64_f32_e32 v[104:105], v102
	s_mov_b32 s5, 0
	flat_store_dwordx2 v[106:107], v[104:105]
.LBB118_81:
	v_mov_b32_e32 v102, 0
	s_andn2_b32 vcc_lo, exec_lo, s5
	s_cbranch_vccnz .LBB118_83
; %bb.82:
	v_add_co_u32 v104, vcc_lo, v100, v136
	v_add_co_ci_u32_e64 v105, null, v101, v137, vcc_lo
	flat_load_dwordx2 v[104:105], v[104:105]
	s_waitcnt vmcnt(0) lgkmcnt(0)
	v_mul_f64 v[104:105], s[2:3], v[104:105]
	v_cvt_f32_f64_e32 v102, v[104:105]
	v_add_co_u32 v104, vcc_lo, v98, v136
	v_add_co_ci_u32_e64 v105, null, v99, v137, vcc_lo
	v_add_co_u32 v106, vcc_lo, v100, v130
	v_add_co_ci_u32_e64 v107, null, v101, v131, vcc_lo
	v_min_f32_e32 v102, v102, v103
	v_cvt_f64_f32_e32 v[102:103], v102
	flat_store_dwordx2 v[104:105], v[102:103]
	flat_load_dwordx2 v[102:103], v[106:107]
	s_waitcnt vmcnt(0) lgkmcnt(0)
	v_mul_f64 v[102:103], s[2:3], v[102:103]
	v_cvt_f32_f64_e32 v102, v[102:103]
.LBB118_83:
	v_add_f64 v[103:104], v[46:47], v[94:95]
	v_add_f64 v[105:106], v[48:49], v[96:97]
	v_add_f64 v[107:108], v[42:43], v[90:91]
	v_add_f64 v[109:110], v[44:45], v[92:93]
	v_add_f64 v[111:112], v[40:41], v[96:97]
	v_add_f64 v[113:114], v[38:39], v[94:95]
	v_add_f64 v[115:116], v[34:35], v[90:91]
	s_mov_b32 s5, -1
	v_cvt_f32_f64_e32 v117, v[103:104]
	v_cvt_f32_f64_e32 v105, v[105:106]
	v_cvt_f32_f64_e32 v106, v[107:108]
	v_cvt_f32_f64_e32 v107, v[109:110]
	v_add_f64 v[103:104], v[36:37], v[92:93]
	v_cvt_f32_f64_e32 v108, v[113:114]
	v_cvt_f32_f64_e32 v109, v[111:112]
	v_cvt_f32_f64_e32 v110, v[115:116]
	v_min3_f32 v105, v117, v105, v171
	v_min_f32_e32 v106, v106, v107
	v_cvt_f32_f64_e32 v103, v[103:104]
	v_min3_f32 v102, v102, v106, v105
	v_add_co_u32 v106, vcc_lo, v98, v130
	v_add_co_ci_u32_e64 v107, null, v99, v131, vcc_lo
	v_cvt_f64_f32_e32 v[104:105], v102
	v_min3_f32 v102, v108, v109, v172
	s_mov_b32 vcc_lo, s0
	v_min3_f32 v102, v110, v103, v102
	v_max_f32_e32 v103, v102, v102
	;; [unrolled: 59-line block ×3, first 2 shown]
	flat_store_dwordx2 v[106:107], v[104:105]
	s_cbranch_vccz .LBB118_89
; %bb.88:
	v_min_f32_e32 v102, 0, v103
	v_add_co_u32 v106, vcc_lo, v98, v142
	v_add_co_ci_u32_e64 v107, null, v99, v143, vcc_lo
	v_cvt_f64_f32_e32 v[104:105], v102
	s_mov_b32 s5, 0
	flat_store_dwordx2 v[106:107], v[104:105]
.LBB118_89:
	v_mov_b32_e32 v102, 0
	s_andn2_b32 vcc_lo, exec_lo, s5
	s_cbranch_vccnz .LBB118_91
; %bb.90:
	v_add_co_u32 v104, vcc_lo, v100, v142
	v_add_co_ci_u32_e64 v105, null, v101, v143, vcc_lo
	flat_load_dwordx2 v[104:105], v[104:105]
	s_waitcnt vmcnt(0) lgkmcnt(0)
	v_mul_f64 v[104:105], s[2:3], v[104:105]
	v_cvt_f32_f64_e32 v102, v[104:105]
	v_add_co_u32 v104, vcc_lo, v98, v142
	v_add_co_ci_u32_e64 v105, null, v99, v143, vcc_lo
	v_add_co_u32 v100, vcc_lo, v100, v138
	v_add_co_ci_u32_e64 v101, null, v101, v139, vcc_lo
	v_min_f32_e32 v102, v102, v103
	v_cvt_f64_f32_e32 v[102:103], v102
	flat_store_dwordx2 v[104:105], v[102:103]
	flat_load_dwordx2 v[100:101], v[100:101]
	s_waitcnt vmcnt(0) lgkmcnt(0)
	v_mul_f64 v[100:101], s[2:3], v[100:101]
	v_cvt_f32_f64_e32 v102, v[100:101]
.LBB118_91:
	v_add_f64 v[94:95], v[2:3], v[94:95]
	v_add_f64 v[96:97], v[4:5], v[96:97]
	;; [unrolled: 1-line block ×6, first 2 shown]
	v_add_co_u32 v98, vcc_lo, v98, v138
	v_add_co_ci_u32_e64 v99, null, v99, v139, vcc_lo
	s_mov_b32 s5, -1
	v_cvt_f32_f64_e32 v94, v[94:95]
	v_cvt_f32_f64_e32 v95, v[96:97]
	;; [unrolled: 1-line block ×4, first 2 shown]
	v_add_f64 v[90:91], v[66:67], v[82:83]
	v_add_f64 v[92:93], v[68:69], v[84:85]
	v_cvt_f32_f64_e32 v103, v[103:104]
	v_cvt_f32_f64_e32 v100, v[100:101]
	v_add_nc_u32_e32 v101, 0xa0, v201
	v_min3_f32 v94, v94, v95, v167
	v_min_f32_e32 v95, v96, v97
	v_cvt_f32_f64_e32 v104, v[90:91]
	v_cvt_f32_f64_e32 v105, v[92:93]
	v_mad_i64_i32 v[90:91], null, v101, s7, 0
	v_min3_f32 v92, v102, v95, v94
	v_min3_f32 v94, v103, v100, v168
	v_cvt_f64_f32_e32 v[96:97], v92
	v_mad_i64_i32 v[92:93], null, v101, s6, 0
	v_lshlrev_b64 v[90:91], 3, v[90:91]
	v_add_co_u32 v90, vcc_lo, s1, v90
	v_lshlrev_b64 v[92:93], 3, v[92:93]
	v_add_co_ci_u32_e64 v91, null, s4, v91, vcc_lo
	v_min3_f32 v94, v104, v105, v94
	v_add_co_u32 v92, vcc_lo, s12, v92
	v_add_co_ci_u32_e64 v93, null, s13, v93, vcc_lo
	v_max_f32_e32 v95, v94, v94
	s_mov_b32 vcc_lo, s0
	flat_store_dwordx2 v[98:99], v[96:97]
	s_cbranch_vccz .LBB118_93
; %bb.92:
	v_min_f32_e32 v94, 0, v95
	v_add_co_u32 v98, vcc_lo, v90, v134
	v_add_co_ci_u32_e64 v99, null, v91, v135, vcc_lo
	v_cvt_f64_f32_e32 v[96:97], v94
	s_mov_b32 s5, 0
	flat_store_dwordx2 v[98:99], v[96:97]
.LBB118_93:
	v_mov_b32_e32 v94, 0
	s_andn2_b32 vcc_lo, exec_lo, s5
	s_cbranch_vccnz .LBB118_95
; %bb.94:
	v_add_co_u32 v96, vcc_lo, v92, v134
	v_add_co_ci_u32_e64 v97, null, v93, v135, vcc_lo
	flat_load_dwordx2 v[96:97], v[96:97]
	s_waitcnt vmcnt(0) lgkmcnt(0)
	v_mul_f64 v[96:97], s[2:3], v[96:97]
	v_cvt_f32_f64_e32 v94, v[96:97]
	v_add_co_u32 v96, vcc_lo, v90, v134
	v_add_co_ci_u32_e64 v97, null, v91, v135, vcc_lo
	v_add_co_u32 v98, vcc_lo, v92, v0
	v_add_co_ci_u32_e64 v99, null, v93, v1, vcc_lo
	v_min_f32_e32 v94, v94, v95
	v_cvt_f64_f32_e32 v[94:95], v94
	flat_store_dwordx2 v[96:97], v[94:95]
	flat_load_dwordx2 v[94:95], v[98:99]
	s_waitcnt vmcnt(0) lgkmcnt(0)
	v_mul_f64 v[94:95], s[2:3], v[94:95]
	v_cvt_f32_f64_e32 v94, v[94:95]
.LBB118_95:
	v_add_f64 v[95:96], v[62:63], v[86:87]
	v_add_f64 v[97:98], v[64:65], v[88:89]
	v_add_f64 v[99:100], v[58:59], v[82:83]
	v_add_f64 v[101:102], v[60:61], v[84:85]
	v_add_f64 v[103:104], v[56:57], v[88:89]
	v_add_f64 v[105:106], v[54:55], v[86:87]
	v_add_f64 v[107:108], v[50:51], v[82:83]
	s_mov_b32 s5, -1
	v_cvt_f32_f64_e32 v109, v[95:96]
	v_cvt_f32_f64_e32 v97, v[97:98]
	v_cvt_f32_f64_e32 v98, v[99:100]
	v_cvt_f32_f64_e32 v99, v[101:102]
	v_add_f64 v[95:96], v[52:53], v[84:85]
	v_cvt_f32_f64_e32 v100, v[105:106]
	v_cvt_f32_f64_e32 v101, v[103:104]
	v_cvt_f32_f64_e32 v102, v[107:108]
	v_min3_f32 v97, v109, v97, v165
	v_min_f32_e32 v98, v98, v99
	v_cvt_f32_f64_e32 v95, v[95:96]
	v_min3_f32 v94, v94, v98, v97
	v_add_co_u32 v98, vcc_lo, v90, v0
	v_add_co_ci_u32_e64 v99, null, v91, v1, vcc_lo
	v_cvt_f64_f32_e32 v[96:97], v94
	v_min3_f32 v94, v100, v101, v166
	s_mov_b32 vcc_lo, s0
	v_min3_f32 v94, v102, v95, v94
	v_max_f32_e32 v95, v94, v94
	flat_store_dwordx2 v[98:99], v[96:97]
	s_cbranch_vccz .LBB118_97
; %bb.96:
	v_min_f32_e32 v94, 0, v95
	v_add_co_u32 v98, vcc_lo, v90, v136
	v_add_co_ci_u32_e64 v99, null, v91, v137, vcc_lo
	v_cvt_f64_f32_e32 v[96:97], v94
	s_mov_b32 s5, 0
	flat_store_dwordx2 v[98:99], v[96:97]
.LBB118_97:
	v_mov_b32_e32 v94, 0
	s_andn2_b32 vcc_lo, exec_lo, s5
	s_cbranch_vccnz .LBB118_99
; %bb.98:
	v_add_co_u32 v96, vcc_lo, v92, v136
	v_add_co_ci_u32_e64 v97, null, v93, v137, vcc_lo
	flat_load_dwordx2 v[96:97], v[96:97]
	s_waitcnt vmcnt(0) lgkmcnt(0)
	v_mul_f64 v[96:97], s[2:3], v[96:97]
	v_cvt_f32_f64_e32 v94, v[96:97]
	v_add_co_u32 v96, vcc_lo, v90, v136
	v_add_co_ci_u32_e64 v97, null, v91, v137, vcc_lo
	v_add_co_u32 v98, vcc_lo, v92, v130
	v_add_co_ci_u32_e64 v99, null, v93, v131, vcc_lo
	v_min_f32_e32 v94, v94, v95
	v_cvt_f64_f32_e32 v[94:95], v94
	flat_store_dwordx2 v[96:97], v[94:95]
	flat_load_dwordx2 v[94:95], v[98:99]
	s_waitcnt vmcnt(0) lgkmcnt(0)
	v_mul_f64 v[94:95], s[2:3], v[94:95]
	v_cvt_f32_f64_e32 v94, v[94:95]
.LBB118_99:
	v_add_f64 v[95:96], v[46:47], v[86:87]
	v_add_f64 v[97:98], v[48:49], v[88:89]
	v_add_f64 v[99:100], v[42:43], v[82:83]
	v_add_f64 v[101:102], v[44:45], v[84:85]
	v_add_f64 v[103:104], v[40:41], v[88:89]
	v_add_f64 v[105:106], v[38:39], v[86:87]
	v_add_f64 v[107:108], v[34:35], v[82:83]
	s_mov_b32 s5, -1
	v_cvt_f32_f64_e32 v109, v[95:96]
	v_cvt_f32_f64_e32 v97, v[97:98]
	v_cvt_f32_f64_e32 v98, v[99:100]
	v_cvt_f32_f64_e32 v99, v[101:102]
	v_add_f64 v[95:96], v[36:37], v[84:85]
	v_cvt_f32_f64_e32 v100, v[105:106]
	v_cvt_f32_f64_e32 v101, v[103:104]
	v_cvt_f32_f64_e32 v102, v[107:108]
	v_min3_f32 v97, v109, v97, v163
	v_min_f32_e32 v98, v98, v99
	v_cvt_f32_f64_e32 v95, v[95:96]
	v_min3_f32 v94, v94, v98, v97
	v_add_co_u32 v98, vcc_lo, v90, v130
	v_add_co_ci_u32_e64 v99, null, v91, v131, vcc_lo
	v_cvt_f64_f32_e32 v[96:97], v94
	v_min3_f32 v94, v100, v101, v164
	s_mov_b32 vcc_lo, s0
	v_min3_f32 v94, v102, v95, v94
	v_max_f32_e32 v95, v94, v94
	;; [unrolled: 59-line block ×3, first 2 shown]
	flat_store_dwordx2 v[98:99], v[96:97]
	s_cbranch_vccz .LBB118_105
; %bb.104:
	v_min_f32_e32 v94, 0, v95
	v_add_co_u32 v98, vcc_lo, v90, v142
	v_add_co_ci_u32_e64 v99, null, v91, v143, vcc_lo
	v_cvt_f64_f32_e32 v[96:97], v94
	s_mov_b32 s5, 0
	flat_store_dwordx2 v[98:99], v[96:97]
.LBB118_105:
	v_mov_b32_e32 v94, 0
	s_andn2_b32 vcc_lo, exec_lo, s5
	s_cbranch_vccnz .LBB118_107
; %bb.106:
	v_add_co_u32 v96, vcc_lo, v92, v142
	v_add_co_ci_u32_e64 v97, null, v93, v143, vcc_lo
	flat_load_dwordx2 v[96:97], v[96:97]
	s_waitcnt vmcnt(0) lgkmcnt(0)
	v_mul_f64 v[96:97], s[2:3], v[96:97]
	v_cvt_f32_f64_e32 v94, v[96:97]
	v_add_co_u32 v96, vcc_lo, v90, v142
	v_add_co_ci_u32_e64 v97, null, v91, v143, vcc_lo
	v_add_co_u32 v92, vcc_lo, v92, v138
	v_add_co_ci_u32_e64 v93, null, v93, v139, vcc_lo
	v_min_f32_e32 v94, v94, v95
	v_cvt_f64_f32_e32 v[94:95], v94
	flat_store_dwordx2 v[96:97], v[94:95]
	flat_load_dwordx2 v[92:93], v[92:93]
	s_waitcnt vmcnt(0) lgkmcnt(0)
	v_mul_f64 v[92:93], s[2:3], v[92:93]
	v_cvt_f32_f64_e32 v94, v[92:93]
.LBB118_107:
	v_add_f64 v[86:87], v[2:3], v[86:87]
	v_add_f64 v[88:89], v[4:5], v[88:89]
	;; [unrolled: 1-line block ×4, first 2 shown]
	s_waitcnt lgkmcnt(26)
	v_add_f64 v[92:93], v[72:73], v[80:81]
	v_add_f64 v[95:96], v[70:71], v[78:79]
	v_add_co_u32 v90, vcc_lo, v90, v138
	v_add_co_ci_u32_e64 v91, null, v91, v139, vcc_lo
	s_mov_b32 s5, -1
	v_cvt_f32_f64_e32 v86, v[86:87]
	v_cvt_f32_f64_e32 v87, v[88:89]
	;; [unrolled: 1-line block ×4, first 2 shown]
	s_waitcnt lgkmcnt(25)
	v_add_f64 v[82:83], v[66:67], v[74:75]
	v_add_f64 v[84:85], v[68:69], v[76:77]
	v_cvt_f32_f64_e32 v95, v[95:96]
	v_cvt_f32_f64_e32 v92, v[92:93]
	v_add_nc_u32_e32 v93, 0xc0, v201
	v_min3_f32 v86, v86, v87, v159
	v_min_f32_e32 v87, v88, v89
	v_cvt_f32_f64_e32 v96, v[82:83]
	v_cvt_f32_f64_e32 v97, v[84:85]
	v_mad_i64_i32 v[82:83], null, v93, s7, 0
	v_min3_f32 v84, v94, v87, v86
	v_min3_f32 v86, v95, v92, v160
	v_cvt_f64_f32_e32 v[88:89], v84
	v_mad_i64_i32 v[84:85], null, v93, s6, 0
	v_lshlrev_b64 v[82:83], 3, v[82:83]
	v_add_co_u32 v82, vcc_lo, s1, v82
	v_lshlrev_b64 v[84:85], 3, v[84:85]
	v_add_co_ci_u32_e64 v83, null, s4, v83, vcc_lo
	v_min3_f32 v86, v96, v97, v86
	v_add_co_u32 v84, vcc_lo, s12, v84
	v_add_co_ci_u32_e64 v85, null, s13, v85, vcc_lo
	v_max_f32_e32 v87, v86, v86
	s_mov_b32 vcc_lo, s0
	flat_store_dwordx2 v[90:91], v[88:89]
	s_cbranch_vccz .LBB118_109
; %bb.108:
	v_min_f32_e32 v86, 0, v87
	v_add_co_u32 v90, vcc_lo, v82, v134
	v_add_co_ci_u32_e64 v91, null, v83, v135, vcc_lo
	v_cvt_f64_f32_e32 v[88:89], v86
	s_mov_b32 s5, 0
	flat_store_dwordx2 v[90:91], v[88:89]
.LBB118_109:
	v_mov_b32_e32 v86, 0
	s_andn2_b32 vcc_lo, exec_lo, s5
	s_cbranch_vccnz .LBB118_111
; %bb.110:
	v_add_co_u32 v88, vcc_lo, v84, v134
	v_add_co_ci_u32_e64 v89, null, v85, v135, vcc_lo
	flat_load_dwordx2 v[88:89], v[88:89]
	s_waitcnt vmcnt(0) lgkmcnt(0)
	v_mul_f64 v[88:89], s[2:3], v[88:89]
	v_cvt_f32_f64_e32 v86, v[88:89]
	v_add_co_u32 v88, vcc_lo, v82, v134
	v_add_co_ci_u32_e64 v89, null, v83, v135, vcc_lo
	v_add_co_u32 v90, vcc_lo, v84, v0
	v_add_co_ci_u32_e64 v91, null, v85, v1, vcc_lo
	v_min_f32_e32 v86, v86, v87
	v_cvt_f64_f32_e32 v[86:87], v86
	flat_store_dwordx2 v[88:89], v[86:87]
	flat_load_dwordx2 v[86:87], v[90:91]
	s_waitcnt vmcnt(0) lgkmcnt(0)
	v_mul_f64 v[86:87], s[2:3], v[86:87]
	v_cvt_f32_f64_e32 v86, v[86:87]
.LBB118_111:
	v_add_f64 v[87:88], v[62:63], v[78:79]
	v_add_f64 v[89:90], v[64:65], v[80:81]
	v_add_f64 v[91:92], v[58:59], v[74:75]
	v_add_f64 v[93:94], v[60:61], v[76:77]
	v_add_f64 v[95:96], v[56:57], v[80:81]
	v_add_f64 v[97:98], v[54:55], v[78:79]
	v_add_f64 v[99:100], v[50:51], v[74:75]
	s_mov_b32 s5, -1
	v_cvt_f32_f64_e32 v101, v[87:88]
	v_cvt_f32_f64_e32 v89, v[89:90]
	v_cvt_f32_f64_e32 v90, v[91:92]
	v_cvt_f32_f64_e32 v91, v[93:94]
	v_add_f64 v[87:88], v[52:53], v[76:77]
	v_cvt_f32_f64_e32 v92, v[97:98]
	v_cvt_f32_f64_e32 v93, v[95:96]
	v_cvt_f32_f64_e32 v94, v[99:100]
	v_min3_f32 v89, v101, v89, v157
	v_min_f32_e32 v90, v90, v91
	v_cvt_f32_f64_e32 v87, v[87:88]
	v_min3_f32 v86, v86, v90, v89
	v_add_co_u32 v90, vcc_lo, v82, v0
	v_add_co_ci_u32_e64 v91, null, v83, v1, vcc_lo
	v_cvt_f64_f32_e32 v[88:89], v86
	v_min3_f32 v86, v92, v93, v158
	s_mov_b32 vcc_lo, s0
	v_min3_f32 v86, v94, v87, v86
	v_max_f32_e32 v87, v86, v86
	flat_store_dwordx2 v[90:91], v[88:89]
	s_cbranch_vccz .LBB118_113
; %bb.112:
	v_min_f32_e32 v86, 0, v87
	v_add_co_u32 v90, vcc_lo, v82, v136
	v_add_co_ci_u32_e64 v91, null, v83, v137, vcc_lo
	v_cvt_f64_f32_e32 v[88:89], v86
	s_mov_b32 s5, 0
	flat_store_dwordx2 v[90:91], v[88:89]
.LBB118_113:
	v_mov_b32_e32 v86, 0
	s_andn2_b32 vcc_lo, exec_lo, s5
	s_cbranch_vccnz .LBB118_115
; %bb.114:
	v_add_co_u32 v88, vcc_lo, v84, v136
	v_add_co_ci_u32_e64 v89, null, v85, v137, vcc_lo
	flat_load_dwordx2 v[88:89], v[88:89]
	s_waitcnt vmcnt(0) lgkmcnt(0)
	v_mul_f64 v[88:89], s[2:3], v[88:89]
	v_cvt_f32_f64_e32 v86, v[88:89]
	v_add_co_u32 v88, vcc_lo, v82, v136
	v_add_co_ci_u32_e64 v89, null, v83, v137, vcc_lo
	v_add_co_u32 v90, vcc_lo, v84, v130
	v_add_co_ci_u32_e64 v91, null, v85, v131, vcc_lo
	v_min_f32_e32 v86, v86, v87
	v_cvt_f64_f32_e32 v[86:87], v86
	flat_store_dwordx2 v[88:89], v[86:87]
	flat_load_dwordx2 v[86:87], v[90:91]
	s_waitcnt vmcnt(0) lgkmcnt(0)
	v_mul_f64 v[86:87], s[2:3], v[86:87]
	v_cvt_f32_f64_e32 v86, v[86:87]
.LBB118_115:
	v_add_f64 v[87:88], v[46:47], v[78:79]
	v_add_f64 v[89:90], v[48:49], v[80:81]
	v_add_f64 v[91:92], v[42:43], v[74:75]
	v_add_f64 v[93:94], v[44:45], v[76:77]
	v_add_f64 v[95:96], v[40:41], v[80:81]
	v_add_f64 v[97:98], v[38:39], v[78:79]
	v_add_f64 v[99:100], v[34:35], v[74:75]
	s_mov_b32 s5, -1
	v_cvt_f32_f64_e32 v101, v[87:88]
	v_cvt_f32_f64_e32 v89, v[89:90]
	v_cvt_f32_f64_e32 v90, v[91:92]
	v_cvt_f32_f64_e32 v91, v[93:94]
	v_add_f64 v[87:88], v[36:37], v[76:77]
	v_cvt_f32_f64_e32 v92, v[97:98]
	v_cvt_f32_f64_e32 v93, v[95:96]
	v_cvt_f32_f64_e32 v94, v[99:100]
	v_min3_f32 v89, v101, v89, v155
	v_min_f32_e32 v90, v90, v91
	v_cvt_f32_f64_e32 v87, v[87:88]
	v_min3_f32 v86, v86, v90, v89
	v_add_co_u32 v90, vcc_lo, v82, v130
	v_add_co_ci_u32_e64 v91, null, v83, v131, vcc_lo
	v_cvt_f64_f32_e32 v[88:89], v86
	v_min3_f32 v86, v92, v93, v156
	s_mov_b32 vcc_lo, s0
	v_min3_f32 v86, v94, v87, v86
	v_max_f32_e32 v87, v86, v86
	;; [unrolled: 59-line block ×3, first 2 shown]
	flat_store_dwordx2 v[90:91], v[88:89]
	s_cbranch_vccz .LBB118_121
; %bb.120:
	v_min_f32_e32 v86, 0, v87
	v_add_co_u32 v90, vcc_lo, v82, v142
	v_add_co_ci_u32_e64 v91, null, v83, v143, vcc_lo
	v_cvt_f64_f32_e32 v[88:89], v86
	s_mov_b32 s5, 0
	flat_store_dwordx2 v[90:91], v[88:89]
.LBB118_121:
	v_mov_b32_e32 v86, 0
	s_andn2_b32 vcc_lo, exec_lo, s5
	s_cbranch_vccnz .LBB118_123
; %bb.122:
	v_add_co_u32 v88, vcc_lo, v84, v142
	v_add_co_ci_u32_e64 v89, null, v85, v143, vcc_lo
	flat_load_dwordx2 v[88:89], v[88:89]
	s_waitcnt vmcnt(0) lgkmcnt(0)
	v_mul_f64 v[88:89], s[2:3], v[88:89]
	v_cvt_f32_f64_e32 v86, v[88:89]
	v_add_co_u32 v88, vcc_lo, v82, v142
	v_add_co_ci_u32_e64 v89, null, v83, v143, vcc_lo
	v_add_co_u32 v84, vcc_lo, v84, v138
	v_add_co_ci_u32_e64 v85, null, v85, v139, vcc_lo
	v_min_f32_e32 v86, v86, v87
	v_cvt_f64_f32_e32 v[86:87], v86
	flat_store_dwordx2 v[88:89], v[86:87]
	flat_load_dwordx2 v[84:85], v[84:85]
	s_waitcnt vmcnt(0) lgkmcnt(0)
	v_mul_f64 v[84:85], s[2:3], v[84:85]
	v_cvt_f32_f64_e32 v86, v[84:85]
.LBB118_123:
	v_add_f64 v[78:79], v[2:3], v[78:79]
	v_add_f64 v[80:81], v[4:5], v[80:81]
	;; [unrolled: 1-line block ×4, first 2 shown]
	s_waitcnt lgkmcnt(28)
	v_add_f64 v[72:73], v[72:73], v[12:13]
	v_add_f64 v[70:71], v[70:71], v[10:11]
	s_waitcnt lgkmcnt(27)
	v_add_f64 v[66:67], v[66:67], v[14:15]
	v_add_f64 v[68:69], v[68:69], v[16:17]
	s_mov_b32 s5, -1
	v_cvt_f32_f64_e32 v78, v[78:79]
	v_cvt_f32_f64_e32 v79, v[80:81]
	;; [unrolled: 1-line block ×8, first 2 shown]
	v_min3_f32 v72, v78, v79, v151
	v_min_f32_e32 v73, v74, v75
	v_add_nc_u32_e32 v74, 0xe0, v201
	v_min3_f32 v70, v70, v71, v152
	v_min3_f32 v68, v86, v73, v72
	v_mad_i64_i32 v[66:67], null, v74, s7, 0
	v_min3_f32 v70, v76, v77, v70
	v_cvt_f64_f32_e32 v[72:73], v68
	v_mad_i64_i32 v[68:69], null, v74, s6, 0
	v_add_co_u32 v74, vcc_lo, v82, v138
	v_lshlrev_b64 v[66:67], 3, v[66:67]
	v_add_co_ci_u32_e64 v75, null, v83, v139, vcc_lo
	v_max_f32_e32 v71, v70, v70
	v_lshlrev_b64 v[68:69], 3, v[68:69]
	v_add_co_u32 v66, vcc_lo, s1, v66
	v_add_co_ci_u32_e64 v67, null, s4, v67, vcc_lo
	v_add_co_u32 v68, vcc_lo, s12, v68
	v_add_co_ci_u32_e64 v69, null, s13, v69, vcc_lo
	s_mov_b32 vcc_lo, s0
	flat_store_dwordx2 v[74:75], v[72:73]
	s_cbranch_vccz .LBB118_125
; %bb.124:
	v_min_f32_e32 v70, 0, v71
	v_add_co_u32 v74, vcc_lo, v66, v134
	v_add_co_ci_u32_e64 v75, null, v67, v135, vcc_lo
	v_cvt_f64_f32_e32 v[72:73], v70
	s_mov_b32 s5, 0
	flat_store_dwordx2 v[74:75], v[72:73]
.LBB118_125:
	v_mov_b32_e32 v70, 0
	s_andn2_b32 vcc_lo, exec_lo, s5
	s_cbranch_vccnz .LBB118_127
; %bb.126:
	v_add_co_u32 v72, vcc_lo, v68, v134
	v_add_co_ci_u32_e64 v73, null, v69, v135, vcc_lo
	flat_load_dwordx2 v[72:73], v[72:73]
	s_waitcnt vmcnt(0) lgkmcnt(0)
	v_mul_f64 v[72:73], s[2:3], v[72:73]
	v_cvt_f32_f64_e32 v70, v[72:73]
	v_add_co_u32 v72, vcc_lo, v66, v134
	v_add_co_ci_u32_e64 v73, null, v67, v135, vcc_lo
	v_add_co_u32 v74, vcc_lo, v68, v0
	v_add_co_ci_u32_e64 v75, null, v69, v1, vcc_lo
	v_min_f32_e32 v70, v70, v71
	v_cvt_f64_f32_e32 v[70:71], v70
	flat_store_dwordx2 v[72:73], v[70:71]
	flat_load_dwordx2 v[70:71], v[74:75]
	s_waitcnt vmcnt(0) lgkmcnt(0)
	v_mul_f64 v[70:71], s[2:3], v[70:71]
	v_cvt_f32_f64_e32 v70, v[70:71]
.LBB118_127:
	v_add_f64 v[62:63], v[62:63], v[10:11]
	v_add_f64 v[64:65], v[64:65], v[12:13]
	;; [unrolled: 1-line block ×8, first 2 shown]
	s_mov_b32 s1, -1
	v_cvt_f32_f64_e32 v62, v[62:63]
	v_cvt_f32_f64_e32 v63, v[64:65]
	;; [unrolled: 1-line block ×8, first 2 shown]
	v_min3_f32 v50, v62, v63, v149
	v_min_f32_e32 v51, v58, v59
	v_min3_f32 v53, v54, v55, v150
	v_min3_f32 v50, v70, v51, v50
	;; [unrolled: 1-line block ×3, first 2 shown]
	v_add_co_u32 v52, vcc_lo, v66, v0
	v_cvt_f64_f32_e32 v[50:51], v50
	v_add_co_ci_u32_e64 v53, null, v67, v1, vcc_lo
	v_max_f32_e32 v1, v54, v54
	s_mov_b32 vcc_lo, s0
	flat_store_dwordx2 v[52:53], v[50:51]
	s_cbranch_vccz .LBB118_129
; %bb.128:
	v_min_f32_e32 v0, 0, v1
	v_add_co_u32 v52, vcc_lo, v66, v136
	v_add_co_ci_u32_e64 v53, null, v67, v137, vcc_lo
	v_cvt_f64_f32_e32 v[50:51], v0
	s_mov_b32 s1, 0
	flat_store_dwordx2 v[52:53], v[50:51]
.LBB118_129:
	v_mov_b32_e32 v0, 0
	s_andn2_b32 vcc_lo, exec_lo, s1
	s_cbranch_vccnz .LBB118_131
; %bb.130:
	v_add_co_u32 v50, vcc_lo, v68, v136
	v_add_co_ci_u32_e64 v51, null, v69, v137, vcc_lo
	flat_load_dwordx2 v[50:51], v[50:51]
	s_waitcnt vmcnt(0) lgkmcnt(0)
	v_mul_f64 v[50:51], s[2:3], v[50:51]
	v_cvt_f32_f64_e32 v0, v[50:51]
	v_add_co_u32 v50, vcc_lo, v66, v136
	v_add_co_ci_u32_e64 v51, null, v67, v137, vcc_lo
	v_add_co_u32 v52, vcc_lo, v68, v130
	v_add_co_ci_u32_e64 v53, null, v69, v131, vcc_lo
	v_min_f32_e32 v0, v0, v1
	v_cvt_f64_f32_e32 v[0:1], v0
	flat_store_dwordx2 v[50:51], v[0:1]
	flat_load_dwordx2 v[0:1], v[52:53]
	s_waitcnt vmcnt(0) lgkmcnt(0)
	v_mul_f64 v[0:1], s[2:3], v[0:1]
	v_cvt_f32_f64_e32 v0, v[0:1]
.LBB118_131:
	v_add_f64 v[46:47], v[46:47], v[10:11]
	v_add_f64 v[48:49], v[48:49], v[12:13]
	;; [unrolled: 1-line block ×8, first 2 shown]
	s_mov_b32 s1, -1
	v_cvt_f32_f64_e32 v1, v[46:47]
	v_cvt_f32_f64_e32 v46, v[48:49]
	;; [unrolled: 1-line block ×8, first 2 shown]
	v_min3_f32 v1, v1, v46, v147
	v_min_f32_e32 v34, v42, v43
	v_min3_f32 v0, v0, v34, v1
	v_cvt_f64_f32_e32 v[34:35], v0
	v_min3_f32 v0, v38, v39, v148
	v_min3_f32 v0, v40, v36, v0
	v_add_co_u32 v36, vcc_lo, v66, v130
	v_add_co_ci_u32_e64 v37, null, v67, v131, vcc_lo
	v_max_f32_e32 v1, v0, v0
	s_mov_b32 vcc_lo, s0
	flat_store_dwordx2 v[36:37], v[34:35]
	s_cbranch_vccz .LBB118_133
; %bb.132:
	v_min_f32_e32 v0, 0, v1
	v_add_co_u32 v36, vcc_lo, v66, v140
	v_add_co_ci_u32_e64 v37, null, v67, v141, vcc_lo
	v_cvt_f64_f32_e32 v[34:35], v0
	s_mov_b32 s1, 0
	flat_store_dwordx2 v[36:37], v[34:35]
.LBB118_133:
	v_mov_b32_e32 v0, 0
	s_andn2_b32 vcc_lo, exec_lo, s1
	s_cbranch_vccnz .LBB118_135
; %bb.134:
	v_add_co_u32 v34, vcc_lo, v68, v140
	v_add_co_ci_u32_e64 v35, null, v69, v141, vcc_lo
	flat_load_dwordx2 v[34:35], v[34:35]
	s_waitcnt vmcnt(0) lgkmcnt(0)
	v_mul_f64 v[34:35], s[2:3], v[34:35]
	v_cvt_f32_f64_e32 v0, v[34:35]
	v_add_co_u32 v34, vcc_lo, v66, v140
	v_add_co_ci_u32_e64 v35, null, v67, v141, vcc_lo
	v_add_co_u32 v36, vcc_lo, v68, v132
	v_add_co_ci_u32_e64 v37, null, v69, v133, vcc_lo
	v_min_f32_e32 v0, v0, v1
	v_cvt_f64_f32_e32 v[0:1], v0
	flat_store_dwordx2 v[34:35], v[0:1]
	flat_load_dwordx2 v[0:1], v[36:37]
	s_waitcnt vmcnt(0) lgkmcnt(0)
	v_mul_f64 v[0:1], s[2:3], v[0:1]
	v_cvt_f32_f64_e32 v0, v[0:1]
.LBB118_135:
	v_add_f64 v[30:31], v[30:31], v[10:11]
	v_add_f64 v[32:33], v[32:33], v[12:13]
	;; [unrolled: 1-line block ×8, first 2 shown]
	s_mov_b32 s1, -1
	v_cvt_f32_f64_e32 v1, v[30:31]
	v_cvt_f32_f64_e32 v30, v[32:33]
	;; [unrolled: 1-line block ×8, first 2 shown]
	v_min3_f32 v1, v1, v30, v145
	v_min_f32_e32 v18, v26, v27
	v_min3_f32 v0, v0, v18, v1
	v_cvt_f64_f32_e32 v[18:19], v0
	v_min3_f32 v0, v22, v23, v146
	v_min3_f32 v0, v24, v20, v0
	v_add_co_u32 v20, vcc_lo, v66, v132
	v_add_co_ci_u32_e64 v21, null, v67, v133, vcc_lo
	v_max_f32_e32 v1, v0, v0
	s_mov_b32 vcc_lo, s0
	flat_store_dwordx2 v[20:21], v[18:19]
	s_cbranch_vccz .LBB118_137
; %bb.136:
	v_min_f32_e32 v0, 0, v1
	v_add_co_u32 v20, vcc_lo, v66, v142
	v_add_co_ci_u32_e64 v21, null, v67, v143, vcc_lo
	v_cvt_f64_f32_e32 v[18:19], v0
	s_mov_b32 s1, 0
	flat_store_dwordx2 v[20:21], v[18:19]
.LBB118_137:
	v_mov_b32_e32 v0, 0
	s_andn2_b32 vcc_lo, exec_lo, s1
	s_cbranch_vccnz .LBB118_139
; %bb.138:
	v_add_co_u32 v18, vcc_lo, v68, v142
	v_add_co_ci_u32_e64 v19, null, v69, v143, vcc_lo
	flat_load_dwordx2 v[18:19], v[18:19]
	s_waitcnt vmcnt(0) lgkmcnt(0)
	v_mul_f64 v[18:19], s[2:3], v[18:19]
	v_cvt_f32_f64_e32 v0, v[18:19]
	v_add_co_u32 v18, vcc_lo, v66, v142
	v_add_co_ci_u32_e64 v19, null, v67, v143, vcc_lo
	v_add_co_u32 v20, vcc_lo, v68, v138
	v_add_co_ci_u32_e64 v21, null, v69, v139, vcc_lo
	v_min_f32_e32 v0, v0, v1
	v_cvt_f64_f32_e32 v[0:1], v0
	flat_store_dwordx2 v[18:19], v[0:1]
	flat_load_dwordx2 v[0:1], v[20:21]
	s_waitcnt vmcnt(0) lgkmcnt(0)
	v_mul_f64 v[0:1], s[2:3], v[0:1]
	v_cvt_f32_f64_e32 v0, v[0:1]
.LBB118_139:
	v_add_f64 v[6:7], v[6:7], v[14:15]
	v_add_f64 v[8:9], v[8:9], v[16:17]
	;; [unrolled: 1-line block ×4, first 2 shown]
	v_cvt_f32_f64_e32 v5, v[6:7]
	v_cvt_f32_f64_e32 v6, v[8:9]
	;; [unrolled: 1-line block ×4, first 2 shown]
	v_min_f32_e32 v3, v5, v6
	v_min3_f32 v1, v1, v2, v144
	v_add_co_u32 v2, vcc_lo, v66, v138
	v_min3_f32 v0, v0, v3, v1
	v_add_co_ci_u32_e64 v3, null, v67, v139, vcc_lo
	v_cvt_f64_f32_e32 v[0:1], v0
	flat_store_dwordx2 v[2:3], v[0:1]
	s_endpgm
	.section	.rodata,"a",@progbits
	.p2align	6, 0x0
	.amdhsa_kernel _ZN12_GLOBAL__N_120geam_min_plus_kernelId15HIP_vector_typeIdLj2EEdLi8ELi32ELi64ELi256ELi4ELi64ELi4ELi64ELi4ELc78ELc84ELb1ELb0ELb1EdKPKdKPdEEviiiT16_PT17_ilSA_ilS8_SA_ilPT18_ili26rocblas_geam_ex_operation_
		.amdhsa_group_segment_fixed_size 20480
		.amdhsa_private_segment_fixed_size 0
		.amdhsa_kernarg_size 136
		.amdhsa_user_sgpr_count 6
		.amdhsa_user_sgpr_private_segment_buffer 1
		.amdhsa_user_sgpr_dispatch_ptr 0
		.amdhsa_user_sgpr_queue_ptr 0
		.amdhsa_user_sgpr_kernarg_segment_ptr 1
		.amdhsa_user_sgpr_dispatch_id 0
		.amdhsa_user_sgpr_flat_scratch_init 0
		.amdhsa_user_sgpr_private_segment_size 0
		.amdhsa_wavefront_size32 1
		.amdhsa_uses_dynamic_stack 0
		.amdhsa_system_sgpr_private_segment_wavefront_offset 0
		.amdhsa_system_sgpr_workgroup_id_x 1
		.amdhsa_system_sgpr_workgroup_id_y 0
		.amdhsa_system_sgpr_workgroup_id_z 1
		.amdhsa_system_sgpr_workgroup_info 0
		.amdhsa_system_vgpr_workitem_id 1
		.amdhsa_next_free_vgpr 221
		.amdhsa_next_free_sgpr 24
		.amdhsa_reserve_vcc 1
		.amdhsa_reserve_flat_scratch 1
		.amdhsa_float_round_mode_32 0
		.amdhsa_float_round_mode_16_64 0
		.amdhsa_float_denorm_mode_32 3
		.amdhsa_float_denorm_mode_16_64 3
		.amdhsa_dx10_clamp 1
		.amdhsa_ieee_mode 1
		.amdhsa_fp16_overflow 0
		.amdhsa_workgroup_processor_mode 1
		.amdhsa_memory_ordered 1
		.amdhsa_forward_progress 1
		.amdhsa_shared_vgpr_count 0
		.amdhsa_exception_fp_ieee_invalid_op 0
		.amdhsa_exception_fp_denorm_src 0
		.amdhsa_exception_fp_ieee_div_zero 0
		.amdhsa_exception_fp_ieee_overflow 0
		.amdhsa_exception_fp_ieee_underflow 0
		.amdhsa_exception_fp_ieee_inexact 0
		.amdhsa_exception_int_div_zero 0
	.end_amdhsa_kernel
	.section	.text._ZN12_GLOBAL__N_120geam_min_plus_kernelId15HIP_vector_typeIdLj2EEdLi8ELi32ELi64ELi256ELi4ELi64ELi4ELi64ELi4ELc78ELc84ELb1ELb0ELb1EdKPKdKPdEEviiiT16_PT17_ilSA_ilS8_SA_ilPT18_ili26rocblas_geam_ex_operation_,"axG",@progbits,_ZN12_GLOBAL__N_120geam_min_plus_kernelId15HIP_vector_typeIdLj2EEdLi8ELi32ELi64ELi256ELi4ELi64ELi4ELi64ELi4ELc78ELc84ELb1ELb0ELb1EdKPKdKPdEEviiiT16_PT17_ilSA_ilS8_SA_ilPT18_ili26rocblas_geam_ex_operation_,comdat
.Lfunc_end118:
	.size	_ZN12_GLOBAL__N_120geam_min_plus_kernelId15HIP_vector_typeIdLj2EEdLi8ELi32ELi64ELi256ELi4ELi64ELi4ELi64ELi4ELc78ELc84ELb1ELb0ELb1EdKPKdKPdEEviiiT16_PT17_ilSA_ilS8_SA_ilPT18_ili26rocblas_geam_ex_operation_, .Lfunc_end118-_ZN12_GLOBAL__N_120geam_min_plus_kernelId15HIP_vector_typeIdLj2EEdLi8ELi32ELi64ELi256ELi4ELi64ELi4ELi64ELi4ELc78ELc84ELb1ELb0ELb1EdKPKdKPdEEviiiT16_PT17_ilSA_ilS8_SA_ilPT18_ili26rocblas_geam_ex_operation_
                                        ; -- End function
	.set _ZN12_GLOBAL__N_120geam_min_plus_kernelId15HIP_vector_typeIdLj2EEdLi8ELi32ELi64ELi256ELi4ELi64ELi4ELi64ELi4ELc78ELc84ELb1ELb0ELb1EdKPKdKPdEEviiiT16_PT17_ilSA_ilS8_SA_ilPT18_ili26rocblas_geam_ex_operation_.num_vgpr, 221
	.set _ZN12_GLOBAL__N_120geam_min_plus_kernelId15HIP_vector_typeIdLj2EEdLi8ELi32ELi64ELi256ELi4ELi64ELi4ELi64ELi4ELc78ELc84ELb1ELb0ELb1EdKPKdKPdEEviiiT16_PT17_ilSA_ilS8_SA_ilPT18_ili26rocblas_geam_ex_operation_.num_agpr, 0
	.set _ZN12_GLOBAL__N_120geam_min_plus_kernelId15HIP_vector_typeIdLj2EEdLi8ELi32ELi64ELi256ELi4ELi64ELi4ELi64ELi4ELc78ELc84ELb1ELb0ELb1EdKPKdKPdEEviiiT16_PT17_ilSA_ilS8_SA_ilPT18_ili26rocblas_geam_ex_operation_.numbered_sgpr, 24
	.set _ZN12_GLOBAL__N_120geam_min_plus_kernelId15HIP_vector_typeIdLj2EEdLi8ELi32ELi64ELi256ELi4ELi64ELi4ELi64ELi4ELc78ELc84ELb1ELb0ELb1EdKPKdKPdEEviiiT16_PT17_ilSA_ilS8_SA_ilPT18_ili26rocblas_geam_ex_operation_.num_named_barrier, 0
	.set _ZN12_GLOBAL__N_120geam_min_plus_kernelId15HIP_vector_typeIdLj2EEdLi8ELi32ELi64ELi256ELi4ELi64ELi4ELi64ELi4ELc78ELc84ELb1ELb0ELb1EdKPKdKPdEEviiiT16_PT17_ilSA_ilS8_SA_ilPT18_ili26rocblas_geam_ex_operation_.private_seg_size, 0
	.set _ZN12_GLOBAL__N_120geam_min_plus_kernelId15HIP_vector_typeIdLj2EEdLi8ELi32ELi64ELi256ELi4ELi64ELi4ELi64ELi4ELc78ELc84ELb1ELb0ELb1EdKPKdKPdEEviiiT16_PT17_ilSA_ilS8_SA_ilPT18_ili26rocblas_geam_ex_operation_.uses_vcc, 1
	.set _ZN12_GLOBAL__N_120geam_min_plus_kernelId15HIP_vector_typeIdLj2EEdLi8ELi32ELi64ELi256ELi4ELi64ELi4ELi64ELi4ELc78ELc84ELb1ELb0ELb1EdKPKdKPdEEviiiT16_PT17_ilSA_ilS8_SA_ilPT18_ili26rocblas_geam_ex_operation_.uses_flat_scratch, 1
	.set _ZN12_GLOBAL__N_120geam_min_plus_kernelId15HIP_vector_typeIdLj2EEdLi8ELi32ELi64ELi256ELi4ELi64ELi4ELi64ELi4ELc78ELc84ELb1ELb0ELb1EdKPKdKPdEEviiiT16_PT17_ilSA_ilS8_SA_ilPT18_ili26rocblas_geam_ex_operation_.has_dyn_sized_stack, 0
	.set _ZN12_GLOBAL__N_120geam_min_plus_kernelId15HIP_vector_typeIdLj2EEdLi8ELi32ELi64ELi256ELi4ELi64ELi4ELi64ELi4ELc78ELc84ELb1ELb0ELb1EdKPKdKPdEEviiiT16_PT17_ilSA_ilS8_SA_ilPT18_ili26rocblas_geam_ex_operation_.has_recursion, 0
	.set _ZN12_GLOBAL__N_120geam_min_plus_kernelId15HIP_vector_typeIdLj2EEdLi8ELi32ELi64ELi256ELi4ELi64ELi4ELi64ELi4ELc78ELc84ELb1ELb0ELb1EdKPKdKPdEEviiiT16_PT17_ilSA_ilS8_SA_ilPT18_ili26rocblas_geam_ex_operation_.has_indirect_call, 0
	.section	.AMDGPU.csdata,"",@progbits
; Kernel info:
; codeLenInByte = 26484
; TotalNumSgprs: 26
; NumVgprs: 221
; ScratchSize: 0
; MemoryBound: 0
; FloatMode: 240
; IeeeMode: 1
; LDSByteSize: 20480 bytes/workgroup (compile time only)
; SGPRBlocks: 0
; VGPRBlocks: 27
; NumSGPRsForWavesPerEU: 26
; NumVGPRsForWavesPerEU: 221
; Occupancy: 4
; WaveLimiterHint : 1
; COMPUTE_PGM_RSRC2:SCRATCH_EN: 0
; COMPUTE_PGM_RSRC2:USER_SGPR: 6
; COMPUTE_PGM_RSRC2:TRAP_HANDLER: 0
; COMPUTE_PGM_RSRC2:TGID_X_EN: 1
; COMPUTE_PGM_RSRC2:TGID_Y_EN: 0
; COMPUTE_PGM_RSRC2:TGID_Z_EN: 1
; COMPUTE_PGM_RSRC2:TIDIG_COMP_CNT: 1
	.section	.text._ZN12_GLOBAL__N_120geam_min_plus_kernelId15HIP_vector_typeIdLj2EEdLi8ELi32ELi64ELi256ELi4ELi64ELi4ELi64ELi4ELc78ELc84ELb0ELb0ELb1EdKPKdKPdEEviiiT16_PT17_ilSA_ilS8_SA_ilPT18_ili26rocblas_geam_ex_operation_,"axG",@progbits,_ZN12_GLOBAL__N_120geam_min_plus_kernelId15HIP_vector_typeIdLj2EEdLi8ELi32ELi64ELi256ELi4ELi64ELi4ELi64ELi4ELc78ELc84ELb0ELb0ELb1EdKPKdKPdEEviiiT16_PT17_ilSA_ilS8_SA_ilPT18_ili26rocblas_geam_ex_operation_,comdat
	.globl	_ZN12_GLOBAL__N_120geam_min_plus_kernelId15HIP_vector_typeIdLj2EEdLi8ELi32ELi64ELi256ELi4ELi64ELi4ELi64ELi4ELc78ELc84ELb0ELb0ELb1EdKPKdKPdEEviiiT16_PT17_ilSA_ilS8_SA_ilPT18_ili26rocblas_geam_ex_operation_ ; -- Begin function _ZN12_GLOBAL__N_120geam_min_plus_kernelId15HIP_vector_typeIdLj2EEdLi8ELi32ELi64ELi256ELi4ELi64ELi4ELi64ELi4ELc78ELc84ELb0ELb0ELb1EdKPKdKPdEEviiiT16_PT17_ilSA_ilS8_SA_ilPT18_ili26rocblas_geam_ex_operation_
	.p2align	8
	.type	_ZN12_GLOBAL__N_120geam_min_plus_kernelId15HIP_vector_typeIdLj2EEdLi8ELi32ELi64ELi256ELi4ELi64ELi4ELi64ELi4ELc78ELc84ELb0ELb0ELb1EdKPKdKPdEEviiiT16_PT17_ilSA_ilS8_SA_ilPT18_ili26rocblas_geam_ex_operation_,@function
_ZN12_GLOBAL__N_120geam_min_plus_kernelId15HIP_vector_typeIdLj2EEdLi8ELi32ELi64ELi256ELi4ELi64ELi4ELi64ELi4ELc78ELc84ELb0ELb0ELb1EdKPKdKPdEEviiiT16_PT17_ilSA_ilS8_SA_ilPT18_ili26rocblas_geam_ex_operation_: ; @_ZN12_GLOBAL__N_120geam_min_plus_kernelId15HIP_vector_typeIdLj2EEdLi8ELi32ELi64ELi256ELi4ELi64ELi4ELi64ELi4ELc78ELc84ELb0ELb0ELb1EdKPKdKPdEEviiiT16_PT17_ilSA_ilS8_SA_ilPT18_ili26rocblas_geam_ex_operation_
; %bb.0:
	s_clause 0x1
	s_load_dwordx4 s[8:11], s[4:5], 0x10
	s_load_dwordx4 s[12:15], s[4:5], 0x28
	s_mov_b32 s22, s7
	s_mov_b64 s[16:17], 0
	s_waitcnt lgkmcnt(0)
	v_cmp_eq_f64_e64 s7, s[8:9], 0
	s_and_b32 vcc_lo, exec_lo, s7
	s_cbranch_vccnz .LBB119_2
; %bb.1:
	s_mov_b32 s23, 0
	s_lshl_b64 s[0:1], s[22:23], 3
	s_add_u32 s0, s10, s0
	s_addc_u32 s1, s11, s1
	s_lshl_b64 s[2:3], s[12:13], 3
	s_load_dwordx2 s[0:1], s[0:1], 0x0
	s_waitcnt lgkmcnt(0)
	s_add_u32 s16, s0, s2
	s_addc_u32 s17, s1, s3
.LBB119_2:
	s_clause 0x1
	s_load_dwordx4 s[0:3], s[4:5], 0x40
	s_load_dwordx2 s[20:21], s[4:5], 0x50
	s_andn2_b32 vcc_lo, exec_lo, s7
	s_mov_b32 s23, 0
	s_cbranch_vccnz .LBB119_4
; %bb.3:
	s_mov_b32 s7, s23
	s_mov_b64 s[10:11], 0
	s_andn2_b32 vcc_lo, exec_lo, s7
	s_mov_b64 s[18:19], 0
	s_cbranch_vccz .LBB119_5
	s_branch .LBB119_6
.LBB119_4:
	s_mov_b64 s[10:11], 0
	s_mov_b64 s[18:19], 0
.LBB119_5:
	s_lshl_b64 s[12:13], s[22:23], 3
	s_add_u32 s12, s14, s12
	s_addc_u32 s13, s15, s13
	s_waitcnt lgkmcnt(0)
	s_lshl_b64 s[0:1], s[0:1], 3
	s_load_dwordx2 s[12:13], s[12:13], 0x0
	s_waitcnt lgkmcnt(0)
	s_add_u32 s18, s12, s0
	s_addc_u32 s19, s13, s1
.LBB119_6:
	s_waitcnt lgkmcnt(0)
	v_cmp_eq_f64_e64 s0, s[2:3], 0
	v_cmp_neq_f64_e64 s24, s[8:9], 0
	s_load_dwordx4 s[12:15], s[4:5], 0x60
	s_and_b32 s0, exec_lo, s0
	s_mov_b32 vcc_lo, s0
	s_cbranch_vccnz .LBB119_8
; %bb.7:
	s_lshl_b64 s[10:11], s[22:23], 3
	s_add_u32 s10, s20, s10
	s_addc_u32 s11, s21, s11
	s_waitcnt lgkmcnt(0)
	s_lshl_b64 s[12:13], s[12:13], 3
	s_load_dwordx2 s[10:11], s[10:11], 0x0
	s_waitcnt lgkmcnt(0)
	s_add_u32 s10, s10, s12
	s_addc_u32 s11, s11, s13
.LBB119_8:
	s_clause 0x1
	s_load_dword s20, s[4:5], 0x20
	s_load_dword s1, s[4:5], 0x0
	s_waitcnt lgkmcnt(0)
	s_lshl_b64 s[12:13], s[22:23], 3
	v_cndmask_b32_e64 v3, 0, 1, s24
	v_mov_b32_e32 v4, 0
	v_mov_b32_e32 v5, 0
	s_ashr_i32 s21, s20, 31
	s_add_u32 s12, s14, s12
	s_addc_u32 s13, s15, s13
	s_add_i32 s1, s1, -1
	s_ashr_i32 s7, s1, 31
	s_lshr_b32 s7, s7, 26
	s_add_i32 s1, s1, s7
	s_ashr_i32 s1, s1, 6
	s_add_i32 s7, s1, 1
	s_not_b32 s1, s1
	v_cvt_f32_u32_e32 v2, s7
	v_rcp_iflag_f32_e32 v2, v2
	v_mul_f32_e32 v2, 0x4f7ffffe, v2
	v_cvt_u32_f32_e32 v2, v2
	v_readfirstlane_b32 s14, v2
	v_lshl_add_u32 v2, v1, 3, v0
	s_mul_i32 s1, s1, s14
	v_and_b32_e32 v77, 63, v2
	s_mul_hi_u32 s1, s14, s1
	v_lshrrev_b32_e32 v76, 6, v2
	s_add_i32 s14, s14, s1
	s_mul_hi_u32 s1, s6, s14
	s_mul_i32 s14, s1, s7
	s_add_i32 s15, s1, 1
	s_sub_i32 s14, s6, s14
	s_sub_i32 s22, s14, s7
	s_cmp_ge_u32 s14, s7
	s_cselect_b32 s1, s15, s1
	s_cselect_b32 s14, s22, s14
	s_add_i32 s15, s1, 1
	s_cmp_ge_u32 s14, s7
	s_cselect_b32 s15, s15, s1
	s_andn2_b32 vcc_lo, exec_lo, s24
	s_mul_i32 s7, s15, s7
	s_sub_i32 s1, s6, s7
	s_lshl_b32 s22, s1, 6
	v_cmp_ne_u32_e64 s1, 1, v3
	v_or_b32_e32 v10, s22, v77
	v_mov_b32_e32 v2, 0
	v_mov_b32_e32 v3, 0
	v_ashrrev_i32_e32 v11, 31, v10
	s_cbranch_vccnz .LBB119_10
; %bb.9:
	v_mad_i64_i32 v[4:5], null, s20, v76, 0
	v_lshlrev_b64 v[6:7], 3, v[10:11]
	v_lshlrev_b64 v[4:5], 3, v[4:5]
	v_add_co_u32 v4, vcc_lo, s16, v4
	v_add_co_ci_u32_e64 v5, null, s17, v5, vcc_lo
	v_add_co_u32 v4, vcc_lo, v4, v6
	v_add_co_ci_u32_e64 v5, null, v5, v7, vcc_lo
	flat_load_dwordx2 v[4:5], v[4:5]
	s_waitcnt vmcnt(0) lgkmcnt(0)
	v_mul_f64 v[4:5], s[8:9], v[4:5]
.LBB119_10:
	s_load_dword s14, s[4:5], 0x38
	s_lshl_b32 s23, s15, 8
	v_or_b32_e32 v8, s23, v77
	v_ashrrev_i32_e32 v9, 31, v8
	s_waitcnt lgkmcnt(0)
	v_mad_i64_i32 v[6:7], null, v76, s14, 0
	s_ashr_i32 s15, s14, 31
	v_lshlrev_b64 v[12:13], 3, v[6:7]
	v_mov_b32_e32 v6, 0
	v_mov_b32_e32 v7, 0
	v_add_co_u32 v16, vcc_lo, s18, v12
	v_add_co_ci_u32_e64 v17, null, s19, v13, vcc_lo
	s_and_b32 vcc_lo, exec_lo, s1
	s_cbranch_vccnz .LBB119_12
; %bb.11:
	v_lshlrev_b64 v[2:3], 3, v[8:9]
	v_add_co_u32 v2, vcc_lo, v16, v2
	v_add_co_ci_u32_e64 v3, null, v17, v3, vcc_lo
	s_clause 0x1
	flat_load_dwordx2 v[6:7], v[2:3]
	flat_load_dwordx2 v[12:13], v[2:3] offset:512
	s_waitcnt vmcnt(1) lgkmcnt(1)
	v_mul_f64 v[2:3], s[8:9], v[6:7]
	s_waitcnt vmcnt(0) lgkmcnt(0)
	v_mul_f64 v[6:7], s[8:9], v[12:13]
.LBB119_12:
	v_mov_b32_e32 v70, 0
	v_mov_b32_e32 v12, 0
	;; [unrolled: 1-line block ×6, first 2 shown]
	s_and_b32 vcc_lo, exec_lo, s1
	s_cbranch_vccnz .LBB119_14
; %bb.13:
	v_lshlrev_b64 v[12:13], 3, v[8:9]
	v_add_co_u32 v12, vcc_lo, v16, v12
	v_add_co_ci_u32_e64 v13, null, v17, v13, vcc_lo
	s_clause 0x1
	flat_load_dwordx2 v[14:15], v[12:13] offset:1024
	flat_load_dwordx2 v[16:17], v[12:13] offset:1536
	s_waitcnt vmcnt(1) lgkmcnt(1)
	v_mul_f64 v[12:13], s[8:9], v[14:15]
	s_waitcnt vmcnt(0) lgkmcnt(0)
	v_mul_f64 v[14:15], s[8:9], v[16:17]
.LBB119_14:
	v_add_nc_u32_e32 v16, 4, v76
	s_and_b32 vcc_lo, exec_lo, s1
	s_cbranch_vccnz .LBB119_16
; %bb.15:
	v_mad_i64_i32 v[17:18], null, s20, v16, 0
	v_lshlrev_b64 v[10:11], 3, v[10:11]
	v_lshlrev_b64 v[17:18], 3, v[17:18]
	v_add_co_u32 v17, vcc_lo, s16, v17
	v_add_co_ci_u32_e64 v18, null, s17, v18, vcc_lo
	v_add_co_u32 v10, vcc_lo, v17, v10
	v_add_co_ci_u32_e64 v11, null, v18, v11, vcc_lo
	flat_load_dwordx2 v[10:11], v[10:11]
	s_waitcnt vmcnt(0) lgkmcnt(0)
	v_mul_f64 v[70:71], s[8:9], v[10:11]
.LBB119_16:
	v_mad_i64_i32 v[10:11], null, v16, s14, 0
	v_mov_b32_e32 v66, 0
	v_mov_b32_e32 v72, 0
	;; [unrolled: 1-line block ×6, first 2 shown]
	v_lshlrev_b64 v[10:11], 3, v[10:11]
	v_add_co_u32 v10, vcc_lo, s18, v10
	v_add_co_ci_u32_e64 v11, null, s19, v11, vcc_lo
	s_and_b32 vcc_lo, exec_lo, s1
	s_cbranch_vccnz .LBB119_18
; %bb.17:
	v_lshlrev_b64 v[16:17], 3, v[8:9]
	v_add_co_u32 v16, vcc_lo, v10, v16
	v_add_co_ci_u32_e64 v17, null, v11, v17, vcc_lo
	s_clause 0x1
	flat_load_dwordx2 v[18:19], v[16:17]
	flat_load_dwordx2 v[16:17], v[16:17] offset:512
	s_waitcnt vmcnt(1) lgkmcnt(1)
	v_mul_f64 v[72:73], s[8:9], v[18:19]
	s_waitcnt vmcnt(0) lgkmcnt(0)
	v_mul_f64 v[74:75], s[8:9], v[16:17]
.LBB119_18:
	v_mov_b32_e32 v68, 0
	v_mov_b32_e32 v69, 0
	s_and_b32 vcc_lo, exec_lo, s1
	s_cbranch_vccnz .LBB119_20
; %bb.19:
	v_lshlrev_b64 v[8:9], 3, v[8:9]
	v_add_co_u32 v8, vcc_lo, v10, v8
	v_add_co_ci_u32_e64 v9, null, v11, v9, vcc_lo
	s_clause 0x1
	flat_load_dwordx2 v[10:11], v[8:9] offset:1024
	flat_load_dwordx2 v[8:9], v[8:9] offset:1536
	s_waitcnt vmcnt(1) lgkmcnt(1)
	v_mul_f64 v[66:67], s[8:9], v[10:11]
	s_waitcnt vmcnt(0) lgkmcnt(0)
	v_mul_f64 v[68:69], s[8:9], v[8:9]
.LBB119_20:
	v_lshlrev_b32_e32 v8, 5, v77
	v_lshlrev_b32_e32 v151, 5, v0
	s_load_dwordx2 s[12:13], s[12:13], 0x0
	s_load_dword s24, s[4:5], 0x8
	v_lshlrev_b32_e32 v150, 5, v1
	v_lshl_add_u32 v152, v76, 3, v8
	ds_write_b64 v152, v[4:5] offset:16384
	ds_write2st64_b64 v152, v[2:3], v[6:7] offset1:4
	ds_write2st64_b64 v152, v[12:13], v[14:15] offset0:8 offset1:12
	s_waitcnt lgkmcnt(0)
	s_barrier
	buffer_gl0_inv
	ds_read_b128 v[10:13], v151 offset:16640
	ds_read_b128 v[14:17], v151 offset:16896
	;; [unrolled: 1-line block ×16, first 2 shown]
	ds_read_b128 v[82:85], v150
	ds_read_b128 v[6:9], v150 offset:16
	s_cmp_lt_i32 s24, 9
	s_waitcnt lgkmcnt(1)
	v_add_f64 v[86:87], v[80:81], v[84:85]
	v_add_f64 v[88:89], v[78:79], v[82:83]
	s_waitcnt lgkmcnt(0)
	v_add_f64 v[142:143], v[4:5], v[8:9]
	v_add_f64 v[144:145], v[2:3], v[6:7]
	v_cvt_f32_f64_e32 v86, v[86:87]
	v_cvt_f32_f64_e32 v88, v[88:89]
	;; [unrolled: 1-line block ×4, first 2 shown]
	v_min3_f32 v141, v88, v86, 0x7f800000
	v_add_f64 v[86:87], v[12:13], v[84:85]
	v_add_f64 v[88:89], v[10:11], v[82:83]
	v_min3_f32 v226, v144, v142, v141
	v_cvt_f32_f64_e32 v86, v[86:87]
	v_cvt_f32_f64_e32 v88, v[88:89]
	v_min3_f32 v140, v88, v86, 0x7f800000
	v_add_f64 v[86:87], v[16:17], v[84:85]
	v_add_f64 v[88:89], v[14:15], v[82:83]
	v_cvt_f32_f64_e32 v86, v[86:87]
	v_cvt_f32_f64_e32 v88, v[88:89]
	v_min3_f32 v139, v88, v86, 0x7f800000
	v_add_f64 v[86:87], v[20:21], v[84:85]
	v_add_f64 v[88:89], v[18:19], v[82:83]
	;; [unrolled: 5-line block ×5, first 2 shown]
	v_add_f64 v[84:85], v[36:37], v[84:85]
	v_add_f64 v[82:83], v[34:35], v[82:83]
	v_cvt_f32_f64_e32 v86, v[86:87]
	v_cvt_f32_f64_e32 v88, v[88:89]
	;; [unrolled: 1-line block ×4, first 2 shown]
	v_add_f64 v[84:85], v[78:79], v[38:39]
	v_min3_f32 v135, v88, v86, 0x7f800000
	v_min3_f32 v134, v82, v83, 0x7f800000
	v_add_f64 v[82:83], v[80:81], v[40:41]
	v_cvt_f32_f64_e32 v84, v[84:85]
	v_cvt_f32_f64_e32 v82, v[82:83]
	v_min3_f32 v133, v84, v82, 0x7f800000
	v_add_f64 v[82:83], v[12:13], v[40:41]
	v_add_f64 v[84:85], v[10:11], v[38:39]
	v_cvt_f32_f64_e32 v82, v[82:83]
	v_cvt_f32_f64_e32 v84, v[84:85]
	v_min3_f32 v132, v84, v82, 0x7f800000
	v_add_f64 v[82:83], v[16:17], v[40:41]
	;; [unrolled: 5-line block ×6, first 2 shown]
	v_add_f64 v[84:85], v[30:31], v[38:39]
	v_add_f64 v[40:41], v[36:37], v[40:41]
	;; [unrolled: 1-line block ×3, first 2 shown]
	v_cvt_f32_f64_e32 v82, v[82:83]
	v_cvt_f32_f64_e32 v84, v[84:85]
	;; [unrolled: 1-line block ×4, first 2 shown]
	v_add_f64 v[40:41], v[78:79], v[42:43]
	v_min3_f32 v127, v84, v82, 0x7f800000
	v_min3_f32 v126, v38, v39, 0x7f800000
	v_add_f64 v[38:39], v[80:81], v[44:45]
	v_cvt_f32_f64_e32 v40, v[40:41]
	v_cvt_f32_f64_e32 v38, v[38:39]
	v_min3_f32 v125, v40, v38, 0x7f800000
	v_add_f64 v[38:39], v[12:13], v[44:45]
	v_add_f64 v[40:41], v[10:11], v[42:43]
	v_cvt_f32_f64_e32 v38, v[38:39]
	v_cvt_f32_f64_e32 v40, v[40:41]
	v_min3_f32 v124, v40, v38, 0x7f800000
	v_add_f64 v[38:39], v[16:17], v[44:45]
	;; [unrolled: 5-line block ×33, first 2 shown]
	v_add_f64 v[40:41], v[10:11], v[58:59]
	v_add_f64 v[12:13], v[12:13], v[64:65]
	;; [unrolled: 1-line block ×3, first 2 shown]
	v_cvt_f32_f64_e32 v38, v[38:39]
	v_cvt_f32_f64_e32 v40, v[40:41]
	;; [unrolled: 1-line block ×4, first 2 shown]
	v_add_f64 v[12:13], v[14:15], v[62:63]
	v_min3_f32 v92, v40, v38, 0x7f800000
	v_add_f64 v[38:39], v[16:17], v[60:61]
	v_add_f64 v[40:41], v[14:15], v[58:59]
	v_min3_f32 v84, v10, v11, 0x7f800000
	v_add_f64 v[10:11], v[16:17], v[64:65]
	v_cvt_f32_f64_e32 v12, v[12:13]
	v_cvt_f32_f64_e32 v38, v[38:39]
	;; [unrolled: 1-line block ×4, first 2 shown]
	v_min3_f32 v91, v40, v38, 0x7f800000
	v_add_f64 v[38:39], v[20:21], v[60:61]
	v_add_f64 v[40:41], v[18:19], v[58:59]
	v_min3_f32 v83, v12, v10, 0x7f800000
	v_add_f64 v[10:11], v[20:21], v[64:65]
	v_add_f64 v[12:13], v[18:19], v[62:63]
	v_cvt_f32_f64_e32 v38, v[38:39]
	v_cvt_f32_f64_e32 v40, v[40:41]
	;; [unrolled: 1-line block ×4, first 2 shown]
	v_min3_f32 v90, v40, v38, 0x7f800000
	v_add_f64 v[38:39], v[24:25], v[60:61]
	v_add_f64 v[40:41], v[22:23], v[58:59]
	v_min3_f32 v82, v12, v10, 0x7f800000
	v_add_f64 v[10:11], v[24:25], v[64:65]
	v_add_f64 v[12:13], v[22:23], v[62:63]
	v_cvt_f32_f64_e32 v38, v[38:39]
	v_cvt_f32_f64_e32 v40, v[40:41]
	;; [unrolled: 1-line block ×4, first 2 shown]
	v_min3_f32 v89, v40, v38, 0x7f800000
	v_add_f64 v[38:39], v[28:29], v[60:61]
	v_add_f64 v[40:41], v[26:27], v[58:59]
	v_cvt_f32_f64_e32 v38, v[38:39]
	v_cvt_f32_f64_e32 v40, v[40:41]
	v_min3_f32 v88, v40, v38, 0x7f800000
	v_add_f64 v[38:39], v[32:33], v[60:61]
	v_add_f64 v[40:41], v[30:31], v[58:59]
	v_cvt_f32_f64_e32 v38, v[38:39]
	v_cvt_f32_f64_e32 v40, v[40:41]
	;; [unrolled: 5-line block ×3, first 2 shown]
	v_min3_f32 v86, v40, v38, 0x7f800000
	v_add_f64 v[38:39], v[80:81], v[64:65]
	v_min3_f32 v81, v12, v10, 0x7f800000
	v_add_f64 v[10:11], v[28:29], v[64:65]
	v_add_f64 v[12:13], v[26:27], v[62:63]
	;; [unrolled: 1-line block ×3, first 2 shown]
	v_cvt_f32_f64_e32 v38, v[38:39]
	v_cvt_f32_f64_e32 v10, v[10:11]
	;; [unrolled: 1-line block ×4, first 2 shown]
	v_min3_f32 v80, v12, v10, 0x7f800000
	v_add_f64 v[10:11], v[32:33], v[64:65]
	v_add_f64 v[12:13], v[30:31], v[62:63]
	v_min3_f32 v85, v40, v38, 0x7f800000
	v_cvt_f32_f64_e32 v10, v[10:11]
	v_cvt_f32_f64_e32 v12, v[12:13]
	v_min3_f32 v79, v12, v10, 0x7f800000
	v_add_f64 v[10:11], v[36:37], v[64:65]
	v_add_f64 v[12:13], v[34:35], v[62:63]
	v_cvt_f32_f64_e32 v10, v[10:11]
	v_cvt_f32_f64_e32 v12, v[12:13]
	v_min3_f32 v78, v12, v10, 0x7f800000
	ds_read_b128 v[34:37], v151 offset:16656
	ds_read_b128 v[30:33], v151 offset:16912
	;; [unrolled: 1-line block ×14, first 2 shown]
	ds_write_b64 v152, v[70:71] offset:18432
	ds_write2st64_b64 v152, v[72:73], v[74:75] offset0:16 offset1:20
	ds_write2st64_b64 v152, v[66:67], v[68:69] offset0:24 offset1:28
	s_waitcnt lgkmcnt(0)
	s_barrier
	buffer_gl0_inv
	v_add_f64 v[141:142], v[36:37], v[8:9]
	v_add_f64 v[143:144], v[34:35], v[6:7]
	v_cvt_f32_f64_e32 v141, v[141:142]
	v_cvt_f32_f64_e32 v143, v[143:144]
	v_min3_f32 v224, v143, v141, v140
	v_add_f64 v[140:141], v[32:33], v[8:9]
	v_add_f64 v[142:143], v[30:31], v[6:7]
	v_cvt_f32_f64_e32 v140, v[140:141]
	v_cvt_f32_f64_e32 v142, v[142:143]
	v_min3_f32 v225, v142, v140, v139
	;; [unrolled: 5-line block ×5, first 2 shown]
	v_add_f64 v[136:137], v[16:17], v[8:9]
	v_add_f64 v[138:139], v[14:15], v[6:7]
	;; [unrolled: 1-line block ×4, first 2 shown]
	v_cvt_f32_f64_e32 v136, v[136:137]
	v_cvt_f32_f64_e32 v138, v[138:139]
	;; [unrolled: 1-line block ×4, first 2 shown]
	v_add_f64 v[8:9], v[2:3], v[62:63]
	v_min3_f32 v221, v138, v136, v135
	v_min3_f32 v218, v6, v7, v134
	v_add_f64 v[6:7], v[4:5], v[64:65]
	v_cvt_f32_f64_e32 v8, v[8:9]
	v_cvt_f32_f64_e32 v6, v[6:7]
	v_min3_f32 v219, v8, v6, v133
	v_add_f64 v[6:7], v[36:37], v[64:65]
	v_add_f64 v[8:9], v[34:35], v[62:63]
	v_cvt_f32_f64_e32 v6, v[6:7]
	v_cvt_f32_f64_e32 v8, v[8:9]
	v_min3_f32 v216, v8, v6, v132
	v_add_f64 v[6:7], v[32:33], v[64:65]
	;; [unrolled: 5-line block ×40, first 2 shown]
	v_add_f64 v[8:9], v[2:3], v[42:43]
	v_add_f64 v[4:5], v[4:5], v[40:41]
	;; [unrolled: 1-line block ×3, first 2 shown]
	v_cvt_f32_f64_e32 v6, v[6:7]
	v_cvt_f32_f64_e32 v8, v[8:9]
	;; [unrolled: 1-line block ×4, first 2 shown]
	v_add_f64 v[4:5], v[34:35], v[38:39]
	v_min3_f32 v175, v8, v6, v93
	v_add_f64 v[6:7], v[36:37], v[44:45]
	v_add_f64 v[8:9], v[34:35], v[42:43]
	v_min3_f32 v160, v2, v3, v85
	v_add_f64 v[2:3], v[36:37], v[40:41]
	v_cvt_f32_f64_e32 v4, v[4:5]
	v_cvt_f32_f64_e32 v6, v[6:7]
	v_cvt_f32_f64_e32 v8, v[8:9]
	v_cvt_f32_f64_e32 v2, v[2:3]
	v_min3_f32 v166, v8, v6, v92
	v_add_f64 v[6:7], v[32:33], v[44:45]
	v_add_f64 v[8:9], v[30:31], v[42:43]
	v_min3_f32 v159, v4, v2, v84
	v_add_f64 v[2:3], v[32:33], v[40:41]
	v_add_f64 v[4:5], v[30:31], v[38:39]
	v_cvt_f32_f64_e32 v6, v[6:7]
	v_cvt_f32_f64_e32 v8, v[8:9]
	v_cvt_f32_f64_e32 v2, v[2:3]
	v_cvt_f32_f64_e32 v4, v[4:5]
	v_min3_f32 v167, v8, v6, v91
	v_add_f64 v[6:7], v[28:29], v[44:45]
	v_add_f64 v[8:9], v[26:27], v[42:43]
	v_min3_f32 v158, v4, v2, v83
	v_add_f64 v[2:3], v[28:29], v[40:41]
	;; [unrolled: 10-line block ×6, first 2 shown]
	v_add_f64 v[4:5], v[10:11], v[38:39]
	v_cvt_f32_f64_e32 v6, v[6:7]
	v_cvt_f32_f64_e32 v8, v[8:9]
	;; [unrolled: 1-line block ×4, first 2 shown]
	v_min3_f32 v161, v8, v6, v86
	v_min3_f32 v153, v4, v2, v78
	s_cbranch_scc1 .LBB119_35
; %bb.21:
	v_add_nc_u32_e32 v6, 12, v76
	v_lshl_or_b32 v4, s6, 6, v77
	s_lshl_b32 s6, s7, 6
	v_add_nc_u32_e32 v10, 8, v76
	v_or_b32_e32 v168, 0x4000, v152
	v_mad_i64_i32 v[2:3], null, v6, s20, 0
	v_subrev_nc_u32_e32 v4, s6, v4
	v_mad_i64_i32 v[6:7], null, v6, s14, 0
	v_mad_i64_i32 v[8:9], null, v10, s14, 0
	v_ashrrev_i32_e32 v5, 31, v4
	v_lshlrev_b64 v[130:131], 3, v[2:3]
	v_add_nc_u32_e32 v2, s23, v77
	v_mad_i64_i32 v[10:11], null, v10, s20, 0
	v_lshlrev_b64 v[4:5], 3, v[4:5]
	v_lshlrev_b64 v[132:133], 3, v[6:7]
	v_ashrrev_i32_e32 v3, 31, v2
	v_lshlrev_b64 v[134:135], 3, v[8:9]
	v_or_b32_e32 v170, 0x4000, v151
	v_add_nc_u32_e32 v171, 0x4800, v152
	v_add_co_u32 v176, vcc_lo, s16, v4
	v_lshlrev_b64 v[2:3], 3, v[2:3]
	v_add_co_ci_u32_e64 v177, null, s17, v5, vcc_lo
	v_lshlrev_b64 v[136:137], 3, v[10:11]
	v_or_b32_e32 v172, 0x2000, v152
	v_lshl_add_u32 v173, v0, 5, 0x4800
	v_add_co_u32 v178, vcc_lo, s18, v2
	v_lshl_or_b32 v174, v1, 5, 0x2000
	v_add_co_ci_u32_e64 v179, null, s19, v3, vcc_lo
	s_add_i32 s24, s24, -8
	s_lshl_b64 s[6:7], s[20:21], 6
	s_lshl_b64 s[14:15], s[14:15], 6
	s_mov_b32 s16, 0
	s_branch .LBB119_23
.LBB119_22:                             ;   in Loop: Header=BB119_23 Depth=1
	v_add_f64 v[148:149], v[100:101], v[128:129]
	v_add_f64 v[227:228], v[98:99], v[126:127]
	v_add_co_u32 v176, vcc_lo, v176, s6
	v_add_co_ci_u32_e64 v177, null, s7, v177, vcc_lo
	v_add_co_u32 v178, vcc_lo, v178, s14
	v_add_co_ci_u32_e64 v179, null, s15, v179, vcc_lo
	s_add_i32 s16, s16, 8
	s_cmp_ge_i32 s16, s24
	v_cvt_f32_f64_e32 v148, v[148:149]
	v_cvt_f32_f64_e32 v227, v[227:228]
	v_min3_f32 v226, v227, v148, v226
	v_add_f64 v[148:149], v[96:97], v[128:129]
	v_add_f64 v[227:228], v[94:95], v[126:127]
	v_cvt_f32_f64_e32 v148, v[148:149]
	v_cvt_f32_f64_e32 v227, v[227:228]
	v_min3_f32 v224, v227, v148, v224
	v_add_f64 v[148:149], v[92:93], v[128:129]
	v_add_f64 v[227:228], v[90:91], v[126:127]
	;; [unrolled: 5-line block ×3, first 2 shown]
	v_cvt_f32_f64_e32 v148, v[148:149]
	v_cvt_f32_f64_e32 v227, v[227:228]
	v_add_f64 v[228:229], v[82:83], v[126:127]
	v_min3_f32 v227, v227, v148, v222
	v_add_f64 v[148:149], v[84:85], v[128:129]
	v_cvt_f32_f64_e32 v222, v[228:229]
	v_add_f64 v[228:229], v[78:79], v[126:127]
	v_cvt_f32_f64_e32 v148, v[148:149]
	v_min3_f32 v223, v222, v148, v223
	v_add_f64 v[148:149], v[80:81], v[128:129]
	v_cvt_f32_f64_e32 v222, v[228:229]
	v_add_f64 v[228:229], v[70:71], v[126:127]
	v_add_f64 v[126:127], v[66:67], v[126:127]
	v_cvt_f32_f64_e32 v148, v[148:149]
	v_cvt_f32_f64_e32 v126, v[126:127]
	v_min3_f32 v220, v222, v148, v220
	v_add_f64 v[148:149], v[72:73], v[128:129]
	v_add_f64 v[128:129], v[68:69], v[128:129]
	v_cvt_f32_f64_e32 v222, v[228:229]
	v_cvt_f32_f64_e32 v148, v[148:149]
	;; [unrolled: 1-line block ×3, first 2 shown]
	v_add_f64 v[128:129], v[98:99], v[122:123]
	v_min3_f32 v221, v222, v148, v221
	v_min3_f32 v218, v126, v127, v218
	v_add_f64 v[126:127], v[100:101], v[124:125]
	v_cvt_f32_f64_e32 v128, v[128:129]
	v_add_f64 v[148:149], v[82:83], v[106:107]
	v_cvt_f32_f64_e32 v126, v[126:127]
	v_min3_f32 v222, v128, v126, v219
	v_add_f64 v[126:127], v[96:97], v[124:125]
	v_add_f64 v[128:129], v[94:95], v[122:123]
	v_cvt_f32_f64_e32 v126, v[126:127]
	v_cvt_f32_f64_e32 v128, v[128:129]
	v_min3_f32 v219, v128, v126, v216
	v_add_f64 v[126:127], v[92:93], v[124:125]
	v_add_f64 v[128:129], v[90:91], v[122:123]
	v_cvt_f32_f64_e32 v126, v[126:127]
	;; [unrolled: 5-line block ×5, first 2 shown]
	v_cvt_f32_f64_e32 v128, v[128:129]
	v_min3_f32 v212, v128, v126, v212
	v_add_f64 v[126:127], v[72:73], v[124:125]
	v_add_f64 v[128:129], v[70:71], v[122:123]
	;; [unrolled: 1-line block ×4, first 2 shown]
	v_cvt_f32_f64_e32 v126, v[126:127]
	v_cvt_f32_f64_e32 v128, v[128:129]
	;; [unrolled: 1-line block ×4, first 2 shown]
	v_add_f64 v[124:125], v[98:99], v[118:119]
	v_min3_f32 v213, v128, v126, v213
	v_min3_f32 v211, v122, v123, v211
	v_add_f64 v[122:123], v[100:101], v[120:121]
	v_cvt_f32_f64_e32 v124, v[124:125]
	v_cvt_f32_f64_e32 v122, v[122:123]
	v_min3_f32 v210, v124, v122, v210
	v_add_f64 v[122:123], v[96:97], v[120:121]
	v_add_f64 v[124:125], v[94:95], v[118:119]
	v_cvt_f32_f64_e32 v122, v[122:123]
	v_cvt_f32_f64_e32 v124, v[124:125]
	v_min3_f32 v208, v124, v122, v208
	v_add_f64 v[122:123], v[92:93], v[120:121]
	;; [unrolled: 5-line block ×6, first 2 shown]
	v_add_f64 v[124:125], v[70:71], v[118:119]
	v_add_f64 v[120:121], v[68:69], v[120:121]
	v_add_f64 v[118:119], v[66:67], v[118:119]
	v_cvt_f32_f64_e32 v122, v[122:123]
	v_cvt_f32_f64_e32 v124, v[124:125]
	;; [unrolled: 1-line block ×4, first 2 shown]
	v_add_f64 v[120:121], v[98:99], v[114:115]
	v_min3_f32 v205, v124, v122, v205
	v_min3_f32 v202, v118, v119, v202
	v_add_f64 v[118:119], v[100:101], v[116:117]
	v_cvt_f32_f64_e32 v120, v[120:121]
	v_cvt_f32_f64_e32 v118, v[118:119]
	v_min3_f32 v203, v120, v118, v203
	v_add_f64 v[118:119], v[96:97], v[116:117]
	v_add_f64 v[120:121], v[94:95], v[114:115]
	v_cvt_f32_f64_e32 v118, v[118:119]
	v_cvt_f32_f64_e32 v120, v[120:121]
	v_min3_f32 v200, v120, v118, v200
	v_add_f64 v[118:119], v[92:93], v[116:117]
	;; [unrolled: 5-line block ×3, first 2 shown]
	v_add_f64 v[120:121], v[86:87], v[114:115]
	v_cvt_f32_f64_e32 v118, v[118:119]
	v_cvt_f32_f64_e32 v120, v[120:121]
	v_add_f64 v[121:122], v[82:83], v[114:115]
	v_min3_f32 v118, v120, v118, v198
	v_add_f64 v[119:120], v[84:85], v[116:117]
	v_cvt_f32_f64_e32 v121, v[121:122]
	v_add_f64 v[122:123], v[78:79], v[114:115]
	v_cvt_f32_f64_e32 v119, v[119:120]
	v_cvt_f32_f64_e32 v122, v[122:123]
	v_add_f64 v[123:124], v[70:71], v[114:115]
	v_add_f64 v[114:115], v[66:67], v[114:115]
	v_min3_f32 v119, v121, v119, v199
	v_add_f64 v[120:121], v[80:81], v[116:117]
	v_cvt_f32_f64_e32 v123, v[123:124]
	v_cvt_f32_f64_e32 v114, v[114:115]
	v_add_f64 v[124:125], v[90:91], v[110:111]
	v_cvt_f32_f64_e32 v120, v[120:121]
	v_min3_f32 v120, v122, v120, v196
	v_add_f64 v[121:122], v[72:73], v[116:117]
	v_add_f64 v[116:117], v[68:69], v[116:117]
	v_cvt_f32_f64_e32 v121, v[121:122]
	v_cvt_f32_f64_e32 v115, v[116:117]
	v_min3_f32 v121, v123, v121, v197
	v_min3_f32 v114, v114, v115, v194
	v_add_f64 v[115:116], v[100:101], v[112:113]
	v_add_f64 v[122:123], v[98:99], v[110:111]
	v_cvt_f32_f64_e32 v115, v[115:116]
	v_cvt_f32_f64_e32 v117, v[122:123]
	v_add_f64 v[122:123], v[94:95], v[110:111]
	v_min3_f32 v115, v117, v115, v195
	v_add_f64 v[116:117], v[96:97], v[112:113]
	v_cvt_f32_f64_e32 v122, v[122:123]
	v_cvt_f32_f64_e32 v116, v[116:117]
	v_cvt_f32_f64_e32 v117, v[124:125]
	v_add_f64 v[124:125], v[86:87], v[110:111]
	v_min3_f32 v116, v122, v116, v192
	v_add_f64 v[122:123], v[92:93], v[112:113]
	v_cvt_f32_f64_e32 v124, v[124:125]
	v_add_f64 v[125:126], v[82:83], v[110:111]
	v_cvt_f32_f64_e32 v122, v[122:123]
	v_cvt_f32_f64_e32 v125, v[125:126]
	v_add_f64 v[126:127], v[78:79], v[110:111]
	v_min3_f32 v117, v117, v122, v193
	v_add_f64 v[122:123], v[88:89], v[112:113]
	v_cvt_f32_f64_e32 v126, v[126:127]
	v_add_f64 v[127:128], v[70:71], v[110:111]
	v_add_f64 v[110:111], v[66:67], v[110:111]
	v_cvt_f32_f64_e32 v122, v[122:123]
	v_cvt_f32_f64_e32 v127, v[127:128]
	;; [unrolled: 1-line block ×3, first 2 shown]
	v_min3_f32 v122, v124, v122, v190
	v_add_f64 v[123:124], v[84:85], v[112:113]
	v_cvt_f32_f64_e32 v123, v[123:124]
	v_min3_f32 v123, v125, v123, v191
	v_add_f64 v[124:125], v[80:81], v[112:113]
	v_cvt_f32_f64_e32 v124, v[124:125]
	v_min3_f32 v124, v126, v124, v189
	v_add_f64 v[125:126], v[72:73], v[112:113]
	v_add_f64 v[112:113], v[68:69], v[112:113]
	v_cvt_f32_f64_e32 v125, v[125:126]
	v_cvt_f32_f64_e32 v111, v[112:113]
	v_min3_f32 v125, v127, v125, v188
	v_min3_f32 v112, v110, v111, v186
	v_add_f64 v[110:111], v[100:101], v[108:109]
	v_add_f64 v[126:127], v[98:99], v[106:107]
	v_cvt_f32_f64_e32 v110, v[110:111]
	v_cvt_f32_f64_e32 v113, v[126:127]
	v_add_f64 v[126:127], v[94:95], v[106:107]
	v_min3_f32 v113, v113, v110, v187
	v_add_f64 v[110:111], v[96:97], v[108:109]
	v_cvt_f32_f64_e32 v126, v[126:127]
	v_add_f64 v[127:128], v[90:91], v[106:107]
	v_cvt_f32_f64_e32 v110, v[110:111]
	v_cvt_f32_f64_e32 v127, v[127:128]
	v_add_f64 v[128:129], v[86:87], v[106:107]
	v_min3_f32 v126, v126, v110, v184
	v_add_f64 v[110:111], v[92:93], v[108:109]
	v_cvt_f32_f64_e32 v128, v[128:129]
	v_cvt_f32_f64_e32 v129, v[148:149]
	v_add_f64 v[148:149], v[78:79], v[106:107]
	v_cvt_f32_f64_e32 v110, v[110:111]
	v_cvt_f32_f64_e32 v148, v[148:149]
	v_min3_f32 v127, v127, v110, v185
	v_add_f64 v[110:111], v[88:89], v[108:109]
	v_cvt_f32_f64_e32 v110, v[110:111]
	v_min3_f32 v128, v128, v110, v182
	v_add_f64 v[110:111], v[84:85], v[108:109]
	;; [unrolled: 3-line block ×3, first 2 shown]
	v_add_f64 v[182:183], v[70:71], v[106:107]
	v_add_f64 v[106:107], v[66:67], v[106:107]
	v_cvt_f32_f64_e32 v110, v[110:111]
	v_cvt_f32_f64_e32 v149, v[182:183]
	;; [unrolled: 1-line block ×3, first 2 shown]
	v_min3_f32 v148, v148, v110, v180
	v_add_f64 v[110:111], v[72:73], v[108:109]
	v_add_f64 v[108:109], v[68:69], v[108:109]
	v_cvt_f32_f64_e32 v110, v[110:111]
	v_cvt_f32_f64_e32 v107, v[108:109]
	v_add_f64 v[108:109], v[98:99], v[102:103]
	v_add_f64 v[98:99], v[98:99], v[74:75]
	v_min3_f32 v149, v149, v110, v181
	v_min3_f32 v169, v106, v107, v169
	v_add_f64 v[106:107], v[100:101], v[104:105]
	v_cvt_f32_f64_e32 v108, v[108:109]
	v_add_f64 v[100:101], v[100:101], v[76:77]
	v_cvt_f32_f64_e32 v98, v[98:99]
	v_cvt_f32_f64_e32 v106, v[106:107]
	;; [unrolled: 1-line block ×3, first 2 shown]
	v_min3_f32 v175, v108, v106, v175
	v_add_f64 v[106:107], v[96:97], v[104:105]
	v_add_f64 v[108:109], v[94:95], v[102:103]
	;; [unrolled: 1-line block ×4, first 2 shown]
	v_min3_f32 v98, v98, v99, v160
	v_add_f64 v[99:100], v[10:11], v[46:47]
	v_cvt_f32_f64_e32 v106, v[106:107]
	v_cvt_f32_f64_e32 v108, v[108:109]
	v_add_f64 v[109:110], v[90:91], v[102:103]
	v_add_f64 v[90:91], v[90:91], v[74:75]
	v_cvt_f32_f64_e32 v94, v[94:95]
	v_cvt_f32_f64_e32 v95, v[96:97]
	v_min3_f32 v106, v108, v106, v166
	v_add_f64 v[107:108], v[92:93], v[104:105]
	v_cvt_f32_f64_e32 v109, v[109:110]
	v_add_f64 v[110:111], v[86:87], v[102:103]
	v_add_f64 v[86:87], v[86:87], v[74:75]
	;; [unrolled: 1-line block ×3, first 2 shown]
	v_cvt_f32_f64_e32 v90, v[90:91]
	v_min3_f32 v94, v94, v95, v159
	v_add_f64 v[95:96], v[6:7], v[50:51]
	v_cvt_f32_f64_e32 v107, v[107:108]
	v_cvt_f32_f64_e32 v110, v[110:111]
	;; [unrolled: 1-line block ×4, first 2 shown]
	v_min3_f32 v107, v109, v107, v167
	v_add_f64 v[108:109], v[88:89], v[104:105]
	v_add_f64 v[166:167], v[82:83], v[102:103]
	;; [unrolled: 1-line block ×4, first 2 shown]
	v_min3_f32 v90, v90, v91, v158
	v_add_f64 v[91:92], v[26:27], v[50:51]
	v_cvt_f32_f64_e32 v108, v[108:109]
	v_cvt_f32_f64_e32 v111, v[166:167]
	v_add_f64 v[166:167], v[70:71], v[102:103]
	v_add_f64 v[70:71], v[70:71], v[74:75]
	v_cvt_f32_f64_e32 v82, v[82:83]
	v_cvt_f32_f64_e32 v87, v[88:89]
	v_min3_f32 v108, v110, v108, v164
	v_add_f64 v[109:110], v[84:85], v[104:105]
	v_add_f64 v[84:85], v[84:85], v[76:77]
	v_cvt_f32_f64_e32 v70, v[70:71]
	v_min3_f32 v86, v86, v87, v156
	v_add_f64 v[87:88], v[14:15], v[54:55]
	v_cvt_f32_f64_e32 v109, v[109:110]
	v_cvt_f32_f64_e32 v83, v[84:85]
	v_min3_f32 v109, v111, v109, v165
	v_add_f64 v[110:111], v[80:81], v[104:105]
	v_add_f64 v[164:165], v[78:79], v[102:103]
	;; [unrolled: 1-line block ×7, first 2 shown]
	v_min3_f32 v82, v82, v83, v157
	v_add_f64 v[83:84], v[10:11], v[58:59]
	v_cvt_f32_f64_e32 v110, v[110:111]
	v_cvt_f32_f64_e32 v164, v[164:165]
	;; [unrolled: 1-line block ×7, first 2 shown]
	v_min3_f32 v110, v164, v110, v162
	v_add_f64 v[164:165], v[72:73], v[104:105]
	v_add_f64 v[104:105], v[68:69], v[104:105]
	;; [unrolled: 1-line block ×5, first 2 shown]
	v_min3_f32 v78, v78, v79, v154
	v_add_f64 v[79:80], v[26:27], v[58:59]
	v_cvt_f32_f64_e32 v162, v[164:165]
	v_cvt_f32_f64_e32 v103, v[104:105]
	v_cvt_f32_f64_e32 v67, v[68:69]
	v_cvt_f32_f64_e32 v71, v[72:73]
	v_add_f64 v[68:69], v[34:35], v[62:63]
	v_min3_f32 v111, v111, v162, v163
	v_min3_f32 v102, v102, v103, v161
	;; [unrolled: 1-line block ×3, first 2 shown]
	v_add_f64 v[66:67], v[36:37], v[64:65]
	v_cvt_f32_f64_e32 v68, v[68:69]
	v_min3_f32 v71, v70, v71, v155
	v_add_f64 v[69:70], v[30:31], v[62:63]
	v_cvt_f32_f64_e32 v66, v[66:67]
	v_cvt_f32_f64_e32 v69, v[69:70]
	;; [unrolled: 1-line block ×3, first 2 shown]
	v_add_f64 v[74:75], v[18:19], v[62:63]
	v_min3_f32 v66, v68, v66, v226
	v_add_f64 v[67:68], v[32:33], v[64:65]
	v_cvt_f32_f64_e32 v72, v[74:75]
	v_add_f64 v[74:75], v[16:17], v[64:65]
	v_cvt_f32_f64_e32 v67, v[67:68]
	v_min3_f32 v67, v69, v67, v224
	v_add_f64 v[68:69], v[28:29], v[64:65]
	v_cvt_f32_f64_e32 v68, v[68:69]
	v_min3_f32 v68, v70, v68, v225
	v_add_f64 v[69:70], v[20:21], v[64:65]
	v_cvt_f32_f64_e32 v69, v[69:70]
	v_cvt_f32_f64_e32 v70, v[76:77]
	v_add_f64 v[76:77], v[10:11], v[62:63]
	v_min3_f32 v69, v72, v69, v227
	v_cvt_f32_f64_e32 v72, v[74:75]
	v_add_f64 v[74:75], v[12:13], v[64:65]
	v_min3_f32 v70, v70, v72, v223
	v_cvt_f32_f64_e32 v72, v[76:77]
	v_cvt_f32_f64_e32 v74, v[74:75]
	v_add_f64 v[76:77], v[6:7], v[62:63]
	v_add_f64 v[62:63], v[2:3], v[62:63]
	v_min3_f32 v72, v72, v74, v220
	v_add_f64 v[74:75], v[8:9], v[64:65]
	v_add_f64 v[64:65], v[4:5], v[64:65]
	v_cvt_f32_f64_e32 v76, v[76:77]
	v_cvt_f32_f64_e32 v62, v[62:63]
	;; [unrolled: 1-line block ×4, first 2 shown]
	v_min3_f32 v74, v76, v74, v221
	v_min3_f32 v62, v62, v63, v218
	v_add_f64 v[63:64], v[36:37], v[60:61]
	v_add_f64 v[75:76], v[34:35], v[58:59]
	v_cvt_f32_f64_e32 v63, v[63:64]
	v_cvt_f32_f64_e32 v65, v[75:76]
	v_add_f64 v[75:76], v[30:31], v[58:59]
	v_min3_f32 v63, v65, v63, v222
	v_add_f64 v[64:65], v[32:33], v[60:61]
	v_cvt_f32_f64_e32 v75, v[75:76]
	v_cvt_f32_f64_e32 v64, v[64:65]
	;; [unrolled: 1-line block ×3, first 2 shown]
	v_add_f64 v[79:80], v[18:19], v[58:59]
	v_min3_f32 v64, v75, v64, v219
	v_add_f64 v[75:76], v[28:29], v[60:61]
	v_cvt_f32_f64_e32 v77, v[79:80]
	v_add_f64 v[79:80], v[14:15], v[58:59]
	v_cvt_f32_f64_e32 v75, v[75:76]
	v_cvt_f32_f64_e32 v79, v[79:80]
	v_min3_f32 v65, v65, v75, v217
	v_add_f64 v[75:76], v[20:21], v[60:61]
	v_cvt_f32_f64_e32 v75, v[75:76]
	v_min3_f32 v75, v77, v75, v216
	v_add_f64 v[76:77], v[16:17], v[60:61]
	v_cvt_f32_f64_e32 v76, v[76:77]
	v_cvt_f32_f64_e32 v77, v[83:84]
	v_add_f64 v[83:84], v[6:7], v[58:59]
	v_add_f64 v[58:59], v[2:3], v[58:59]
	v_min3_f32 v76, v79, v76, v214
	v_add_f64 v[79:80], v[12:13], v[60:61]
	v_cvt_f32_f64_e32 v81, v[83:84]
	v_cvt_f32_f64_e32 v58, v[58:59]
	v_add_f64 v[83:84], v[26:27], v[54:55]
	v_cvt_f32_f64_e32 v79, v[79:80]
	v_min3_f32 v77, v77, v79, v212
	v_add_f64 v[79:80], v[8:9], v[60:61]
	v_add_f64 v[60:61], v[4:5], v[60:61]
	v_cvt_f32_f64_e32 v79, v[79:80]
	v_cvt_f32_f64_e32 v59, v[60:61]
	v_min3_f32 v79, v81, v79, v213
	v_min3_f32 v58, v58, v59, v211
	v_add_f64 v[59:60], v[36:37], v[56:57]
	v_add_f64 v[80:81], v[34:35], v[54:55]
	v_cvt_f32_f64_e32 v59, v[59:60]
	v_cvt_f32_f64_e32 v61, v[80:81]
	v_add_f64 v[80:81], v[30:31], v[54:55]
	v_min3_f32 v59, v61, v59, v210
	v_add_f64 v[60:61], v[32:33], v[56:57]
	v_cvt_f32_f64_e32 v80, v[80:81]
	v_cvt_f32_f64_e32 v60, v[60:61]
	;; [unrolled: 1-line block ×3, first 2 shown]
	v_add_f64 v[83:84], v[18:19], v[54:55]
	v_min3_f32 v60, v80, v60, v208
	v_add_f64 v[80:81], v[28:29], v[56:57]
	v_cvt_f32_f64_e32 v83, v[83:84]
	v_cvt_f32_f64_e32 v80, v[80:81]
	v_min3_f32 v61, v61, v80, v209
	v_add_f64 v[80:81], v[20:21], v[56:57]
	v_cvt_f32_f64_e32 v80, v[80:81]
	v_cvt_f32_f64_e32 v81, v[87:88]
	v_add_f64 v[87:88], v[10:11], v[54:55]
	v_min3_f32 v80, v83, v80, v206
	v_add_f64 v[83:84], v[16:17], v[56:57]
	v_cvt_f32_f64_e32 v85, v[87:88]
	v_add_f64 v[87:88], v[6:7], v[54:55]
	v_add_f64 v[54:55], v[2:3], v[54:55]
	v_cvt_f32_f64_e32 v83, v[83:84]
	v_cvt_f32_f64_e32 v87, v[87:88]
	;; [unrolled: 1-line block ×3, first 2 shown]
	v_min3_f32 v81, v81, v83, v207
	v_add_f64 v[83:84], v[12:13], v[56:57]
	v_cvt_f32_f64_e32 v83, v[83:84]
	v_min3_f32 v83, v85, v83, v204
	v_add_f64 v[84:85], v[8:9], v[56:57]
	v_add_f64 v[56:57], v[4:5], v[56:57]
	v_cvt_f32_f64_e32 v84, v[84:85]
	v_cvt_f32_f64_e32 v55, v[56:57]
	v_min3_f32 v84, v87, v84, v205
	v_min3_f32 v54, v54, v55, v202
	v_add_f64 v[55:56], v[36:37], v[52:53]
	v_add_f64 v[87:88], v[34:35], v[50:51]
	v_cvt_f32_f64_e32 v55, v[55:56]
	v_cvt_f32_f64_e32 v57, v[87:88]
	v_add_f64 v[87:88], v[30:31], v[50:51]
	v_min3_f32 v55, v57, v55, v203
	v_add_f64 v[56:57], v[32:33], v[52:53]
	v_cvt_f32_f64_e32 v85, v[87:88]
	v_add_f64 v[87:88], v[28:29], v[52:53]
	v_cvt_f32_f64_e32 v56, v[56:57]
	v_cvt_f32_f64_e32 v57, v[91:92]
	v_add_f64 v[91:92], v[18:19], v[50:51]
	v_min3_f32 v56, v85, v56, v200
	v_cvt_f32_f64_e32 v85, v[87:88]
	v_add_f64 v[87:88], v[20:21], v[52:53]
	v_min3_f32 v57, v57, v85, v201
	v_cvt_f32_f64_e32 v85, v[91:92]
	v_cvt_f32_f64_e32 v87, v[87:88]
	v_add_f64 v[91:92], v[14:15], v[50:51]
	v_min3_f32 v85, v85, v87, v118
	v_add_f64 v[87:88], v[16:17], v[52:53]
	v_cvt_f32_f64_e32 v89, v[91:92]
	v_add_f64 v[91:92], v[10:11], v[50:51]
	v_add_f64 v[50:51], v[2:3], v[50:51]
	v_cvt_f32_f64_e32 v87, v[87:88]
	v_cvt_f32_f64_e32 v91, v[91:92]
	;; [unrolled: 1-line block ×3, first 2 shown]
	v_min3_f32 v87, v89, v87, v119
	v_add_f64 v[88:89], v[12:13], v[52:53]
	v_cvt_f32_f64_e32 v88, v[88:89]
	v_cvt_f32_f64_e32 v89, v[95:96]
	v_add_f64 v[95:96], v[26:27], v[46:47]
	v_min3_f32 v88, v91, v88, v120
	v_add_f64 v[91:92], v[8:9], v[52:53]
	v_add_f64 v[52:53], v[4:5], v[52:53]
	v_cvt_f32_f64_e32 v91, v[91:92]
	v_cvt_f32_f64_e32 v51, v[52:53]
	v_min3_f32 v89, v89, v91, v121
	v_min3_f32 v50, v50, v51, v114
	v_add_f64 v[51:52], v[36:37], v[48:49]
	v_add_f64 v[91:92], v[34:35], v[46:47]
	v_cvt_f32_f64_e32 v51, v[51:52]
	v_cvt_f32_f64_e32 v53, v[91:92]
	v_add_f64 v[91:92], v[30:31], v[46:47]
	v_min3_f32 v51, v53, v51, v115
	v_add_f64 v[52:53], v[32:33], v[48:49]
	v_cvt_f32_f64_e32 v91, v[91:92]
	v_cvt_f32_f64_e32 v52, v[52:53]
	;; [unrolled: 1-line block ×3, first 2 shown]
	v_add_f64 v[95:96], v[18:19], v[46:47]
	v_min3_f32 v52, v91, v52, v116
	v_add_f64 v[91:92], v[28:29], v[48:49]
	v_cvt_f32_f64_e32 v93, v[95:96]
	v_add_f64 v[95:96], v[14:15], v[46:47]
	v_cvt_f32_f64_e32 v91, v[91:92]
	v_cvt_f32_f64_e32 v95, v[95:96]
	v_min3_f32 v53, v53, v91, v117
	v_add_f64 v[91:92], v[20:21], v[48:49]
	v_cvt_f32_f64_e32 v91, v[91:92]
	v_min3_f32 v91, v93, v91, v122
	v_add_f64 v[92:93], v[16:17], v[48:49]
	v_cvt_f32_f64_e32 v92, v[92:93]
	v_cvt_f32_f64_e32 v93, v[99:100]
	v_add_f64 v[99:100], v[6:7], v[46:47]
	v_add_f64 v[46:47], v[2:3], v[46:47]
	v_min3_f32 v92, v95, v92, v123
	v_add_f64 v[95:96], v[12:13], v[48:49]
	v_cvt_f32_f64_e32 v46, v[46:47]
	v_cvt_f32_f64_e32 v95, v[95:96]
	v_min3_f32 v153, v93, v95, v124
	v_add_f64 v[95:96], v[8:9], v[48:49]
	v_add_f64 v[48:49], v[4:5], v[48:49]
	v_cvt_f32_f64_e32 v93, v[99:100]
	v_add_f64 v[99:100], v[26:27], v[42:43]
	v_cvt_f32_f64_e32 v95, v[95:96]
	v_cvt_f32_f64_e32 v47, v[48:49]
	v_min3_f32 v154, v93, v95, v125
	v_min3_f32 v46, v46, v47, v112
	v_add_f64 v[47:48], v[36:37], v[44:45]
	v_add_f64 v[95:96], v[34:35], v[42:43]
	v_cvt_f32_f64_e32 v47, v[47:48]
	v_cvt_f32_f64_e32 v49, v[95:96]
	v_add_f64 v[95:96], v[30:31], v[42:43]
	v_min3_f32 v47, v49, v47, v113
	v_add_f64 v[48:49], v[32:33], v[44:45]
	v_cvt_f32_f64_e32 v93, v[95:96]
	v_add_f64 v[95:96], v[28:29], v[44:45]
	v_cvt_f32_f64_e32 v48, v[48:49]
	v_cvt_f32_f64_e32 v49, v[99:100]
	v_add_f64 v[99:100], v[18:19], v[42:43]
	v_min3_f32 v48, v93, v48, v126
	v_cvt_f32_f64_e32 v93, v[95:96]
	v_add_f64 v[95:96], v[20:21], v[44:45]
	v_min3_f32 v49, v49, v93, v127
	v_cvt_f32_f64_e32 v93, v[99:100]
	v_cvt_f32_f64_e32 v95, v[95:96]
	v_add_f64 v[99:100], v[14:15], v[42:43]
	v_min3_f32 v155, v93, v95, v128
	v_add_f64 v[95:96], v[16:17], v[44:45]
	v_cvt_f32_f64_e32 v93, v[99:100]
	v_add_f64 v[99:100], v[10:11], v[42:43]
	v_cvt_f32_f64_e32 v95, v[95:96]
	v_min3_f32 v156, v93, v95, v129
	v_add_f64 v[95:96], v[12:13], v[44:45]
	v_cvt_f32_f64_e32 v93, v[99:100]
	v_add_f64 v[99:100], v[6:7], v[42:43]
	v_add_f64 v[42:43], v[2:3], v[42:43]
	v_cvt_f32_f64_e32 v95, v[95:96]
	v_cvt_f32_f64_e32 v42, v[42:43]
	v_min3_f32 v148, v93, v95, v148
	v_add_f64 v[95:96], v[8:9], v[44:45]
	v_add_f64 v[44:45], v[4:5], v[44:45]
	v_cvt_f32_f64_e32 v93, v[99:100]
	v_add_f64 v[99:100], v[26:27], v[38:39]
	v_add_f64 v[26:27], v[26:27], v[22:23]
	v_cvt_f32_f64_e32 v95, v[95:96]
	v_cvt_f32_f64_e32 v43, v[44:45]
	;; [unrolled: 1-line block ×3, first 2 shown]
	v_min3_f32 v149, v93, v95, v149
	v_min3_f32 v42, v42, v43, v169
	v_add_f64 v[43:44], v[36:37], v[40:41]
	v_add_f64 v[95:96], v[34:35], v[38:39]
	;; [unrolled: 1-line block ×4, first 2 shown]
	v_cvt_f32_f64_e32 v43, v[43:44]
	v_cvt_f32_f64_e32 v45, v[95:96]
	v_add_f64 v[95:96], v[30:31], v[38:39]
	v_add_f64 v[30:31], v[30:31], v[22:23]
	v_cvt_f32_f64_e32 v34, v[34:35]
	v_cvt_f32_f64_e32 v35, v[36:37]
	v_min3_f32 v43, v45, v43, v175
	v_add_f64 v[44:45], v[32:33], v[40:41]
	v_cvt_f32_f64_e32 v93, v[95:96]
	v_add_f64 v[95:96], v[28:29], v[40:41]
	v_add_f64 v[32:33], v[32:33], v[24:25]
	;; [unrolled: 1-line block ×3, first 2 shown]
	v_cvt_f32_f64_e32 v30, v[30:31]
	v_min3_f32 v196, v34, v35, v98
	v_cvt_f32_f64_e32 v44, v[44:45]
	v_cvt_f32_f64_e32 v45, v[99:100]
	v_add_f64 v[99:100], v[18:19], v[38:39]
	v_add_f64 v[18:19], v[18:19], v[22:23]
	v_cvt_f32_f64_e32 v31, v[32:33]
	v_cvt_f32_f64_e32 v27, v[28:29]
	v_min3_f32 v44, v93, v44, v106
	v_cvt_f32_f64_e32 v93, v[95:96]
	v_add_f64 v[95:96], v[20:21], v[40:41]
	v_add_f64 v[20:21], v[20:21], v[24:25]
	v_cvt_f32_f64_e32 v18, v[18:19]
	v_min3_f32 v197, v30, v31, v94
	v_min3_f32 v198, v26, v27, v90
	;; [unrolled: 1-line block ×3, first 2 shown]
	v_cvt_f32_f64_e32 v93, v[99:100]
	v_cvt_f32_f64_e32 v95, v[95:96]
	v_add_f64 v[99:100], v[14:15], v[38:39]
	v_add_f64 v[14:15], v[14:15], v[22:23]
	v_cvt_f32_f64_e32 v19, v[20:21]
	v_min3_f32 v157, v93, v95, v108
	v_add_f64 v[95:96], v[16:17], v[40:41]
	v_cvt_f32_f64_e32 v93, v[99:100]
	v_add_f64 v[99:100], v[10:11], v[38:39]
	v_add_f64 v[16:17], v[16:17], v[24:25]
	;; [unrolled: 1-line block ×3, first 2 shown]
	v_cvt_f32_f64_e32 v14, v[14:15]
	v_min3_f32 v199, v18, v19, v86
	v_cvt_f32_f64_e32 v95, v[95:96]
	v_cvt_f32_f64_e32 v15, v[16:17]
	v_cvt_f32_f64_e32 v10, v[10:11]
	v_min3_f32 v158, v93, v95, v109
	v_add_f64 v[95:96], v[12:13], v[40:41]
	v_cvt_f32_f64_e32 v93, v[99:100]
	v_add_f64 v[99:100], v[6:7], v[38:39]
	v_add_f64 v[38:39], v[2:3], v[38:39]
	;; [unrolled: 1-line block ×5, first 2 shown]
	v_min3_f32 v200, v14, v15, v82
	v_cvt_f32_f64_e32 v95, v[95:96]
	v_cvt_f32_f64_e32 v38, v[38:39]
	v_cvt_f32_f64_e32 v11, v[12:13]
	v_cvt_f32_f64_e32 v6, v[6:7]
	v_cvt_f32_f64_e32 v2, v[2:3]
	v_min3_f32 v159, v93, v95, v110
	v_add_f64 v[95:96], v[8:9], v[40:41]
	v_add_f64 v[40:41], v[4:5], v[40:41]
	v_add_f64 v[8:9], v[8:9], v[24:25]
	v_add_f64 v[4:5], v[4:5], v[24:25]
	v_cvt_f32_f64_e32 v93, v[99:100]
	v_min3_f32 v201, v10, v11, v78
	v_cvt_f32_f64_e32 v95, v[95:96]
	v_cvt_f32_f64_e32 v39, v[40:41]
	;; [unrolled: 1-line block ×4, first 2 shown]
	v_min3_f32 v169, v93, v95, v111
	v_min3_f32 v175, v38, v39, v102
	;; [unrolled: 1-line block ×4, first 2 shown]
	ds_read_b128 v[6:9], v170 offset:256
	ds_read_b128 v[10:13], v170 offset:512
	;; [unrolled: 1-line block ×14, first 2 shown]
	ds_read_b128 v[97:100], v150
	ds_read_b128 v[34:37], v150 offset:16
	ds_read_b128 v[192:195], v170
	ds_read_b128 v[2:5], v170 offset:16
	s_waitcnt lgkmcnt(1)
	v_add_f64 v[101:102], v[194:195], v[99:100]
	v_add_f64 v[103:104], v[192:193], v[97:98]
	v_cvt_f32_f64_e32 v73, v[101:102]
	v_cvt_f32_f64_e32 v71, v[103:104]
	v_add_f64 v[101:102], v[8:9], v[99:100]
	v_add_f64 v[103:104], v[6:7], v[97:98]
	v_min3_f32 v129, v71, v73, v66
	v_cvt_f32_f64_e32 v71, v[101:102]
	v_cvt_f32_f64_e32 v66, v[103:104]
	v_add_f64 v[101:102], v[10:11], v[97:98]
	v_min3_f32 v128, v66, v71, v67
	v_add_f64 v[66:67], v[12:13], v[99:100]
	v_cvt_f32_f64_e32 v71, v[101:102]
	v_add_f64 v[101:102], v[14:15], v[97:98]
	v_cvt_f32_f64_e32 v66, v[66:67]
	v_min3_f32 v127, v71, v66, v68
	v_add_f64 v[66:67], v[16:17], v[99:100]
	v_cvt_f32_f64_e32 v68, v[101:102]
	v_cvt_f32_f64_e32 v66, v[66:67]
	v_min3_f32 v126, v68, v66, v69
	v_add_f64 v[66:67], v[20:21], v[99:100]
	v_add_f64 v[68:69], v[18:19], v[97:98]
	v_cvt_f32_f64_e32 v66, v[66:67]
	v_cvt_f32_f64_e32 v68, v[68:69]
	v_min3_f32 v125, v68, v66, v70
	v_add_f64 v[66:67], v[24:25], v[99:100]
	;; [unrolled: 5-line block ×11, first 2 shown]
	v_add_f64 v[64:65], v[26:27], v[38:39]
	v_add_f64 v[40:41], v[32:33], v[40:41]
	;; [unrolled: 1-line block ×3, first 2 shown]
	v_cvt_f32_f64_e32 v62, v[62:63]
	v_cvt_f32_f64_e32 v64, v[64:65]
	v_cvt_f32_f64_e32 v38, v[38:39]
	v_cvt_f32_f64_e32 v39, v[40:41]
	v_add_f64 v[40:41], v[192:193], v[93:94]
	v_min3_f32 v115, v64, v62, v79
	v_min3_f32 v114, v38, v39, v58
	v_add_f64 v[38:39], v[194:195], v[95:96]
	v_cvt_f32_f64_e32 v40, v[40:41]
	v_cvt_f32_f64_e32 v38, v[38:39]
	v_min3_f32 v113, v40, v38, v59
	v_add_f64 v[38:39], v[8:9], v[95:96]
	v_add_f64 v[40:41], v[6:7], v[93:94]
	v_cvt_f32_f64_e32 v38, v[38:39]
	v_cvt_f32_f64_e32 v40, v[40:41]
	v_min3_f32 v112, v40, v38, v60
	v_add_f64 v[38:39], v[12:13], v[95:96]
	;; [unrolled: 5-line block ×23, first 2 shown]
	v_add_f64 v[40:41], v[30:31], v[164:165]
	s_waitcnt lgkmcnt(0)
	v_add_f64 v[153:154], v[2:3], v[34:35]
	v_cvt_f32_f64_e32 v38, v[38:39]
	v_cvt_f32_f64_e32 v40, v[40:41]
	;; [unrolled: 1-line block ×3, first 2 shown]
	v_min3_f32 v90, v40, v38, v46
	v_add_f64 v[38:39], v[194:195], v[182:183]
	v_add_f64 v[40:41], v[192:193], v[180:181]
	v_cvt_f32_f64_e32 v38, v[38:39]
	v_cvt_f32_f64_e32 v40, v[40:41]
	v_min3_f32 v89, v40, v38, v47
	v_add_f64 v[38:39], v[8:9], v[182:183]
	v_add_f64 v[40:41], v[6:7], v[180:181]
	v_cvt_f32_f64_e32 v38, v[38:39]
	v_cvt_f32_f64_e32 v40, v[40:41]
	;; [unrolled: 5-line block ×7, first 2 shown]
	v_min3_f32 v83, v40, v38, v149
	v_add_f64 v[38:39], v[32:33], v[182:183]
	v_add_f64 v[40:41], v[30:31], v[180:181]
	;; [unrolled: 1-line block ×3, first 2 shown]
	v_cvt_f32_f64_e32 v38, v[38:39]
	v_cvt_f32_f64_e32 v40, v[40:41]
	;; [unrolled: 1-line block ×3, first 2 shown]
	v_min3_f32 v82, v40, v38, v42
	v_add_f64 v[38:39], v[194:195], v[186:187]
	v_add_f64 v[40:41], v[192:193], v[184:185]
	v_min3_f32 v226, v153, v148, v129
	v_cvt_f32_f64_e32 v38, v[38:39]
	v_cvt_f32_f64_e32 v40, v[40:41]
	v_min3_f32 v81, v40, v38, v43
	v_add_f64 v[38:39], v[8:9], v[186:187]
	v_add_f64 v[40:41], v[6:7], v[184:185]
	;; [unrolled: 1-line block ×4, first 2 shown]
	v_cvt_f32_f64_e32 v38, v[38:39]
	v_cvt_f32_f64_e32 v40, v[40:41]
	;; [unrolled: 1-line block ×4, first 2 shown]
	v_add_f64 v[8:9], v[10:11], v[188:189]
	v_min3_f32 v80, v40, v38, v44
	v_add_f64 v[38:39], v[12:13], v[186:187]
	v_add_f64 v[40:41], v[10:11], v[184:185]
	v_min3_f32 v72, v6, v7, v197
	v_add_f64 v[6:7], v[12:13], v[190:191]
	v_cvt_f32_f64_e32 v8, v[8:9]
	v_cvt_f32_f64_e32 v38, v[38:39]
	v_cvt_f32_f64_e32 v40, v[40:41]
	v_cvt_f32_f64_e32 v6, v[6:7]
	v_min3_f32 v79, v40, v38, v45
	v_add_f64 v[38:39], v[16:17], v[186:187]
	v_add_f64 v[40:41], v[14:15], v[184:185]
	v_min3_f32 v71, v8, v6, v198
	v_add_f64 v[6:7], v[16:17], v[190:191]
	v_add_f64 v[8:9], v[14:15], v[188:189]
	v_cvt_f32_f64_e32 v38, v[38:39]
	v_cvt_f32_f64_e32 v40, v[40:41]
	v_cvt_f32_f64_e32 v6, v[6:7]
	v_cvt_f32_f64_e32 v8, v[8:9]
	v_min3_f32 v78, v40, v38, v157
	v_add_f64 v[38:39], v[20:21], v[186:187]
	v_add_f64 v[40:41], v[18:19], v[184:185]
	v_min3_f32 v70, v8, v6, v199
	v_add_f64 v[6:7], v[20:21], v[190:191]
	;; [unrolled: 10-line block ×5, first 2 shown]
	v_add_f64 v[8:9], v[30:31], v[188:189]
	v_cvt_f32_f64_e32 v38, v[38:39]
	v_cvt_f32_f64_e32 v40, v[40:41]
	;; [unrolled: 1-line block ×4, first 2 shown]
	v_min3_f32 v74, v40, v38, v175
	v_add_f64 v[38:39], v[194:195], v[190:191]
	v_add_f64 v[40:41], v[192:193], v[188:189]
	v_min3_f32 v66, v8, v6, v203
	v_cvt_f32_f64_e32 v38, v[38:39]
	v_cvt_f32_f64_e32 v40, v[40:41]
	v_min3_f32 v73, v40, v38, v196
	ds_read_b128 v[22:25], v170 offset:272
	ds_read_b128 v[18:21], v170 offset:528
	;; [unrolled: 1-line block ×14, first 2 shown]
	ds_write_b64 v171, v[138:139]
	ds_write2st64_b64 v172, v[142:143], v[144:145] offset1:4
	ds_write2st64_b64 v172, v[140:141], v[146:147] offset0:8 offset1:12
	s_waitcnt lgkmcnt(0)
	s_barrier
	buffer_gl0_inv
	v_add_f64 v[148:149], v[24:25], v[36:37]
	v_add_f64 v[153:154], v[22:23], v[34:35]
	v_cvt_f32_f64_e32 v148, v[148:149]
	v_cvt_f32_f64_e32 v129, v[153:154]
	v_min3_f32 v224, v129, v148, v128
	v_add_f64 v[128:129], v[20:21], v[36:37]
	v_add_f64 v[148:149], v[18:19], v[34:35]
	v_cvt_f32_f64_e32 v128, v[128:129]
	v_cvt_f32_f64_e32 v148, v[148:149]
	v_min3_f32 v225, v148, v128, v127
	v_add_f64 v[127:128], v[16:17], v[36:37]
	v_add_f64 v[148:149], v[14:15], v[34:35]
	v_cvt_f32_f64_e32 v127, v[127:128]
	v_cvt_f32_f64_e32 v129, v[148:149]
	v_min3_f32 v222, v129, v127, v126
	v_add_f64 v[126:127], v[12:13], v[36:37]
	v_add_f64 v[128:129], v[10:11], v[34:35]
	v_cvt_f32_f64_e32 v126, v[126:127]
	v_cvt_f32_f64_e32 v128, v[128:129]
	v_min3_f32 v223, v128, v126, v125
	v_add_f64 v[125:126], v[8:9], v[36:37]
	v_add_f64 v[127:128], v[6:7], v[34:35]
	v_cvt_f32_f64_e32 v125, v[125:126]
	v_cvt_f32_f64_e32 v127, v[127:128]
	v_min3_f32 v220, v127, v125, v124
	v_add_f64 v[124:125], v[32:33], v[36:37]
	v_add_f64 v[126:127], v[30:31], v[34:35]
	;; [unrolled: 1-line block ×4, first 2 shown]
	v_cvt_f32_f64_e32 v124, v[124:125]
	v_cvt_f32_f64_e32 v126, v[126:127]
	;; [unrolled: 1-line block ×4, first 2 shown]
	v_add_f64 v[36:37], v[2:3], v[62:63]
	v_min3_f32 v221, v126, v124, v123
	v_min3_f32 v218, v34, v35, v122
	v_add_f64 v[34:35], v[4:5], v[64:65]
	v_cvt_f32_f64_e32 v36, v[36:37]
	v_cvt_f32_f64_e32 v34, v[34:35]
	v_min3_f32 v219, v36, v34, v121
	v_add_f64 v[34:35], v[24:25], v[64:65]
	v_add_f64 v[36:37], v[22:23], v[62:63]
	v_cvt_f32_f64_e32 v34, v[34:35]
	v_cvt_f32_f64_e32 v36, v[36:37]
	v_min3_f32 v216, v36, v34, v120
	v_add_f64 v[34:35], v[20:21], v[64:65]
	;; [unrolled: 5-line block ×40, first 2 shown]
	v_add_f64 v[36:37], v[2:3], v[42:43]
	v_add_f64 v[4:5], v[4:5], v[40:41]
	;; [unrolled: 1-line block ×3, first 2 shown]
	v_cvt_f32_f64_e32 v34, v[34:35]
	v_cvt_f32_f64_e32 v36, v[36:37]
	;; [unrolled: 1-line block ×4, first 2 shown]
	v_add_f64 v[4:5], v[22:23], v[38:39]
	v_min3_f32 v175, v36, v34, v81
	v_add_f64 v[34:35], v[24:25], v[44:45]
	v_add_f64 v[36:37], v[22:23], v[42:43]
	v_min3_f32 v160, v2, v3, v73
	v_add_f64 v[2:3], v[24:25], v[40:41]
	v_cvt_f32_f64_e32 v4, v[4:5]
	v_cvt_f32_f64_e32 v34, v[34:35]
	v_cvt_f32_f64_e32 v36, v[36:37]
	v_cvt_f32_f64_e32 v2, v[2:3]
	v_min3_f32 v166, v36, v34, v80
	v_add_f64 v[34:35], v[20:21], v[44:45]
	v_add_f64 v[36:37], v[18:19], v[42:43]
	v_min3_f32 v159, v4, v2, v72
	v_add_f64 v[2:3], v[20:21], v[40:41]
	v_add_f64 v[4:5], v[18:19], v[38:39]
	v_cvt_f32_f64_e32 v34, v[34:35]
	v_cvt_f32_f64_e32 v36, v[36:37]
	v_cvt_f32_f64_e32 v2, v[2:3]
	v_cvt_f32_f64_e32 v4, v[4:5]
	v_min3_f32 v167, v36, v34, v79
	v_add_f64 v[34:35], v[16:17], v[44:45]
	v_add_f64 v[36:37], v[14:15], v[42:43]
	v_min3_f32 v158, v4, v2, v71
	v_add_f64 v[2:3], v[16:17], v[40:41]
	;; [unrolled: 10-line block ×6, first 2 shown]
	v_add_f64 v[4:5], v[26:27], v[38:39]
	v_cvt_f32_f64_e32 v34, v[34:35]
	v_cvt_f32_f64_e32 v36, v[36:37]
	;; [unrolled: 1-line block ×4, first 2 shown]
	v_min3_f32 v161, v36, v34, v74
	v_min3_f32 v153, v4, v2, v66
	s_cbranch_scc1 .LBB119_35
.LBB119_23:                             ; =>This Inner Loop Header: Depth=1
	v_mov_b32_e32 v140, 0
	v_mov_b32_e32 v142, 0
	v_mov_b32_e32 v141, 0
	v_mov_b32_e32 v143, 0
	s_and_b32 vcc_lo, exec_lo, s1
	s_cbranch_vccnz .LBB119_25
; %bb.24:                               ;   in Loop: Header=BB119_23 Depth=1
	v_add_co_u32 v2, vcc_lo, v176, v136
	v_add_co_ci_u32_e64 v3, null, v177, v137, vcc_lo
	flat_load_dwordx2 v[2:3], v[2:3]
	s_waitcnt vmcnt(0) lgkmcnt(0)
	v_mul_f64 v[142:143], s[8:9], v[2:3]
.LBB119_25:                             ;   in Loop: Header=BB119_23 Depth=1
	v_mov_b32_e32 v144, 0
	v_mov_b32_e32 v145, 0
	s_and_b32 vcc_lo, exec_lo, s1
	s_cbranch_vccnz .LBB119_27
; %bb.26:                               ;   in Loop: Header=BB119_23 Depth=1
	v_add_co_u32 v2, vcc_lo, v178, v134
	v_add_co_ci_u32_e64 v3, null, v179, v135, vcc_lo
	s_clause 0x1
	flat_load_dwordx2 v[4:5], v[2:3]
	flat_load_dwordx2 v[2:3], v[2:3] offset:512
	s_waitcnt vmcnt(1) lgkmcnt(1)
	v_mul_f64 v[140:141], s[8:9], v[4:5]
	s_waitcnt vmcnt(0) lgkmcnt(0)
	v_mul_f64 v[144:145], s[8:9], v[2:3]
.LBB119_27:                             ;   in Loop: Header=BB119_23 Depth=1
	v_mov_b32_e32 v138, 0
	v_mov_b32_e32 v146, 0
	;; [unrolled: 1-line block ×6, first 2 shown]
	s_and_b32 vcc_lo, exec_lo, s1
	s_cbranch_vccnz .LBB119_29
; %bb.28:                               ;   in Loop: Header=BB119_23 Depth=1
	v_add_co_u32 v2, vcc_lo, v178, v134
	v_add_co_ci_u32_e64 v3, null, v179, v135, vcc_lo
	s_clause 0x1
	flat_load_dwordx2 v[4:5], v[2:3] offset:1024
	flat_load_dwordx2 v[2:3], v[2:3] offset:1536
	s_waitcnt vmcnt(1) lgkmcnt(1)
	v_mul_f64 v[146:147], s[8:9], v[4:5]
	s_waitcnt vmcnt(0) lgkmcnt(0)
	v_mul_f64 v[148:149], s[8:9], v[2:3]
.LBB119_29:                             ;   in Loop: Header=BB119_23 Depth=1
	ds_read_b128 v[126:129], v174
	ds_read_b128 v[62:65], v174 offset:16
	ds_read_b128 v[98:101], v173
	ds_read_b128 v[34:37], v173 offset:16
	ds_read_b128 v[94:97], v173 offset:256
	;; [unrolled: 1-line block ×29, first 2 shown]
	s_and_b32 vcc_lo, exec_lo, s1
	ds_write_b64 v168, v[142:143]
	ds_write2st64_b64 v152, v[140:141], v[144:145] offset1:4
	ds_write2st64_b64 v152, v[146:147], v[148:149] offset0:8 offset1:12
	s_waitcnt lgkmcnt(0)
	s_barrier
	buffer_gl0_inv
	s_cbranch_vccnz .LBB119_31
; %bb.30:                               ;   in Loop: Header=BB119_23 Depth=1
	v_add_co_u32 v138, vcc_lo, v176, v130
	v_add_co_ci_u32_e64 v139, null, v177, v131, vcc_lo
	flat_load_dwordx2 v[138:139], v[138:139]
	s_waitcnt vmcnt(0) lgkmcnt(0)
	v_mul_f64 v[138:139], s[8:9], v[138:139]
.LBB119_31:                             ;   in Loop: Header=BB119_23 Depth=1
	v_mov_b32_e32 v140, 0
	v_mov_b32_e32 v142, 0
	;; [unrolled: 1-line block ×6, first 2 shown]
	s_and_b32 vcc_lo, exec_lo, s1
	s_cbranch_vccnz .LBB119_33
; %bb.32:                               ;   in Loop: Header=BB119_23 Depth=1
	v_add_co_u32 v142, vcc_lo, v178, v132
	v_add_co_ci_u32_e64 v143, null, v179, v133, vcc_lo
	s_clause 0x1
	flat_load_dwordx2 v[144:145], v[142:143]
	flat_load_dwordx2 v[146:147], v[142:143] offset:512
	s_waitcnt vmcnt(1) lgkmcnt(1)
	v_mul_f64 v[142:143], s[8:9], v[144:145]
	s_waitcnt vmcnt(0) lgkmcnt(0)
	v_mul_f64 v[144:145], s[8:9], v[146:147]
.LBB119_33:                             ;   in Loop: Header=BB119_23 Depth=1
	v_mov_b32_e32 v146, 0
	v_mov_b32_e32 v147, 0
	s_and_b32 vcc_lo, exec_lo, s1
	s_cbranch_vccnz .LBB119_22
; %bb.34:                               ;   in Loop: Header=BB119_23 Depth=1
	v_add_co_u32 v140, vcc_lo, v178, v132
	v_add_co_ci_u32_e64 v141, null, v179, v133, vcc_lo
	s_clause 0x1
	flat_load_dwordx2 v[146:147], v[140:141] offset:1024
	flat_load_dwordx2 v[148:149], v[140:141] offset:1536
	s_waitcnt vmcnt(1) lgkmcnt(1)
	v_mul_f64 v[140:141], s[8:9], v[146:147]
	s_waitcnt vmcnt(0) lgkmcnt(0)
	v_mul_f64 v[146:147], s[8:9], v[148:149]
	s_branch .LBB119_22
.LBB119_35:
	ds_read_b128 v[126:129], v150 offset:8192
	ds_read_b128 v[70:73], v151 offset:18432
	;; [unrolled: 1-line block ×4, first 2 shown]
	s_clause 0x2
	s_load_dword s1, s[4:5], 0x58
	s_load_dword s6, s[4:5], 0x70
	s_load_dwordx2 s[4:5], s[4:5], 0x78
	ds_read_b128 v[62:65], v151 offset:18688
	ds_read_b128 v[58:61], v151 offset:18704
	;; [unrolled: 1-line block ×23, first 2 shown]
	v_add_nc_u32_e32 v144, s23, v1
	ds_read_b128 v[82:85], v150 offset:13328
	v_add_nc_u32_e32 v138, s22, v0
	s_mov_b32 s7, -1
	v_ashrrev_i32_e32 v139, 31, v138
	v_add_nc_u32_e32 v0, 8, v138
	v_ashrrev_i32_e32 v1, 31, v0
	s_waitcnt lgkmcnt(0)
	v_add_f64 v[10:11], v[70:71], v[126:127]
	v_add_f64 v[12:13], v[72:73], v[128:129]
	;; [unrolled: 1-line block ×4, first 2 shown]
	v_mad_i64_i32 v[130:131], null, v144, s6, 0
	v_mad_i64_i32 v[132:133], null, v144, s1, 0
	s_lshl_b64 s[4:5], s[4:5], 3
	s_add_u32 s4, s12, s4
	s_addc_u32 s5, s13, s5
	v_lshlrev_b64 v[130:131], 3, v[130:131]
	v_lshlrev_b64 v[132:133], 3, v[132:133]
	v_add_co_u32 v145, vcc_lo, s4, v130
	v_add_co_ci_u32_e64 v146, null, s5, v131, vcc_lo
	v_cvt_f32_f64_e32 v134, v[10:11]
	v_cvt_f32_f64_e32 v135, v[12:13]
	v_cvt_f32_f64_e32 v136, v[14:15]
	v_cvt_f32_f64_e32 v137, v[16:17]
	ds_read_b128 v[78:81], v150 offset:14336
	ds_read_b128 v[74:77], v150 offset:14352
	;; [unrolled: 1-line block ×4, first 2 shown]
	v_add_co_u32 v147, vcc_lo, s10, v132
	v_add_co_ci_u32_e64 v148, null, s11, v133, vcc_lo
	s_mov_b32 vcc_lo, s0
	v_min3_f32 v134, v134, v135, v226
	v_min3_f32 v130, v136, v137, v134
	v_lshlrev_b64 v[134:135], 3, v[138:139]
	v_max_f32_e32 v131, v130, v130
	s_cbranch_vccz .LBB119_37
; %bb.36:
	v_min_f32_e32 v130, 0, v131
	v_add_co_u32 v136, vcc_lo, v145, v134
	v_add_co_ci_u32_e64 v137, null, v146, v135, vcc_lo
	v_cvt_f64_f32_e32 v[132:133], v130
	s_mov_b32 s7, 0
	flat_store_dwordx2 v[136:137], v[132:133]
.LBB119_37:
	v_lshlrev_b64 v[0:1], 3, v[0:1]
	v_mov_b32_e32 v130, 0
	s_andn2_b32 vcc_lo, exec_lo, s7
	s_cbranch_vccnz .LBB119_39
; %bb.38:
	v_add_co_u32 v132, vcc_lo, v147, v134
	v_add_co_ci_u32_e64 v133, null, v148, v135, vcc_lo
	flat_load_dwordx2 v[132:133], v[132:133]
	s_waitcnt vmcnt(0) lgkmcnt(0)
	v_mul_f64 v[132:133], s[2:3], v[132:133]
	v_cvt_f32_f64_e32 v130, v[132:133]
	v_add_co_u32 v132, vcc_lo, v145, v134
	v_add_co_ci_u32_e64 v133, null, v146, v135, vcc_lo
	v_add_co_u32 v136, vcc_lo, v147, v0
	v_add_co_ci_u32_e64 v137, null, v148, v1, vcc_lo
	v_min_f32_e32 v130, v130, v131
	v_cvt_f64_f32_e32 v[130:131], v130
	flat_store_dwordx2 v[132:133], v[130:131]
	flat_load_dwordx2 v[130:131], v[136:137]
	s_waitcnt vmcnt(0) lgkmcnt(0)
	v_mul_f64 v[130:131], s[2:3], v[130:131]
	v_cvt_f32_f64_e32 v130, v[130:131]
.LBB119_39:
	v_add_f64 v[131:132], v[62:63], v[126:127]
	v_add_f64 v[136:137], v[64:65], v[128:129]
	;; [unrolled: 1-line block ×7, first 2 shown]
	s_mov_b32 s7, -1
	v_cvt_f32_f64_e32 v133, v[131:132]
	v_cvt_f32_f64_e32 v136, v[136:137]
	;; [unrolled: 1-line block ×4, first 2 shown]
	v_add_f64 v[131:132], v[52:53], v[124:125]
	v_cvt_f32_f64_e32 v141, v[151:152]
	v_cvt_f32_f64_e32 v142, v[149:150]
	v_cvt_f32_f64_e32 v143, v[170:171]
	v_min3_f32 v133, v133, v136, v224
	v_min_f32_e32 v136, v137, v139
	v_cvt_f32_f64_e32 v131, v[131:132]
	v_add_nc_u32_e32 v132, 16, v138
	v_min3_f32 v130, v130, v136, v133
	v_min3_f32 v136, v141, v142, v225
	v_ashrrev_i32_e32 v133, 31, v132
	v_add_co_u32 v141, vcc_lo, v145, v0
	v_cvt_f64_f32_e32 v[139:140], v130
	v_add_nc_u32_e32 v130, 24, v138
	v_add_co_ci_u32_e64 v142, null, v146, v1, vcc_lo
	s_mov_b32 vcc_lo, s0
	v_min3_f32 v143, v143, v131, v136
	v_lshlrev_b64 v[136:137], 3, v[132:133]
	v_ashrrev_i32_e32 v131, 31, v130
	v_max_f32_e32 v133, v143, v143
	flat_store_dwordx2 v[141:142], v[139:140]
	s_cbranch_vccz .LBB119_41
; %bb.40:
	v_min_f32_e32 v132, 0, v133
	v_add_co_u32 v141, vcc_lo, v145, v136
	v_add_co_ci_u32_e64 v142, null, v146, v137, vcc_lo
	v_cvt_f64_f32_e32 v[139:140], v132
	s_mov_b32 s7, 0
	flat_store_dwordx2 v[141:142], v[139:140]
.LBB119_41:
	v_lshlrev_b64 v[130:131], 3, v[130:131]
	v_mov_b32_e32 v132, 0
	s_andn2_b32 vcc_lo, exec_lo, s7
	s_cbranch_vccnz .LBB119_43
; %bb.42:
	v_add_co_u32 v139, vcc_lo, v147, v136
	v_add_co_ci_u32_e64 v140, null, v148, v137, vcc_lo
	flat_load_dwordx2 v[139:140], v[139:140]
	s_waitcnt vmcnt(0) lgkmcnt(0)
	v_mul_f64 v[139:140], s[2:3], v[139:140]
	v_cvt_f32_f64_e32 v132, v[139:140]
	v_add_co_u32 v139, vcc_lo, v145, v136
	v_add_co_ci_u32_e64 v140, null, v146, v137, vcc_lo
	v_add_co_u32 v141, vcc_lo, v147, v130
	v_add_co_ci_u32_e64 v142, null, v148, v131, vcc_lo
	v_min_f32_e32 v132, v132, v133
	v_cvt_f64_f32_e32 v[132:133], v132
	flat_store_dwordx2 v[139:140], v[132:133]
	flat_load_dwordx2 v[132:133], v[141:142]
	s_waitcnt vmcnt(0) lgkmcnt(0)
	v_mul_f64 v[132:133], s[2:3], v[132:133]
	v_cvt_f32_f64_e32 v132, v[132:133]
.LBB119_43:
	v_add_f64 v[139:140], v[46:47], v[126:127]
	v_add_f64 v[141:142], v[48:49], v[128:129]
	;; [unrolled: 1-line block ×7, first 2 shown]
	s_mov_b32 s7, -1
	v_cvt_f32_f64_e32 v133, v[139:140]
	v_cvt_f32_f64_e32 v141, v[141:142]
	;; [unrolled: 1-line block ×4, first 2 shown]
	v_add_f64 v[139:140], v[36:37], v[124:125]
	v_cvt_f32_f64_e32 v151, v[172:173]
	v_cvt_f32_f64_e32 v152, v[170:171]
	;; [unrolled: 1-line block ×3, first 2 shown]
	v_min3_f32 v133, v133, v141, v222
	v_min_f32_e32 v141, v142, v143
	v_cvt_f32_f64_e32 v142, v[139:140]
	v_add_nc_u32_e32 v139, 32, v138
	v_min3_f32 v132, v132, v141, v133
	v_min3_f32 v133, v151, v152, v223
	v_ashrrev_i32_e32 v140, 31, v139
	v_add_co_u32 v151, vcc_lo, v145, v130
	v_cvt_f64_f32_e32 v[149:150], v132
	v_add_nc_u32_e32 v132, 40, v138
	v_lshlrev_b64 v[140:141], 3, v[139:140]
	v_add_co_ci_u32_e64 v152, null, v146, v131, vcc_lo
	s_mov_b32 vcc_lo, s0
	v_min3_f32 v142, v168, v142, v133
	v_ashrrev_i32_e32 v133, 31, v132
	v_max_f32_e32 v142, v142, v142
	flat_store_dwordx2 v[151:152], v[149:150]
	s_cbranch_vccz .LBB119_45
; %bb.44:
	v_min_f32_e32 v139, 0, v142
	v_add_co_u32 v151, vcc_lo, v145, v140
	v_add_co_ci_u32_e64 v152, null, v146, v141, vcc_lo
	v_cvt_f64_f32_e32 v[149:150], v139
	s_mov_b32 s7, 0
	flat_store_dwordx2 v[151:152], v[149:150]
.LBB119_45:
	v_lshlrev_b64 v[132:133], 3, v[132:133]
	v_mov_b32_e32 v139, 0
	s_andn2_b32 vcc_lo, exec_lo, s7
	s_cbranch_vccnz .LBB119_47
; %bb.46:
	v_add_co_u32 v149, vcc_lo, v147, v140
	v_add_co_ci_u32_e64 v150, null, v148, v141, vcc_lo
	flat_load_dwordx2 v[149:150], v[149:150]
	s_waitcnt vmcnt(0) lgkmcnt(0)
	v_mul_f64 v[149:150], s[2:3], v[149:150]
	v_cvt_f32_f64_e32 v139, v[149:150]
	v_add_co_u32 v149, vcc_lo, v145, v140
	v_add_co_ci_u32_e64 v150, null, v146, v141, vcc_lo
	v_add_co_u32 v151, vcc_lo, v147, v132
	v_add_co_ci_u32_e64 v152, null, v148, v133, vcc_lo
	v_min_f32_e32 v139, v139, v142
	v_cvt_f64_f32_e32 v[142:143], v139
	flat_store_dwordx2 v[149:150], v[142:143]
	flat_load_dwordx2 v[142:143], v[151:152]
	s_waitcnt vmcnt(0) lgkmcnt(0)
	v_mul_f64 v[142:143], s[2:3], v[142:143]
	v_cvt_f32_f64_e32 v139, v[142:143]
.LBB119_47:
	v_add_f64 v[142:143], v[30:31], v[126:127]
	v_add_f64 v[149:150], v[32:33], v[128:129]
	;; [unrolled: 1-line block ×7, first 2 shown]
	s_mov_b32 s7, -1
	v_cvt_f32_f64_e32 v168, v[142:143]
	v_cvt_f32_f64_e32 v149, v[149:150]
	;; [unrolled: 1-line block ×4, first 2 shown]
	v_add_f64 v[142:143], v[20:21], v[124:125]
	v_cvt_f32_f64_e32 v170, v[176:177]
	v_cvt_f32_f64_e32 v171, v[172:173]
	;; [unrolled: 1-line block ×3, first 2 shown]
	v_min3_f32 v149, v168, v149, v220
	v_min_f32_e32 v150, v150, v151
	v_cvt_f32_f64_e32 v168, v[142:143]
	v_add_nc_u32_e32 v142, 48, v138
	v_add_nc_u32_e32 v138, 56, v138
	v_min3_f32 v139, v139, v150, v149
	v_ashrrev_i32_e32 v143, 31, v142
	v_cvt_f64_f32_e32 v[151:152], v139
	v_min3_f32 v139, v170, v171, v221
	v_add_co_u32 v170, vcc_lo, v145, v132
	v_lshlrev_b64 v[142:143], 3, v[142:143]
	v_add_co_ci_u32_e64 v171, null, v146, v133, vcc_lo
	s_mov_b32 vcc_lo, s0
	v_min3_f32 v149, v172, v168, v139
	v_ashrrev_i32_e32 v139, 31, v138
	v_max_f32_e32 v150, v149, v149
	flat_store_dwordx2 v[170:171], v[151:152]
	s_cbranch_vccz .LBB119_49
; %bb.48:
	v_min_f32_e32 v149, 0, v150
	v_add_co_u32 v170, vcc_lo, v145, v142
	v_add_co_ci_u32_e64 v171, null, v146, v143, vcc_lo
	v_cvt_f64_f32_e32 v[151:152], v149
	s_mov_b32 s7, 0
	flat_store_dwordx2 v[170:171], v[151:152]
.LBB119_49:
	v_lshlrev_b64 v[138:139], 3, v[138:139]
	v_mov_b32_e32 v149, 0
	s_andn2_b32 vcc_lo, exec_lo, s7
	s_cbranch_vccnz .LBB119_51
; %bb.50:
	v_add_co_u32 v151, vcc_lo, v147, v142
	v_add_co_ci_u32_e64 v152, null, v148, v143, vcc_lo
	flat_load_dwordx2 v[151:152], v[151:152]
	s_waitcnt vmcnt(0) lgkmcnt(0)
	v_mul_f64 v[151:152], s[2:3], v[151:152]
	v_cvt_f32_f64_e32 v149, v[151:152]
	v_add_co_u32 v151, vcc_lo, v145, v142
	v_add_co_ci_u32_e64 v152, null, v146, v143, vcc_lo
	v_add_co_u32 v147, vcc_lo, v147, v138
	v_add_co_ci_u32_e64 v148, null, v148, v139, vcc_lo
	v_min_f32_e32 v149, v149, v150
	v_cvt_f64_f32_e32 v[149:150], v149
	flat_store_dwordx2 v[151:152], v[149:150]
	flat_load_dwordx2 v[147:148], v[147:148]
	s_waitcnt vmcnt(0) lgkmcnt(0)
	v_mul_f64 v[147:148], s[2:3], v[147:148]
	v_cvt_f32_f64_e32 v149, v[147:148]
.LBB119_51:
	v_add_f64 v[126:127], v[2:3], v[126:127]
	v_add_f64 v[128:129], v[4:5], v[128:129]
	;; [unrolled: 1-line block ×6, first 2 shown]
	v_add_co_u32 v145, vcc_lo, v145, v138
	v_add_co_ci_u32_e64 v146, null, v146, v139, vcc_lo
	s_mov_b32 s7, -1
	v_cvt_f32_f64_e32 v126, v[126:127]
	v_cvt_f32_f64_e32 v127, v[128:129]
	;; [unrolled: 1-line block ×4, first 2 shown]
	v_add_f64 v[122:123], v[66:67], v[114:115]
	v_add_f64 v[124:125], v[68:69], v[116:117]
	v_cvt_f32_f64_e32 v150, v[150:151]
	v_cvt_f32_f64_e32 v147, v[147:148]
	v_add_nc_u32_e32 v148, 32, v144
	v_min3_f32 v126, v126, v127, v218
	v_min_f32_e32 v127, v128, v129
	v_cvt_f32_f64_e32 v151, v[122:123]
	v_cvt_f32_f64_e32 v152, v[124:125]
	v_mad_i64_i32 v[122:123], null, v148, s6, 0
	v_min3_f32 v124, v149, v127, v126
	v_min3_f32 v126, v150, v147, v219
	v_cvt_f64_f32_e32 v[128:129], v124
	v_mad_i64_i32 v[124:125], null, v148, s1, 0
	v_lshlrev_b64 v[122:123], 3, v[122:123]
	v_add_co_u32 v122, vcc_lo, s4, v122
	v_lshlrev_b64 v[124:125], 3, v[124:125]
	v_add_co_ci_u32_e64 v123, null, s5, v123, vcc_lo
	v_min3_f32 v126, v151, v152, v126
	v_add_co_u32 v124, vcc_lo, s10, v124
	v_add_co_ci_u32_e64 v125, null, s11, v125, vcc_lo
	v_max_f32_e32 v127, v126, v126
	s_mov_b32 vcc_lo, s0
	flat_store_dwordx2 v[145:146], v[128:129]
	s_cbranch_vccz .LBB119_53
; %bb.52:
	v_min_f32_e32 v126, 0, v127
	v_add_co_u32 v145, vcc_lo, v122, v134
	v_add_co_ci_u32_e64 v146, null, v123, v135, vcc_lo
	v_cvt_f64_f32_e32 v[128:129], v126
	s_mov_b32 s7, 0
	flat_store_dwordx2 v[145:146], v[128:129]
.LBB119_53:
	v_mov_b32_e32 v126, 0
	s_andn2_b32 vcc_lo, exec_lo, s7
	s_cbranch_vccnz .LBB119_55
; %bb.54:
	v_add_co_u32 v128, vcc_lo, v124, v134
	v_add_co_ci_u32_e64 v129, null, v125, v135, vcc_lo
	flat_load_dwordx2 v[128:129], v[128:129]
	s_waitcnt vmcnt(0) lgkmcnt(0)
	v_mul_f64 v[128:129], s[2:3], v[128:129]
	v_cvt_f32_f64_e32 v126, v[128:129]
	v_add_co_u32 v128, vcc_lo, v122, v134
	v_add_co_ci_u32_e64 v129, null, v123, v135, vcc_lo
	v_add_co_u32 v145, vcc_lo, v124, v0
	v_add_co_ci_u32_e64 v146, null, v125, v1, vcc_lo
	v_min_f32_e32 v126, v126, v127
	v_cvt_f64_f32_e32 v[126:127], v126
	flat_store_dwordx2 v[128:129], v[126:127]
	flat_load_dwordx2 v[126:127], v[145:146]
	s_waitcnt vmcnt(0) lgkmcnt(0)
	v_mul_f64 v[126:127], s[2:3], v[126:127]
	v_cvt_f32_f64_e32 v126, v[126:127]
.LBB119_55:
	v_add_f64 v[127:128], v[62:63], v[118:119]
	v_add_f64 v[145:146], v[64:65], v[120:121]
	v_add_f64 v[147:148], v[58:59], v[114:115]
	v_add_f64 v[149:150], v[60:61], v[116:117]
	v_add_f64 v[151:152], v[56:57], v[120:121]
	v_add_f64 v[170:171], v[54:55], v[118:119]
	v_add_f64 v[172:173], v[50:51], v[114:115]
	s_mov_b32 s7, -1
	v_cvt_f32_f64_e32 v129, v[127:128]
	v_cvt_f32_f64_e32 v145, v[145:146]
	v_cvt_f32_f64_e32 v146, v[147:148]
	v_cvt_f32_f64_e32 v147, v[149:150]
	v_add_f64 v[127:128], v[52:53], v[116:117]
	v_cvt_f32_f64_e32 v148, v[170:171]
	v_cvt_f32_f64_e32 v149, v[151:152]
	v_cvt_f32_f64_e32 v150, v[172:173]
	v_min3_f32 v129, v129, v145, v216
	v_min_f32_e32 v145, v146, v147
	v_cvt_f32_f64_e32 v127, v[127:128]
	v_min3_f32 v126, v126, v145, v129
	v_add_co_u32 v145, vcc_lo, v122, v0
	v_add_co_ci_u32_e64 v146, null, v123, v1, vcc_lo
	v_cvt_f64_f32_e32 v[128:129], v126
	v_min3_f32 v126, v148, v149, v217
	s_mov_b32 vcc_lo, s0
	v_min3_f32 v126, v150, v127, v126
	v_max_f32_e32 v127, v126, v126
	flat_store_dwordx2 v[145:146], v[128:129]
	s_cbranch_vccz .LBB119_57
; %bb.56:
	v_min_f32_e32 v126, 0, v127
	v_add_co_u32 v145, vcc_lo, v122, v136
	v_add_co_ci_u32_e64 v146, null, v123, v137, vcc_lo
	v_cvt_f64_f32_e32 v[128:129], v126
	s_mov_b32 s7, 0
	flat_store_dwordx2 v[145:146], v[128:129]
.LBB119_57:
	v_mov_b32_e32 v126, 0
	s_andn2_b32 vcc_lo, exec_lo, s7
	s_cbranch_vccnz .LBB119_59
; %bb.58:
	v_add_co_u32 v128, vcc_lo, v124, v136
	v_add_co_ci_u32_e64 v129, null, v125, v137, vcc_lo
	flat_load_dwordx2 v[128:129], v[128:129]
	s_waitcnt vmcnt(0) lgkmcnt(0)
	v_mul_f64 v[128:129], s[2:3], v[128:129]
	v_cvt_f32_f64_e32 v126, v[128:129]
	v_add_co_u32 v128, vcc_lo, v122, v136
	v_add_co_ci_u32_e64 v129, null, v123, v137, vcc_lo
	v_add_co_u32 v145, vcc_lo, v124, v130
	v_add_co_ci_u32_e64 v146, null, v125, v131, vcc_lo
	v_min_f32_e32 v126, v126, v127
	v_cvt_f64_f32_e32 v[126:127], v126
	flat_store_dwordx2 v[128:129], v[126:127]
	flat_load_dwordx2 v[126:127], v[145:146]
	s_waitcnt vmcnt(0) lgkmcnt(0)
	v_mul_f64 v[126:127], s[2:3], v[126:127]
	v_cvt_f32_f64_e32 v126, v[126:127]
.LBB119_59:
	v_add_f64 v[127:128], v[46:47], v[118:119]
	v_add_f64 v[145:146], v[48:49], v[120:121]
	v_add_f64 v[147:148], v[42:43], v[114:115]
	v_add_f64 v[149:150], v[44:45], v[116:117]
	v_add_f64 v[151:152], v[40:41], v[120:121]
	v_add_f64 v[170:171], v[38:39], v[118:119]
	v_add_f64 v[172:173], v[34:35], v[114:115]
	s_mov_b32 s7, -1
	v_cvt_f32_f64_e32 v129, v[127:128]
	v_cvt_f32_f64_e32 v145, v[145:146]
	v_cvt_f32_f64_e32 v146, v[147:148]
	v_cvt_f32_f64_e32 v147, v[149:150]
	v_add_f64 v[127:128], v[36:37], v[116:117]
	v_cvt_f32_f64_e32 v148, v[170:171]
	v_cvt_f32_f64_e32 v149, v[151:152]
	v_cvt_f32_f64_e32 v150, v[172:173]
	v_min3_f32 v129, v129, v145, v214
	v_min_f32_e32 v145, v146, v147
	v_cvt_f32_f64_e32 v127, v[127:128]
	v_min3_f32 v126, v126, v145, v129
	v_add_co_u32 v145, vcc_lo, v122, v130
	v_add_co_ci_u32_e64 v146, null, v123, v131, vcc_lo
	v_cvt_f64_f32_e32 v[128:129], v126
	v_min3_f32 v126, v148, v149, v215
	s_mov_b32 vcc_lo, s0
	v_min3_f32 v126, v150, v127, v126
	v_max_f32_e32 v127, v126, v126
	;; [unrolled: 59-line block ×3, first 2 shown]
	flat_store_dwordx2 v[145:146], v[128:129]
	s_cbranch_vccz .LBB119_65
; %bb.64:
	v_min_f32_e32 v126, 0, v127
	v_add_co_u32 v145, vcc_lo, v122, v142
	v_add_co_ci_u32_e64 v146, null, v123, v143, vcc_lo
	v_cvt_f64_f32_e32 v[128:129], v126
	s_mov_b32 s7, 0
	flat_store_dwordx2 v[145:146], v[128:129]
.LBB119_65:
	v_mov_b32_e32 v126, 0
	s_andn2_b32 vcc_lo, exec_lo, s7
	s_cbranch_vccnz .LBB119_67
; %bb.66:
	v_add_co_u32 v128, vcc_lo, v124, v142
	v_add_co_ci_u32_e64 v129, null, v125, v143, vcc_lo
	flat_load_dwordx2 v[128:129], v[128:129]
	s_waitcnt vmcnt(0) lgkmcnt(0)
	v_mul_f64 v[128:129], s[2:3], v[128:129]
	v_cvt_f32_f64_e32 v126, v[128:129]
	v_add_co_u32 v128, vcc_lo, v122, v142
	v_add_co_ci_u32_e64 v129, null, v123, v143, vcc_lo
	v_add_co_u32 v124, vcc_lo, v124, v138
	v_add_co_ci_u32_e64 v125, null, v125, v139, vcc_lo
	v_min_f32_e32 v126, v126, v127
	v_cvt_f64_f32_e32 v[126:127], v126
	flat_store_dwordx2 v[128:129], v[126:127]
	flat_load_dwordx2 v[124:125], v[124:125]
	s_waitcnt vmcnt(0) lgkmcnt(0)
	v_mul_f64 v[124:125], s[2:3], v[124:125]
	v_cvt_f32_f64_e32 v126, v[124:125]
.LBB119_67:
	v_add_f64 v[118:119], v[2:3], v[118:119]
	v_add_f64 v[120:121], v[4:5], v[120:121]
	;; [unrolled: 1-line block ×6, first 2 shown]
	v_add_co_u32 v122, vcc_lo, v122, v138
	v_add_co_ci_u32_e64 v123, null, v123, v139, vcc_lo
	s_mov_b32 s7, -1
	v_cvt_f32_f64_e32 v118, v[118:119]
	v_cvt_f32_f64_e32 v119, v[120:121]
	;; [unrolled: 1-line block ×4, first 2 shown]
	v_add_f64 v[114:115], v[66:67], v[106:107]
	v_add_f64 v[116:117], v[68:69], v[108:109]
	v_cvt_f32_f64_e32 v127, v[127:128]
	v_cvt_f32_f64_e32 v124, v[124:125]
	v_add_nc_u32_e32 v125, 64, v144
	v_min3_f32 v118, v118, v119, v211
	v_min_f32_e32 v119, v120, v121
	v_cvt_f32_f64_e32 v128, v[114:115]
	v_cvt_f32_f64_e32 v129, v[116:117]
	v_mad_i64_i32 v[114:115], null, v125, s6, 0
	v_min3_f32 v116, v126, v119, v118
	v_min3_f32 v118, v127, v124, v210
	v_cvt_f64_f32_e32 v[120:121], v116
	v_mad_i64_i32 v[116:117], null, v125, s1, 0
	v_lshlrev_b64 v[114:115], 3, v[114:115]
	v_add_co_u32 v114, vcc_lo, s4, v114
	v_lshlrev_b64 v[116:117], 3, v[116:117]
	v_add_co_ci_u32_e64 v115, null, s5, v115, vcc_lo
	v_min3_f32 v118, v128, v129, v118
	v_add_co_u32 v116, vcc_lo, s10, v116
	v_add_co_ci_u32_e64 v117, null, s11, v117, vcc_lo
	v_max_f32_e32 v119, v118, v118
	s_mov_b32 vcc_lo, s0
	flat_store_dwordx2 v[122:123], v[120:121]
	s_cbranch_vccz .LBB119_69
; %bb.68:
	v_min_f32_e32 v118, 0, v119
	v_add_co_u32 v122, vcc_lo, v114, v134
	v_add_co_ci_u32_e64 v123, null, v115, v135, vcc_lo
	v_cvt_f64_f32_e32 v[120:121], v118
	s_mov_b32 s7, 0
	flat_store_dwordx2 v[122:123], v[120:121]
.LBB119_69:
	v_mov_b32_e32 v118, 0
	s_andn2_b32 vcc_lo, exec_lo, s7
	s_cbranch_vccnz .LBB119_71
; %bb.70:
	v_add_co_u32 v120, vcc_lo, v116, v134
	v_add_co_ci_u32_e64 v121, null, v117, v135, vcc_lo
	flat_load_dwordx2 v[120:121], v[120:121]
	s_waitcnt vmcnt(0) lgkmcnt(0)
	v_mul_f64 v[120:121], s[2:3], v[120:121]
	v_cvt_f32_f64_e32 v118, v[120:121]
	v_add_co_u32 v120, vcc_lo, v114, v134
	v_add_co_ci_u32_e64 v121, null, v115, v135, vcc_lo
	v_add_co_u32 v122, vcc_lo, v116, v0
	v_add_co_ci_u32_e64 v123, null, v117, v1, vcc_lo
	v_min_f32_e32 v118, v118, v119
	v_cvt_f64_f32_e32 v[118:119], v118
	flat_store_dwordx2 v[120:121], v[118:119]
	flat_load_dwordx2 v[118:119], v[122:123]
	s_waitcnt vmcnt(0) lgkmcnt(0)
	v_mul_f64 v[118:119], s[2:3], v[118:119]
	v_cvt_f32_f64_e32 v118, v[118:119]
.LBB119_71:
	v_add_f64 v[119:120], v[62:63], v[110:111]
	v_add_f64 v[121:122], v[64:65], v[112:113]
	v_add_f64 v[123:124], v[58:59], v[106:107]
	v_add_f64 v[125:126], v[60:61], v[108:109]
	v_add_f64 v[127:128], v[56:57], v[112:113]
	v_add_f64 v[145:146], v[54:55], v[110:111]
	v_add_f64 v[147:148], v[50:51], v[106:107]
	s_mov_b32 s7, -1
	v_cvt_f32_f64_e32 v129, v[119:120]
	v_cvt_f32_f64_e32 v121, v[121:122]
	v_cvt_f32_f64_e32 v122, v[123:124]
	v_cvt_f32_f64_e32 v123, v[125:126]
	v_add_f64 v[119:120], v[52:53], v[108:109]
	v_cvt_f32_f64_e32 v124, v[145:146]
	v_cvt_f32_f64_e32 v125, v[127:128]
	v_cvt_f32_f64_e32 v126, v[147:148]
	v_min3_f32 v121, v129, v121, v208
	v_min_f32_e32 v122, v122, v123
	v_cvt_f32_f64_e32 v119, v[119:120]
	v_min3_f32 v118, v118, v122, v121
	v_add_co_u32 v122, vcc_lo, v114, v0
	v_add_co_ci_u32_e64 v123, null, v115, v1, vcc_lo
	v_cvt_f64_f32_e32 v[120:121], v118
	v_min3_f32 v118, v124, v125, v209
	s_mov_b32 vcc_lo, s0
	v_min3_f32 v118, v126, v119, v118
	v_max_f32_e32 v119, v118, v118
	flat_store_dwordx2 v[122:123], v[120:121]
	s_cbranch_vccz .LBB119_73
; %bb.72:
	v_min_f32_e32 v118, 0, v119
	v_add_co_u32 v122, vcc_lo, v114, v136
	v_add_co_ci_u32_e64 v123, null, v115, v137, vcc_lo
	v_cvt_f64_f32_e32 v[120:121], v118
	s_mov_b32 s7, 0
	flat_store_dwordx2 v[122:123], v[120:121]
.LBB119_73:
	v_mov_b32_e32 v118, 0
	s_andn2_b32 vcc_lo, exec_lo, s7
	s_cbranch_vccnz .LBB119_75
; %bb.74:
	v_add_co_u32 v120, vcc_lo, v116, v136
	v_add_co_ci_u32_e64 v121, null, v117, v137, vcc_lo
	flat_load_dwordx2 v[120:121], v[120:121]
	s_waitcnt vmcnt(0) lgkmcnt(0)
	v_mul_f64 v[120:121], s[2:3], v[120:121]
	v_cvt_f32_f64_e32 v118, v[120:121]
	v_add_co_u32 v120, vcc_lo, v114, v136
	v_add_co_ci_u32_e64 v121, null, v115, v137, vcc_lo
	v_add_co_u32 v122, vcc_lo, v116, v130
	v_add_co_ci_u32_e64 v123, null, v117, v131, vcc_lo
	v_min_f32_e32 v118, v118, v119
	v_cvt_f64_f32_e32 v[118:119], v118
	flat_store_dwordx2 v[120:121], v[118:119]
	flat_load_dwordx2 v[118:119], v[122:123]
	s_waitcnt vmcnt(0) lgkmcnt(0)
	v_mul_f64 v[118:119], s[2:3], v[118:119]
	v_cvt_f32_f64_e32 v118, v[118:119]
.LBB119_75:
	v_add_f64 v[119:120], v[46:47], v[110:111]
	v_add_f64 v[121:122], v[48:49], v[112:113]
	v_add_f64 v[123:124], v[42:43], v[106:107]
	v_add_f64 v[125:126], v[44:45], v[108:109]
	v_add_f64 v[127:128], v[40:41], v[112:113]
	v_add_f64 v[145:146], v[38:39], v[110:111]
	v_add_f64 v[147:148], v[34:35], v[106:107]
	s_mov_b32 s7, -1
	v_cvt_f32_f64_e32 v129, v[119:120]
	v_cvt_f32_f64_e32 v121, v[121:122]
	v_cvt_f32_f64_e32 v122, v[123:124]
	v_cvt_f32_f64_e32 v123, v[125:126]
	v_add_f64 v[119:120], v[36:37], v[108:109]
	v_cvt_f32_f64_e32 v124, v[145:146]
	v_cvt_f32_f64_e32 v125, v[127:128]
	v_cvt_f32_f64_e32 v126, v[147:148]
	v_min3_f32 v121, v129, v121, v206
	v_min_f32_e32 v122, v122, v123
	v_cvt_f32_f64_e32 v119, v[119:120]
	v_min3_f32 v118, v118, v122, v121
	v_add_co_u32 v122, vcc_lo, v114, v130
	v_add_co_ci_u32_e64 v123, null, v115, v131, vcc_lo
	v_cvt_f64_f32_e32 v[120:121], v118
	v_min3_f32 v118, v124, v125, v207
	s_mov_b32 vcc_lo, s0
	v_min3_f32 v118, v126, v119, v118
	v_max_f32_e32 v119, v118, v118
	;; [unrolled: 59-line block ×3, first 2 shown]
	flat_store_dwordx2 v[122:123], v[120:121]
	s_cbranch_vccz .LBB119_81
; %bb.80:
	v_min_f32_e32 v118, 0, v119
	v_add_co_u32 v122, vcc_lo, v114, v142
	v_add_co_ci_u32_e64 v123, null, v115, v143, vcc_lo
	v_cvt_f64_f32_e32 v[120:121], v118
	s_mov_b32 s7, 0
	flat_store_dwordx2 v[122:123], v[120:121]
.LBB119_81:
	v_mov_b32_e32 v118, 0
	s_andn2_b32 vcc_lo, exec_lo, s7
	s_cbranch_vccnz .LBB119_83
; %bb.82:
	v_add_co_u32 v120, vcc_lo, v116, v142
	v_add_co_ci_u32_e64 v121, null, v117, v143, vcc_lo
	flat_load_dwordx2 v[120:121], v[120:121]
	s_waitcnt vmcnt(0) lgkmcnt(0)
	v_mul_f64 v[120:121], s[2:3], v[120:121]
	v_cvt_f32_f64_e32 v118, v[120:121]
	v_add_co_u32 v120, vcc_lo, v114, v142
	v_add_co_ci_u32_e64 v121, null, v115, v143, vcc_lo
	v_add_co_u32 v116, vcc_lo, v116, v138
	v_add_co_ci_u32_e64 v117, null, v117, v139, vcc_lo
	v_min_f32_e32 v118, v118, v119
	v_cvt_f64_f32_e32 v[118:119], v118
	flat_store_dwordx2 v[120:121], v[118:119]
	flat_load_dwordx2 v[116:117], v[116:117]
	s_waitcnt vmcnt(0) lgkmcnt(0)
	v_mul_f64 v[116:117], s[2:3], v[116:117]
	v_cvt_f32_f64_e32 v118, v[116:117]
.LBB119_83:
	v_add_f64 v[110:111], v[2:3], v[110:111]
	v_add_f64 v[112:113], v[4:5], v[112:113]
	v_add_f64 v[106:107], v[6:7], v[106:107]
	v_add_f64 v[108:109], v[8:9], v[108:109]
	v_add_f64 v[116:117], v[72:73], v[104:105]
	v_add_f64 v[119:120], v[70:71], v[102:103]
	v_add_co_u32 v114, vcc_lo, v114, v138
	v_add_co_ci_u32_e64 v115, null, v115, v139, vcc_lo
	s_mov_b32 s7, -1
	v_cvt_f32_f64_e32 v110, v[110:111]
	v_cvt_f32_f64_e32 v111, v[112:113]
	;; [unrolled: 1-line block ×4, first 2 shown]
	v_add_f64 v[106:107], v[66:67], v[98:99]
	v_add_f64 v[108:109], v[68:69], v[100:101]
	v_cvt_f32_f64_e32 v119, v[119:120]
	v_cvt_f32_f64_e32 v116, v[116:117]
	v_add_nc_u32_e32 v117, 0x60, v144
	v_min3_f32 v110, v110, v111, v202
	v_min_f32_e32 v111, v112, v113
	v_cvt_f32_f64_e32 v120, v[106:107]
	v_cvt_f32_f64_e32 v121, v[108:109]
	v_mad_i64_i32 v[106:107], null, v117, s6, 0
	v_min3_f32 v108, v118, v111, v110
	v_min3_f32 v110, v119, v116, v203
	v_cvt_f64_f32_e32 v[112:113], v108
	v_mad_i64_i32 v[108:109], null, v117, s1, 0
	v_lshlrev_b64 v[106:107], 3, v[106:107]
	v_add_co_u32 v106, vcc_lo, s4, v106
	v_lshlrev_b64 v[108:109], 3, v[108:109]
	v_add_co_ci_u32_e64 v107, null, s5, v107, vcc_lo
	v_min3_f32 v110, v120, v121, v110
	v_add_co_u32 v108, vcc_lo, s10, v108
	v_add_co_ci_u32_e64 v109, null, s11, v109, vcc_lo
	v_max_f32_e32 v111, v110, v110
	s_mov_b32 vcc_lo, s0
	flat_store_dwordx2 v[114:115], v[112:113]
	s_cbranch_vccz .LBB119_85
; %bb.84:
	v_min_f32_e32 v110, 0, v111
	v_add_co_u32 v114, vcc_lo, v106, v134
	v_add_co_ci_u32_e64 v115, null, v107, v135, vcc_lo
	v_cvt_f64_f32_e32 v[112:113], v110
	s_mov_b32 s7, 0
	flat_store_dwordx2 v[114:115], v[112:113]
.LBB119_85:
	v_mov_b32_e32 v110, 0
	s_andn2_b32 vcc_lo, exec_lo, s7
	s_cbranch_vccnz .LBB119_87
; %bb.86:
	v_add_co_u32 v112, vcc_lo, v108, v134
	v_add_co_ci_u32_e64 v113, null, v109, v135, vcc_lo
	flat_load_dwordx2 v[112:113], v[112:113]
	s_waitcnt vmcnt(0) lgkmcnt(0)
	v_mul_f64 v[112:113], s[2:3], v[112:113]
	v_cvt_f32_f64_e32 v110, v[112:113]
	v_add_co_u32 v112, vcc_lo, v106, v134
	v_add_co_ci_u32_e64 v113, null, v107, v135, vcc_lo
	v_add_co_u32 v114, vcc_lo, v108, v0
	v_add_co_ci_u32_e64 v115, null, v109, v1, vcc_lo
	v_min_f32_e32 v110, v110, v111
	v_cvt_f64_f32_e32 v[110:111], v110
	flat_store_dwordx2 v[112:113], v[110:111]
	flat_load_dwordx2 v[110:111], v[114:115]
	s_waitcnt vmcnt(0) lgkmcnt(0)
	v_mul_f64 v[110:111], s[2:3], v[110:111]
	v_cvt_f32_f64_e32 v110, v[110:111]
.LBB119_87:
	v_add_f64 v[111:112], v[62:63], v[102:103]
	v_add_f64 v[113:114], v[64:65], v[104:105]
	v_add_f64 v[115:116], v[58:59], v[98:99]
	v_add_f64 v[117:118], v[60:61], v[100:101]
	v_add_f64 v[119:120], v[56:57], v[104:105]
	v_add_f64 v[121:122], v[54:55], v[102:103]
	v_add_f64 v[123:124], v[50:51], v[98:99]
	s_mov_b32 s7, -1
	v_cvt_f32_f64_e32 v125, v[111:112]
	v_cvt_f32_f64_e32 v113, v[113:114]
	v_cvt_f32_f64_e32 v114, v[115:116]
	v_cvt_f32_f64_e32 v115, v[117:118]
	v_add_f64 v[111:112], v[52:53], v[100:101]
	v_cvt_f32_f64_e32 v116, v[121:122]
	v_cvt_f32_f64_e32 v117, v[119:120]
	v_cvt_f32_f64_e32 v118, v[123:124]
	v_min3_f32 v113, v125, v113, v200
	v_min_f32_e32 v114, v114, v115
	v_cvt_f32_f64_e32 v111, v[111:112]
	v_min3_f32 v110, v110, v114, v113
	v_add_co_u32 v114, vcc_lo, v106, v0
	v_add_co_ci_u32_e64 v115, null, v107, v1, vcc_lo
	v_cvt_f64_f32_e32 v[112:113], v110
	v_min3_f32 v110, v116, v117, v201
	s_mov_b32 vcc_lo, s0
	v_min3_f32 v110, v118, v111, v110
	v_max_f32_e32 v111, v110, v110
	flat_store_dwordx2 v[114:115], v[112:113]
	s_cbranch_vccz .LBB119_89
; %bb.88:
	v_min_f32_e32 v110, 0, v111
	v_add_co_u32 v114, vcc_lo, v106, v136
	v_add_co_ci_u32_e64 v115, null, v107, v137, vcc_lo
	v_cvt_f64_f32_e32 v[112:113], v110
	s_mov_b32 s7, 0
	flat_store_dwordx2 v[114:115], v[112:113]
.LBB119_89:
	v_mov_b32_e32 v110, 0
	s_andn2_b32 vcc_lo, exec_lo, s7
	s_cbranch_vccnz .LBB119_91
; %bb.90:
	v_add_co_u32 v112, vcc_lo, v108, v136
	v_add_co_ci_u32_e64 v113, null, v109, v137, vcc_lo
	flat_load_dwordx2 v[112:113], v[112:113]
	s_waitcnt vmcnt(0) lgkmcnt(0)
	v_mul_f64 v[112:113], s[2:3], v[112:113]
	v_cvt_f32_f64_e32 v110, v[112:113]
	v_add_co_u32 v112, vcc_lo, v106, v136
	v_add_co_ci_u32_e64 v113, null, v107, v137, vcc_lo
	v_add_co_u32 v114, vcc_lo, v108, v130
	v_add_co_ci_u32_e64 v115, null, v109, v131, vcc_lo
	v_min_f32_e32 v110, v110, v111
	v_cvt_f64_f32_e32 v[110:111], v110
	flat_store_dwordx2 v[112:113], v[110:111]
	flat_load_dwordx2 v[110:111], v[114:115]
	s_waitcnt vmcnt(0) lgkmcnt(0)
	v_mul_f64 v[110:111], s[2:3], v[110:111]
	v_cvt_f32_f64_e32 v110, v[110:111]
.LBB119_91:
	v_add_f64 v[111:112], v[46:47], v[102:103]
	v_add_f64 v[113:114], v[48:49], v[104:105]
	v_add_f64 v[115:116], v[42:43], v[98:99]
	v_add_f64 v[117:118], v[44:45], v[100:101]
	v_add_f64 v[119:120], v[40:41], v[104:105]
	v_add_f64 v[121:122], v[38:39], v[102:103]
	v_add_f64 v[123:124], v[34:35], v[98:99]
	s_mov_b32 s7, -1
	v_cvt_f32_f64_e32 v125, v[111:112]
	v_cvt_f32_f64_e32 v113, v[113:114]
	v_cvt_f32_f64_e32 v114, v[115:116]
	v_cvt_f32_f64_e32 v115, v[117:118]
	v_add_f64 v[111:112], v[36:37], v[100:101]
	v_cvt_f32_f64_e32 v116, v[121:122]
	v_cvt_f32_f64_e32 v117, v[119:120]
	v_cvt_f32_f64_e32 v118, v[123:124]
	v_min3_f32 v113, v125, v113, v198
	v_min_f32_e32 v114, v114, v115
	v_cvt_f32_f64_e32 v111, v[111:112]
	v_min3_f32 v110, v110, v114, v113
	v_add_co_u32 v114, vcc_lo, v106, v130
	v_add_co_ci_u32_e64 v115, null, v107, v131, vcc_lo
	v_cvt_f64_f32_e32 v[112:113], v110
	v_min3_f32 v110, v116, v117, v199
	s_mov_b32 vcc_lo, s0
	v_min3_f32 v110, v118, v111, v110
	v_max_f32_e32 v111, v110, v110
	flat_store_dwordx2 v[114:115], v[112:113]
	s_cbranch_vccz .LBB119_93
; %bb.92:
	v_min_f32_e32 v110, 0, v111
	v_add_co_u32 v114, vcc_lo, v106, v140
	v_add_co_ci_u32_e64 v115, null, v107, v141, vcc_lo
	v_cvt_f64_f32_e32 v[112:113], v110
	s_mov_b32 s7, 0
	flat_store_dwordx2 v[114:115], v[112:113]
.LBB119_93:
	v_mov_b32_e32 v110, 0
	s_andn2_b32 vcc_lo, exec_lo, s7
	s_cbranch_vccnz .LBB119_95
; %bb.94:
	v_add_co_u32 v112, vcc_lo, v108, v140
	v_add_co_ci_u32_e64 v113, null, v109, v141, vcc_lo
	flat_load_dwordx2 v[112:113], v[112:113]
	s_waitcnt vmcnt(0) lgkmcnt(0)
	v_mul_f64 v[112:113], s[2:3], v[112:113]
	v_cvt_f32_f64_e32 v110, v[112:113]
	v_add_co_u32 v112, vcc_lo, v106, v140
	v_add_co_ci_u32_e64 v113, null, v107, v141, vcc_lo
	v_add_co_u32 v114, vcc_lo, v108, v132
	v_add_co_ci_u32_e64 v115, null, v109, v133, vcc_lo
	v_min_f32_e32 v110, v110, v111
	v_cvt_f64_f32_e32 v[110:111], v110
	flat_store_dwordx2 v[112:113], v[110:111]
	flat_load_dwordx2 v[110:111], v[114:115]
	s_waitcnt vmcnt(0) lgkmcnt(0)
	v_mul_f64 v[110:111], s[2:3], v[110:111]
	v_cvt_f32_f64_e32 v110, v[110:111]
.LBB119_95:
	v_add_f64 v[111:112], v[30:31], v[102:103]
	v_add_f64 v[113:114], v[32:33], v[104:105]
	v_add_f64 v[115:116], v[26:27], v[98:99]
	v_add_f64 v[117:118], v[28:29], v[100:101]
	v_add_f64 v[119:120], v[24:25], v[104:105]
	v_add_f64 v[121:122], v[22:23], v[102:103]
	v_add_f64 v[123:124], v[18:19], v[98:99]
	s_mov_b32 s7, -1
	v_cvt_f32_f64_e32 v125, v[111:112]
	v_cvt_f32_f64_e32 v113, v[113:114]
	v_cvt_f32_f64_e32 v114, v[115:116]
	v_cvt_f32_f64_e32 v115, v[117:118]
	v_add_f64 v[111:112], v[20:21], v[100:101]
	v_cvt_f32_f64_e32 v116, v[121:122]
	v_cvt_f32_f64_e32 v117, v[119:120]
	v_cvt_f32_f64_e32 v118, v[123:124]
	v_min3_f32 v113, v125, v113, v196
	v_min_f32_e32 v114, v114, v115
	v_cvt_f32_f64_e32 v111, v[111:112]
	v_min3_f32 v110, v110, v114, v113
	v_add_co_u32 v114, vcc_lo, v106, v132
	v_add_co_ci_u32_e64 v115, null, v107, v133, vcc_lo
	v_cvt_f64_f32_e32 v[112:113], v110
	v_min3_f32 v110, v116, v117, v197
	s_mov_b32 vcc_lo, s0
	v_min3_f32 v110, v118, v111, v110
	v_max_f32_e32 v111, v110, v110
	flat_store_dwordx2 v[114:115], v[112:113]
	s_cbranch_vccz .LBB119_97
; %bb.96:
	v_min_f32_e32 v110, 0, v111
	v_add_co_u32 v114, vcc_lo, v106, v142
	v_add_co_ci_u32_e64 v115, null, v107, v143, vcc_lo
	v_cvt_f64_f32_e32 v[112:113], v110
	s_mov_b32 s7, 0
	flat_store_dwordx2 v[114:115], v[112:113]
.LBB119_97:
	v_mov_b32_e32 v110, 0
	s_andn2_b32 vcc_lo, exec_lo, s7
	s_cbranch_vccnz .LBB119_99
; %bb.98:
	v_add_co_u32 v112, vcc_lo, v108, v142
	v_add_co_ci_u32_e64 v113, null, v109, v143, vcc_lo
	flat_load_dwordx2 v[112:113], v[112:113]
	s_waitcnt vmcnt(0) lgkmcnt(0)
	v_mul_f64 v[112:113], s[2:3], v[112:113]
	v_cvt_f32_f64_e32 v110, v[112:113]
	v_add_co_u32 v112, vcc_lo, v106, v142
	v_add_co_ci_u32_e64 v113, null, v107, v143, vcc_lo
	v_add_co_u32 v108, vcc_lo, v108, v138
	v_add_co_ci_u32_e64 v109, null, v109, v139, vcc_lo
	v_min_f32_e32 v110, v110, v111
	v_cvt_f64_f32_e32 v[110:111], v110
	flat_store_dwordx2 v[112:113], v[110:111]
	flat_load_dwordx2 v[108:109], v[108:109]
	s_waitcnt vmcnt(0) lgkmcnt(0)
	v_mul_f64 v[108:109], s[2:3], v[108:109]
	v_cvt_f32_f64_e32 v110, v[108:109]
.LBB119_99:
	v_add_f64 v[102:103], v[2:3], v[102:103]
	v_add_f64 v[104:105], v[4:5], v[104:105]
	;; [unrolled: 1-line block ×6, first 2 shown]
	v_add_co_u32 v106, vcc_lo, v106, v138
	v_add_co_ci_u32_e64 v107, null, v107, v139, vcc_lo
	s_mov_b32 s7, -1
	v_cvt_f32_f64_e32 v102, v[102:103]
	v_cvt_f32_f64_e32 v103, v[104:105]
	v_cvt_f32_f64_e32 v104, v[98:99]
	v_cvt_f32_f64_e32 v105, v[100:101]
	v_add_f64 v[98:99], v[66:67], v[90:91]
	v_add_f64 v[100:101], v[68:69], v[92:93]
	v_cvt_f32_f64_e32 v111, v[111:112]
	v_cvt_f32_f64_e32 v108, v[108:109]
	v_add_nc_u32_e32 v109, 0x80, v144
	v_min3_f32 v102, v102, v103, v194
	v_min_f32_e32 v103, v104, v105
	v_cvt_f32_f64_e32 v112, v[98:99]
	v_cvt_f32_f64_e32 v113, v[100:101]
	v_mad_i64_i32 v[98:99], null, v109, s6, 0
	v_min3_f32 v100, v110, v103, v102
	v_min3_f32 v102, v111, v108, v195
	v_cvt_f64_f32_e32 v[104:105], v100
	v_mad_i64_i32 v[100:101], null, v109, s1, 0
	v_lshlrev_b64 v[98:99], 3, v[98:99]
	v_add_co_u32 v98, vcc_lo, s4, v98
	v_lshlrev_b64 v[100:101], 3, v[100:101]
	v_add_co_ci_u32_e64 v99, null, s5, v99, vcc_lo
	v_min3_f32 v102, v112, v113, v102
	v_add_co_u32 v100, vcc_lo, s10, v100
	v_add_co_ci_u32_e64 v101, null, s11, v101, vcc_lo
	v_max_f32_e32 v103, v102, v102
	s_mov_b32 vcc_lo, s0
	flat_store_dwordx2 v[106:107], v[104:105]
	s_cbranch_vccz .LBB119_101
; %bb.100:
	v_min_f32_e32 v102, 0, v103
	v_add_co_u32 v106, vcc_lo, v98, v134
	v_add_co_ci_u32_e64 v107, null, v99, v135, vcc_lo
	v_cvt_f64_f32_e32 v[104:105], v102
	s_mov_b32 s7, 0
	flat_store_dwordx2 v[106:107], v[104:105]
.LBB119_101:
	v_mov_b32_e32 v102, 0
	s_andn2_b32 vcc_lo, exec_lo, s7
	s_cbranch_vccnz .LBB119_103
; %bb.102:
	v_add_co_u32 v104, vcc_lo, v100, v134
	v_add_co_ci_u32_e64 v105, null, v101, v135, vcc_lo
	flat_load_dwordx2 v[104:105], v[104:105]
	s_waitcnt vmcnt(0) lgkmcnt(0)
	v_mul_f64 v[104:105], s[2:3], v[104:105]
	v_cvt_f32_f64_e32 v102, v[104:105]
	v_add_co_u32 v104, vcc_lo, v98, v134
	v_add_co_ci_u32_e64 v105, null, v99, v135, vcc_lo
	v_add_co_u32 v106, vcc_lo, v100, v0
	v_add_co_ci_u32_e64 v107, null, v101, v1, vcc_lo
	v_min_f32_e32 v102, v102, v103
	v_cvt_f64_f32_e32 v[102:103], v102
	flat_store_dwordx2 v[104:105], v[102:103]
	flat_load_dwordx2 v[102:103], v[106:107]
	s_waitcnt vmcnt(0) lgkmcnt(0)
	v_mul_f64 v[102:103], s[2:3], v[102:103]
	v_cvt_f32_f64_e32 v102, v[102:103]
.LBB119_103:
	v_add_f64 v[103:104], v[62:63], v[94:95]
	v_add_f64 v[105:106], v[64:65], v[96:97]
	v_add_f64 v[107:108], v[58:59], v[90:91]
	v_add_f64 v[109:110], v[60:61], v[92:93]
	v_add_f64 v[111:112], v[56:57], v[96:97]
	v_add_f64 v[113:114], v[54:55], v[94:95]
	v_add_f64 v[115:116], v[50:51], v[90:91]
	s_mov_b32 s7, -1
	v_cvt_f32_f64_e32 v117, v[103:104]
	v_cvt_f32_f64_e32 v105, v[105:106]
	v_cvt_f32_f64_e32 v106, v[107:108]
	v_cvt_f32_f64_e32 v107, v[109:110]
	v_add_f64 v[103:104], v[52:53], v[92:93]
	v_cvt_f32_f64_e32 v108, v[113:114]
	v_cvt_f32_f64_e32 v109, v[111:112]
	v_cvt_f32_f64_e32 v110, v[115:116]
	v_min3_f32 v105, v117, v105, v192
	v_min_f32_e32 v106, v106, v107
	v_cvt_f32_f64_e32 v103, v[103:104]
	v_min3_f32 v102, v102, v106, v105
	v_add_co_u32 v106, vcc_lo, v98, v0
	v_add_co_ci_u32_e64 v107, null, v99, v1, vcc_lo
	v_cvt_f64_f32_e32 v[104:105], v102
	v_min3_f32 v102, v108, v109, v193
	s_mov_b32 vcc_lo, s0
	v_min3_f32 v102, v110, v103, v102
	v_max_f32_e32 v103, v102, v102
	flat_store_dwordx2 v[106:107], v[104:105]
	s_cbranch_vccz .LBB119_105
; %bb.104:
	v_min_f32_e32 v102, 0, v103
	v_add_co_u32 v106, vcc_lo, v98, v136
	v_add_co_ci_u32_e64 v107, null, v99, v137, vcc_lo
	v_cvt_f64_f32_e32 v[104:105], v102
	s_mov_b32 s7, 0
	flat_store_dwordx2 v[106:107], v[104:105]
.LBB119_105:
	v_mov_b32_e32 v102, 0
	s_andn2_b32 vcc_lo, exec_lo, s7
	s_cbranch_vccnz .LBB119_107
; %bb.106:
	v_add_co_u32 v104, vcc_lo, v100, v136
	v_add_co_ci_u32_e64 v105, null, v101, v137, vcc_lo
	flat_load_dwordx2 v[104:105], v[104:105]
	s_waitcnt vmcnt(0) lgkmcnt(0)
	v_mul_f64 v[104:105], s[2:3], v[104:105]
	v_cvt_f32_f64_e32 v102, v[104:105]
	v_add_co_u32 v104, vcc_lo, v98, v136
	v_add_co_ci_u32_e64 v105, null, v99, v137, vcc_lo
	v_add_co_u32 v106, vcc_lo, v100, v130
	v_add_co_ci_u32_e64 v107, null, v101, v131, vcc_lo
	v_min_f32_e32 v102, v102, v103
	v_cvt_f64_f32_e32 v[102:103], v102
	flat_store_dwordx2 v[104:105], v[102:103]
	flat_load_dwordx2 v[102:103], v[106:107]
	s_waitcnt vmcnt(0) lgkmcnt(0)
	v_mul_f64 v[102:103], s[2:3], v[102:103]
	v_cvt_f32_f64_e32 v102, v[102:103]
.LBB119_107:
	v_add_f64 v[103:104], v[46:47], v[94:95]
	v_add_f64 v[105:106], v[48:49], v[96:97]
	v_add_f64 v[107:108], v[42:43], v[90:91]
	v_add_f64 v[109:110], v[44:45], v[92:93]
	v_add_f64 v[111:112], v[40:41], v[96:97]
	v_add_f64 v[113:114], v[38:39], v[94:95]
	v_add_f64 v[115:116], v[34:35], v[90:91]
	s_mov_b32 s7, -1
	v_cvt_f32_f64_e32 v117, v[103:104]
	v_cvt_f32_f64_e32 v105, v[105:106]
	v_cvt_f32_f64_e32 v106, v[107:108]
	v_cvt_f32_f64_e32 v107, v[109:110]
	v_add_f64 v[103:104], v[36:37], v[92:93]
	v_cvt_f32_f64_e32 v108, v[113:114]
	v_cvt_f32_f64_e32 v109, v[111:112]
	v_cvt_f32_f64_e32 v110, v[115:116]
	v_min3_f32 v105, v117, v105, v190
	v_min_f32_e32 v106, v106, v107
	v_cvt_f32_f64_e32 v103, v[103:104]
	v_min3_f32 v102, v102, v106, v105
	v_add_co_u32 v106, vcc_lo, v98, v130
	v_add_co_ci_u32_e64 v107, null, v99, v131, vcc_lo
	v_cvt_f64_f32_e32 v[104:105], v102
	v_min3_f32 v102, v108, v109, v191
	s_mov_b32 vcc_lo, s0
	v_min3_f32 v102, v110, v103, v102
	v_max_f32_e32 v103, v102, v102
	;; [unrolled: 59-line block ×3, first 2 shown]
	flat_store_dwordx2 v[106:107], v[104:105]
	s_cbranch_vccz .LBB119_113
; %bb.112:
	v_min_f32_e32 v102, 0, v103
	v_add_co_u32 v106, vcc_lo, v98, v142
	v_add_co_ci_u32_e64 v107, null, v99, v143, vcc_lo
	v_cvt_f64_f32_e32 v[104:105], v102
	s_mov_b32 s7, 0
	flat_store_dwordx2 v[106:107], v[104:105]
.LBB119_113:
	v_mov_b32_e32 v102, 0
	s_andn2_b32 vcc_lo, exec_lo, s7
	s_cbranch_vccnz .LBB119_115
; %bb.114:
	v_add_co_u32 v104, vcc_lo, v100, v142
	v_add_co_ci_u32_e64 v105, null, v101, v143, vcc_lo
	flat_load_dwordx2 v[104:105], v[104:105]
	s_waitcnt vmcnt(0) lgkmcnt(0)
	v_mul_f64 v[104:105], s[2:3], v[104:105]
	v_cvt_f32_f64_e32 v102, v[104:105]
	v_add_co_u32 v104, vcc_lo, v98, v142
	v_add_co_ci_u32_e64 v105, null, v99, v143, vcc_lo
	v_add_co_u32 v100, vcc_lo, v100, v138
	v_add_co_ci_u32_e64 v101, null, v101, v139, vcc_lo
	v_min_f32_e32 v102, v102, v103
	v_cvt_f64_f32_e32 v[102:103], v102
	flat_store_dwordx2 v[104:105], v[102:103]
	flat_load_dwordx2 v[100:101], v[100:101]
	s_waitcnt vmcnt(0) lgkmcnt(0)
	v_mul_f64 v[100:101], s[2:3], v[100:101]
	v_cvt_f32_f64_e32 v102, v[100:101]
.LBB119_115:
	v_add_f64 v[94:95], v[2:3], v[94:95]
	v_add_f64 v[96:97], v[4:5], v[96:97]
	;; [unrolled: 1-line block ×6, first 2 shown]
	v_add_co_u32 v98, vcc_lo, v98, v138
	v_add_co_ci_u32_e64 v99, null, v99, v139, vcc_lo
	s_mov_b32 s7, -1
	v_cvt_f32_f64_e32 v94, v[94:95]
	v_cvt_f32_f64_e32 v95, v[96:97]
	;; [unrolled: 1-line block ×4, first 2 shown]
	v_add_f64 v[90:91], v[66:67], v[82:83]
	v_add_f64 v[92:93], v[68:69], v[84:85]
	v_cvt_f32_f64_e32 v103, v[103:104]
	v_cvt_f32_f64_e32 v100, v[100:101]
	v_add_nc_u32_e32 v101, 0xa0, v144
	v_min3_f32 v94, v94, v95, v186
	v_min_f32_e32 v95, v96, v97
	v_cvt_f32_f64_e32 v104, v[90:91]
	v_cvt_f32_f64_e32 v105, v[92:93]
	v_mad_i64_i32 v[90:91], null, v101, s6, 0
	v_min3_f32 v92, v102, v95, v94
	v_min3_f32 v94, v103, v100, v187
	v_cvt_f64_f32_e32 v[96:97], v92
	v_mad_i64_i32 v[92:93], null, v101, s1, 0
	v_lshlrev_b64 v[90:91], 3, v[90:91]
	v_add_co_u32 v90, vcc_lo, s4, v90
	v_lshlrev_b64 v[92:93], 3, v[92:93]
	v_add_co_ci_u32_e64 v91, null, s5, v91, vcc_lo
	v_min3_f32 v94, v104, v105, v94
	v_add_co_u32 v92, vcc_lo, s10, v92
	v_add_co_ci_u32_e64 v93, null, s11, v93, vcc_lo
	v_max_f32_e32 v95, v94, v94
	s_mov_b32 vcc_lo, s0
	flat_store_dwordx2 v[98:99], v[96:97]
	s_cbranch_vccz .LBB119_117
; %bb.116:
	v_min_f32_e32 v94, 0, v95
	v_add_co_u32 v98, vcc_lo, v90, v134
	v_add_co_ci_u32_e64 v99, null, v91, v135, vcc_lo
	v_cvt_f64_f32_e32 v[96:97], v94
	s_mov_b32 s7, 0
	flat_store_dwordx2 v[98:99], v[96:97]
.LBB119_117:
	v_mov_b32_e32 v94, 0
	s_andn2_b32 vcc_lo, exec_lo, s7
	s_cbranch_vccnz .LBB119_119
; %bb.118:
	v_add_co_u32 v96, vcc_lo, v92, v134
	v_add_co_ci_u32_e64 v97, null, v93, v135, vcc_lo
	flat_load_dwordx2 v[96:97], v[96:97]
	s_waitcnt vmcnt(0) lgkmcnt(0)
	v_mul_f64 v[96:97], s[2:3], v[96:97]
	v_cvt_f32_f64_e32 v94, v[96:97]
	v_add_co_u32 v96, vcc_lo, v90, v134
	v_add_co_ci_u32_e64 v97, null, v91, v135, vcc_lo
	v_add_co_u32 v98, vcc_lo, v92, v0
	v_add_co_ci_u32_e64 v99, null, v93, v1, vcc_lo
	v_min_f32_e32 v94, v94, v95
	v_cvt_f64_f32_e32 v[94:95], v94
	flat_store_dwordx2 v[96:97], v[94:95]
	flat_load_dwordx2 v[94:95], v[98:99]
	s_waitcnt vmcnt(0) lgkmcnt(0)
	v_mul_f64 v[94:95], s[2:3], v[94:95]
	v_cvt_f32_f64_e32 v94, v[94:95]
.LBB119_119:
	v_add_f64 v[95:96], v[62:63], v[86:87]
	v_add_f64 v[97:98], v[64:65], v[88:89]
	v_add_f64 v[99:100], v[58:59], v[82:83]
	v_add_f64 v[101:102], v[60:61], v[84:85]
	v_add_f64 v[103:104], v[56:57], v[88:89]
	v_add_f64 v[105:106], v[54:55], v[86:87]
	v_add_f64 v[107:108], v[50:51], v[82:83]
	s_mov_b32 s7, -1
	v_cvt_f32_f64_e32 v109, v[95:96]
	v_cvt_f32_f64_e32 v97, v[97:98]
	v_cvt_f32_f64_e32 v98, v[99:100]
	v_cvt_f32_f64_e32 v99, v[101:102]
	v_add_f64 v[95:96], v[52:53], v[84:85]
	v_cvt_f32_f64_e32 v100, v[105:106]
	v_cvt_f32_f64_e32 v101, v[103:104]
	v_cvt_f32_f64_e32 v102, v[107:108]
	v_min3_f32 v97, v109, v97, v184
	v_min_f32_e32 v98, v98, v99
	v_cvt_f32_f64_e32 v95, v[95:96]
	v_min3_f32 v94, v94, v98, v97
	v_add_co_u32 v98, vcc_lo, v90, v0
	v_add_co_ci_u32_e64 v99, null, v91, v1, vcc_lo
	v_cvt_f64_f32_e32 v[96:97], v94
	v_min3_f32 v94, v100, v101, v185
	s_mov_b32 vcc_lo, s0
	v_min3_f32 v94, v102, v95, v94
	v_max_f32_e32 v95, v94, v94
	flat_store_dwordx2 v[98:99], v[96:97]
	s_cbranch_vccz .LBB119_121
; %bb.120:
	v_min_f32_e32 v94, 0, v95
	v_add_co_u32 v98, vcc_lo, v90, v136
	v_add_co_ci_u32_e64 v99, null, v91, v137, vcc_lo
	v_cvt_f64_f32_e32 v[96:97], v94
	s_mov_b32 s7, 0
	flat_store_dwordx2 v[98:99], v[96:97]
.LBB119_121:
	v_mov_b32_e32 v94, 0
	s_andn2_b32 vcc_lo, exec_lo, s7
	s_cbranch_vccnz .LBB119_123
; %bb.122:
	v_add_co_u32 v96, vcc_lo, v92, v136
	v_add_co_ci_u32_e64 v97, null, v93, v137, vcc_lo
	flat_load_dwordx2 v[96:97], v[96:97]
	s_waitcnt vmcnt(0) lgkmcnt(0)
	v_mul_f64 v[96:97], s[2:3], v[96:97]
	v_cvt_f32_f64_e32 v94, v[96:97]
	v_add_co_u32 v96, vcc_lo, v90, v136
	v_add_co_ci_u32_e64 v97, null, v91, v137, vcc_lo
	v_add_co_u32 v98, vcc_lo, v92, v130
	v_add_co_ci_u32_e64 v99, null, v93, v131, vcc_lo
	v_min_f32_e32 v94, v94, v95
	v_cvt_f64_f32_e32 v[94:95], v94
	flat_store_dwordx2 v[96:97], v[94:95]
	flat_load_dwordx2 v[94:95], v[98:99]
	s_waitcnt vmcnt(0) lgkmcnt(0)
	v_mul_f64 v[94:95], s[2:3], v[94:95]
	v_cvt_f32_f64_e32 v94, v[94:95]
.LBB119_123:
	v_add_f64 v[95:96], v[46:47], v[86:87]
	v_add_f64 v[97:98], v[48:49], v[88:89]
	v_add_f64 v[99:100], v[42:43], v[82:83]
	v_add_f64 v[101:102], v[44:45], v[84:85]
	v_add_f64 v[103:104], v[40:41], v[88:89]
	v_add_f64 v[105:106], v[38:39], v[86:87]
	v_add_f64 v[107:108], v[34:35], v[82:83]
	s_mov_b32 s7, -1
	v_cvt_f32_f64_e32 v109, v[95:96]
	v_cvt_f32_f64_e32 v97, v[97:98]
	v_cvt_f32_f64_e32 v98, v[99:100]
	v_cvt_f32_f64_e32 v99, v[101:102]
	v_add_f64 v[95:96], v[36:37], v[84:85]
	v_cvt_f32_f64_e32 v100, v[105:106]
	v_cvt_f32_f64_e32 v101, v[103:104]
	v_cvt_f32_f64_e32 v102, v[107:108]
	v_min3_f32 v97, v109, v97, v182
	v_min_f32_e32 v98, v98, v99
	v_cvt_f32_f64_e32 v95, v[95:96]
	v_min3_f32 v94, v94, v98, v97
	v_add_co_u32 v98, vcc_lo, v90, v130
	v_add_co_ci_u32_e64 v99, null, v91, v131, vcc_lo
	v_cvt_f64_f32_e32 v[96:97], v94
	v_min3_f32 v94, v100, v101, v183
	s_mov_b32 vcc_lo, s0
	v_min3_f32 v94, v102, v95, v94
	v_max_f32_e32 v95, v94, v94
	;; [unrolled: 59-line block ×3, first 2 shown]
	flat_store_dwordx2 v[98:99], v[96:97]
	s_cbranch_vccz .LBB119_129
; %bb.128:
	v_min_f32_e32 v94, 0, v95
	v_add_co_u32 v98, vcc_lo, v90, v142
	v_add_co_ci_u32_e64 v99, null, v91, v143, vcc_lo
	v_cvt_f64_f32_e32 v[96:97], v94
	s_mov_b32 s7, 0
	flat_store_dwordx2 v[98:99], v[96:97]
.LBB119_129:
	v_mov_b32_e32 v94, 0
	s_andn2_b32 vcc_lo, exec_lo, s7
	s_cbranch_vccnz .LBB119_131
; %bb.130:
	v_add_co_u32 v96, vcc_lo, v92, v142
	v_add_co_ci_u32_e64 v97, null, v93, v143, vcc_lo
	flat_load_dwordx2 v[96:97], v[96:97]
	s_waitcnt vmcnt(0) lgkmcnt(0)
	v_mul_f64 v[96:97], s[2:3], v[96:97]
	v_cvt_f32_f64_e32 v94, v[96:97]
	v_add_co_u32 v96, vcc_lo, v90, v142
	v_add_co_ci_u32_e64 v97, null, v91, v143, vcc_lo
	v_add_co_u32 v92, vcc_lo, v92, v138
	v_add_co_ci_u32_e64 v93, null, v93, v139, vcc_lo
	v_min_f32_e32 v94, v94, v95
	v_cvt_f64_f32_e32 v[94:95], v94
	flat_store_dwordx2 v[96:97], v[94:95]
	flat_load_dwordx2 v[92:93], v[92:93]
	s_waitcnt vmcnt(0) lgkmcnt(0)
	v_mul_f64 v[92:93], s[2:3], v[92:93]
	v_cvt_f32_f64_e32 v94, v[92:93]
.LBB119_131:
	v_add_f64 v[86:87], v[2:3], v[86:87]
	v_add_f64 v[88:89], v[4:5], v[88:89]
	;; [unrolled: 1-line block ×4, first 2 shown]
	s_waitcnt lgkmcnt(26)
	v_add_f64 v[92:93], v[72:73], v[80:81]
	v_add_f64 v[95:96], v[70:71], v[78:79]
	v_add_co_u32 v90, vcc_lo, v90, v138
	v_add_co_ci_u32_e64 v91, null, v91, v139, vcc_lo
	s_mov_b32 s7, -1
	v_cvt_f32_f64_e32 v86, v[86:87]
	v_cvt_f32_f64_e32 v87, v[88:89]
	;; [unrolled: 1-line block ×4, first 2 shown]
	s_waitcnt lgkmcnt(25)
	v_add_f64 v[82:83], v[66:67], v[74:75]
	v_add_f64 v[84:85], v[68:69], v[76:77]
	v_cvt_f32_f64_e32 v95, v[95:96]
	v_cvt_f32_f64_e32 v92, v[92:93]
	v_add_nc_u32_e32 v93, 0xc0, v144
	v_min3_f32 v86, v86, v87, v169
	v_min_f32_e32 v87, v88, v89
	v_cvt_f32_f64_e32 v96, v[82:83]
	v_cvt_f32_f64_e32 v97, v[84:85]
	v_mad_i64_i32 v[82:83], null, v93, s6, 0
	v_min3_f32 v84, v94, v87, v86
	v_min3_f32 v86, v95, v92, v175
	v_cvt_f64_f32_e32 v[88:89], v84
	v_mad_i64_i32 v[84:85], null, v93, s1, 0
	v_lshlrev_b64 v[82:83], 3, v[82:83]
	v_add_co_u32 v82, vcc_lo, s4, v82
	v_lshlrev_b64 v[84:85], 3, v[84:85]
	v_add_co_ci_u32_e64 v83, null, s5, v83, vcc_lo
	v_min3_f32 v86, v96, v97, v86
	v_add_co_u32 v84, vcc_lo, s10, v84
	v_add_co_ci_u32_e64 v85, null, s11, v85, vcc_lo
	v_max_f32_e32 v87, v86, v86
	s_mov_b32 vcc_lo, s0
	flat_store_dwordx2 v[90:91], v[88:89]
	s_cbranch_vccz .LBB119_133
; %bb.132:
	v_min_f32_e32 v86, 0, v87
	v_add_co_u32 v90, vcc_lo, v82, v134
	v_add_co_ci_u32_e64 v91, null, v83, v135, vcc_lo
	v_cvt_f64_f32_e32 v[88:89], v86
	s_mov_b32 s7, 0
	flat_store_dwordx2 v[90:91], v[88:89]
.LBB119_133:
	v_mov_b32_e32 v86, 0
	s_andn2_b32 vcc_lo, exec_lo, s7
	s_cbranch_vccnz .LBB119_135
; %bb.134:
	v_add_co_u32 v88, vcc_lo, v84, v134
	v_add_co_ci_u32_e64 v89, null, v85, v135, vcc_lo
	flat_load_dwordx2 v[88:89], v[88:89]
	s_waitcnt vmcnt(0) lgkmcnt(0)
	v_mul_f64 v[88:89], s[2:3], v[88:89]
	v_cvt_f32_f64_e32 v86, v[88:89]
	v_add_co_u32 v88, vcc_lo, v82, v134
	v_add_co_ci_u32_e64 v89, null, v83, v135, vcc_lo
	v_add_co_u32 v90, vcc_lo, v84, v0
	v_add_co_ci_u32_e64 v91, null, v85, v1, vcc_lo
	v_min_f32_e32 v86, v86, v87
	v_cvt_f64_f32_e32 v[86:87], v86
	flat_store_dwordx2 v[88:89], v[86:87]
	flat_load_dwordx2 v[86:87], v[90:91]
	s_waitcnt vmcnt(0) lgkmcnt(0)
	v_mul_f64 v[86:87], s[2:3], v[86:87]
	v_cvt_f32_f64_e32 v86, v[86:87]
.LBB119_135:
	v_add_f64 v[87:88], v[62:63], v[78:79]
	v_add_f64 v[89:90], v[64:65], v[80:81]
	v_add_f64 v[91:92], v[58:59], v[74:75]
	v_add_f64 v[93:94], v[60:61], v[76:77]
	v_add_f64 v[95:96], v[56:57], v[80:81]
	v_add_f64 v[97:98], v[54:55], v[78:79]
	v_add_f64 v[99:100], v[50:51], v[74:75]
	s_mov_b32 s7, -1
	v_cvt_f32_f64_e32 v101, v[87:88]
	v_cvt_f32_f64_e32 v89, v[89:90]
	v_cvt_f32_f64_e32 v90, v[91:92]
	v_cvt_f32_f64_e32 v91, v[93:94]
	v_add_f64 v[87:88], v[52:53], v[76:77]
	v_cvt_f32_f64_e32 v92, v[97:98]
	v_cvt_f32_f64_e32 v93, v[95:96]
	v_cvt_f32_f64_e32 v94, v[99:100]
	v_min3_f32 v89, v101, v89, v166
	v_min_f32_e32 v90, v90, v91
	v_cvt_f32_f64_e32 v87, v[87:88]
	v_min3_f32 v86, v86, v90, v89
	v_add_co_u32 v90, vcc_lo, v82, v0
	v_add_co_ci_u32_e64 v91, null, v83, v1, vcc_lo
	v_cvt_f64_f32_e32 v[88:89], v86
	v_min3_f32 v86, v92, v93, v167
	s_mov_b32 vcc_lo, s0
	v_min3_f32 v86, v94, v87, v86
	v_max_f32_e32 v87, v86, v86
	flat_store_dwordx2 v[90:91], v[88:89]
	s_cbranch_vccz .LBB119_137
; %bb.136:
	v_min_f32_e32 v86, 0, v87
	v_add_co_u32 v90, vcc_lo, v82, v136
	v_add_co_ci_u32_e64 v91, null, v83, v137, vcc_lo
	v_cvt_f64_f32_e32 v[88:89], v86
	s_mov_b32 s7, 0
	flat_store_dwordx2 v[90:91], v[88:89]
.LBB119_137:
	v_mov_b32_e32 v86, 0
	s_andn2_b32 vcc_lo, exec_lo, s7
	s_cbranch_vccnz .LBB119_139
; %bb.138:
	v_add_co_u32 v88, vcc_lo, v84, v136
	v_add_co_ci_u32_e64 v89, null, v85, v137, vcc_lo
	flat_load_dwordx2 v[88:89], v[88:89]
	s_waitcnt vmcnt(0) lgkmcnt(0)
	v_mul_f64 v[88:89], s[2:3], v[88:89]
	v_cvt_f32_f64_e32 v86, v[88:89]
	v_add_co_u32 v88, vcc_lo, v82, v136
	v_add_co_ci_u32_e64 v89, null, v83, v137, vcc_lo
	v_add_co_u32 v90, vcc_lo, v84, v130
	v_add_co_ci_u32_e64 v91, null, v85, v131, vcc_lo
	v_min_f32_e32 v86, v86, v87
	v_cvt_f64_f32_e32 v[86:87], v86
	flat_store_dwordx2 v[88:89], v[86:87]
	flat_load_dwordx2 v[86:87], v[90:91]
	s_waitcnt vmcnt(0) lgkmcnt(0)
	v_mul_f64 v[86:87], s[2:3], v[86:87]
	v_cvt_f32_f64_e32 v86, v[86:87]
.LBB119_139:
	v_add_f64 v[87:88], v[46:47], v[78:79]
	v_add_f64 v[89:90], v[48:49], v[80:81]
	v_add_f64 v[91:92], v[42:43], v[74:75]
	v_add_f64 v[93:94], v[44:45], v[76:77]
	v_add_f64 v[95:96], v[40:41], v[80:81]
	v_add_f64 v[97:98], v[38:39], v[78:79]
	v_add_f64 v[99:100], v[34:35], v[74:75]
	s_mov_b32 s7, -1
	v_cvt_f32_f64_e32 v101, v[87:88]
	v_cvt_f32_f64_e32 v89, v[89:90]
	v_cvt_f32_f64_e32 v90, v[91:92]
	v_cvt_f32_f64_e32 v91, v[93:94]
	v_add_f64 v[87:88], v[36:37], v[76:77]
	v_cvt_f32_f64_e32 v92, v[97:98]
	v_cvt_f32_f64_e32 v93, v[95:96]
	v_cvt_f32_f64_e32 v94, v[99:100]
	v_min3_f32 v89, v101, v89, v164
	v_min_f32_e32 v90, v90, v91
	v_cvt_f32_f64_e32 v87, v[87:88]
	v_min3_f32 v86, v86, v90, v89
	v_add_co_u32 v90, vcc_lo, v82, v130
	v_add_co_ci_u32_e64 v91, null, v83, v131, vcc_lo
	v_cvt_f64_f32_e32 v[88:89], v86
	v_min3_f32 v86, v92, v93, v165
	s_mov_b32 vcc_lo, s0
	v_min3_f32 v86, v94, v87, v86
	v_max_f32_e32 v87, v86, v86
	;; [unrolled: 59-line block ×3, first 2 shown]
	flat_store_dwordx2 v[90:91], v[88:89]
	s_cbranch_vccz .LBB119_145
; %bb.144:
	v_min_f32_e32 v86, 0, v87
	v_add_co_u32 v90, vcc_lo, v82, v142
	v_add_co_ci_u32_e64 v91, null, v83, v143, vcc_lo
	v_cvt_f64_f32_e32 v[88:89], v86
	s_mov_b32 s7, 0
	flat_store_dwordx2 v[90:91], v[88:89]
.LBB119_145:
	v_mov_b32_e32 v86, 0
	s_andn2_b32 vcc_lo, exec_lo, s7
	s_cbranch_vccnz .LBB119_147
; %bb.146:
	v_add_co_u32 v88, vcc_lo, v84, v142
	v_add_co_ci_u32_e64 v89, null, v85, v143, vcc_lo
	flat_load_dwordx2 v[88:89], v[88:89]
	s_waitcnt vmcnt(0) lgkmcnt(0)
	v_mul_f64 v[88:89], s[2:3], v[88:89]
	v_cvt_f32_f64_e32 v86, v[88:89]
	v_add_co_u32 v88, vcc_lo, v82, v142
	v_add_co_ci_u32_e64 v89, null, v83, v143, vcc_lo
	v_add_co_u32 v84, vcc_lo, v84, v138
	v_add_co_ci_u32_e64 v85, null, v85, v139, vcc_lo
	v_min_f32_e32 v86, v86, v87
	v_cvt_f64_f32_e32 v[86:87], v86
	flat_store_dwordx2 v[88:89], v[86:87]
	flat_load_dwordx2 v[84:85], v[84:85]
	s_waitcnt vmcnt(0) lgkmcnt(0)
	v_mul_f64 v[84:85], s[2:3], v[84:85]
	v_cvt_f32_f64_e32 v86, v[84:85]
.LBB119_147:
	v_add_f64 v[78:79], v[2:3], v[78:79]
	v_add_f64 v[80:81], v[4:5], v[80:81]
	;; [unrolled: 1-line block ×4, first 2 shown]
	s_waitcnt lgkmcnt(28)
	v_add_f64 v[72:73], v[72:73], v[12:13]
	v_add_f64 v[70:71], v[70:71], v[10:11]
	s_waitcnt lgkmcnt(27)
	v_add_f64 v[66:67], v[66:67], v[14:15]
	v_add_f64 v[68:69], v[68:69], v[16:17]
	v_cvt_f32_f64_e32 v78, v[78:79]
	v_cvt_f32_f64_e32 v79, v[80:81]
	;; [unrolled: 1-line block ×8, first 2 shown]
	v_min3_f32 v72, v78, v79, v161
	v_min_f32_e32 v73, v74, v75
	v_add_nc_u32_e32 v74, 0xe0, v144
	v_min3_f32 v70, v70, v71, v160
	v_min3_f32 v68, v86, v73, v72
	v_mad_i64_i32 v[66:67], null, v74, s6, 0
	v_min3_f32 v70, v76, v77, v70
	v_cvt_f64_f32_e32 v[72:73], v68
	v_mad_i64_i32 v[68:69], null, v74, s1, 0
	v_add_co_u32 v74, vcc_lo, v82, v138
	v_lshlrev_b64 v[66:67], 3, v[66:67]
	v_add_co_ci_u32_e64 v75, null, v83, v139, vcc_lo
	v_max_f32_e32 v71, v70, v70
	v_lshlrev_b64 v[68:69], 3, v[68:69]
	s_mov_b32 s1, -1
	v_add_co_u32 v66, vcc_lo, s4, v66
	v_add_co_ci_u32_e64 v67, null, s5, v67, vcc_lo
	v_add_co_u32 v68, vcc_lo, s10, v68
	v_add_co_ci_u32_e64 v69, null, s11, v69, vcc_lo
	s_mov_b32 vcc_lo, s0
	flat_store_dwordx2 v[74:75], v[72:73]
	s_cbranch_vccz .LBB119_149
; %bb.148:
	v_min_f32_e32 v70, 0, v71
	v_add_co_u32 v74, vcc_lo, v66, v134
	v_add_co_ci_u32_e64 v75, null, v67, v135, vcc_lo
	v_cvt_f64_f32_e32 v[72:73], v70
	s_mov_b32 s1, 0
	flat_store_dwordx2 v[74:75], v[72:73]
.LBB119_149:
	v_mov_b32_e32 v70, 0
	s_andn2_b32 vcc_lo, exec_lo, s1
	s_cbranch_vccnz .LBB119_151
; %bb.150:
	v_add_co_u32 v72, vcc_lo, v68, v134
	v_add_co_ci_u32_e64 v73, null, v69, v135, vcc_lo
	flat_load_dwordx2 v[72:73], v[72:73]
	s_waitcnt vmcnt(0) lgkmcnt(0)
	v_mul_f64 v[72:73], s[2:3], v[72:73]
	v_cvt_f32_f64_e32 v70, v[72:73]
	v_add_co_u32 v72, vcc_lo, v66, v134
	v_add_co_ci_u32_e64 v73, null, v67, v135, vcc_lo
	v_add_co_u32 v74, vcc_lo, v68, v0
	v_add_co_ci_u32_e64 v75, null, v69, v1, vcc_lo
	v_min_f32_e32 v70, v70, v71
	v_cvt_f64_f32_e32 v[70:71], v70
	flat_store_dwordx2 v[72:73], v[70:71]
	flat_load_dwordx2 v[70:71], v[74:75]
	s_waitcnt vmcnt(0) lgkmcnt(0)
	v_mul_f64 v[70:71], s[2:3], v[70:71]
	v_cvt_f32_f64_e32 v70, v[70:71]
.LBB119_151:
	v_add_f64 v[62:63], v[62:63], v[10:11]
	v_add_f64 v[64:65], v[64:65], v[12:13]
	;; [unrolled: 1-line block ×8, first 2 shown]
	s_mov_b32 s1, -1
	v_cvt_f32_f64_e32 v62, v[62:63]
	v_cvt_f32_f64_e32 v63, v[64:65]
	;; [unrolled: 1-line block ×8, first 2 shown]
	v_min3_f32 v50, v62, v63, v159
	v_min_f32_e32 v51, v58, v59
	v_min3_f32 v53, v54, v55, v158
	v_min3_f32 v50, v70, v51, v50
	;; [unrolled: 1-line block ×3, first 2 shown]
	v_add_co_u32 v52, vcc_lo, v66, v0
	v_cvt_f64_f32_e32 v[50:51], v50
	v_add_co_ci_u32_e64 v53, null, v67, v1, vcc_lo
	v_max_f32_e32 v1, v54, v54
	s_mov_b32 vcc_lo, s0
	flat_store_dwordx2 v[52:53], v[50:51]
	s_cbranch_vccz .LBB119_153
; %bb.152:
	v_min_f32_e32 v0, 0, v1
	v_add_co_u32 v52, vcc_lo, v66, v136
	v_add_co_ci_u32_e64 v53, null, v67, v137, vcc_lo
	v_cvt_f64_f32_e32 v[50:51], v0
	s_mov_b32 s1, 0
	flat_store_dwordx2 v[52:53], v[50:51]
.LBB119_153:
	v_mov_b32_e32 v0, 0
	s_andn2_b32 vcc_lo, exec_lo, s1
	s_cbranch_vccnz .LBB119_155
; %bb.154:
	v_add_co_u32 v50, vcc_lo, v68, v136
	v_add_co_ci_u32_e64 v51, null, v69, v137, vcc_lo
	flat_load_dwordx2 v[50:51], v[50:51]
	s_waitcnt vmcnt(0) lgkmcnt(0)
	v_mul_f64 v[50:51], s[2:3], v[50:51]
	v_cvt_f32_f64_e32 v0, v[50:51]
	v_add_co_u32 v50, vcc_lo, v66, v136
	v_add_co_ci_u32_e64 v51, null, v67, v137, vcc_lo
	v_add_co_u32 v52, vcc_lo, v68, v130
	v_add_co_ci_u32_e64 v53, null, v69, v131, vcc_lo
	v_min_f32_e32 v0, v0, v1
	v_cvt_f64_f32_e32 v[0:1], v0
	flat_store_dwordx2 v[50:51], v[0:1]
	flat_load_dwordx2 v[0:1], v[52:53]
	s_waitcnt vmcnt(0) lgkmcnt(0)
	v_mul_f64 v[0:1], s[2:3], v[0:1]
	v_cvt_f32_f64_e32 v0, v[0:1]
.LBB119_155:
	v_add_f64 v[46:47], v[46:47], v[10:11]
	v_add_f64 v[48:49], v[48:49], v[12:13]
	;; [unrolled: 1-line block ×8, first 2 shown]
	s_mov_b32 s1, -1
	v_cvt_f32_f64_e32 v1, v[46:47]
	v_cvt_f32_f64_e32 v46, v[48:49]
	;; [unrolled: 1-line block ×8, first 2 shown]
	v_min3_f32 v1, v1, v46, v156
	v_min_f32_e32 v34, v42, v43
	v_min3_f32 v0, v0, v34, v1
	v_cvt_f64_f32_e32 v[34:35], v0
	v_min3_f32 v0, v38, v39, v157
	v_min3_f32 v0, v40, v36, v0
	v_add_co_u32 v36, vcc_lo, v66, v130
	v_add_co_ci_u32_e64 v37, null, v67, v131, vcc_lo
	v_max_f32_e32 v1, v0, v0
	s_mov_b32 vcc_lo, s0
	flat_store_dwordx2 v[36:37], v[34:35]
	s_cbranch_vccz .LBB119_157
; %bb.156:
	v_min_f32_e32 v0, 0, v1
	v_add_co_u32 v36, vcc_lo, v66, v140
	v_add_co_ci_u32_e64 v37, null, v67, v141, vcc_lo
	v_cvt_f64_f32_e32 v[34:35], v0
	s_mov_b32 s1, 0
	flat_store_dwordx2 v[36:37], v[34:35]
.LBB119_157:
	v_mov_b32_e32 v0, 0
	s_andn2_b32 vcc_lo, exec_lo, s1
	s_cbranch_vccnz .LBB119_159
; %bb.158:
	v_add_co_u32 v34, vcc_lo, v68, v140
	v_add_co_ci_u32_e64 v35, null, v69, v141, vcc_lo
	flat_load_dwordx2 v[34:35], v[34:35]
	s_waitcnt vmcnt(0) lgkmcnt(0)
	v_mul_f64 v[34:35], s[2:3], v[34:35]
	v_cvt_f32_f64_e32 v0, v[34:35]
	v_add_co_u32 v34, vcc_lo, v66, v140
	v_add_co_ci_u32_e64 v35, null, v67, v141, vcc_lo
	v_add_co_u32 v36, vcc_lo, v68, v132
	v_add_co_ci_u32_e64 v37, null, v69, v133, vcc_lo
	v_min_f32_e32 v0, v0, v1
	v_cvt_f64_f32_e32 v[0:1], v0
	flat_store_dwordx2 v[34:35], v[0:1]
	flat_load_dwordx2 v[0:1], v[36:37]
	s_waitcnt vmcnt(0) lgkmcnt(0)
	v_mul_f64 v[0:1], s[2:3], v[0:1]
	v_cvt_f32_f64_e32 v0, v[0:1]
.LBB119_159:
	v_add_f64 v[30:31], v[30:31], v[10:11]
	v_add_f64 v[32:33], v[32:33], v[12:13]
	;; [unrolled: 1-line block ×8, first 2 shown]
	s_mov_b32 s1, -1
	v_cvt_f32_f64_e32 v1, v[30:31]
	v_cvt_f32_f64_e32 v30, v[32:33]
	v_cvt_f32_f64_e32 v26, v[26:27]
	v_cvt_f32_f64_e32 v27, v[28:29]
	v_cvt_f32_f64_e32 v22, v[22:23]
	v_cvt_f32_f64_e32 v23, v[24:25]
	v_cvt_f32_f64_e32 v24, v[18:19]
	v_cvt_f32_f64_e32 v20, v[20:21]
	v_min3_f32 v1, v1, v30, v154
	v_min_f32_e32 v18, v26, v27
	v_min3_f32 v0, v0, v18, v1
	v_cvt_f64_f32_e32 v[18:19], v0
	v_min3_f32 v0, v22, v23, v155
	v_min3_f32 v0, v24, v20, v0
	v_add_co_u32 v20, vcc_lo, v66, v132
	v_add_co_ci_u32_e64 v21, null, v67, v133, vcc_lo
	v_max_f32_e32 v1, v0, v0
	s_mov_b32 vcc_lo, s0
	flat_store_dwordx2 v[20:21], v[18:19]
	s_cbranch_vccz .LBB119_161
; %bb.160:
	v_min_f32_e32 v0, 0, v1
	v_add_co_u32 v20, vcc_lo, v66, v142
	v_add_co_ci_u32_e64 v21, null, v67, v143, vcc_lo
	v_cvt_f64_f32_e32 v[18:19], v0
	s_mov_b32 s1, 0
	flat_store_dwordx2 v[20:21], v[18:19]
.LBB119_161:
	v_mov_b32_e32 v0, 0
	s_andn2_b32 vcc_lo, exec_lo, s1
	s_cbranch_vccnz .LBB119_163
; %bb.162:
	v_add_co_u32 v18, vcc_lo, v68, v142
	v_add_co_ci_u32_e64 v19, null, v69, v143, vcc_lo
	flat_load_dwordx2 v[18:19], v[18:19]
	s_waitcnt vmcnt(0) lgkmcnt(0)
	v_mul_f64 v[18:19], s[2:3], v[18:19]
	v_cvt_f32_f64_e32 v0, v[18:19]
	v_add_co_u32 v18, vcc_lo, v66, v142
	v_add_co_ci_u32_e64 v19, null, v67, v143, vcc_lo
	v_add_co_u32 v20, vcc_lo, v68, v138
	v_add_co_ci_u32_e64 v21, null, v69, v139, vcc_lo
	v_min_f32_e32 v0, v0, v1
	v_cvt_f64_f32_e32 v[0:1], v0
	flat_store_dwordx2 v[18:19], v[0:1]
	flat_load_dwordx2 v[0:1], v[20:21]
	s_waitcnt vmcnt(0) lgkmcnt(0)
	v_mul_f64 v[0:1], s[2:3], v[0:1]
	v_cvt_f32_f64_e32 v0, v[0:1]
.LBB119_163:
	v_add_f64 v[6:7], v[6:7], v[14:15]
	v_add_f64 v[8:9], v[8:9], v[16:17]
	;; [unrolled: 1-line block ×4, first 2 shown]
	v_cvt_f32_f64_e32 v5, v[6:7]
	v_cvt_f32_f64_e32 v6, v[8:9]
	;; [unrolled: 1-line block ×4, first 2 shown]
	v_min_f32_e32 v3, v5, v6
	v_min3_f32 v1, v1, v2, v153
	v_add_co_u32 v2, vcc_lo, v66, v138
	v_min3_f32 v0, v0, v3, v1
	v_add_co_ci_u32_e64 v3, null, v67, v139, vcc_lo
	v_cvt_f64_f32_e32 v[0:1], v0
	flat_store_dwordx2 v[2:3], v[0:1]
	s_endpgm
	.section	.rodata,"a",@progbits
	.p2align	6, 0x0
	.amdhsa_kernel _ZN12_GLOBAL__N_120geam_min_plus_kernelId15HIP_vector_typeIdLj2EEdLi8ELi32ELi64ELi256ELi4ELi64ELi4ELi64ELi4ELc78ELc84ELb0ELb0ELb1EdKPKdKPdEEviiiT16_PT17_ilSA_ilS8_SA_ilPT18_ili26rocblas_geam_ex_operation_
		.amdhsa_group_segment_fixed_size 20480
		.amdhsa_private_segment_fixed_size 0
		.amdhsa_kernarg_size 136
		.amdhsa_user_sgpr_count 6
		.amdhsa_user_sgpr_private_segment_buffer 1
		.amdhsa_user_sgpr_dispatch_ptr 0
		.amdhsa_user_sgpr_queue_ptr 0
		.amdhsa_user_sgpr_kernarg_segment_ptr 1
		.amdhsa_user_sgpr_dispatch_id 0
		.amdhsa_user_sgpr_flat_scratch_init 0
		.amdhsa_user_sgpr_private_segment_size 0
		.amdhsa_wavefront_size32 1
		.amdhsa_uses_dynamic_stack 0
		.amdhsa_system_sgpr_private_segment_wavefront_offset 0
		.amdhsa_system_sgpr_workgroup_id_x 1
		.amdhsa_system_sgpr_workgroup_id_y 0
		.amdhsa_system_sgpr_workgroup_id_z 1
		.amdhsa_system_sgpr_workgroup_info 0
		.amdhsa_system_vgpr_workitem_id 1
		.amdhsa_next_free_vgpr 230
		.amdhsa_next_free_sgpr 25
		.amdhsa_reserve_vcc 1
		.amdhsa_reserve_flat_scratch 1
		.amdhsa_float_round_mode_32 0
		.amdhsa_float_round_mode_16_64 0
		.amdhsa_float_denorm_mode_32 3
		.amdhsa_float_denorm_mode_16_64 3
		.amdhsa_dx10_clamp 1
		.amdhsa_ieee_mode 1
		.amdhsa_fp16_overflow 0
		.amdhsa_workgroup_processor_mode 1
		.amdhsa_memory_ordered 1
		.amdhsa_forward_progress 1
		.amdhsa_shared_vgpr_count 0
		.amdhsa_exception_fp_ieee_invalid_op 0
		.amdhsa_exception_fp_denorm_src 0
		.amdhsa_exception_fp_ieee_div_zero 0
		.amdhsa_exception_fp_ieee_overflow 0
		.amdhsa_exception_fp_ieee_underflow 0
		.amdhsa_exception_fp_ieee_inexact 0
		.amdhsa_exception_int_div_zero 0
	.end_amdhsa_kernel
	.section	.text._ZN12_GLOBAL__N_120geam_min_plus_kernelId15HIP_vector_typeIdLj2EEdLi8ELi32ELi64ELi256ELi4ELi64ELi4ELi64ELi4ELc78ELc84ELb0ELb0ELb1EdKPKdKPdEEviiiT16_PT17_ilSA_ilS8_SA_ilPT18_ili26rocblas_geam_ex_operation_,"axG",@progbits,_ZN12_GLOBAL__N_120geam_min_plus_kernelId15HIP_vector_typeIdLj2EEdLi8ELi32ELi64ELi256ELi4ELi64ELi4ELi64ELi4ELc78ELc84ELb0ELb0ELb1EdKPKdKPdEEviiiT16_PT17_ilSA_ilS8_SA_ilPT18_ili26rocblas_geam_ex_operation_,comdat
.Lfunc_end119:
	.size	_ZN12_GLOBAL__N_120geam_min_plus_kernelId15HIP_vector_typeIdLj2EEdLi8ELi32ELi64ELi256ELi4ELi64ELi4ELi64ELi4ELc78ELc84ELb0ELb0ELb1EdKPKdKPdEEviiiT16_PT17_ilSA_ilS8_SA_ilPT18_ili26rocblas_geam_ex_operation_, .Lfunc_end119-_ZN12_GLOBAL__N_120geam_min_plus_kernelId15HIP_vector_typeIdLj2EEdLi8ELi32ELi64ELi256ELi4ELi64ELi4ELi64ELi4ELc78ELc84ELb0ELb0ELb1EdKPKdKPdEEviiiT16_PT17_ilSA_ilS8_SA_ilPT18_ili26rocblas_geam_ex_operation_
                                        ; -- End function
	.set _ZN12_GLOBAL__N_120geam_min_plus_kernelId15HIP_vector_typeIdLj2EEdLi8ELi32ELi64ELi256ELi4ELi64ELi4ELi64ELi4ELc78ELc84ELb0ELb0ELb1EdKPKdKPdEEviiiT16_PT17_ilSA_ilS8_SA_ilPT18_ili26rocblas_geam_ex_operation_.num_vgpr, 230
	.set _ZN12_GLOBAL__N_120geam_min_plus_kernelId15HIP_vector_typeIdLj2EEdLi8ELi32ELi64ELi256ELi4ELi64ELi4ELi64ELi4ELc78ELc84ELb0ELb0ELb1EdKPKdKPdEEviiiT16_PT17_ilSA_ilS8_SA_ilPT18_ili26rocblas_geam_ex_operation_.num_agpr, 0
	.set _ZN12_GLOBAL__N_120geam_min_plus_kernelId15HIP_vector_typeIdLj2EEdLi8ELi32ELi64ELi256ELi4ELi64ELi4ELi64ELi4ELc78ELc84ELb0ELb0ELb1EdKPKdKPdEEviiiT16_PT17_ilSA_ilS8_SA_ilPT18_ili26rocblas_geam_ex_operation_.numbered_sgpr, 25
	.set _ZN12_GLOBAL__N_120geam_min_plus_kernelId15HIP_vector_typeIdLj2EEdLi8ELi32ELi64ELi256ELi4ELi64ELi4ELi64ELi4ELc78ELc84ELb0ELb0ELb1EdKPKdKPdEEviiiT16_PT17_ilSA_ilS8_SA_ilPT18_ili26rocblas_geam_ex_operation_.num_named_barrier, 0
	.set _ZN12_GLOBAL__N_120geam_min_plus_kernelId15HIP_vector_typeIdLj2EEdLi8ELi32ELi64ELi256ELi4ELi64ELi4ELi64ELi4ELc78ELc84ELb0ELb0ELb1EdKPKdKPdEEviiiT16_PT17_ilSA_ilS8_SA_ilPT18_ili26rocblas_geam_ex_operation_.private_seg_size, 0
	.set _ZN12_GLOBAL__N_120geam_min_plus_kernelId15HIP_vector_typeIdLj2EEdLi8ELi32ELi64ELi256ELi4ELi64ELi4ELi64ELi4ELc78ELc84ELb0ELb0ELb1EdKPKdKPdEEviiiT16_PT17_ilSA_ilS8_SA_ilPT18_ili26rocblas_geam_ex_operation_.uses_vcc, 1
	.set _ZN12_GLOBAL__N_120geam_min_plus_kernelId15HIP_vector_typeIdLj2EEdLi8ELi32ELi64ELi256ELi4ELi64ELi4ELi64ELi4ELc78ELc84ELb0ELb0ELb1EdKPKdKPdEEviiiT16_PT17_ilSA_ilS8_SA_ilPT18_ili26rocblas_geam_ex_operation_.uses_flat_scratch, 1
	.set _ZN12_GLOBAL__N_120geam_min_plus_kernelId15HIP_vector_typeIdLj2EEdLi8ELi32ELi64ELi256ELi4ELi64ELi4ELi64ELi4ELc78ELc84ELb0ELb0ELb1EdKPKdKPdEEviiiT16_PT17_ilSA_ilS8_SA_ilPT18_ili26rocblas_geam_ex_operation_.has_dyn_sized_stack, 0
	.set _ZN12_GLOBAL__N_120geam_min_plus_kernelId15HIP_vector_typeIdLj2EEdLi8ELi32ELi64ELi256ELi4ELi64ELi4ELi64ELi4ELc78ELc84ELb0ELb0ELb1EdKPKdKPdEEviiiT16_PT17_ilSA_ilS8_SA_ilPT18_ili26rocblas_geam_ex_operation_.has_recursion, 0
	.set _ZN12_GLOBAL__N_120geam_min_plus_kernelId15HIP_vector_typeIdLj2EEdLi8ELi32ELi64ELi256ELi4ELi64ELi4ELi64ELi4ELc78ELc84ELb0ELb0ELb1EdKPKdKPdEEviiiT16_PT17_ilSA_ilS8_SA_ilPT18_ili26rocblas_geam_ex_operation_.has_indirect_call, 0
	.section	.AMDGPU.csdata,"",@progbits
; Kernel info:
; codeLenInByte = 27128
; TotalNumSgprs: 27
; NumVgprs: 230
; ScratchSize: 0
; MemoryBound: 1
; FloatMode: 240
; IeeeMode: 1
; LDSByteSize: 20480 bytes/workgroup (compile time only)
; SGPRBlocks: 0
; VGPRBlocks: 28
; NumSGPRsForWavesPerEU: 27
; NumVGPRsForWavesPerEU: 230
; Occupancy: 4
; WaveLimiterHint : 1
; COMPUTE_PGM_RSRC2:SCRATCH_EN: 0
; COMPUTE_PGM_RSRC2:USER_SGPR: 6
; COMPUTE_PGM_RSRC2:TRAP_HANDLER: 0
; COMPUTE_PGM_RSRC2:TGID_X_EN: 1
; COMPUTE_PGM_RSRC2:TGID_Y_EN: 0
; COMPUTE_PGM_RSRC2:TGID_Z_EN: 1
; COMPUTE_PGM_RSRC2:TIDIG_COMP_CNT: 1
	.section	.text._ZN12_GLOBAL__N_120geam_min_plus_kernelId15HIP_vector_typeIdLj2EEdLi8ELi32ELi64ELi256ELi4ELi64ELi4ELi64ELi4ELc78ELc84ELb0ELb1ELb1EPKdKS4_KPdEEviiiT16_PT17_ilSA_ilS8_SA_ilPT18_ili26rocblas_geam_ex_operation_,"axG",@progbits,_ZN12_GLOBAL__N_120geam_min_plus_kernelId15HIP_vector_typeIdLj2EEdLi8ELi32ELi64ELi256ELi4ELi64ELi4ELi64ELi4ELc78ELc84ELb0ELb1ELb1EPKdKS4_KPdEEviiiT16_PT17_ilSA_ilS8_SA_ilPT18_ili26rocblas_geam_ex_operation_,comdat
	.globl	_ZN12_GLOBAL__N_120geam_min_plus_kernelId15HIP_vector_typeIdLj2EEdLi8ELi32ELi64ELi256ELi4ELi64ELi4ELi64ELi4ELc78ELc84ELb0ELb1ELb1EPKdKS4_KPdEEviiiT16_PT17_ilSA_ilS8_SA_ilPT18_ili26rocblas_geam_ex_operation_ ; -- Begin function _ZN12_GLOBAL__N_120geam_min_plus_kernelId15HIP_vector_typeIdLj2EEdLi8ELi32ELi64ELi256ELi4ELi64ELi4ELi64ELi4ELc78ELc84ELb0ELb1ELb1EPKdKS4_KPdEEviiiT16_PT17_ilSA_ilS8_SA_ilPT18_ili26rocblas_geam_ex_operation_
	.p2align	8
	.type	_ZN12_GLOBAL__N_120geam_min_plus_kernelId15HIP_vector_typeIdLj2EEdLi8ELi32ELi64ELi256ELi4ELi64ELi4ELi64ELi4ELc78ELc84ELb0ELb1ELb1EPKdKS4_KPdEEviiiT16_PT17_ilSA_ilS8_SA_ilPT18_ili26rocblas_geam_ex_operation_,@function
_ZN12_GLOBAL__N_120geam_min_plus_kernelId15HIP_vector_typeIdLj2EEdLi8ELi32ELi64ELi256ELi4ELi64ELi4ELi64ELi4ELc78ELc84ELb0ELb1ELb1EPKdKS4_KPdEEviiiT16_PT17_ilSA_ilS8_SA_ilPT18_ili26rocblas_geam_ex_operation_: ; @_ZN12_GLOBAL__N_120geam_min_plus_kernelId15HIP_vector_typeIdLj2EEdLi8ELi32ELi64ELi256ELi4ELi64ELi4ELi64ELi4ELc78ELc84ELb0ELb1ELb1EPKdKS4_KPdEEviiiT16_PT17_ilSA_ilS8_SA_ilPT18_ili26rocblas_geam_ex_operation_
; %bb.0:
	s_load_dwordx4 s[12:15], s[4:5], 0x10
	s_mov_b32 s0, s7
	s_mov_b32 s1, 0
	s_mov_b64 s[20:21], 0
	s_lshl_b64 s[26:27], s[0:1], 3
	s_load_dwordx4 s[0:3], s[4:5], 0x28
	s_mov_b64 s[22:23], 0
	s_waitcnt lgkmcnt(0)
	s_add_u32 s8, s12, s26
	s_addc_u32 s9, s13, s27
	s_load_dwordx2 s[12:13], s[4:5], 0x50
	s_load_dwordx2 s[18:19], s[8:9], 0x0
	s_load_dwordx4 s[8:11], s[4:5], 0x40
	s_waitcnt lgkmcnt(0)
	v_cmp_eq_f64_e64 s16, s[18:19], 0
	v_cmp_neq_f64_e64 s7, s[18:19], 0
	s_add_u32 s10, s10, s26
	s_addc_u32 s11, s11, s27
	s_and_b32 vcc_lo, exec_lo, s16
	s_cbranch_vccnz .LBB120_2
; %bb.1:
	s_add_u32 s14, s14, s26
	s_addc_u32 s15, s15, s27
	s_lshl_b64 s[0:1], s[0:1], 3
	s_load_dwordx2 s[14:15], s[14:15], 0x0
	s_waitcnt lgkmcnt(0)
	s_add_u32 s22, s14, s0
	s_addc_u32 s23, s15, s1
.LBB120_2:
	s_load_dwordx2 s[10:11], s[10:11], 0x0
	s_andn2_b32 vcc_lo, exec_lo, s7
	s_cbranch_vccnz .LBB120_4
; %bb.3:
	s_add_u32 s0, s2, s26
	s_addc_u32 s1, s3, s27
	s_lshl_b64 s[2:3], s[8:9], 3
	s_load_dwordx2 s[0:1], s[0:1], 0x0
	s_waitcnt lgkmcnt(0)
	s_add_u32 s20, s0, s2
	s_addc_u32 s21, s1, s3
.LBB120_4:
	s_waitcnt lgkmcnt(0)
	v_cmp_eq_f64_e64 s7, s[10:11], 0
	v_cmp_neq_f64_e64 s28, s[10:11], 0
	s_load_dwordx4 s[0:3], s[4:5], 0x60
	s_mov_b64 s[16:17], 0
	s_and_b32 vcc_lo, exec_lo, s7
	s_cbranch_vccnz .LBB120_6
; %bb.5:
	s_add_u32 s8, s12, s26
	s_addc_u32 s9, s13, s27
	s_waitcnt lgkmcnt(0)
	s_lshl_b64 s[0:1], s[0:1], 3
	s_load_dwordx2 s[8:9], s[8:9], 0x0
	s_waitcnt lgkmcnt(0)
	s_add_u32 s16, s8, s0
	s_addc_u32 s17, s9, s1
.LBB120_6:
	s_clause 0x1
	s_load_dword s24, s[4:5], 0x20
	s_load_dwordx4 s[12:15], s[4:5], 0x0
	s_waitcnt lgkmcnt(0)
	s_ashr_i32 s25, s24, 31
	s_add_u32 s8, s2, s26
	s_addc_u32 s9, s3, s27
	s_add_i32 s0, s12, -1
	v_cmp_eq_f64_e64 s27, s[18:19], 0
	s_ashr_i32 s1, s0, 31
	s_lshr_b32 s1, s1, 26
	s_add_i32 s0, s0, s1
	s_ashr_i32 s0, s0, 6
	s_add_i32 s2, s0, 1
	s_not_b32 s0, s0
	v_cvt_f32_u32_e32 v2, s2
	v_rcp_iflag_f32_e32 v2, v2
	v_mul_f32_e32 v2, 0x4f7ffffe, v2
	v_cvt_u32_f32_e32 v2, v2
	v_readfirstlane_b32 s1, v2
	v_lshl_add_u32 v2, v1, 3, v0
	s_mul_i32 s0, s0, s1
	v_and_b32_e32 v12, 63, v2
	s_mul_hi_u32 s0, s1, s0
	v_lshrrev_b32_e32 v146, 6, v2
	s_add_i32 s1, s1, s0
                                        ; implicit-def: $vgpr2_vgpr3
	s_mul_hi_u32 s0, s6, s1
	s_mul_i32 s1, s0, s2
	s_add_i32 s3, s0, 1
	s_sub_i32 s1, s6, s1
	s_sub_i32 s7, s1, s2
	s_cmp_ge_u32 s1, s2
	s_cselect_b32 s0, s3, s0
	s_cselect_b32 s1, s7, s1
	s_add_i32 s3, s0, 1
	s_cmp_ge_u32 s1, s2
	s_cselect_b32 s1, s3, s0
                                        ; implicit-def: $sgpr3
	s_mul_i32 s0, s1, s2
	s_sub_i32 s0, s6, s0
	v_cmp_le_i32_e64 s6, s14, v146
	s_lshl_b32 s15, s0, 6
	v_or_b32_e32 v66, s15, v12
	v_cmp_le_i32_e32 vcc_lo, s12, v66
	v_ashrrev_i32_e32 v67, 31, v66
	s_or_b32 s2, vcc_lo, s6
	s_nor_b32 s0, s27, s2
	s_and_saveexec_b32 s7, s0
	s_xor_b32 s7, exec_lo, s7
	s_cbranch_execz .LBB120_8
; %bb.7:
	s_add_i32 s3, s14, -1
	v_lshlrev_b64 v[4:5], 3, v[66:67]
	v_min_u32_e32 v2, s3, v146
	v_mad_i64_i32 v[2:3], null, s24, v2, 0
	v_lshlrev_b64 v[2:3], 3, v[2:3]
	v_add_co_u32 v2, s0, s22, v2
	v_add_co_ci_u32_e64 v3, null, s23, v3, s0
	v_add_co_u32 v2, s0, v2, v4
	v_add_co_ci_u32_e64 v3, null, v3, v5, s0
	flat_load_dwordx2 v[2:3], v[2:3]
	s_waitcnt vmcnt(0) lgkmcnt(0)
	v_mul_f64 v[2:3], s[18:19], v[2:3]
.LBB120_8:
	s_or_saveexec_b32 s0, s7
	v_mov_b32_e32 v4, s3
	s_xor_b32 exec_lo, exec_lo, s0
; %bb.9:
	s_add_i32 s3, s14, -1
	v_cndmask_b32_e64 v3, 0, 0x7fefffff, s2
	v_cndmask_b32_e64 v2, 0, -1, s2
	v_mov_b32_e32 v4, s3
; %bb.10:
	s_or_b32 exec_lo, exec_lo, s0
	s_load_dword s29, s[4:5], 0x38
	v_min_i32_e32 v4, v146, v4
	s_lshl_b32 s26, s1, 8
	v_or_b32_e32 v68, s26, v12
	v_cmp_le_i32_e64 s0, s13, v68
	v_ashrrev_i32_e32 v69, 31, v68
	s_or_b32 s2, s0, s6
	s_waitcnt lgkmcnt(0)
	v_mad_i64_i32 v[4:5], null, v4, s29, 0
	v_lshlrev_b64 v[6:7], 3, v[4:5]
	v_cndmask_b32_e64 v5, 0, 0x7fefffff, s2
	v_cndmask_b32_e64 v4, 0, -1, s2
	v_add_co_u32 v13, s1, s20, v6
	v_add_co_ci_u32_e64 v14, null, s21, v7, s1
	s_nor_b32 s1, s27, s2
	s_and_saveexec_b32 s2, s1
	s_cbranch_execz .LBB120_12
; %bb.11:
	v_lshlrev_b64 v[4:5], 3, v[68:69]
	v_add_co_u32 v4, s1, v13, v4
	v_add_co_ci_u32_e64 v5, null, v14, v5, s1
	flat_load_dwordx2 v[4:5], v[4:5]
	s_waitcnt vmcnt(0) lgkmcnt(0)
	v_mul_f64 v[4:5], s[18:19], v[4:5]
.LBB120_12:
	s_or_b32 exec_lo, exec_lo, s2
	v_or_b32_e32 v6, 64, v68
	v_cmp_le_i32_e64 s1, s13, v6
	s_or_b32 s2, s1, s6
	v_cndmask_b32_e64 v7, 0, 0x7fefffff, s2
	v_cndmask_b32_e64 v6, 0, -1, s2
	s_nor_b32 s2, s27, s2
	s_and_saveexec_b32 s3, s2
	s_cbranch_execz .LBB120_14
; %bb.13:
	v_lshlrev_b64 v[6:7], 3, v[68:69]
	v_add_co_u32 v6, s2, v13, v6
	v_add_co_ci_u32_e64 v7, null, v14, v7, s2
	flat_load_dwordx2 v[6:7], v[6:7] offset:512
	s_waitcnt vmcnt(0) lgkmcnt(0)
	v_mul_f64 v[6:7], s[18:19], v[6:7]
.LBB120_14:
	s_or_b32 exec_lo, exec_lo, s3
	v_or_b32_e32 v8, 0x80, v68
	v_cmp_le_i32_e64 s2, s13, v8
	s_or_b32 s3, s2, s6
	v_cndmask_b32_e64 v9, 0, 0x7fefffff, s3
	v_cndmask_b32_e64 v8, 0, -1, s3
	s_nor_b32 s3, s27, s3
	s_and_saveexec_b32 s7, s3
	s_cbranch_execz .LBB120_16
; %bb.15:
	v_lshlrev_b64 v[8:9], 3, v[68:69]
	v_add_co_u32 v8, s3, v13, v8
	v_add_co_ci_u32_e64 v9, null, v14, v9, s3
	flat_load_dwordx2 v[8:9], v[8:9] offset:1024
	s_waitcnt vmcnt(0) lgkmcnt(0)
	v_mul_f64 v[8:9], s[18:19], v[8:9]
.LBB120_16:
	;; [unrolled: 17-line block ×3, first 2 shown]
	s_or_b32 exec_lo, exec_lo, s7
	v_add_nc_u32_e32 v13, 4, v146
                                        ; implicit-def: $vgpr74_vgpr75
                                        ; implicit-def: $sgpr31
	v_cmp_le_i32_e64 s6, s14, v13
	s_or_b32 s30, vcc_lo, s6
	s_nor_b32 s7, s27, s30
	s_and_saveexec_b32 s33, s7
	s_xor_b32 s33, exec_lo, s33
	s_cbranch_execz .LBB120_20
; %bb.19:
	s_add_i32 s31, s14, -1
	v_min_u32_e32 v16, s31, v13
	v_mad_u64_u32 v[14:15], null, s24, v16, 0
	v_mad_u64_u32 v[15:16], null, s25, v16, v[15:16]
	v_lshlrev_b64 v[16:17], 3, v[66:67]
	v_lshlrev_b64 v[14:15], 3, v[14:15]
	v_add_co_u32 v14, s7, s22, v14
	v_add_co_ci_u32_e64 v15, null, s23, v15, s7
	v_add_co_u32 v14, s7, v14, v16
	v_add_co_ci_u32_e64 v15, null, v15, v17, s7
	flat_load_dwordx2 v[14:15], v[14:15]
	s_waitcnt vmcnt(0) lgkmcnt(0)
	v_mul_f64 v[74:75], s[18:19], v[14:15]
.LBB120_20:
	s_or_saveexec_b32 s7, s33
	v_mov_b32_e32 v14, s31
	s_xor_b32 exec_lo, exec_lo, s7
; %bb.21:
	s_add_i32 s31, s14, -1
	v_cndmask_b32_e64 v75, 0, 0x7fefffff, s30
	v_cndmask_b32_e64 v74, 0, -1, s30
	v_mov_b32_e32 v14, s31
; %bb.22:
	s_or_b32 exec_lo, exec_lo, s7
	v_min_i32_e32 v13, v13, v14
	s_or_b32 s30, s0, s6
	v_cndmask_b32_e64 v77, 0, 0x7fefffff, s30
	v_cndmask_b32_e64 v76, 0, -1, s30
	v_mad_i64_i32 v[13:14], null, v13, s29, 0
	v_lshlrev_b64 v[13:14], 3, v[13:14]
	v_add_co_u32 v13, s7, s20, v13
	v_add_co_ci_u32_e64 v14, null, s21, v14, s7
	s_nor_b32 s7, s27, s30
	s_and_saveexec_b32 s30, s7
	s_cbranch_execz .LBB120_24
; %bb.23:
	v_lshlrev_b64 v[15:16], 3, v[68:69]
	v_add_co_u32 v15, s7, v13, v15
	v_add_co_ci_u32_e64 v16, null, v14, v16, s7
	flat_load_dwordx2 v[15:16], v[15:16]
	s_waitcnt vmcnt(0) lgkmcnt(0)
	v_mul_f64 v[76:77], s[18:19], v[15:16]
.LBB120_24:
	s_or_b32 exec_lo, exec_lo, s30
	s_or_b32 s7, s1, s6
	v_cndmask_b32_e64 v79, 0, 0x7fefffff, s7
	v_cndmask_b32_e64 v78, 0, -1, s7
	s_nor_b32 s7, s27, s7
	s_and_saveexec_b32 s30, s7
	s_cbranch_execz .LBB120_26
; %bb.25:
	v_lshlrev_b64 v[15:16], 3, v[68:69]
	v_add_co_u32 v15, s7, v13, v15
	v_add_co_ci_u32_e64 v16, null, v14, v16, s7
	flat_load_dwordx2 v[15:16], v[15:16] offset:512
	s_waitcnt vmcnt(0) lgkmcnt(0)
	v_mul_f64 v[78:79], s[18:19], v[15:16]
.LBB120_26:
	s_or_b32 exec_lo, exec_lo, s30
	s_or_b32 s7, s2, s6
	v_cndmask_b32_e64 v71, 0, 0x7fefffff, s7
	v_cndmask_b32_e64 v70, 0, -1, s7
	s_nor_b32 s7, s27, s7
	s_and_saveexec_b32 s30, s7
	s_cbranch_execz .LBB120_28
; %bb.27:
	v_lshlrev_b64 v[15:16], 3, v[68:69]
	v_add_co_u32 v15, s7, v13, v15
	v_add_co_ci_u32_e64 v16, null, v14, v16, s7
	flat_load_dwordx2 v[15:16], v[15:16] offset:1024
	s_waitcnt vmcnt(0) lgkmcnt(0)
	v_mul_f64 v[70:71], s[18:19], v[15:16]
.LBB120_28:
	s_or_b32 exec_lo, exec_lo, s30
	s_or_b32 s6, s3, s6
	v_cndmask_b32_e64 v73, 0, 0x7fefffff, s6
	v_cndmask_b32_e64 v72, 0, -1, s6
	s_nor_b32 s6, s27, s6
	s_and_saveexec_b32 s7, s6
	s_cbranch_execz .LBB120_30
; %bb.29:
	v_lshlrev_b64 v[15:16], 3, v[68:69]
	v_add_co_u32 v13, s6, v13, v15
	v_add_co_ci_u32_e64 v14, null, v14, v16, s6
	flat_load_dwordx2 v[13:14], v[13:14] offset:1536
	s_waitcnt vmcnt(0) lgkmcnt(0)
	v_mul_f64 v[72:73], s[18:19], v[13:14]
.LBB120_30:
	s_or_b32 exec_lo, exec_lo, s7
	v_lshlrev_b32_e32 v12, 5, v12
	v_lshlrev_b32_e32 v148, 5, v0
	s_load_dwordx2 s[8:9], s[8:9], 0x0
	v_lshlrev_b32_e32 v147, 5, v1
	s_cmp_lt_i32 s14, 9
	v_lshl_add_u32 v149, v146, 3, v12
	ds_write_b64 v149, v[2:3] offset:16384
	ds_write2st64_b64 v149, v[4:5], v[6:7] offset1:4
	ds_write2st64_b64 v149, v[8:9], v[10:11] offset0:8 offset1:12
	s_waitcnt lgkmcnt(0)
	s_barrier
	buffer_gl0_inv
	ds_read_b128 v[10:13], v148 offset:16640
	ds_read_b128 v[14:17], v148 offset:16896
	;; [unrolled: 1-line block ×16, first 2 shown]
	ds_read_b128 v[84:87], v147
	ds_read_b128 v[6:9], v147 offset:16
	s_waitcnt lgkmcnt(1)
	v_add_f64 v[88:89], v[82:83], v[86:87]
	v_add_f64 v[90:91], v[80:81], v[84:85]
	s_waitcnt lgkmcnt(0)
	v_add_f64 v[144:145], v[4:5], v[8:9]
	v_add_f64 v[150:151], v[2:3], v[6:7]
	v_cvt_f32_f64_e32 v88, v[88:89]
	v_cvt_f32_f64_e32 v90, v[90:91]
	;; [unrolled: 1-line block ×4, first 2 shown]
	v_min3_f32 v143, v90, v88, 0x7f800000
	v_add_f64 v[88:89], v[12:13], v[86:87]
	v_add_f64 v[90:91], v[10:11], v[84:85]
	v_min3_f32 v221, v150, v144, v143
	v_cvt_f32_f64_e32 v88, v[88:89]
	v_cvt_f32_f64_e32 v90, v[90:91]
	v_min3_f32 v142, v90, v88, 0x7f800000
	v_add_f64 v[88:89], v[16:17], v[86:87]
	v_add_f64 v[90:91], v[14:15], v[84:85]
	v_cvt_f32_f64_e32 v88, v[88:89]
	v_cvt_f32_f64_e32 v90, v[90:91]
	v_min3_f32 v141, v90, v88, 0x7f800000
	v_add_f64 v[88:89], v[20:21], v[86:87]
	v_add_f64 v[90:91], v[18:19], v[84:85]
	v_cvt_f32_f64_e32 v88, v[88:89]
	v_cvt_f32_f64_e32 v90, v[90:91]
	v_min3_f32 v140, v90, v88, 0x7f800000
	v_add_f64 v[88:89], v[24:25], v[86:87]
	v_add_f64 v[90:91], v[22:23], v[84:85]
	v_cvt_f32_f64_e32 v88, v[88:89]
	v_cvt_f32_f64_e32 v90, v[90:91]
	v_min3_f32 v139, v90, v88, 0x7f800000
	v_add_f64 v[88:89], v[28:29], v[86:87]
	v_add_f64 v[90:91], v[26:27], v[84:85]
	v_cvt_f32_f64_e32 v88, v[88:89]
	v_cvt_f32_f64_e32 v90, v[90:91]
	v_min3_f32 v138, v90, v88, 0x7f800000
	v_add_f64 v[88:89], v[32:33], v[86:87]
	v_add_f64 v[90:91], v[30:31], v[84:85]
	v_add_f64 v[86:87], v[36:37], v[86:87]
	v_add_f64 v[84:85], v[34:35], v[84:85]
	v_cvt_f32_f64_e32 v88, v[88:89]
	v_cvt_f32_f64_e32 v90, v[90:91]
	;; [unrolled: 1-line block ×4, first 2 shown]
	v_add_f64 v[86:87], v[80:81], v[38:39]
	v_min3_f32 v137, v90, v88, 0x7f800000
	v_min3_f32 v136, v84, v85, 0x7f800000
	v_add_f64 v[84:85], v[82:83], v[40:41]
	v_cvt_f32_f64_e32 v86, v[86:87]
	v_cvt_f32_f64_e32 v84, v[84:85]
	v_min3_f32 v135, v86, v84, 0x7f800000
	v_add_f64 v[84:85], v[12:13], v[40:41]
	v_add_f64 v[86:87], v[10:11], v[38:39]
	v_cvt_f32_f64_e32 v84, v[84:85]
	v_cvt_f32_f64_e32 v86, v[86:87]
	v_min3_f32 v134, v86, v84, 0x7f800000
	v_add_f64 v[84:85], v[16:17], v[40:41]
	;; [unrolled: 5-line block ×6, first 2 shown]
	v_add_f64 v[86:87], v[30:31], v[38:39]
	v_add_f64 v[40:41], v[36:37], v[40:41]
	;; [unrolled: 1-line block ×3, first 2 shown]
	v_cvt_f32_f64_e32 v84, v[84:85]
	v_cvt_f32_f64_e32 v86, v[86:87]
	;; [unrolled: 1-line block ×4, first 2 shown]
	v_add_f64 v[40:41], v[80:81], v[42:43]
	v_min3_f32 v129, v86, v84, 0x7f800000
	v_min3_f32 v128, v38, v39, 0x7f800000
	v_add_f64 v[38:39], v[82:83], v[44:45]
	v_cvt_f32_f64_e32 v40, v[40:41]
	v_cvt_f32_f64_e32 v38, v[38:39]
	v_min3_f32 v127, v40, v38, 0x7f800000
	v_add_f64 v[38:39], v[12:13], v[44:45]
	v_add_f64 v[40:41], v[10:11], v[42:43]
	v_cvt_f32_f64_e32 v38, v[38:39]
	v_cvt_f32_f64_e32 v40, v[40:41]
	v_min3_f32 v126, v40, v38, 0x7f800000
	v_add_f64 v[38:39], v[16:17], v[44:45]
	;; [unrolled: 5-line block ×33, first 2 shown]
	v_add_f64 v[40:41], v[10:11], v[58:59]
	v_add_f64 v[12:13], v[12:13], v[64:65]
	;; [unrolled: 1-line block ×3, first 2 shown]
	v_cvt_f32_f64_e32 v38, v[38:39]
	v_cvt_f32_f64_e32 v40, v[40:41]
	;; [unrolled: 1-line block ×4, first 2 shown]
	v_add_f64 v[12:13], v[14:15], v[62:63]
	v_min3_f32 v94, v40, v38, 0x7f800000
	v_add_f64 v[38:39], v[16:17], v[60:61]
	v_add_f64 v[40:41], v[14:15], v[58:59]
	v_min3_f32 v86, v10, v11, 0x7f800000
	v_add_f64 v[10:11], v[16:17], v[64:65]
	v_cvt_f32_f64_e32 v12, v[12:13]
	v_cvt_f32_f64_e32 v38, v[38:39]
	;; [unrolled: 1-line block ×4, first 2 shown]
	v_min3_f32 v93, v40, v38, 0x7f800000
	v_add_f64 v[38:39], v[20:21], v[60:61]
	v_add_f64 v[40:41], v[18:19], v[58:59]
	v_min3_f32 v85, v12, v10, 0x7f800000
	v_add_f64 v[10:11], v[20:21], v[64:65]
	v_add_f64 v[12:13], v[18:19], v[62:63]
	v_cvt_f32_f64_e32 v38, v[38:39]
	v_cvt_f32_f64_e32 v40, v[40:41]
	;; [unrolled: 1-line block ×4, first 2 shown]
	v_min3_f32 v92, v40, v38, 0x7f800000
	v_add_f64 v[38:39], v[24:25], v[60:61]
	v_add_f64 v[40:41], v[22:23], v[58:59]
	v_min3_f32 v84, v12, v10, 0x7f800000
	v_add_f64 v[10:11], v[24:25], v[64:65]
	v_add_f64 v[12:13], v[22:23], v[62:63]
	v_cvt_f32_f64_e32 v38, v[38:39]
	v_cvt_f32_f64_e32 v40, v[40:41]
	;; [unrolled: 1-line block ×4, first 2 shown]
	v_min3_f32 v91, v40, v38, 0x7f800000
	v_add_f64 v[38:39], v[28:29], v[60:61]
	v_add_f64 v[40:41], v[26:27], v[58:59]
	v_cvt_f32_f64_e32 v38, v[38:39]
	v_cvt_f32_f64_e32 v40, v[40:41]
	v_min3_f32 v90, v40, v38, 0x7f800000
	v_add_f64 v[38:39], v[32:33], v[60:61]
	v_add_f64 v[40:41], v[30:31], v[58:59]
	v_cvt_f32_f64_e32 v38, v[38:39]
	v_cvt_f32_f64_e32 v40, v[40:41]
	;; [unrolled: 5-line block ×3, first 2 shown]
	v_min3_f32 v88, v40, v38, 0x7f800000
	v_add_f64 v[38:39], v[82:83], v[64:65]
	v_min3_f32 v83, v12, v10, 0x7f800000
	v_add_f64 v[10:11], v[28:29], v[64:65]
	v_add_f64 v[12:13], v[26:27], v[62:63]
	;; [unrolled: 1-line block ×3, first 2 shown]
	v_cvt_f32_f64_e32 v38, v[38:39]
	v_cvt_f32_f64_e32 v10, v[10:11]
	v_cvt_f32_f64_e32 v12, v[12:13]
	v_cvt_f32_f64_e32 v40, v[40:41]
	v_min3_f32 v82, v12, v10, 0x7f800000
	v_add_f64 v[10:11], v[32:33], v[64:65]
	v_add_f64 v[12:13], v[30:31], v[62:63]
	v_min3_f32 v87, v40, v38, 0x7f800000
	v_cvt_f32_f64_e32 v10, v[10:11]
	v_cvt_f32_f64_e32 v12, v[12:13]
	v_min3_f32 v81, v12, v10, 0x7f800000
	v_add_f64 v[10:11], v[36:37], v[64:65]
	v_add_f64 v[12:13], v[34:35], v[62:63]
	v_cvt_f32_f64_e32 v10, v[10:11]
	v_cvt_f32_f64_e32 v12, v[12:13]
	v_min3_f32 v80, v12, v10, 0x7f800000
	ds_read_b128 v[34:37], v148 offset:16656
	ds_read_b128 v[30:33], v148 offset:16912
	;; [unrolled: 1-line block ×14, first 2 shown]
	ds_write_b64 v149, v[74:75] offset:18432
	ds_write2st64_b64 v149, v[76:77], v[78:79] offset0:16 offset1:20
	ds_write2st64_b64 v149, v[70:71], v[72:73] offset0:24 offset1:28
	s_waitcnt lgkmcnt(0)
	s_barrier
	buffer_gl0_inv
	v_add_f64 v[143:144], v[36:37], v[8:9]
	v_add_f64 v[150:151], v[34:35], v[6:7]
	v_cvt_f32_f64_e32 v143, v[143:144]
	v_cvt_f32_f64_e32 v145, v[150:151]
	v_min3_f32 v220, v145, v143, v142
	v_add_f64 v[142:143], v[32:33], v[8:9]
	v_add_f64 v[144:145], v[30:31], v[6:7]
	v_cvt_f32_f64_e32 v142, v[142:143]
	v_cvt_f32_f64_e32 v144, v[144:145]
	v_min3_f32 v219, v144, v142, v141
	;; [unrolled: 5-line block ×5, first 2 shown]
	v_add_f64 v[138:139], v[16:17], v[8:9]
	v_add_f64 v[140:141], v[14:15], v[6:7]
	;; [unrolled: 1-line block ×4, first 2 shown]
	v_cvt_f32_f64_e32 v138, v[138:139]
	v_cvt_f32_f64_e32 v140, v[140:141]
	;; [unrolled: 1-line block ×4, first 2 shown]
	v_add_f64 v[8:9], v[2:3], v[62:63]
	v_min3_f32 v215, v140, v138, v137
	v_min3_f32 v214, v6, v7, v136
	v_add_f64 v[6:7], v[4:5], v[64:65]
	v_cvt_f32_f64_e32 v8, v[8:9]
	v_cvt_f32_f64_e32 v6, v[6:7]
	v_min3_f32 v213, v8, v6, v135
	v_add_f64 v[6:7], v[36:37], v[64:65]
	v_add_f64 v[8:9], v[34:35], v[62:63]
	v_cvt_f32_f64_e32 v6, v[6:7]
	v_cvt_f32_f64_e32 v8, v[8:9]
	v_min3_f32 v212, v8, v6, v134
	v_add_f64 v[6:7], v[32:33], v[64:65]
	;; [unrolled: 5-line block ×40, first 2 shown]
	v_add_f64 v[8:9], v[2:3], v[42:43]
	v_add_f64 v[4:5], v[4:5], v[40:41]
	;; [unrolled: 1-line block ×3, first 2 shown]
	v_cvt_f32_f64_e32 v6, v[6:7]
	v_cvt_f32_f64_e32 v8, v[8:9]
	;; [unrolled: 1-line block ×4, first 2 shown]
	v_add_f64 v[4:5], v[34:35], v[38:39]
	v_min3_f32 v165, v8, v6, v95
	v_add_f64 v[6:7], v[36:37], v[44:45]
	v_add_f64 v[8:9], v[34:35], v[42:43]
	v_min3_f32 v157, v2, v3, v87
	v_add_f64 v[2:3], v[36:37], v[40:41]
	v_cvt_f32_f64_e32 v4, v[4:5]
	v_cvt_f32_f64_e32 v6, v[6:7]
	v_cvt_f32_f64_e32 v8, v[8:9]
	v_cvt_f32_f64_e32 v2, v[2:3]
	v_min3_f32 v164, v8, v6, v94
	v_add_f64 v[6:7], v[32:33], v[44:45]
	v_add_f64 v[8:9], v[30:31], v[42:43]
	v_min3_f32 v156, v4, v2, v86
	v_add_f64 v[2:3], v[32:33], v[40:41]
	v_add_f64 v[4:5], v[30:31], v[38:39]
	v_cvt_f32_f64_e32 v6, v[6:7]
	v_cvt_f32_f64_e32 v8, v[8:9]
	v_cvt_f32_f64_e32 v2, v[2:3]
	v_cvt_f32_f64_e32 v4, v[4:5]
	v_min3_f32 v163, v8, v6, v93
	v_add_f64 v[6:7], v[28:29], v[44:45]
	v_add_f64 v[8:9], v[26:27], v[42:43]
	v_min3_f32 v155, v4, v2, v85
	v_add_f64 v[2:3], v[28:29], v[40:41]
	;; [unrolled: 10-line block ×6, first 2 shown]
	v_add_f64 v[4:5], v[10:11], v[38:39]
	v_cvt_f32_f64_e32 v6, v[6:7]
	v_cvt_f32_f64_e32 v8, v[8:9]
	;; [unrolled: 1-line block ×4, first 2 shown]
	v_min3_f32 v158, v8, v6, v88
	v_min3_f32 v150, v4, v2, v80
	s_cbranch_scc1 .LBB120_57
; %bb.31:
	v_add_nc_u32_e32 v4, 12, v146
	v_add_nc_u32_e32 v6, 8, v146
	v_lshlrev_b64 v[2:3], 3, v[66:67]
	v_lshlrev_b64 v[134:135], 3, v[68:69]
	v_or_b32_e32 v171, 0x4000, v149
	v_mad_i64_i32 v[4:5], null, v4, s24, 0
	v_mad_i64_i32 v[6:7], null, v6, s24, 0
	v_add_co_u32 v176, s6, s22, v2
	v_or_b32_e32 v172, 0x4000, v148
	v_add_nc_u32_e32 v173, 0x4800, v149
	v_lshlrev_b64 v[130:131], 3, v[4:5]
	v_or_b32_e32 v174, 0x2000, v149
	v_lshlrev_b64 v[132:133], 3, v[6:7]
	v_add_co_ci_u32_e64 v177, null, s23, v3, s6
	v_lshl_add_u32 v178, v0, 5, 0x4800
	v_lshl_or_b32 v179, v1, 5, 0x2000
	s_add_i32 s30, s14, -8
	s_add_i32 s31, s14, -1
	s_lshl_b64 s[22:23], s[24:25], 6
	s_mov_b32 s24, 0
	s_branch .LBB120_33
.LBB120_32:                             ;   in Loop: Header=BB120_33 Depth=1
	s_or_b32 exec_lo, exec_lo, s7
	v_add_f64 v[222:223], v[100:101], v[128:129]
	v_add_f64 v[224:225], v[98:99], v[126:127]
	v_add_co_u32 v176, s6, v176, s22
	v_add_co_ci_u32_e64 v177, null, s23, v177, s6
	s_add_i32 s24, s24, 8
	s_cmp_ge_i32 s24, s30
	v_cvt_f32_f64_e32 v222, v[222:223]
	v_cvt_f32_f64_e32 v224, v[224:225]
	v_min3_f32 v221, v224, v222, v221
	v_add_f64 v[222:223], v[96:97], v[128:129]
	v_add_f64 v[224:225], v[94:95], v[126:127]
	v_cvt_f32_f64_e32 v222, v[222:223]
	v_cvt_f32_f64_e32 v224, v[224:225]
	v_min3_f32 v220, v224, v222, v220
	v_add_f64 v[222:223], v[92:93], v[128:129]
	v_add_f64 v[224:225], v[90:91], v[126:127]
	;; [unrolled: 5-line block ×6, first 2 shown]
	v_add_f64 v[128:129], v[68:69], v[128:129]
	v_add_f64 v[126:127], v[66:67], v[126:127]
	v_cvt_f32_f64_e32 v222, v[222:223]
	v_cvt_f32_f64_e32 v224, v[224:225]
	;; [unrolled: 1-line block ×4, first 2 shown]
	v_add_f64 v[128:129], v[98:99], v[122:123]
	v_min3_f32 v215, v224, v222, v215
	v_min3_f32 v214, v126, v127, v214
	v_add_f64 v[126:127], v[100:101], v[124:125]
	v_cvt_f32_f64_e32 v128, v[128:129]
	v_cvt_f32_f64_e32 v126, v[126:127]
	v_min3_f32 v213, v128, v126, v213
	v_add_f64 v[126:127], v[96:97], v[124:125]
	v_add_f64 v[128:129], v[94:95], v[122:123]
	v_cvt_f32_f64_e32 v126, v[126:127]
	v_cvt_f32_f64_e32 v128, v[128:129]
	v_min3_f32 v212, v128, v126, v212
	v_add_f64 v[126:127], v[92:93], v[124:125]
	;; [unrolled: 5-line block ×6, first 2 shown]
	v_add_f64 v[128:129], v[70:71], v[122:123]
	v_add_f64 v[124:125], v[68:69], v[124:125]
	;; [unrolled: 1-line block ×3, first 2 shown]
	v_cvt_f32_f64_e32 v126, v[126:127]
	v_cvt_f32_f64_e32 v128, v[128:129]
	v_cvt_f32_f64_e32 v122, v[122:123]
	v_cvt_f32_f64_e32 v123, v[124:125]
	v_add_f64 v[124:125], v[98:99], v[118:119]
	v_min3_f32 v207, v128, v126, v207
	v_min3_f32 v206, v122, v123, v206
	v_add_f64 v[122:123], v[100:101], v[120:121]
	v_cvt_f32_f64_e32 v124, v[124:125]
	v_add_f64 v[125:126], v[94:95], v[118:119]
	v_cvt_f32_f64_e32 v122, v[122:123]
	v_cvt_f32_f64_e32 v125, v[125:126]
	v_min3_f32 v122, v124, v122, v205
	v_add_f64 v[123:124], v[96:97], v[120:121]
	v_cvt_f32_f64_e32 v123, v[123:124]
	v_min3_f32 v204, v125, v123, v204
	v_add_f64 v[123:124], v[92:93], v[120:121]
	v_add_f64 v[125:126], v[90:91], v[118:119]
	v_cvt_f32_f64_e32 v123, v[123:124]
	v_cvt_f32_f64_e32 v125, v[125:126]
	v_min3_f32 v203, v125, v123, v203
	v_add_f64 v[123:124], v[88:89], v[120:121]
	v_add_f64 v[125:126], v[86:87], v[118:119]
	v_cvt_f32_f64_e32 v123, v[123:124]
	;; [unrolled: 5-line block ×4, first 2 shown]
	v_cvt_f32_f64_e32 v125, v[125:126]
	v_min3_f32 v200, v125, v123, v200
	v_add_f64 v[123:124], v[72:73], v[120:121]
	v_add_f64 v[125:126], v[70:71], v[118:119]
	;; [unrolled: 1-line block ×4, first 2 shown]
	v_cvt_f32_f64_e32 v123, v[123:124]
	v_cvt_f32_f64_e32 v125, v[125:126]
	;; [unrolled: 1-line block ×4, first 2 shown]
	v_add_f64 v[120:121], v[98:99], v[114:115]
	v_min3_f32 v199, v125, v123, v199
	v_add_f64 v[123:124], v[82:83], v[114:115]
	v_add_f64 v[125:126], v[70:71], v[114:115]
	v_min3_f32 v198, v118, v119, v198
	v_add_f64 v[118:119], v[100:101], v[116:117]
	v_cvt_f32_f64_e32 v120, v[120:121]
	v_cvt_f32_f64_e32 v118, v[118:119]
	v_min3_f32 v197, v120, v118, v197
	v_add_f64 v[118:119], v[96:97], v[116:117]
	v_add_f64 v[120:121], v[94:95], v[114:115]
	v_cvt_f32_f64_e32 v118, v[118:119]
	v_cvt_f32_f64_e32 v120, v[120:121]
	v_min3_f32 v196, v120, v118, v196
	v_add_f64 v[118:119], v[92:93], v[116:117]
	;; [unrolled: 5-line block ×3, first 2 shown]
	v_add_f64 v[120:121], v[86:87], v[114:115]
	v_cvt_f32_f64_e32 v118, v[118:119]
	v_cvt_f32_f64_e32 v120, v[120:121]
	;; [unrolled: 1-line block ×3, first 2 shown]
	v_add_f64 v[123:124], v[78:79], v[114:115]
	v_add_f64 v[114:115], v[66:67], v[114:115]
	v_min3_f32 v118, v120, v118, v194
	v_add_f64 v[119:120], v[84:85], v[116:117]
	v_cvt_f32_f64_e32 v123, v[123:124]
	v_cvt_f32_f64_e32 v114, v[114:115]
	v_cvt_f32_f64_e32 v119, v[119:120]
	v_min3_f32 v119, v121, v119, v193
	v_add_f64 v[120:121], v[80:81], v[116:117]
	v_cvt_f32_f64_e32 v120, v[120:121]
	v_cvt_f32_f64_e32 v121, v[125:126]
	v_add_f64 v[125:126], v[90:91], v[110:111]
	v_min3_f32 v120, v123, v120, v192
	v_add_f64 v[123:124], v[72:73], v[116:117]
	v_add_f64 v[116:117], v[68:69], v[116:117]
	v_cvt_f32_f64_e32 v123, v[123:124]
	v_cvt_f32_f64_e32 v115, v[116:117]
	v_min3_f32 v121, v121, v123, v191
	v_min3_f32 v114, v114, v115, v190
	v_add_f64 v[115:116], v[100:101], v[112:113]
	v_add_f64 v[123:124], v[98:99], v[110:111]
	v_cvt_f32_f64_e32 v115, v[115:116]
	v_cvt_f32_f64_e32 v117, v[123:124]
	v_add_f64 v[123:124], v[94:95], v[110:111]
	v_min3_f32 v115, v117, v115, v189
	v_add_f64 v[116:117], v[96:97], v[112:113]
	v_cvt_f32_f64_e32 v123, v[123:124]
	v_cvt_f32_f64_e32 v116, v[116:117]
	;; [unrolled: 1-line block ×3, first 2 shown]
	v_add_f64 v[125:126], v[86:87], v[110:111]
	v_min3_f32 v116, v123, v116, v188
	v_add_f64 v[123:124], v[92:93], v[112:113]
	v_cvt_f32_f64_e32 v125, v[125:126]
	v_add_f64 v[126:127], v[82:83], v[110:111]
	v_cvt_f32_f64_e32 v123, v[123:124]
	v_cvt_f32_f64_e32 v126, v[126:127]
	v_add_f64 v[127:128], v[78:79], v[110:111]
	v_min3_f32 v117, v117, v123, v187
	v_add_f64 v[123:124], v[88:89], v[112:113]
	v_cvt_f32_f64_e32 v127, v[127:128]
	v_cvt_f32_f64_e32 v123, v[123:124]
	v_min3_f32 v123, v125, v123, v186
	v_add_f64 v[124:125], v[84:85], v[112:113]
	v_cvt_f32_f64_e32 v124, v[124:125]
	v_min3_f32 v124, v126, v124, v185
	v_add_f64 v[125:126], v[80:81], v[112:113]
	;; [unrolled: 3-line block ×3, first 2 shown]
	v_add_f64 v[127:128], v[70:71], v[110:111]
	v_add_f64 v[112:113], v[68:69], v[112:113]
	v_add_f64 v[110:111], v[66:67], v[110:111]
	v_cvt_f32_f64_e32 v125, v[125:126]
	v_cvt_f32_f64_e32 v127, v[127:128]
	;; [unrolled: 1-line block ×4, first 2 shown]
	v_min3_f32 v125, v127, v125, v183
	v_add_f64 v[126:127], v[98:99], v[106:107]
	v_min3_f32 v112, v110, v111, v182
	v_add_f64 v[110:111], v[100:101], v[108:109]
	v_cvt_f32_f64_e32 v113, v[126:127]
	v_add_f64 v[126:127], v[94:95], v[106:107]
	v_cvt_f32_f64_e32 v110, v[110:111]
	v_cvt_f32_f64_e32 v126, v[126:127]
	v_add_f64 v[127:128], v[90:91], v[106:107]
	v_min3_f32 v113, v113, v110, v181
	v_add_f64 v[110:111], v[96:97], v[108:109]
	v_cvt_f32_f64_e32 v127, v[127:128]
	v_add_f64 v[128:129], v[86:87], v[106:107]
	v_cvt_f32_f64_e32 v110, v[110:111]
	v_cvt_f32_f64_e32 v128, v[128:129]
	v_min3_f32 v126, v126, v110, v180
	v_add_f64 v[110:111], v[92:93], v[108:109]
	v_add_f64 v[180:181], v[82:83], v[106:107]
	v_cvt_f32_f64_e32 v110, v[110:111]
	v_cvt_f32_f64_e32 v129, v[180:181]
	v_min3_f32 v127, v127, v110, v175
	v_add_f64 v[110:111], v[88:89], v[108:109]
	v_cvt_f32_f64_e32 v110, v[110:111]
	v_min3_f32 v128, v128, v110, v170
	v_add_f64 v[110:111], v[84:85], v[108:109]
	;; [unrolled: 3-line block ×3, first 2 shown]
	v_add_f64 v[169:170], v[78:79], v[106:107]
	v_cvt_f32_f64_e32 v110, v[110:111]
	v_cvt_f32_f64_e32 v169, v[169:170]
	v_min3_f32 v168, v169, v110, v168
	v_add_f64 v[110:111], v[72:73], v[108:109]
	v_add_f64 v[169:170], v[70:71], v[106:107]
	;; [unrolled: 1-line block ×4, first 2 shown]
	v_cvt_f32_f64_e32 v110, v[110:111]
	v_cvt_f32_f64_e32 v169, v[169:170]
	;; [unrolled: 1-line block ×4, first 2 shown]
	v_add_f64 v[108:109], v[98:99], v[102:103]
	v_add_f64 v[98:99], v[98:99], v[74:75]
	v_min3_f32 v167, v169, v110, v167
	v_min3_f32 v166, v106, v107, v166
	v_add_f64 v[106:107], v[100:101], v[104:105]
	v_cvt_f32_f64_e32 v108, v[108:109]
	v_add_f64 v[100:101], v[100:101], v[76:77]
	v_cvt_f32_f64_e32 v98, v[98:99]
	v_cvt_f32_f64_e32 v106, v[106:107]
	;; [unrolled: 1-line block ×3, first 2 shown]
	v_min3_f32 v165, v108, v106, v165
	v_add_f64 v[106:107], v[96:97], v[104:105]
	v_add_f64 v[108:109], v[94:95], v[102:103]
	;; [unrolled: 1-line block ×4, first 2 shown]
	v_min3_f32 v98, v98, v99, v157
	v_add_f64 v[99:100], v[10:11], v[46:47]
	v_cvt_f32_f64_e32 v106, v[106:107]
	v_cvt_f32_f64_e32 v108, v[108:109]
	v_add_f64 v[109:110], v[90:91], v[102:103]
	v_add_f64 v[90:91], v[90:91], v[74:75]
	v_cvt_f32_f64_e32 v94, v[94:95]
	v_cvt_f32_f64_e32 v95, v[96:97]
	v_min3_f32 v106, v108, v106, v164
	v_add_f64 v[107:108], v[92:93], v[104:105]
	v_cvt_f32_f64_e32 v109, v[109:110]
	v_add_f64 v[110:111], v[86:87], v[102:103]
	v_add_f64 v[86:87], v[86:87], v[74:75]
	;; [unrolled: 1-line block ×3, first 2 shown]
	v_cvt_f32_f64_e32 v90, v[90:91]
	v_min3_f32 v94, v94, v95, v156
	v_add_f64 v[95:96], v[6:7], v[50:51]
	v_cvt_f32_f64_e32 v107, v[107:108]
	v_cvt_f32_f64_e32 v110, v[110:111]
	;; [unrolled: 1-line block ×4, first 2 shown]
	v_min3_f32 v107, v109, v107, v163
	v_add_f64 v[108:109], v[88:89], v[104:105]
	v_add_f64 v[88:89], v[88:89], v[76:77]
	v_min3_f32 v90, v90, v91, v155
	v_add_f64 v[91:92], v[26:27], v[50:51]
	v_cvt_f32_f64_e32 v108, v[108:109]
	v_cvt_f32_f64_e32 v87, v[88:89]
	v_min3_f32 v108, v110, v108, v162
	v_add_f64 v[109:110], v[84:85], v[104:105]
	v_add_f64 v[162:163], v[82:83], v[102:103]
	;; [unrolled: 1-line block ×4, first 2 shown]
	v_min3_f32 v86, v86, v87, v154
	v_add_f64 v[87:88], v[14:15], v[54:55]
	v_cvt_f32_f64_e32 v109, v[109:110]
	v_cvt_f32_f64_e32 v111, v[162:163]
	;; [unrolled: 1-line block ×4, first 2 shown]
	v_min3_f32 v109, v111, v109, v161
	v_add_f64 v[110:111], v[80:81], v[104:105]
	v_add_f64 v[161:162], v[78:79], v[102:103]
	;; [unrolled: 1-line block ×4, first 2 shown]
	v_min3_f32 v82, v82, v83, v153
	v_add_f64 v[83:84], v[10:11], v[58:59]
	v_cvt_f32_f64_e32 v110, v[110:111]
	v_cvt_f32_f64_e32 v161, v[161:162]
	v_add_f64 v[162:163], v[70:71], v[102:103]
	v_add_f64 v[102:103], v[66:67], v[102:103]
	;; [unrolled: 1-line block ×5, first 2 shown]
	v_cvt_f32_f64_e32 v78, v[78:79]
	v_cvt_f32_f64_e32 v79, v[80:81]
	v_min3_f32 v110, v161, v110, v160
	v_add_f64 v[160:161], v[72:73], v[104:105]
	v_add_f64 v[104:105], v[68:69], v[104:105]
	;; [unrolled: 1-line block ×4, first 2 shown]
	v_cvt_f32_f64_e32 v66, v[66:67]
	v_cvt_f32_f64_e32 v70, v[70:71]
	v_add_f64 v[76:77], v[14:15], v[62:63]
	v_min3_f32 v78, v78, v79, v152
	v_add_f64 v[79:80], v[26:27], v[58:59]
	v_cvt_f32_f64_e32 v102, v[102:103]
	v_cvt_f32_f64_e32 v111, v[162:163]
	;; [unrolled: 1-line block ×6, first 2 shown]
	v_add_f64 v[68:69], v[34:35], v[62:63]
	v_min3_f32 v111, v111, v160, v159
	v_min3_f32 v102, v102, v103, v158
	v_min3_f32 v73, v66, v67, v150
	v_add_f64 v[66:67], v[36:37], v[64:65]
	v_cvt_f32_f64_e32 v68, v[68:69]
	v_min3_f32 v71, v70, v71, v151
	v_add_f64 v[69:70], v[30:31], v[62:63]
	v_cvt_f32_f64_e32 v66, v[66:67]
	v_cvt_f32_f64_e32 v69, v[69:70]
	;; [unrolled: 1-line block ×3, first 2 shown]
	v_add_f64 v[74:75], v[18:19], v[62:63]
	v_min3_f32 v66, v68, v66, v221
	v_add_f64 v[67:68], v[32:33], v[64:65]
	v_cvt_f32_f64_e32 v72, v[74:75]
	v_add_f64 v[74:75], v[16:17], v[64:65]
	v_cvt_f32_f64_e32 v67, v[67:68]
	v_min3_f32 v67, v69, v67, v220
	v_add_f64 v[68:69], v[28:29], v[64:65]
	v_cvt_f32_f64_e32 v68, v[68:69]
	v_min3_f32 v68, v70, v68, v219
	v_add_f64 v[69:70], v[20:21], v[64:65]
	v_cvt_f32_f64_e32 v69, v[69:70]
	v_cvt_f32_f64_e32 v70, v[76:77]
	v_add_f64 v[76:77], v[10:11], v[62:63]
	v_min3_f32 v69, v72, v69, v218
	v_cvt_f32_f64_e32 v72, v[74:75]
	v_add_f64 v[74:75], v[12:13], v[64:65]
	v_min3_f32 v70, v70, v72, v217
	v_cvt_f32_f64_e32 v72, v[76:77]
	v_cvt_f32_f64_e32 v74, v[74:75]
	v_add_f64 v[76:77], v[6:7], v[62:63]
	v_add_f64 v[62:63], v[2:3], v[62:63]
	v_min3_f32 v72, v72, v74, v216
	v_add_f64 v[74:75], v[8:9], v[64:65]
	v_add_f64 v[64:65], v[4:5], v[64:65]
	v_cvt_f32_f64_e32 v76, v[76:77]
	v_cvt_f32_f64_e32 v62, v[62:63]
	;; [unrolled: 1-line block ×4, first 2 shown]
	v_min3_f32 v74, v76, v74, v215
	v_min3_f32 v62, v62, v63, v214
	v_add_f64 v[63:64], v[36:37], v[60:61]
	v_add_f64 v[75:76], v[34:35], v[58:59]
	v_cvt_f32_f64_e32 v63, v[63:64]
	v_cvt_f32_f64_e32 v65, v[75:76]
	v_add_f64 v[75:76], v[30:31], v[58:59]
	v_min3_f32 v63, v65, v63, v213
	v_add_f64 v[64:65], v[32:33], v[60:61]
	v_cvt_f32_f64_e32 v75, v[75:76]
	v_cvt_f32_f64_e32 v64, v[64:65]
	;; [unrolled: 1-line block ×3, first 2 shown]
	v_add_f64 v[79:80], v[18:19], v[58:59]
	v_min3_f32 v64, v75, v64, v212
	v_add_f64 v[75:76], v[28:29], v[60:61]
	v_cvt_f32_f64_e32 v77, v[79:80]
	v_add_f64 v[79:80], v[14:15], v[58:59]
	v_cvt_f32_f64_e32 v75, v[75:76]
	v_cvt_f32_f64_e32 v79, v[79:80]
	v_min3_f32 v65, v65, v75, v211
	v_add_f64 v[75:76], v[20:21], v[60:61]
	v_cvt_f32_f64_e32 v75, v[75:76]
	v_min3_f32 v75, v77, v75, v210
	v_add_f64 v[76:77], v[16:17], v[60:61]
	v_cvt_f32_f64_e32 v76, v[76:77]
	v_cvt_f32_f64_e32 v77, v[83:84]
	v_add_f64 v[83:84], v[6:7], v[58:59]
	v_add_f64 v[58:59], v[2:3], v[58:59]
	v_min3_f32 v76, v79, v76, v209
	v_add_f64 v[79:80], v[12:13], v[60:61]
	v_cvt_f32_f64_e32 v81, v[83:84]
	v_cvt_f32_f64_e32 v58, v[58:59]
	v_add_f64 v[83:84], v[26:27], v[54:55]
	v_cvt_f32_f64_e32 v79, v[79:80]
	v_min3_f32 v77, v77, v79, v208
	v_add_f64 v[79:80], v[8:9], v[60:61]
	v_add_f64 v[60:61], v[4:5], v[60:61]
	v_cvt_f32_f64_e32 v79, v[79:80]
	v_cvt_f32_f64_e32 v59, v[60:61]
	v_min3_f32 v79, v81, v79, v207
	v_min3_f32 v58, v58, v59, v206
	v_add_f64 v[59:60], v[36:37], v[56:57]
	v_add_f64 v[80:81], v[34:35], v[54:55]
	v_cvt_f32_f64_e32 v59, v[59:60]
	v_cvt_f32_f64_e32 v61, v[80:81]
	v_add_f64 v[80:81], v[30:31], v[54:55]
	v_min3_f32 v59, v61, v59, v122
	v_add_f64 v[60:61], v[32:33], v[56:57]
	v_cvt_f32_f64_e32 v80, v[80:81]
	v_cvt_f32_f64_e32 v60, v[60:61]
	;; [unrolled: 1-line block ×3, first 2 shown]
	v_add_f64 v[83:84], v[18:19], v[54:55]
	v_min3_f32 v60, v80, v60, v204
	v_add_f64 v[80:81], v[28:29], v[56:57]
	v_cvt_f32_f64_e32 v83, v[83:84]
	v_cvt_f32_f64_e32 v80, v[80:81]
	v_min3_f32 v61, v61, v80, v203
	v_add_f64 v[80:81], v[20:21], v[56:57]
	v_cvt_f32_f64_e32 v80, v[80:81]
	v_cvt_f32_f64_e32 v81, v[87:88]
	v_add_f64 v[87:88], v[10:11], v[54:55]
	v_min3_f32 v80, v83, v80, v202
	v_add_f64 v[83:84], v[16:17], v[56:57]
	v_cvt_f32_f64_e32 v85, v[87:88]
	v_add_f64 v[87:88], v[6:7], v[54:55]
	v_add_f64 v[54:55], v[2:3], v[54:55]
	v_cvt_f32_f64_e32 v83, v[83:84]
	v_cvt_f32_f64_e32 v87, v[87:88]
	;; [unrolled: 1-line block ×3, first 2 shown]
	v_min3_f32 v81, v81, v83, v201
	v_add_f64 v[83:84], v[12:13], v[56:57]
	v_cvt_f32_f64_e32 v83, v[83:84]
	v_min3_f32 v83, v85, v83, v200
	v_add_f64 v[84:85], v[8:9], v[56:57]
	v_add_f64 v[56:57], v[4:5], v[56:57]
	v_cvt_f32_f64_e32 v84, v[84:85]
	v_cvt_f32_f64_e32 v55, v[56:57]
	v_min3_f32 v84, v87, v84, v199
	v_min3_f32 v54, v54, v55, v198
	v_add_f64 v[55:56], v[36:37], v[52:53]
	v_add_f64 v[87:88], v[34:35], v[50:51]
	v_cvt_f32_f64_e32 v55, v[55:56]
	v_cvt_f32_f64_e32 v57, v[87:88]
	v_add_f64 v[87:88], v[30:31], v[50:51]
	v_min3_f32 v55, v57, v55, v197
	v_add_f64 v[56:57], v[32:33], v[52:53]
	v_cvt_f32_f64_e32 v85, v[87:88]
	v_add_f64 v[87:88], v[28:29], v[52:53]
	v_cvt_f32_f64_e32 v56, v[56:57]
	v_cvt_f32_f64_e32 v57, v[91:92]
	v_add_f64 v[91:92], v[18:19], v[50:51]
	v_min3_f32 v56, v85, v56, v196
	v_cvt_f32_f64_e32 v85, v[87:88]
	v_add_f64 v[87:88], v[20:21], v[52:53]
	v_min3_f32 v57, v57, v85, v195
	v_cvt_f32_f64_e32 v85, v[91:92]
	v_cvt_f32_f64_e32 v87, v[87:88]
	v_add_f64 v[91:92], v[14:15], v[50:51]
	v_min3_f32 v85, v85, v87, v118
	v_add_f64 v[87:88], v[16:17], v[52:53]
	v_cvt_f32_f64_e32 v89, v[91:92]
	v_add_f64 v[91:92], v[10:11], v[50:51]
	v_add_f64 v[50:51], v[2:3], v[50:51]
	v_cvt_f32_f64_e32 v87, v[87:88]
	v_cvt_f32_f64_e32 v91, v[91:92]
	;; [unrolled: 1-line block ×3, first 2 shown]
	v_min3_f32 v87, v89, v87, v119
	v_add_f64 v[88:89], v[12:13], v[52:53]
	v_cvt_f32_f64_e32 v88, v[88:89]
	v_cvt_f32_f64_e32 v89, v[95:96]
	v_add_f64 v[95:96], v[26:27], v[46:47]
	v_min3_f32 v88, v91, v88, v120
	v_add_f64 v[91:92], v[8:9], v[52:53]
	v_add_f64 v[52:53], v[4:5], v[52:53]
	v_cvt_f32_f64_e32 v91, v[91:92]
	v_cvt_f32_f64_e32 v51, v[52:53]
	v_min3_f32 v89, v89, v91, v121
	v_min3_f32 v50, v50, v51, v114
	v_add_f64 v[51:52], v[36:37], v[48:49]
	v_add_f64 v[91:92], v[34:35], v[46:47]
	v_cvt_f32_f64_e32 v51, v[51:52]
	v_cvt_f32_f64_e32 v53, v[91:92]
	v_add_f64 v[91:92], v[30:31], v[46:47]
	v_min3_f32 v51, v53, v51, v115
	v_add_f64 v[52:53], v[32:33], v[48:49]
	v_cvt_f32_f64_e32 v91, v[91:92]
	v_cvt_f32_f64_e32 v52, v[52:53]
	;; [unrolled: 1-line block ×3, first 2 shown]
	v_add_f64 v[95:96], v[18:19], v[46:47]
	v_min3_f32 v52, v91, v52, v116
	v_add_f64 v[91:92], v[28:29], v[48:49]
	v_cvt_f32_f64_e32 v93, v[95:96]
	v_add_f64 v[95:96], v[14:15], v[46:47]
	v_cvt_f32_f64_e32 v91, v[91:92]
	v_cvt_f32_f64_e32 v95, v[95:96]
	v_min3_f32 v53, v53, v91, v117
	v_add_f64 v[91:92], v[20:21], v[48:49]
	v_cvt_f32_f64_e32 v91, v[91:92]
	v_min3_f32 v91, v93, v91, v123
	v_add_f64 v[92:93], v[16:17], v[48:49]
	v_cvt_f32_f64_e32 v92, v[92:93]
	v_cvt_f32_f64_e32 v93, v[99:100]
	v_add_f64 v[99:100], v[6:7], v[46:47]
	v_add_f64 v[46:47], v[2:3], v[46:47]
	v_min3_f32 v92, v95, v92, v124
	v_add_f64 v[95:96], v[12:13], v[48:49]
	v_cvt_f32_f64_e32 v46, v[46:47]
	v_cvt_f32_f64_e32 v95, v[95:96]
	v_min3_f32 v150, v93, v95, v184
	v_add_f64 v[95:96], v[8:9], v[48:49]
	v_add_f64 v[48:49], v[4:5], v[48:49]
	v_cvt_f32_f64_e32 v93, v[99:100]
	v_add_f64 v[99:100], v[26:27], v[42:43]
	v_cvt_f32_f64_e32 v95, v[95:96]
	v_cvt_f32_f64_e32 v47, v[48:49]
	v_min3_f32 v151, v93, v95, v125
	v_min3_f32 v46, v46, v47, v112
	v_add_f64 v[47:48], v[36:37], v[44:45]
	v_add_f64 v[95:96], v[34:35], v[42:43]
	v_cvt_f32_f64_e32 v47, v[47:48]
	v_cvt_f32_f64_e32 v49, v[95:96]
	v_add_f64 v[95:96], v[30:31], v[42:43]
	v_min3_f32 v47, v49, v47, v113
	v_add_f64 v[48:49], v[32:33], v[44:45]
	v_cvt_f32_f64_e32 v93, v[95:96]
	v_add_f64 v[95:96], v[28:29], v[44:45]
	v_cvt_f32_f64_e32 v48, v[48:49]
	v_cvt_f32_f64_e32 v49, v[99:100]
	v_add_f64 v[99:100], v[18:19], v[42:43]
	v_min3_f32 v48, v93, v48, v126
	v_cvt_f32_f64_e32 v93, v[95:96]
	v_add_f64 v[95:96], v[20:21], v[44:45]
	v_min3_f32 v49, v49, v93, v127
	v_cvt_f32_f64_e32 v93, v[99:100]
	v_cvt_f32_f64_e32 v95, v[95:96]
	v_add_f64 v[99:100], v[14:15], v[42:43]
	v_min3_f32 v152, v93, v95, v128
	v_add_f64 v[95:96], v[16:17], v[44:45]
	v_cvt_f32_f64_e32 v93, v[99:100]
	v_add_f64 v[99:100], v[10:11], v[42:43]
	v_cvt_f32_f64_e32 v95, v[95:96]
	v_min3_f32 v153, v93, v95, v129
	v_add_f64 v[95:96], v[12:13], v[44:45]
	v_cvt_f32_f64_e32 v93, v[99:100]
	v_add_f64 v[99:100], v[6:7], v[42:43]
	v_add_f64 v[42:43], v[2:3], v[42:43]
	v_cvt_f32_f64_e32 v95, v[95:96]
	v_cvt_f32_f64_e32 v42, v[42:43]
	v_min3_f32 v154, v93, v95, v168
	v_add_f64 v[95:96], v[8:9], v[44:45]
	v_add_f64 v[44:45], v[4:5], v[44:45]
	v_cvt_f32_f64_e32 v93, v[99:100]
	v_add_f64 v[99:100], v[26:27], v[38:39]
	v_add_f64 v[26:27], v[26:27], v[22:23]
	v_cvt_f32_f64_e32 v95, v[95:96]
	v_cvt_f32_f64_e32 v43, v[44:45]
	;; [unrolled: 1-line block ×3, first 2 shown]
	v_min3_f32 v155, v93, v95, v167
	v_min3_f32 v42, v42, v43, v166
	v_add_f64 v[43:44], v[36:37], v[40:41]
	v_add_f64 v[95:96], v[34:35], v[38:39]
	;; [unrolled: 1-line block ×4, first 2 shown]
	v_cvt_f32_f64_e32 v43, v[43:44]
	v_cvt_f32_f64_e32 v45, v[95:96]
	v_add_f64 v[95:96], v[30:31], v[38:39]
	v_add_f64 v[30:31], v[30:31], v[22:23]
	v_cvt_f32_f64_e32 v34, v[34:35]
	v_cvt_f32_f64_e32 v35, v[36:37]
	v_min3_f32 v43, v45, v43, v165
	v_add_f64 v[44:45], v[32:33], v[40:41]
	v_cvt_f32_f64_e32 v93, v[95:96]
	v_add_f64 v[95:96], v[28:29], v[40:41]
	v_add_f64 v[32:33], v[32:33], v[24:25]
	;; [unrolled: 1-line block ×3, first 2 shown]
	v_cvt_f32_f64_e32 v30, v[30:31]
	v_min3_f32 v193, v34, v35, v98
	v_cvt_f32_f64_e32 v44, v[44:45]
	v_cvt_f32_f64_e32 v45, v[99:100]
	v_add_f64 v[99:100], v[18:19], v[38:39]
	v_add_f64 v[18:19], v[18:19], v[22:23]
	v_cvt_f32_f64_e32 v31, v[32:33]
	v_cvt_f32_f64_e32 v27, v[28:29]
	v_min3_f32 v44, v93, v44, v106
	v_cvt_f32_f64_e32 v93, v[95:96]
	v_add_f64 v[95:96], v[20:21], v[40:41]
	v_add_f64 v[20:21], v[20:21], v[24:25]
	v_cvt_f32_f64_e32 v18, v[18:19]
	v_min3_f32 v194, v30, v31, v94
	v_min3_f32 v195, v26, v27, v90
	;; [unrolled: 1-line block ×3, first 2 shown]
	v_cvt_f32_f64_e32 v93, v[99:100]
	v_cvt_f32_f64_e32 v95, v[95:96]
	v_add_f64 v[99:100], v[14:15], v[38:39]
	v_add_f64 v[14:15], v[14:15], v[22:23]
	v_cvt_f32_f64_e32 v19, v[20:21]
	v_min3_f32 v156, v93, v95, v108
	v_add_f64 v[95:96], v[16:17], v[40:41]
	v_cvt_f32_f64_e32 v93, v[99:100]
	v_add_f64 v[99:100], v[10:11], v[38:39]
	v_add_f64 v[16:17], v[16:17], v[24:25]
	;; [unrolled: 1-line block ×3, first 2 shown]
	v_cvt_f32_f64_e32 v14, v[14:15]
	v_min3_f32 v196, v18, v19, v86
	v_cvt_f32_f64_e32 v95, v[95:96]
	v_cvt_f32_f64_e32 v15, v[16:17]
	;; [unrolled: 1-line block ×3, first 2 shown]
	v_min3_f32 v157, v93, v95, v109
	v_add_f64 v[95:96], v[12:13], v[40:41]
	v_cvt_f32_f64_e32 v93, v[99:100]
	v_add_f64 v[99:100], v[6:7], v[38:39]
	v_add_f64 v[38:39], v[2:3], v[38:39]
	;; [unrolled: 1-line block ×5, first 2 shown]
	v_min3_f32 v197, v14, v15, v82
	v_cvt_f32_f64_e32 v95, v[95:96]
	v_cvt_f32_f64_e32 v38, v[38:39]
	;; [unrolled: 1-line block ×5, first 2 shown]
	v_min3_f32 v158, v93, v95, v110
	v_add_f64 v[95:96], v[8:9], v[40:41]
	v_add_f64 v[40:41], v[4:5], v[40:41]
	v_add_f64 v[8:9], v[8:9], v[24:25]
	v_add_f64 v[4:5], v[4:5], v[24:25]
	v_cvt_f32_f64_e32 v93, v[99:100]
	v_min3_f32 v198, v10, v11, v78
	v_cvt_f32_f64_e32 v95, v[95:96]
	v_cvt_f32_f64_e32 v39, v[40:41]
	;; [unrolled: 1-line block ×4, first 2 shown]
	v_min3_f32 v175, v93, v95, v111
	v_min3_f32 v192, v38, v39, v102
	v_min3_f32 v199, v6, v7, v71
	v_min3_f32 v200, v2, v3, v73
	ds_read_b128 v[6:9], v172 offset:256
	ds_read_b128 v[10:13], v172 offset:512
	;; [unrolled: 1-line block ×14, first 2 shown]
	ds_read_b128 v[97:100], v147
	ds_read_b128 v[34:37], v147 offset:16
	ds_read_b128 v[188:191], v172
	ds_read_b128 v[2:5], v172 offset:16
	s_waitcnt lgkmcnt(1)
	v_add_f64 v[101:102], v[190:191], v[99:100]
	v_add_f64 v[103:104], v[188:189], v[97:98]
	v_cvt_f32_f64_e32 v73, v[101:102]
	v_cvt_f32_f64_e32 v71, v[103:104]
	v_add_f64 v[101:102], v[8:9], v[99:100]
	v_add_f64 v[103:104], v[6:7], v[97:98]
	v_min3_f32 v129, v71, v73, v66
	v_cvt_f32_f64_e32 v71, v[101:102]
	v_cvt_f32_f64_e32 v66, v[103:104]
	v_add_f64 v[101:102], v[10:11], v[97:98]
	v_min3_f32 v128, v66, v71, v67
	v_add_f64 v[66:67], v[12:13], v[99:100]
	v_cvt_f32_f64_e32 v71, v[101:102]
	v_add_f64 v[101:102], v[14:15], v[97:98]
	v_cvt_f32_f64_e32 v66, v[66:67]
	v_min3_f32 v127, v71, v66, v68
	v_add_f64 v[66:67], v[16:17], v[99:100]
	v_cvt_f32_f64_e32 v68, v[101:102]
	v_cvt_f32_f64_e32 v66, v[66:67]
	v_min3_f32 v126, v68, v66, v69
	v_add_f64 v[66:67], v[20:21], v[99:100]
	v_add_f64 v[68:69], v[18:19], v[97:98]
	v_cvt_f32_f64_e32 v66, v[66:67]
	v_cvt_f32_f64_e32 v68, v[68:69]
	v_min3_f32 v125, v68, v66, v70
	v_add_f64 v[66:67], v[24:25], v[99:100]
	;; [unrolled: 5-line block ×11, first 2 shown]
	v_add_f64 v[64:65], v[26:27], v[38:39]
	v_add_f64 v[40:41], v[32:33], v[40:41]
	v_add_f64 v[38:39], v[30:31], v[38:39]
	v_cvt_f32_f64_e32 v62, v[62:63]
	v_cvt_f32_f64_e32 v64, v[64:65]
	;; [unrolled: 1-line block ×4, first 2 shown]
	v_add_f64 v[40:41], v[188:189], v[93:94]
	v_min3_f32 v115, v64, v62, v79
	v_min3_f32 v114, v38, v39, v58
	v_add_f64 v[38:39], v[190:191], v[95:96]
	v_cvt_f32_f64_e32 v40, v[40:41]
	v_cvt_f32_f64_e32 v38, v[38:39]
	v_min3_f32 v113, v40, v38, v59
	v_add_f64 v[38:39], v[8:9], v[95:96]
	v_add_f64 v[40:41], v[6:7], v[93:94]
	v_cvt_f32_f64_e32 v38, v[38:39]
	v_cvt_f32_f64_e32 v40, v[40:41]
	v_min3_f32 v112, v40, v38, v60
	v_add_f64 v[38:39], v[12:13], v[95:96]
	v_add_f64 v[40:41], v[10:11], v[93:94]
	v_cvt_f32_f64_e32 v38, v[38:39]
	v_cvt_f32_f64_e32 v40, v[40:41]
	v_min3_f32 v111, v40, v38, v61
	v_add_f64 v[38:39], v[16:17], v[95:96]
	v_add_f64 v[40:41], v[14:15], v[93:94]
	v_cvt_f32_f64_e32 v38, v[38:39]
	v_cvt_f32_f64_e32 v40, v[40:41]
	v_min3_f32 v110, v40, v38, v80
	v_add_f64 v[38:39], v[20:21], v[95:96]
	v_add_f64 v[40:41], v[18:19], v[93:94]
	v_cvt_f32_f64_e32 v38, v[38:39]
	v_cvt_f32_f64_e32 v40, v[40:41]
	v_min3_f32 v109, v40, v38, v81
	v_add_f64 v[38:39], v[24:25], v[95:96]
	v_add_f64 v[40:41], v[22:23], v[93:94]
	v_cvt_f32_f64_e32 v38, v[38:39]
	v_cvt_f32_f64_e32 v40, v[40:41]
	v_min3_f32 v108, v40, v38, v83
	v_add_f64 v[38:39], v[28:29], v[95:96]
	v_add_f64 v[40:41], v[26:27], v[93:94]
	v_cvt_f32_f64_e32 v38, v[38:39]
	v_cvt_f32_f64_e32 v40, v[40:41]
	v_min3_f32 v107, v40, v38, v84
	v_add_f64 v[38:39], v[32:33], v[95:96]
	v_add_f64 v[40:41], v[30:31], v[93:94]
	v_cvt_f32_f64_e32 v38, v[38:39]
	v_cvt_f32_f64_e32 v40, v[40:41]
	v_min3_f32 v106, v40, v38, v54
	v_add_f64 v[38:39], v[190:191], v[161:162]
	v_add_f64 v[40:41], v[188:189], v[159:160]
	v_cvt_f32_f64_e32 v38, v[38:39]
	v_cvt_f32_f64_e32 v40, v[40:41]
	v_min3_f32 v105, v40, v38, v55
	v_add_f64 v[38:39], v[8:9], v[161:162]
	v_add_f64 v[40:41], v[6:7], v[159:160]
	v_cvt_f32_f64_e32 v38, v[38:39]
	v_cvt_f32_f64_e32 v40, v[40:41]
	v_min3_f32 v104, v40, v38, v56
	v_add_f64 v[38:39], v[12:13], v[161:162]
	v_add_f64 v[40:41], v[10:11], v[159:160]
	v_cvt_f32_f64_e32 v38, v[38:39]
	v_cvt_f32_f64_e32 v40, v[40:41]
	v_min3_f32 v103, v40, v38, v57
	v_add_f64 v[38:39], v[16:17], v[161:162]
	v_add_f64 v[40:41], v[14:15], v[159:160]
	v_cvt_f32_f64_e32 v38, v[38:39]
	v_cvt_f32_f64_e32 v40, v[40:41]
	v_min3_f32 v102, v40, v38, v85
	v_add_f64 v[38:39], v[20:21], v[161:162]
	v_add_f64 v[40:41], v[18:19], v[159:160]
	v_cvt_f32_f64_e32 v38, v[38:39]
	v_cvt_f32_f64_e32 v40, v[40:41]
	v_min3_f32 v101, v40, v38, v87
	v_add_f64 v[38:39], v[24:25], v[161:162]
	v_add_f64 v[40:41], v[22:23], v[159:160]
	v_cvt_f32_f64_e32 v38, v[38:39]
	v_cvt_f32_f64_e32 v40, v[40:41]
	v_min3_f32 v100, v40, v38, v88
	v_add_f64 v[38:39], v[28:29], v[161:162]
	v_add_f64 v[40:41], v[26:27], v[159:160]
	v_cvt_f32_f64_e32 v38, v[38:39]
	v_cvt_f32_f64_e32 v40, v[40:41]
	v_min3_f32 v99, v40, v38, v89
	v_add_f64 v[38:39], v[32:33], v[161:162]
	v_add_f64 v[40:41], v[30:31], v[159:160]
	v_cvt_f32_f64_e32 v38, v[38:39]
	v_cvt_f32_f64_e32 v40, v[40:41]
	v_min3_f32 v98, v40, v38, v50
	v_add_f64 v[38:39], v[190:191], v[165:166]
	v_add_f64 v[40:41], v[188:189], v[163:164]
	v_cvt_f32_f64_e32 v38, v[38:39]
	v_cvt_f32_f64_e32 v40, v[40:41]
	v_min3_f32 v97, v40, v38, v51
	v_add_f64 v[38:39], v[8:9], v[165:166]
	v_add_f64 v[40:41], v[6:7], v[163:164]
	v_cvt_f32_f64_e32 v38, v[38:39]
	v_cvt_f32_f64_e32 v40, v[40:41]
	v_min3_f32 v96, v40, v38, v52
	v_add_f64 v[38:39], v[12:13], v[165:166]
	v_add_f64 v[40:41], v[10:11], v[163:164]
	v_cvt_f32_f64_e32 v38, v[38:39]
	v_cvt_f32_f64_e32 v40, v[40:41]
	v_min3_f32 v95, v40, v38, v53
	v_add_f64 v[38:39], v[16:17], v[165:166]
	v_add_f64 v[40:41], v[14:15], v[163:164]
	v_cvt_f32_f64_e32 v38, v[38:39]
	v_cvt_f32_f64_e32 v40, v[40:41]
	v_min3_f32 v94, v40, v38, v91
	v_add_f64 v[38:39], v[20:21], v[165:166]
	v_add_f64 v[40:41], v[18:19], v[163:164]
	v_cvt_f32_f64_e32 v38, v[38:39]
	v_cvt_f32_f64_e32 v40, v[40:41]
	v_min3_f32 v93, v40, v38, v92
	v_add_f64 v[38:39], v[24:25], v[165:166]
	v_add_f64 v[40:41], v[22:23], v[163:164]
	v_cvt_f32_f64_e32 v38, v[38:39]
	v_cvt_f32_f64_e32 v40, v[40:41]
	v_min3_f32 v92, v40, v38, v150
	v_add_f64 v[38:39], v[28:29], v[165:166]
	v_add_f64 v[40:41], v[26:27], v[163:164]
	v_cvt_f32_f64_e32 v38, v[38:39]
	v_cvt_f32_f64_e32 v40, v[40:41]
	v_min3_f32 v91, v40, v38, v151
	v_add_f64 v[38:39], v[32:33], v[165:166]
	v_add_f64 v[40:41], v[30:31], v[163:164]
	s_waitcnt lgkmcnt(0)
	v_add_f64 v[150:151], v[4:5], v[36:37]
	v_cvt_f32_f64_e32 v38, v[38:39]
	v_cvt_f32_f64_e32 v40, v[40:41]
	;; [unrolled: 1-line block ×3, first 2 shown]
	v_min3_f32 v90, v40, v38, v46
	v_add_f64 v[38:39], v[190:191], v[169:170]
	v_add_f64 v[40:41], v[188:189], v[167:168]
	v_cvt_f32_f64_e32 v38, v[38:39]
	v_cvt_f32_f64_e32 v40, v[40:41]
	v_min3_f32 v89, v40, v38, v47
	v_add_f64 v[38:39], v[8:9], v[169:170]
	v_add_f64 v[40:41], v[6:7], v[167:168]
	v_cvt_f32_f64_e32 v38, v[38:39]
	v_cvt_f32_f64_e32 v40, v[40:41]
	;; [unrolled: 5-line block ×5, first 2 shown]
	v_min3_f32 v85, v40, v38, v153
	v_add_f64 v[38:39], v[24:25], v[169:170]
	v_add_f64 v[40:41], v[22:23], v[167:168]
	;; [unrolled: 1-line block ×3, first 2 shown]
	v_cvt_f32_f64_e32 v38, v[38:39]
	v_cvt_f32_f64_e32 v40, v[40:41]
	;; [unrolled: 1-line block ×3, first 2 shown]
	v_min3_f32 v84, v40, v38, v154
	v_add_f64 v[38:39], v[28:29], v[169:170]
	v_add_f64 v[40:41], v[26:27], v[167:168]
	v_min3_f32 v221, v152, v150, v129
	v_cvt_f32_f64_e32 v38, v[38:39]
	v_cvt_f32_f64_e32 v40, v[40:41]
	v_min3_f32 v83, v40, v38, v155
	v_add_f64 v[38:39], v[32:33], v[169:170]
	v_add_f64 v[40:41], v[30:31], v[167:168]
	v_cvt_f32_f64_e32 v38, v[38:39]
	v_cvt_f32_f64_e32 v40, v[40:41]
	v_min3_f32 v82, v40, v38, v42
	v_add_f64 v[38:39], v[190:191], v[182:183]
	v_add_f64 v[40:41], v[188:189], v[180:181]
	;; [unrolled: 5-line block ×3, first 2 shown]
	v_add_f64 v[8:9], v[8:9], v[186:187]
	v_add_f64 v[6:7], v[6:7], v[184:185]
	v_cvt_f32_f64_e32 v38, v[38:39]
	v_cvt_f32_f64_e32 v40, v[40:41]
	;; [unrolled: 1-line block ×4, first 2 shown]
	v_add_f64 v[8:9], v[10:11], v[184:185]
	v_min3_f32 v80, v40, v38, v44
	v_add_f64 v[38:39], v[12:13], v[182:183]
	v_add_f64 v[40:41], v[10:11], v[180:181]
	v_min3_f32 v72, v6, v7, v194
	v_add_f64 v[6:7], v[12:13], v[186:187]
	v_cvt_f32_f64_e32 v8, v[8:9]
	v_cvt_f32_f64_e32 v38, v[38:39]
	v_cvt_f32_f64_e32 v40, v[40:41]
	v_cvt_f32_f64_e32 v6, v[6:7]
	v_min3_f32 v79, v40, v38, v45
	v_add_f64 v[38:39], v[16:17], v[182:183]
	v_add_f64 v[40:41], v[14:15], v[180:181]
	v_min3_f32 v71, v8, v6, v195
	v_add_f64 v[6:7], v[16:17], v[186:187]
	v_add_f64 v[8:9], v[14:15], v[184:185]
	v_cvt_f32_f64_e32 v38, v[38:39]
	v_cvt_f32_f64_e32 v40, v[40:41]
	v_cvt_f32_f64_e32 v6, v[6:7]
	v_cvt_f32_f64_e32 v8, v[8:9]
	v_min3_f32 v78, v40, v38, v156
	v_add_f64 v[38:39], v[20:21], v[182:183]
	v_add_f64 v[40:41], v[18:19], v[180:181]
	v_min3_f32 v70, v8, v6, v196
	v_add_f64 v[6:7], v[20:21], v[186:187]
	;; [unrolled: 10-line block ×5, first 2 shown]
	v_add_f64 v[8:9], v[30:31], v[184:185]
	v_cvt_f32_f64_e32 v38, v[38:39]
	v_cvt_f32_f64_e32 v40, v[40:41]
	;; [unrolled: 1-line block ×4, first 2 shown]
	v_min3_f32 v74, v40, v38, v192
	v_add_f64 v[38:39], v[190:191], v[186:187]
	v_add_f64 v[40:41], v[188:189], v[184:185]
	v_min3_f32 v66, v8, v6, v200
	v_cvt_f32_f64_e32 v38, v[38:39]
	v_cvt_f32_f64_e32 v40, v[40:41]
	v_min3_f32 v73, v40, v38, v193
	ds_read_b128 v[22:25], v172 offset:272
	ds_read_b128 v[18:21], v172 offset:528
	;; [unrolled: 1-line block ×14, first 2 shown]
	ds_write_b64 v173, v[138:139]
	ds_write2st64_b64 v174, v[136:137], v[140:141] offset1:4
	ds_write2st64_b64 v174, v[142:143], v[144:145] offset0:8 offset1:12
	s_waitcnt lgkmcnt(0)
	s_barrier
	buffer_gl0_inv
	v_add_f64 v[150:151], v[24:25], v[36:37]
	v_add_f64 v[152:153], v[22:23], v[34:35]
	v_cvt_f32_f64_e32 v150, v[150:151]
	v_cvt_f32_f64_e32 v129, v[152:153]
	v_min3_f32 v220, v129, v150, v128
	v_add_f64 v[128:129], v[20:21], v[36:37]
	v_add_f64 v[150:151], v[18:19], v[34:35]
	v_cvt_f32_f64_e32 v128, v[128:129]
	v_cvt_f32_f64_e32 v150, v[150:151]
	v_min3_f32 v219, v150, v128, v127
	;; [unrolled: 5-line block ×5, first 2 shown]
	v_add_f64 v[124:125], v[32:33], v[36:37]
	v_add_f64 v[126:127], v[30:31], v[34:35]
	;; [unrolled: 1-line block ×4, first 2 shown]
	v_cvt_f32_f64_e32 v124, v[124:125]
	v_cvt_f32_f64_e32 v126, v[126:127]
	;; [unrolled: 1-line block ×4, first 2 shown]
	v_add_f64 v[36:37], v[2:3], v[62:63]
	v_min3_f32 v215, v126, v124, v123
	v_min3_f32 v214, v34, v35, v122
	v_add_f64 v[34:35], v[4:5], v[64:65]
	v_cvt_f32_f64_e32 v36, v[36:37]
	v_cvt_f32_f64_e32 v34, v[34:35]
	v_min3_f32 v213, v36, v34, v121
	v_add_f64 v[34:35], v[24:25], v[64:65]
	v_add_f64 v[36:37], v[22:23], v[62:63]
	v_cvt_f32_f64_e32 v34, v[34:35]
	v_cvt_f32_f64_e32 v36, v[36:37]
	v_min3_f32 v212, v36, v34, v120
	v_add_f64 v[34:35], v[20:21], v[64:65]
	v_add_f64 v[36:37], v[18:19], v[62:63]
	v_cvt_f32_f64_e32 v34, v[34:35]
	v_cvt_f32_f64_e32 v36, v[36:37]
	v_min3_f32 v211, v36, v34, v119
	v_add_f64 v[34:35], v[16:17], v[64:65]
	v_add_f64 v[36:37], v[14:15], v[62:63]
	v_cvt_f32_f64_e32 v34, v[34:35]
	v_cvt_f32_f64_e32 v36, v[36:37]
	v_min3_f32 v210, v36, v34, v118
	v_add_f64 v[34:35], v[12:13], v[64:65]
	v_add_f64 v[36:37], v[10:11], v[62:63]
	v_cvt_f32_f64_e32 v34, v[34:35]
	v_cvt_f32_f64_e32 v36, v[36:37]
	v_min3_f32 v209, v36, v34, v117
	v_add_f64 v[34:35], v[8:9], v[64:65]
	v_add_f64 v[36:37], v[6:7], v[62:63]
	v_cvt_f32_f64_e32 v34, v[34:35]
	v_cvt_f32_f64_e32 v36, v[36:37]
	v_min3_f32 v208, v36, v34, v116
	v_add_f64 v[34:35], v[32:33], v[64:65]
	v_add_f64 v[36:37], v[30:31], v[62:63]
	v_cvt_f32_f64_e32 v34, v[34:35]
	v_cvt_f32_f64_e32 v36, v[36:37]
	v_min3_f32 v207, v36, v34, v115
	v_add_f64 v[34:35], v[28:29], v[64:65]
	v_add_f64 v[36:37], v[26:27], v[62:63]
	v_cvt_f32_f64_e32 v34, v[34:35]
	v_cvt_f32_f64_e32 v36, v[36:37]
	v_min3_f32 v206, v36, v34, v114
	v_add_f64 v[34:35], v[4:5], v[60:61]
	v_add_f64 v[36:37], v[2:3], v[58:59]
	v_cvt_f32_f64_e32 v34, v[34:35]
	v_cvt_f32_f64_e32 v36, v[36:37]
	v_min3_f32 v205, v36, v34, v113
	v_add_f64 v[34:35], v[24:25], v[60:61]
	v_add_f64 v[36:37], v[22:23], v[58:59]
	v_cvt_f32_f64_e32 v34, v[34:35]
	v_cvt_f32_f64_e32 v36, v[36:37]
	v_min3_f32 v204, v36, v34, v112
	v_add_f64 v[34:35], v[20:21], v[60:61]
	v_add_f64 v[36:37], v[18:19], v[58:59]
	v_cvt_f32_f64_e32 v34, v[34:35]
	v_cvt_f32_f64_e32 v36, v[36:37]
	v_min3_f32 v203, v36, v34, v111
	v_add_f64 v[34:35], v[16:17], v[60:61]
	v_add_f64 v[36:37], v[14:15], v[58:59]
	v_cvt_f32_f64_e32 v34, v[34:35]
	v_cvt_f32_f64_e32 v36, v[36:37]
	v_min3_f32 v202, v36, v34, v110
	v_add_f64 v[34:35], v[12:13], v[60:61]
	v_add_f64 v[36:37], v[10:11], v[58:59]
	v_cvt_f32_f64_e32 v34, v[34:35]
	v_cvt_f32_f64_e32 v36, v[36:37]
	v_min3_f32 v201, v36, v34, v109
	v_add_f64 v[34:35], v[8:9], v[60:61]
	v_add_f64 v[36:37], v[6:7], v[58:59]
	v_cvt_f32_f64_e32 v34, v[34:35]
	v_cvt_f32_f64_e32 v36, v[36:37]
	v_min3_f32 v200, v36, v34, v108
	v_add_f64 v[34:35], v[32:33], v[60:61]
	v_add_f64 v[36:37], v[30:31], v[58:59]
	v_cvt_f32_f64_e32 v34, v[34:35]
	v_cvt_f32_f64_e32 v36, v[36:37]
	v_min3_f32 v199, v36, v34, v107
	v_add_f64 v[34:35], v[28:29], v[60:61]
	v_add_f64 v[36:37], v[26:27], v[58:59]
	v_cvt_f32_f64_e32 v34, v[34:35]
	v_cvt_f32_f64_e32 v36, v[36:37]
	v_min3_f32 v198, v36, v34, v106
	v_add_f64 v[34:35], v[4:5], v[56:57]
	v_add_f64 v[36:37], v[2:3], v[54:55]
	v_cvt_f32_f64_e32 v34, v[34:35]
	v_cvt_f32_f64_e32 v36, v[36:37]
	v_min3_f32 v197, v36, v34, v105
	v_add_f64 v[34:35], v[24:25], v[56:57]
	v_add_f64 v[36:37], v[22:23], v[54:55]
	v_cvt_f32_f64_e32 v34, v[34:35]
	v_cvt_f32_f64_e32 v36, v[36:37]
	v_min3_f32 v196, v36, v34, v104
	v_add_f64 v[34:35], v[20:21], v[56:57]
	v_add_f64 v[36:37], v[18:19], v[54:55]
	v_cvt_f32_f64_e32 v34, v[34:35]
	v_cvt_f32_f64_e32 v36, v[36:37]
	v_min3_f32 v195, v36, v34, v103
	v_add_f64 v[34:35], v[16:17], v[56:57]
	v_add_f64 v[36:37], v[14:15], v[54:55]
	v_cvt_f32_f64_e32 v34, v[34:35]
	v_cvt_f32_f64_e32 v36, v[36:37]
	v_min3_f32 v194, v36, v34, v102
	v_add_f64 v[34:35], v[12:13], v[56:57]
	v_add_f64 v[36:37], v[10:11], v[54:55]
	v_cvt_f32_f64_e32 v34, v[34:35]
	v_cvt_f32_f64_e32 v36, v[36:37]
	v_min3_f32 v193, v36, v34, v101
	v_add_f64 v[34:35], v[8:9], v[56:57]
	v_add_f64 v[36:37], v[6:7], v[54:55]
	v_cvt_f32_f64_e32 v34, v[34:35]
	v_cvt_f32_f64_e32 v36, v[36:37]
	v_min3_f32 v192, v36, v34, v100
	v_add_f64 v[34:35], v[32:33], v[56:57]
	v_add_f64 v[36:37], v[30:31], v[54:55]
	v_cvt_f32_f64_e32 v34, v[34:35]
	v_cvt_f32_f64_e32 v36, v[36:37]
	v_min3_f32 v191, v36, v34, v99
	v_add_f64 v[34:35], v[28:29], v[56:57]
	v_add_f64 v[36:37], v[26:27], v[54:55]
	v_cvt_f32_f64_e32 v34, v[34:35]
	v_cvt_f32_f64_e32 v36, v[36:37]
	v_min3_f32 v190, v36, v34, v98
	v_add_f64 v[34:35], v[4:5], v[52:53]
	v_add_f64 v[36:37], v[2:3], v[50:51]
	v_cvt_f32_f64_e32 v34, v[34:35]
	v_cvt_f32_f64_e32 v36, v[36:37]
	v_min3_f32 v189, v36, v34, v97
	v_add_f64 v[34:35], v[24:25], v[52:53]
	v_add_f64 v[36:37], v[22:23], v[50:51]
	v_cvt_f32_f64_e32 v34, v[34:35]
	v_cvt_f32_f64_e32 v36, v[36:37]
	v_min3_f32 v188, v36, v34, v96
	v_add_f64 v[34:35], v[20:21], v[52:53]
	v_add_f64 v[36:37], v[18:19], v[50:51]
	v_cvt_f32_f64_e32 v34, v[34:35]
	v_cvt_f32_f64_e32 v36, v[36:37]
	v_min3_f32 v187, v36, v34, v95
	v_add_f64 v[34:35], v[16:17], v[52:53]
	v_add_f64 v[36:37], v[14:15], v[50:51]
	v_cvt_f32_f64_e32 v34, v[34:35]
	v_cvt_f32_f64_e32 v36, v[36:37]
	v_min3_f32 v186, v36, v34, v94
	v_add_f64 v[34:35], v[12:13], v[52:53]
	v_add_f64 v[36:37], v[10:11], v[50:51]
	v_cvt_f32_f64_e32 v34, v[34:35]
	v_cvt_f32_f64_e32 v36, v[36:37]
	v_min3_f32 v185, v36, v34, v93
	v_add_f64 v[34:35], v[8:9], v[52:53]
	v_add_f64 v[36:37], v[6:7], v[50:51]
	v_cvt_f32_f64_e32 v34, v[34:35]
	v_cvt_f32_f64_e32 v36, v[36:37]
	v_min3_f32 v184, v36, v34, v92
	v_add_f64 v[34:35], v[32:33], v[52:53]
	v_add_f64 v[36:37], v[30:31], v[50:51]
	v_cvt_f32_f64_e32 v34, v[34:35]
	v_cvt_f32_f64_e32 v36, v[36:37]
	v_min3_f32 v183, v36, v34, v91
	v_add_f64 v[34:35], v[28:29], v[52:53]
	v_add_f64 v[36:37], v[26:27], v[50:51]
	v_cvt_f32_f64_e32 v34, v[34:35]
	v_cvt_f32_f64_e32 v36, v[36:37]
	v_min3_f32 v182, v36, v34, v90
	v_add_f64 v[34:35], v[4:5], v[48:49]
	v_add_f64 v[36:37], v[2:3], v[46:47]
	v_cvt_f32_f64_e32 v34, v[34:35]
	v_cvt_f32_f64_e32 v36, v[36:37]
	v_min3_f32 v181, v36, v34, v89
	v_add_f64 v[34:35], v[24:25], v[48:49]
	v_add_f64 v[36:37], v[22:23], v[46:47]
	v_cvt_f32_f64_e32 v34, v[34:35]
	v_cvt_f32_f64_e32 v36, v[36:37]
	v_min3_f32 v180, v36, v34, v88
	v_add_f64 v[34:35], v[20:21], v[48:49]
	v_add_f64 v[36:37], v[18:19], v[46:47]
	v_cvt_f32_f64_e32 v34, v[34:35]
	v_cvt_f32_f64_e32 v36, v[36:37]
	v_min3_f32 v175, v36, v34, v87
	v_add_f64 v[34:35], v[16:17], v[48:49]
	v_add_f64 v[36:37], v[14:15], v[46:47]
	v_cvt_f32_f64_e32 v34, v[34:35]
	v_cvt_f32_f64_e32 v36, v[36:37]
	v_min3_f32 v170, v36, v34, v86
	v_add_f64 v[34:35], v[12:13], v[48:49]
	v_add_f64 v[36:37], v[10:11], v[46:47]
	v_cvt_f32_f64_e32 v34, v[34:35]
	v_cvt_f32_f64_e32 v36, v[36:37]
	v_min3_f32 v169, v36, v34, v85
	v_add_f64 v[34:35], v[8:9], v[48:49]
	v_add_f64 v[36:37], v[6:7], v[46:47]
	v_cvt_f32_f64_e32 v34, v[34:35]
	v_cvt_f32_f64_e32 v36, v[36:37]
	v_min3_f32 v168, v36, v34, v84
	v_add_f64 v[34:35], v[32:33], v[48:49]
	v_add_f64 v[36:37], v[30:31], v[46:47]
	v_cvt_f32_f64_e32 v34, v[34:35]
	v_cvt_f32_f64_e32 v36, v[36:37]
	v_min3_f32 v167, v36, v34, v83
	v_add_f64 v[34:35], v[28:29], v[48:49]
	v_add_f64 v[36:37], v[26:27], v[46:47]
	v_cvt_f32_f64_e32 v34, v[34:35]
	v_cvt_f32_f64_e32 v36, v[36:37]
	v_min3_f32 v166, v36, v34, v82
	v_add_f64 v[34:35], v[4:5], v[44:45]
	v_add_f64 v[36:37], v[2:3], v[42:43]
	v_add_f64 v[4:5], v[4:5], v[40:41]
	v_add_f64 v[2:3], v[2:3], v[38:39]
	v_cvt_f32_f64_e32 v34, v[34:35]
	v_cvt_f32_f64_e32 v36, v[36:37]
	;; [unrolled: 1-line block ×4, first 2 shown]
	v_add_f64 v[4:5], v[22:23], v[38:39]
	v_min3_f32 v165, v36, v34, v81
	v_add_f64 v[34:35], v[24:25], v[44:45]
	v_add_f64 v[36:37], v[22:23], v[42:43]
	v_min3_f32 v157, v2, v3, v73
	v_add_f64 v[2:3], v[24:25], v[40:41]
	v_cvt_f32_f64_e32 v4, v[4:5]
	v_cvt_f32_f64_e32 v34, v[34:35]
	v_cvt_f32_f64_e32 v36, v[36:37]
	v_cvt_f32_f64_e32 v2, v[2:3]
	v_min3_f32 v164, v36, v34, v80
	v_add_f64 v[34:35], v[20:21], v[44:45]
	v_add_f64 v[36:37], v[18:19], v[42:43]
	v_min3_f32 v156, v4, v2, v72
	v_add_f64 v[2:3], v[20:21], v[40:41]
	v_add_f64 v[4:5], v[18:19], v[38:39]
	v_cvt_f32_f64_e32 v34, v[34:35]
	v_cvt_f32_f64_e32 v36, v[36:37]
	v_cvt_f32_f64_e32 v2, v[2:3]
	v_cvt_f32_f64_e32 v4, v[4:5]
	v_min3_f32 v163, v36, v34, v79
	v_add_f64 v[34:35], v[16:17], v[44:45]
	v_add_f64 v[36:37], v[14:15], v[42:43]
	v_min3_f32 v155, v4, v2, v71
	v_add_f64 v[2:3], v[16:17], v[40:41]
	v_add_f64 v[4:5], v[14:15], v[38:39]
	v_cvt_f32_f64_e32 v34, v[34:35]
	v_cvt_f32_f64_e32 v36, v[36:37]
	v_cvt_f32_f64_e32 v2, v[2:3]
	v_cvt_f32_f64_e32 v4, v[4:5]
	v_min3_f32 v162, v36, v34, v78
	v_add_f64 v[34:35], v[12:13], v[44:45]
	v_add_f64 v[36:37], v[10:11], v[42:43]
	v_min3_f32 v154, v4, v2, v70
	v_add_f64 v[2:3], v[12:13], v[40:41]
	v_add_f64 v[4:5], v[10:11], v[38:39]
	v_cvt_f32_f64_e32 v34, v[34:35]
	v_cvt_f32_f64_e32 v36, v[36:37]
	v_cvt_f32_f64_e32 v2, v[2:3]
	v_cvt_f32_f64_e32 v4, v[4:5]
	v_min3_f32 v161, v36, v34, v77
	v_add_f64 v[34:35], v[8:9], v[44:45]
	v_add_f64 v[36:37], v[6:7], v[42:43]
	v_min3_f32 v153, v4, v2, v69
	v_add_f64 v[2:3], v[8:9], v[40:41]
	v_add_f64 v[4:5], v[6:7], v[38:39]
	v_cvt_f32_f64_e32 v34, v[34:35]
	v_cvt_f32_f64_e32 v36, v[36:37]
	v_cvt_f32_f64_e32 v2, v[2:3]
	v_cvt_f32_f64_e32 v4, v[4:5]
	v_min3_f32 v160, v36, v34, v76
	v_add_f64 v[34:35], v[32:33], v[44:45]
	v_add_f64 v[36:37], v[30:31], v[42:43]
	v_min3_f32 v152, v4, v2, v68
	v_add_f64 v[2:3], v[32:33], v[40:41]
	v_add_f64 v[4:5], v[30:31], v[38:39]
	v_cvt_f32_f64_e32 v34, v[34:35]
	v_cvt_f32_f64_e32 v36, v[36:37]
	v_cvt_f32_f64_e32 v2, v[2:3]
	v_cvt_f32_f64_e32 v4, v[4:5]
	v_min3_f32 v159, v36, v34, v75
	v_add_f64 v[34:35], v[28:29], v[44:45]
	v_add_f64 v[36:37], v[26:27], v[42:43]
	v_min3_f32 v151, v4, v2, v67
	v_add_f64 v[2:3], v[28:29], v[40:41]
	v_add_f64 v[4:5], v[26:27], v[38:39]
	v_cvt_f32_f64_e32 v34, v[34:35]
	v_cvt_f32_f64_e32 v36, v[36:37]
	;; [unrolled: 1-line block ×4, first 2 shown]
	v_min3_f32 v158, v36, v34, v74
	v_min3_f32 v150, v4, v2, v66
	s_cbranch_scc1 .LBB120_57
.LBB120_33:                             ; =>This Inner Loop Header: Depth=1
	v_add_nc_u32_e32 v222, s24, v146
                                        ; implicit-def: $vgpr136_vgpr137
	v_add_nc_u32_e32 v2, 8, v222
	v_cmp_le_i32_e64 s6, s14, v2
	s_or_b32 s25, vcc_lo, s6
	s_nor_b32 s7, s27, s25
	s_and_saveexec_b32 s33, s7
	s_xor_b32 s33, exec_lo, s33
	s_cbranch_execz .LBB120_35
; %bb.34:                               ;   in Loop: Header=BB120_33 Depth=1
	v_add_co_u32 v3, s7, v176, v132
	v_add_co_ci_u32_e64 v4, null, v177, v133, s7
	flat_load_dwordx2 v[3:4], v[3:4]
	s_waitcnt vmcnt(0) lgkmcnt(0)
	v_mul_f64 v[136:137], s[18:19], v[3:4]
.LBB120_35:                             ;   in Loop: Header=BB120_33 Depth=1
	s_andn2_saveexec_b32 s7, s33
; %bb.36:                               ;   in Loop: Header=BB120_33 Depth=1
	v_cndmask_b32_e64 v137, 0, 0x7fefffff, s25
	v_cndmask_b32_e64 v136, 0, -1, s25
; %bb.37:                               ;   in Loop: Header=BB120_33 Depth=1
	s_or_b32 exec_lo, exec_lo, s7
	v_min_i32_e32 v2, s31, v2
	s_or_b32 s25, s0, s6
	v_cndmask_b32_e64 v139, 0, 0x7fefffff, s25
	v_cndmask_b32_e64 v138, 0, -1, s25
	v_mad_i64_i32 v[2:3], null, v2, s29, 0
	v_lshlrev_b64 v[2:3], 3, v[2:3]
	v_add_co_u32 v2, s7, s20, v2
	v_add_co_ci_u32_e64 v3, null, s21, v3, s7
	s_nor_b32 s7, s27, s25
	s_and_saveexec_b32 s25, s7
	s_cbranch_execz .LBB120_39
; %bb.38:                               ;   in Loop: Header=BB120_33 Depth=1
	v_add_co_u32 v4, s7, v2, v134
	v_add_co_ci_u32_e64 v5, null, v3, v135, s7
	flat_load_dwordx2 v[4:5], v[4:5]
	s_waitcnt vmcnt(0) lgkmcnt(0)
	v_mul_f64 v[138:139], s[18:19], v[4:5]
.LBB120_39:                             ;   in Loop: Header=BB120_33 Depth=1
	s_or_b32 exec_lo, exec_lo, s25
	s_or_b32 s7, s1, s6
	v_cndmask_b32_e64 v141, 0, 0x7fefffff, s7
	v_cndmask_b32_e64 v140, 0, -1, s7
	s_nor_b32 s7, s27, s7
	s_and_saveexec_b32 s25, s7
	s_cbranch_execz .LBB120_41
; %bb.40:                               ;   in Loop: Header=BB120_33 Depth=1
	v_add_co_u32 v4, s7, v2, v134
	v_add_co_ci_u32_e64 v5, null, v3, v135, s7
	flat_load_dwordx2 v[4:5], v[4:5] offset:512
	s_waitcnt vmcnt(0) lgkmcnt(0)
	v_mul_f64 v[140:141], s[18:19], v[4:5]
.LBB120_41:                             ;   in Loop: Header=BB120_33 Depth=1
	s_or_b32 exec_lo, exec_lo, s25
	s_or_b32 s7, s2, s6
	v_cndmask_b32_e64 v143, 0, 0x7fefffff, s7
	v_cndmask_b32_e64 v142, 0, -1, s7
	s_nor_b32 s7, s27, s7
	s_and_saveexec_b32 s25, s7
	s_cbranch_execz .LBB120_43
; %bb.42:                               ;   in Loop: Header=BB120_33 Depth=1
	v_add_co_u32 v4, s7, v2, v134
	v_add_co_ci_u32_e64 v5, null, v3, v135, s7
	flat_load_dwordx2 v[4:5], v[4:5] offset:1024
	s_waitcnt vmcnt(0) lgkmcnt(0)
	v_mul_f64 v[142:143], s[18:19], v[4:5]
.LBB120_43:                             ;   in Loop: Header=BB120_33 Depth=1
	;; [unrolled: 14-line block ×3, first 2 shown]
	s_or_b32 exec_lo, exec_lo, s7
	ds_read_b128 v[126:129], v179
	ds_read_b128 v[62:65], v179 offset:16
	ds_read_b128 v[98:101], v178
	ds_read_b128 v[34:37], v178 offset:16
	ds_read_b128 v[94:97], v178 offset:256
	;; [unrolled: 1-line block ×29, first 2 shown]
	v_add_nc_u32_e32 v222, 12, v222
	ds_write_b64 v171, v[136:137]
	ds_write2st64_b64 v149, v[138:139], v[140:141] offset1:4
	ds_write2st64_b64 v149, v[142:143], v[144:145] offset0:8 offset1:12
	s_waitcnt lgkmcnt(0)
	s_barrier
	buffer_gl0_inv
	v_cmp_le_i32_e64 s6, s14, v222
                                        ; implicit-def: $vgpr138_vgpr139
	s_or_b32 s25, vcc_lo, s6
	s_nor_b32 s7, s27, s25
	s_and_saveexec_b32 s33, s7
	s_xor_b32 s33, exec_lo, s33
	s_cbranch_execz .LBB120_47
; %bb.46:                               ;   in Loop: Header=BB120_33 Depth=1
	v_add_co_u32 v136, s7, v176, v130
	v_add_co_ci_u32_e64 v137, null, v177, v131, s7
	flat_load_dwordx2 v[136:137], v[136:137]
	s_waitcnt vmcnt(0) lgkmcnt(0)
	v_mul_f64 v[138:139], s[18:19], v[136:137]
.LBB120_47:                             ;   in Loop: Header=BB120_33 Depth=1
	s_andn2_saveexec_b32 s7, s33
; %bb.48:                               ;   in Loop: Header=BB120_33 Depth=1
	v_cndmask_b32_e64 v139, 0, 0x7fefffff, s25
	v_cndmask_b32_e64 v138, 0, -1, s25
; %bb.49:                               ;   in Loop: Header=BB120_33 Depth=1
	s_or_b32 exec_lo, exec_lo, s7
	v_min_i32_e32 v136, s31, v222
	s_or_b32 s25, s0, s6
	v_mad_i64_i32 v[136:137], null, v136, s29, 0
	v_lshlrev_b64 v[140:141], 3, v[136:137]
	v_cndmask_b32_e64 v137, 0, 0x7fefffff, s25
	v_cndmask_b32_e64 v136, 0, -1, s25
	v_add_co_u32 v222, s7, s20, v140
	v_add_co_ci_u32_e64 v223, null, s21, v141, s7
	s_nor_b32 s7, s27, s25
	s_and_saveexec_b32 s25, s7
	s_cbranch_execz .LBB120_51
; %bb.50:                               ;   in Loop: Header=BB120_33 Depth=1
	v_add_co_u32 v136, s7, v222, v134
	v_add_co_ci_u32_e64 v137, null, v223, v135, s7
	flat_load_dwordx2 v[136:137], v[136:137]
	s_waitcnt vmcnt(0) lgkmcnt(0)
	v_mul_f64 v[136:137], s[18:19], v[136:137]
.LBB120_51:                             ;   in Loop: Header=BB120_33 Depth=1
	s_or_b32 exec_lo, exec_lo, s25
	s_or_b32 s7, s1, s6
	v_cndmask_b32_e64 v141, 0, 0x7fefffff, s7
	v_cndmask_b32_e64 v140, 0, -1, s7
	s_nor_b32 s7, s27, s7
	s_and_saveexec_b32 s25, s7
	s_cbranch_execz .LBB120_53
; %bb.52:                               ;   in Loop: Header=BB120_33 Depth=1
	v_add_co_u32 v140, s7, v222, v134
	v_add_co_ci_u32_e64 v141, null, v223, v135, s7
	flat_load_dwordx2 v[140:141], v[140:141] offset:512
	s_waitcnt vmcnt(0) lgkmcnt(0)
	v_mul_f64 v[140:141], s[18:19], v[140:141]
.LBB120_53:                             ;   in Loop: Header=BB120_33 Depth=1
	s_or_b32 exec_lo, exec_lo, s25
	s_or_b32 s7, s2, s6
	v_cndmask_b32_e64 v143, 0, 0x7fefffff, s7
	v_cndmask_b32_e64 v142, 0, -1, s7
	s_nor_b32 s7, s27, s7
	s_and_saveexec_b32 s25, s7
	s_cbranch_execz .LBB120_55
; %bb.54:                               ;   in Loop: Header=BB120_33 Depth=1
	v_add_co_u32 v142, s7, v222, v134
	v_add_co_ci_u32_e64 v143, null, v223, v135, s7
	flat_load_dwordx2 v[142:143], v[142:143] offset:1024
	s_waitcnt vmcnt(0) lgkmcnt(0)
	v_mul_f64 v[142:143], s[18:19], v[142:143]
.LBB120_55:                             ;   in Loop: Header=BB120_33 Depth=1
	s_or_b32 exec_lo, exec_lo, s25
	s_or_b32 s6, s3, s6
	v_cndmask_b32_e64 v145, 0, 0x7fefffff, s6
	v_cndmask_b32_e64 v144, 0, -1, s6
	s_nor_b32 s6, s27, s6
	s_and_saveexec_b32 s7, s6
	s_cbranch_execz .LBB120_32
; %bb.56:                               ;   in Loop: Header=BB120_33 Depth=1
	v_add_co_u32 v144, s6, v222, v134
	v_add_co_ci_u32_e64 v145, null, v223, v135, s6
	flat_load_dwordx2 v[144:145], v[144:145] offset:1536
	s_waitcnt vmcnt(0) lgkmcnt(0)
	v_mul_f64 v[144:145], s[18:19], v[144:145]
	s_branch .LBB120_32
.LBB120_57:
	s_clause 0x2
	s_load_dwordx2 s[0:1], s[4:5], 0x78
	s_load_dword s18, s[4:5], 0x58
	s_load_dword s14, s[4:5], 0x70
	ds_read_b128 v[70:73], v148 offset:18432
	ds_read_b128 v[66:69], v148 offset:18448
	;; [unrolled: 1-line block ×17, first 2 shown]
	v_add_nc_u32_e32 v145, s26, v1
	ds_read_b128 v[2:5], v148 offset:20240
	ds_read_b128 v[118:121], v147 offset:9216
	;; [unrolled: 1-line block ×15, first 2 shown]
	v_add_nc_u32_e32 v0, s15, v0
	v_cndmask_b32_e64 v144, 0, 1, s28
	v_ashrrev_i32_e32 v1, 31, v0
	s_waitcnt lgkmcnt(0)
	s_lshl_b64 s[0:1], s[0:1], 3
	v_mad_i64_i32 v[130:131], null, v145, s18, 0
	v_mad_i64_i32 v[132:133], null, v145, s14, 0
	s_add_u32 s19, s8, s0
	s_addc_u32 s9, s9, s1
	v_cmp_gt_i32_e64 s0, s12, v0
	v_cmp_gt_i32_e64 s8, s13, v145
	v_lshlrev_b64 v[130:131], 3, v[130:131]
	v_lshlrev_b64 v[132:133], 3, v[132:133]
	s_and_b32 s2, s0, s8
	v_add_co_u32 v148, vcc_lo, s16, v130
	v_add_co_ci_u32_e64 v149, null, s17, v131, vcc_lo
	v_add_co_u32 v146, vcc_lo, s19, v132
	v_add_co_ci_u32_e64 v147, null, s9, v133, vcc_lo
	s_and_saveexec_b32 s1, s2
	s_cbranch_execz .LBB120_62
; %bb.58:
	s_andn2_b32 vcc_lo, exec_lo, s28
	s_cbranch_vccnz .LBB120_60
; %bb.59:
	v_lshlrev_b64 v[130:131], 3, v[0:1]
	v_add_co_u32 v130, vcc_lo, v148, v130
	v_add_co_ci_u32_e64 v131, null, v149, v131, vcc_lo
	flat_load_dwordx2 v[130:131], v[130:131]
	s_waitcnt vmcnt(0) lgkmcnt(0)
	v_mul_f64 v[130:131], s[10:11], v[130:131]
	v_cvt_f32_f64_e32 v130, v[130:131]
	s_branch .LBB120_61
.LBB120_60:
	v_mov_b32_e32 v130, 0
.LBB120_61:
	v_add_f64 v[131:132], v[70:71], v[126:127]
	v_add_f64 v[133:134], v[72:73], v[128:129]
	;; [unrolled: 1-line block ×4, first 2 shown]
	v_cvt_f32_f64_e32 v131, v[131:132]
	v_cvt_f32_f64_e32 v132, v[133:134]
	;; [unrolled: 1-line block ×4, first 2 shown]
	v_min3_f32 v131, v131, v132, v221
	v_min_f32_e32 v132, v133, v134
	v_min3_f32 v130, v130, v132, v131
	v_lshlrev_b64 v[132:133], 3, v[0:1]
	v_cvt_f64_f32_e32 v[130:131], v130
	v_add_co_u32 v132, vcc_lo, v146, v132
	v_add_co_ci_u32_e64 v133, null, v147, v133, vcc_lo
	flat_store_dwordx2 v[132:133], v[130:131]
.LBB120_62:
	s_or_b32 exec_lo, exec_lo, s1
	v_add_nc_u32_e32 v130, 8, v0
	v_cmp_gt_i32_e64 s1, s12, v130
	v_ashrrev_i32_e32 v131, 31, v130
	s_and_b32 s3, s1, s8
	s_and_saveexec_b32 s2, s3
	s_cbranch_execz .LBB120_67
; %bb.63:
	v_cmp_ne_u32_e32 vcc_lo, 1, v144
	s_cbranch_vccnz .LBB120_65
; %bb.64:
	v_lshlrev_b64 v[132:133], 3, v[130:131]
	v_add_co_u32 v132, vcc_lo, v148, v132
	v_add_co_ci_u32_e64 v133, null, v149, v133, vcc_lo
	flat_load_dwordx2 v[132:133], v[132:133]
	s_waitcnt vmcnt(0) lgkmcnt(0)
	v_mul_f64 v[132:133], s[10:11], v[132:133]
	v_cvt_f32_f64_e32 v132, v[132:133]
	s_branch .LBB120_66
.LBB120_65:
	v_mov_b32_e32 v132, 0
.LBB120_66:
	v_add_f64 v[133:134], v[62:63], v[126:127]
	v_add_f64 v[135:136], v[64:65], v[128:129]
	v_add_f64 v[137:138], v[58:59], v[122:123]
	v_add_f64 v[139:140], v[60:61], v[124:125]
	v_cvt_f32_f64_e32 v133, v[133:134]
	v_cvt_f32_f64_e32 v134, v[135:136]
	v_cvt_f32_f64_e32 v135, v[137:138]
	v_cvt_f32_f64_e32 v136, v[139:140]
	v_min3_f32 v133, v133, v134, v220
	v_min_f32_e32 v134, v135, v136
	v_min3_f32 v132, v132, v134, v133
	v_lshlrev_b64 v[134:135], 3, v[130:131]
	v_cvt_f64_f32_e32 v[132:133], v132
	v_add_co_u32 v134, vcc_lo, v146, v134
	v_add_co_ci_u32_e64 v135, null, v147, v135, vcc_lo
	flat_store_dwordx2 v[134:135], v[132:133]
.LBB120_67:
	s_or_b32 exec_lo, exec_lo, s2
	v_add_nc_u32_e32 v132, 16, v0
	v_cmp_gt_i32_e64 s2, s12, v132
	v_ashrrev_i32_e32 v133, 31, v132
	s_and_b32 s4, s2, s8
	s_and_saveexec_b32 s3, s4
	s_cbranch_execz .LBB120_72
; %bb.68:
	v_cmp_ne_u32_e32 vcc_lo, 1, v144
	s_cbranch_vccnz .LBB120_70
; %bb.69:
	v_lshlrev_b64 v[134:135], 3, v[132:133]
	v_add_co_u32 v134, vcc_lo, v148, v134
	v_add_co_ci_u32_e64 v135, null, v149, v135, vcc_lo
	flat_load_dwordx2 v[134:135], v[134:135]
	s_waitcnt vmcnt(0) lgkmcnt(0)
	v_mul_f64 v[134:135], s[10:11], v[134:135]
	v_cvt_f32_f64_e32 v134, v[134:135]
	s_branch .LBB120_71
.LBB120_70:
	v_mov_b32_e32 v134, 0
.LBB120_71:
	v_add_f64 v[135:136], v[54:55], v[126:127]
	v_add_f64 v[137:138], v[56:57], v[128:129]
	v_add_f64 v[139:140], v[50:51], v[122:123]
	v_add_f64 v[141:142], v[52:53], v[124:125]
	v_cvt_f32_f64_e32 v135, v[135:136]
	v_cvt_f32_f64_e32 v136, v[137:138]
	v_cvt_f32_f64_e32 v137, v[139:140]
	v_cvt_f32_f64_e32 v138, v[141:142]
	v_min3_f32 v135, v135, v136, v219
	v_min_f32_e32 v136, v137, v138
	v_min3_f32 v134, v134, v136, v135
	v_lshlrev_b64 v[136:137], 3, v[132:133]
	v_cvt_f64_f32_e32 v[134:135], v134
	v_add_co_u32 v136, vcc_lo, v146, v136
	v_add_co_ci_u32_e64 v137, null, v147, v137, vcc_lo
	flat_store_dwordx2 v[136:137], v[134:135]
.LBB120_72:
	;; [unrolled: 39-line block ×7, first 2 shown]
	s_or_b32 exec_lo, exec_lo, s8
	v_add_nc_u32_e32 v126, 32, v145
	v_mad_i64_i32 v[122:123], null, v126, s18, 0
	v_mad_i64_i32 v[124:125], null, v126, s14, 0
	v_cmp_gt_i32_e64 s8, s13, v126
	v_lshlrev_b64 v[122:123], 3, v[122:123]
	s_and_b32 s15, s0, s8
	v_lshlrev_b64 v[126:127], 3, v[124:125]
	v_add_co_u32 v124, vcc_lo, s16, v122
	v_add_co_ci_u32_e64 v125, null, s17, v123, vcc_lo
	v_add_co_u32 v122, vcc_lo, s19, v126
	v_add_co_ci_u32_e64 v123, null, s9, v127, vcc_lo
	s_and_saveexec_b32 s12, s15
	s_cbranch_execnz .LBB120_105
; %bb.98:
	s_or_b32 exec_lo, exec_lo, s12
	s_and_b32 s15, s1, s8
	s_and_saveexec_b32 s12, s15
	s_cbranch_execnz .LBB120_109
.LBB120_99:
	s_or_b32 exec_lo, exec_lo, s12
	s_and_b32 s15, s2, s8
	s_and_saveexec_b32 s12, s15
	s_cbranch_execnz .LBB120_113
.LBB120_100:
	s_or_b32 exec_lo, exec_lo, s12
	s_and_b32 s15, s3, s8
	s_and_saveexec_b32 s12, s15
	s_cbranch_execnz .LBB120_117
.LBB120_101:
	s_or_b32 exec_lo, exec_lo, s12
	s_and_b32 s15, s4, s8
	s_and_saveexec_b32 s12, s15
	s_cbranch_execnz .LBB120_121
.LBB120_102:
	s_or_b32 exec_lo, exec_lo, s12
	s_and_b32 s15, s5, s8
	s_and_saveexec_b32 s12, s15
	s_cbranch_execnz .LBB120_125
.LBB120_103:
	s_or_b32 exec_lo, exec_lo, s12
	s_and_b32 s15, s6, s8
	s_and_saveexec_b32 s12, s15
	s_cbranch_execnz .LBB120_129
.LBB120_104:
	s_or_b32 exec_lo, exec_lo, s12
	s_and_b32 s12, s7, s8
	s_and_saveexec_b32 s8, s12
	s_cbranch_execnz .LBB120_133
	s_branch .LBB120_137
.LBB120_105:
	v_cmp_ne_u32_e32 vcc_lo, 1, v144
	s_cbranch_vccnz .LBB120_107
; %bb.106:
	v_lshlrev_b64 v[126:127], 3, v[0:1]
	v_add_co_u32 v126, vcc_lo, v124, v126
	v_add_co_ci_u32_e64 v127, null, v125, v127, vcc_lo
	flat_load_dwordx2 v[126:127], v[126:127]
	s_waitcnt vmcnt(0) lgkmcnt(0)
	v_mul_f64 v[126:127], s[10:11], v[126:127]
	v_cvt_f32_f64_e32 v126, v[126:127]
	s_branch .LBB120_108
.LBB120_107:
	v_mov_b32_e32 v126, 0
.LBB120_108:
	v_add_f64 v[127:128], v[70:71], v[118:119]
	v_add_f64 v[146:147], v[72:73], v[120:121]
	;; [unrolled: 1-line block ×4, first 2 shown]
	v_cvt_f32_f64_e32 v127, v[127:128]
	v_cvt_f32_f64_e32 v128, v[146:147]
	;; [unrolled: 1-line block ×4, first 2 shown]
	v_min3_f32 v127, v127, v128, v213
	v_min_f32_e32 v128, v129, v146
	v_min3_f32 v126, v126, v128, v127
	v_lshlrev_b64 v[128:129], 3, v[0:1]
	v_cvt_f64_f32_e32 v[126:127], v126
	v_add_co_u32 v128, vcc_lo, v122, v128
	v_add_co_ci_u32_e64 v129, null, v123, v129, vcc_lo
	flat_store_dwordx2 v[128:129], v[126:127]
	s_or_b32 exec_lo, exec_lo, s12
	s_and_b32 s15, s1, s8
	s_and_saveexec_b32 s12, s15
	s_cbranch_execz .LBB120_99
.LBB120_109:
	v_cmp_ne_u32_e32 vcc_lo, 1, v144
	s_cbranch_vccnz .LBB120_111
; %bb.110:
	v_lshlrev_b64 v[126:127], 3, v[130:131]
	v_add_co_u32 v126, vcc_lo, v124, v126
	v_add_co_ci_u32_e64 v127, null, v125, v127, vcc_lo
	flat_load_dwordx2 v[126:127], v[126:127]
	s_waitcnt vmcnt(0) lgkmcnt(0)
	v_mul_f64 v[126:127], s[10:11], v[126:127]
	v_cvt_f32_f64_e32 v126, v[126:127]
	s_branch .LBB120_112
.LBB120_111:
	v_mov_b32_e32 v126, 0
.LBB120_112:
	v_add_f64 v[127:128], v[62:63], v[118:119]
	v_add_f64 v[146:147], v[64:65], v[120:121]
	;; [unrolled: 1-line block ×4, first 2 shown]
	v_cvt_f32_f64_e32 v127, v[127:128]
	v_cvt_f32_f64_e32 v128, v[146:147]
	;; [unrolled: 1-line block ×4, first 2 shown]
	v_min3_f32 v127, v127, v128, v212
	v_min_f32_e32 v128, v129, v146
	v_min3_f32 v126, v126, v128, v127
	v_lshlrev_b64 v[128:129], 3, v[130:131]
	v_cvt_f64_f32_e32 v[126:127], v126
	v_add_co_u32 v128, vcc_lo, v122, v128
	v_add_co_ci_u32_e64 v129, null, v123, v129, vcc_lo
	flat_store_dwordx2 v[128:129], v[126:127]
	s_or_b32 exec_lo, exec_lo, s12
	s_and_b32 s15, s2, s8
	s_and_saveexec_b32 s12, s15
	s_cbranch_execz .LBB120_100
.LBB120_113:
	v_cmp_ne_u32_e32 vcc_lo, 1, v144
	s_cbranch_vccnz .LBB120_115
; %bb.114:
	v_lshlrev_b64 v[126:127], 3, v[132:133]
	v_add_co_u32 v126, vcc_lo, v124, v126
	v_add_co_ci_u32_e64 v127, null, v125, v127, vcc_lo
	flat_load_dwordx2 v[126:127], v[126:127]
	s_waitcnt vmcnt(0) lgkmcnt(0)
	v_mul_f64 v[126:127], s[10:11], v[126:127]
	v_cvt_f32_f64_e32 v126, v[126:127]
	s_branch .LBB120_116
.LBB120_115:
	v_mov_b32_e32 v126, 0
.LBB120_116:
	v_add_f64 v[127:128], v[54:55], v[118:119]
	v_add_f64 v[146:147], v[56:57], v[120:121]
	;; [unrolled: 1-line block ×4, first 2 shown]
	v_cvt_f32_f64_e32 v127, v[127:128]
	v_cvt_f32_f64_e32 v128, v[146:147]
	;; [unrolled: 1-line block ×4, first 2 shown]
	v_min3_f32 v127, v127, v128, v211
	v_min_f32_e32 v128, v129, v146
	v_min3_f32 v126, v126, v128, v127
	v_lshlrev_b64 v[128:129], 3, v[132:133]
	v_cvt_f64_f32_e32 v[126:127], v126
	v_add_co_u32 v128, vcc_lo, v122, v128
	v_add_co_ci_u32_e64 v129, null, v123, v129, vcc_lo
	flat_store_dwordx2 v[128:129], v[126:127]
	s_or_b32 exec_lo, exec_lo, s12
	s_and_b32 s15, s3, s8
	s_and_saveexec_b32 s12, s15
	s_cbranch_execz .LBB120_101
.LBB120_117:
	v_cmp_ne_u32_e32 vcc_lo, 1, v144
	s_cbranch_vccnz .LBB120_119
; %bb.118:
	v_lshlrev_b64 v[126:127], 3, v[134:135]
	v_add_co_u32 v126, vcc_lo, v124, v126
	v_add_co_ci_u32_e64 v127, null, v125, v127, vcc_lo
	flat_load_dwordx2 v[126:127], v[126:127]
	s_waitcnt vmcnt(0) lgkmcnt(0)
	v_mul_f64 v[126:127], s[10:11], v[126:127]
	v_cvt_f32_f64_e32 v126, v[126:127]
	s_branch .LBB120_120
.LBB120_119:
	v_mov_b32_e32 v126, 0
.LBB120_120:
	v_add_f64 v[127:128], v[46:47], v[118:119]
	v_add_f64 v[146:147], v[48:49], v[120:121]
	;; [unrolled: 1-line block ×4, first 2 shown]
	v_cvt_f32_f64_e32 v127, v[127:128]
	v_cvt_f32_f64_e32 v128, v[146:147]
	;; [unrolled: 1-line block ×4, first 2 shown]
	v_min3_f32 v127, v127, v128, v210
	v_min_f32_e32 v128, v129, v146
	v_min3_f32 v126, v126, v128, v127
	v_lshlrev_b64 v[128:129], 3, v[134:135]
	v_cvt_f64_f32_e32 v[126:127], v126
	v_add_co_u32 v128, vcc_lo, v122, v128
	v_add_co_ci_u32_e64 v129, null, v123, v129, vcc_lo
	flat_store_dwordx2 v[128:129], v[126:127]
	s_or_b32 exec_lo, exec_lo, s12
	s_and_b32 s15, s4, s8
	s_and_saveexec_b32 s12, s15
	s_cbranch_execz .LBB120_102
.LBB120_121:
	v_cmp_ne_u32_e32 vcc_lo, 1, v144
	s_cbranch_vccnz .LBB120_123
; %bb.122:
	v_lshlrev_b64 v[126:127], 3, v[136:137]
	v_add_co_u32 v126, vcc_lo, v124, v126
	v_add_co_ci_u32_e64 v127, null, v125, v127, vcc_lo
	flat_load_dwordx2 v[126:127], v[126:127]
	s_waitcnt vmcnt(0) lgkmcnt(0)
	v_mul_f64 v[126:127], s[10:11], v[126:127]
	v_cvt_f32_f64_e32 v126, v[126:127]
	s_branch .LBB120_124
.LBB120_123:
	v_mov_b32_e32 v126, 0
.LBB120_124:
	v_add_f64 v[127:128], v[38:39], v[118:119]
	v_add_f64 v[146:147], v[40:41], v[120:121]
	;; [unrolled: 1-line block ×4, first 2 shown]
	v_cvt_f32_f64_e32 v127, v[127:128]
	v_cvt_f32_f64_e32 v128, v[146:147]
	;; [unrolled: 1-line block ×4, first 2 shown]
	v_min3_f32 v127, v127, v128, v209
	v_min_f32_e32 v128, v129, v146
	v_min3_f32 v126, v126, v128, v127
	v_lshlrev_b64 v[128:129], 3, v[136:137]
	v_cvt_f64_f32_e32 v[126:127], v126
	v_add_co_u32 v128, vcc_lo, v122, v128
	v_add_co_ci_u32_e64 v129, null, v123, v129, vcc_lo
	flat_store_dwordx2 v[128:129], v[126:127]
	s_or_b32 exec_lo, exec_lo, s12
	s_and_b32 s15, s5, s8
	s_and_saveexec_b32 s12, s15
	s_cbranch_execz .LBB120_103
.LBB120_125:
	v_cmp_ne_u32_e32 vcc_lo, 1, v144
	s_cbranch_vccnz .LBB120_127
; %bb.126:
	v_lshlrev_b64 v[126:127], 3, v[138:139]
	v_add_co_u32 v126, vcc_lo, v124, v126
	v_add_co_ci_u32_e64 v127, null, v125, v127, vcc_lo
	flat_load_dwordx2 v[126:127], v[126:127]
	s_waitcnt vmcnt(0) lgkmcnt(0)
	v_mul_f64 v[126:127], s[10:11], v[126:127]
	v_cvt_f32_f64_e32 v126, v[126:127]
	s_branch .LBB120_128
.LBB120_127:
	v_mov_b32_e32 v126, 0
.LBB120_128:
	v_add_f64 v[127:128], v[30:31], v[118:119]
	v_add_f64 v[146:147], v[32:33], v[120:121]
	;; [unrolled: 1-line block ×4, first 2 shown]
	v_cvt_f32_f64_e32 v127, v[127:128]
	v_cvt_f32_f64_e32 v128, v[146:147]
	;; [unrolled: 1-line block ×4, first 2 shown]
	v_min3_f32 v127, v127, v128, v208
	v_min_f32_e32 v128, v129, v146
	v_min3_f32 v126, v126, v128, v127
	v_lshlrev_b64 v[128:129], 3, v[138:139]
	v_cvt_f64_f32_e32 v[126:127], v126
	v_add_co_u32 v128, vcc_lo, v122, v128
	v_add_co_ci_u32_e64 v129, null, v123, v129, vcc_lo
	flat_store_dwordx2 v[128:129], v[126:127]
	s_or_b32 exec_lo, exec_lo, s12
	s_and_b32 s15, s6, s8
	s_and_saveexec_b32 s12, s15
	s_cbranch_execz .LBB120_104
.LBB120_129:
	v_cmp_ne_u32_e32 vcc_lo, 1, v144
	s_cbranch_vccnz .LBB120_131
; %bb.130:
	v_lshlrev_b64 v[126:127], 3, v[140:141]
	v_add_co_u32 v126, vcc_lo, v124, v126
	v_add_co_ci_u32_e64 v127, null, v125, v127, vcc_lo
	flat_load_dwordx2 v[126:127], v[126:127]
	s_waitcnt vmcnt(0) lgkmcnt(0)
	v_mul_f64 v[126:127], s[10:11], v[126:127]
	v_cvt_f32_f64_e32 v126, v[126:127]
	s_branch .LBB120_132
.LBB120_131:
	v_mov_b32_e32 v126, 0
.LBB120_132:
	v_add_f64 v[127:128], v[22:23], v[118:119]
	v_add_f64 v[146:147], v[24:25], v[120:121]
	;; [unrolled: 1-line block ×4, first 2 shown]
	v_cvt_f32_f64_e32 v127, v[127:128]
	v_cvt_f32_f64_e32 v128, v[146:147]
	;; [unrolled: 1-line block ×4, first 2 shown]
	v_min3_f32 v127, v127, v128, v207
	v_min_f32_e32 v128, v129, v146
	v_min3_f32 v126, v126, v128, v127
	v_lshlrev_b64 v[128:129], 3, v[140:141]
	v_cvt_f64_f32_e32 v[126:127], v126
	v_add_co_u32 v128, vcc_lo, v122, v128
	v_add_co_ci_u32_e64 v129, null, v123, v129, vcc_lo
	flat_store_dwordx2 v[128:129], v[126:127]
	s_or_b32 exec_lo, exec_lo, s12
	s_and_b32 s12, s7, s8
	s_and_saveexec_b32 s8, s12
	s_cbranch_execz .LBB120_137
.LBB120_133:
	v_cmp_ne_u32_e32 vcc_lo, 1, v144
	s_cbranch_vccnz .LBB120_135
; %bb.134:
	v_lshlrev_b64 v[126:127], 3, v[142:143]
	v_add_co_u32 v124, vcc_lo, v124, v126
	v_add_co_ci_u32_e64 v125, null, v125, v127, vcc_lo
	flat_load_dwordx2 v[124:125], v[124:125]
	s_waitcnt vmcnt(0) lgkmcnt(0)
	v_mul_f64 v[124:125], s[10:11], v[124:125]
	v_cvt_f32_f64_e32 v124, v[124:125]
	s_branch .LBB120_136
.LBB120_135:
	v_mov_b32_e32 v124, 0
.LBB120_136:
	v_add_f64 v[118:119], v[6:7], v[118:119]
	v_add_f64 v[120:121], v[8:9], v[120:121]
	;; [unrolled: 1-line block ×4, first 2 shown]
	v_cvt_f32_f64_e32 v118, v[118:119]
	v_cvt_f32_f64_e32 v119, v[120:121]
	v_cvt_f32_f64_e32 v114, v[114:115]
	v_cvt_f32_f64_e32 v115, v[116:117]
	v_min3_f32 v116, v118, v119, v206
	v_min_f32_e32 v114, v114, v115
	v_min3_f32 v114, v124, v114, v116
	v_lshlrev_b64 v[116:117], 3, v[142:143]
	v_cvt_f64_f32_e32 v[114:115], v114
	v_add_co_u32 v116, vcc_lo, v122, v116
	v_add_co_ci_u32_e64 v117, null, v123, v117, vcc_lo
	flat_store_dwordx2 v[116:117], v[114:115]
.LBB120_137:
	s_or_b32 exec_lo, exec_lo, s8
	v_add_nc_u32_e32 v118, 64, v145
	v_mad_i64_i32 v[114:115], null, v118, s18, 0
	v_mad_i64_i32 v[116:117], null, v118, s14, 0
	v_cmp_gt_i32_e64 s8, s13, v118
	v_lshlrev_b64 v[114:115], 3, v[114:115]
	s_and_b32 s15, s0, s8
	v_lshlrev_b64 v[118:119], 3, v[116:117]
	v_add_co_u32 v116, vcc_lo, s16, v114
	v_add_co_ci_u32_e64 v117, null, s17, v115, vcc_lo
	v_add_co_u32 v114, vcc_lo, s19, v118
	v_add_co_ci_u32_e64 v115, null, s9, v119, vcc_lo
	s_and_saveexec_b32 s12, s15
	s_cbranch_execnz .LBB120_145
; %bb.138:
	s_or_b32 exec_lo, exec_lo, s12
	s_and_b32 s15, s1, s8
	s_and_saveexec_b32 s12, s15
	s_cbranch_execnz .LBB120_149
.LBB120_139:
	s_or_b32 exec_lo, exec_lo, s12
	s_and_b32 s15, s2, s8
	s_and_saveexec_b32 s12, s15
	s_cbranch_execnz .LBB120_153
.LBB120_140:
	s_or_b32 exec_lo, exec_lo, s12
	s_and_b32 s15, s3, s8
	s_and_saveexec_b32 s12, s15
	s_cbranch_execnz .LBB120_157
.LBB120_141:
	s_or_b32 exec_lo, exec_lo, s12
	s_and_b32 s15, s4, s8
	s_and_saveexec_b32 s12, s15
	s_cbranch_execnz .LBB120_161
.LBB120_142:
	s_or_b32 exec_lo, exec_lo, s12
	s_and_b32 s15, s5, s8
	s_and_saveexec_b32 s12, s15
	s_cbranch_execnz .LBB120_165
.LBB120_143:
	s_or_b32 exec_lo, exec_lo, s12
	s_and_b32 s15, s6, s8
	s_and_saveexec_b32 s12, s15
	s_cbranch_execnz .LBB120_169
.LBB120_144:
	s_or_b32 exec_lo, exec_lo, s12
	s_and_b32 s12, s7, s8
	s_and_saveexec_b32 s8, s12
	s_cbranch_execnz .LBB120_173
	s_branch .LBB120_177
.LBB120_145:
	v_cmp_ne_u32_e32 vcc_lo, 1, v144
	s_cbranch_vccnz .LBB120_147
; %bb.146:
	v_lshlrev_b64 v[118:119], 3, v[0:1]
	v_add_co_u32 v118, vcc_lo, v116, v118
	v_add_co_ci_u32_e64 v119, null, v117, v119, vcc_lo
	flat_load_dwordx2 v[118:119], v[118:119]
	s_waitcnt vmcnt(0) lgkmcnt(0)
	v_mul_f64 v[118:119], s[10:11], v[118:119]
	v_cvt_f32_f64_e32 v118, v[118:119]
	s_branch .LBB120_148
.LBB120_147:
	v_mov_b32_e32 v118, 0
.LBB120_148:
	v_add_f64 v[119:120], v[70:71], v[110:111]
	v_add_f64 v[121:122], v[72:73], v[112:113]
	;; [unrolled: 1-line block ×4, first 2 shown]
	v_cvt_f32_f64_e32 v119, v[119:120]
	v_cvt_f32_f64_e32 v120, v[121:122]
	;; [unrolled: 1-line block ×4, first 2 shown]
	v_min3_f32 v119, v119, v120, v205
	v_min_f32_e32 v120, v121, v122
	v_min3_f32 v118, v118, v120, v119
	v_lshlrev_b64 v[120:121], 3, v[0:1]
	v_cvt_f64_f32_e32 v[118:119], v118
	v_add_co_u32 v120, vcc_lo, v114, v120
	v_add_co_ci_u32_e64 v121, null, v115, v121, vcc_lo
	flat_store_dwordx2 v[120:121], v[118:119]
	s_or_b32 exec_lo, exec_lo, s12
	s_and_b32 s15, s1, s8
	s_and_saveexec_b32 s12, s15
	s_cbranch_execz .LBB120_139
.LBB120_149:
	v_cmp_ne_u32_e32 vcc_lo, 1, v144
	s_cbranch_vccnz .LBB120_151
; %bb.150:
	v_lshlrev_b64 v[118:119], 3, v[130:131]
	v_add_co_u32 v118, vcc_lo, v116, v118
	v_add_co_ci_u32_e64 v119, null, v117, v119, vcc_lo
	flat_load_dwordx2 v[118:119], v[118:119]
	s_waitcnt vmcnt(0) lgkmcnt(0)
	v_mul_f64 v[118:119], s[10:11], v[118:119]
	v_cvt_f32_f64_e32 v118, v[118:119]
	s_branch .LBB120_152
.LBB120_151:
	v_mov_b32_e32 v118, 0
.LBB120_152:
	v_add_f64 v[119:120], v[62:63], v[110:111]
	v_add_f64 v[121:122], v[64:65], v[112:113]
	;; [unrolled: 1-line block ×4, first 2 shown]
	v_cvt_f32_f64_e32 v119, v[119:120]
	v_cvt_f32_f64_e32 v120, v[121:122]
	;; [unrolled: 1-line block ×4, first 2 shown]
	v_min3_f32 v119, v119, v120, v204
	v_min_f32_e32 v120, v121, v122
	v_min3_f32 v118, v118, v120, v119
	v_lshlrev_b64 v[120:121], 3, v[130:131]
	v_cvt_f64_f32_e32 v[118:119], v118
	v_add_co_u32 v120, vcc_lo, v114, v120
	v_add_co_ci_u32_e64 v121, null, v115, v121, vcc_lo
	flat_store_dwordx2 v[120:121], v[118:119]
	s_or_b32 exec_lo, exec_lo, s12
	s_and_b32 s15, s2, s8
	s_and_saveexec_b32 s12, s15
	s_cbranch_execz .LBB120_140
.LBB120_153:
	v_cmp_ne_u32_e32 vcc_lo, 1, v144
	s_cbranch_vccnz .LBB120_155
; %bb.154:
	v_lshlrev_b64 v[118:119], 3, v[132:133]
	v_add_co_u32 v118, vcc_lo, v116, v118
	v_add_co_ci_u32_e64 v119, null, v117, v119, vcc_lo
	flat_load_dwordx2 v[118:119], v[118:119]
	s_waitcnt vmcnt(0) lgkmcnt(0)
	v_mul_f64 v[118:119], s[10:11], v[118:119]
	v_cvt_f32_f64_e32 v118, v[118:119]
	s_branch .LBB120_156
.LBB120_155:
	v_mov_b32_e32 v118, 0
.LBB120_156:
	v_add_f64 v[119:120], v[54:55], v[110:111]
	v_add_f64 v[121:122], v[56:57], v[112:113]
	;; [unrolled: 1-line block ×4, first 2 shown]
	v_cvt_f32_f64_e32 v119, v[119:120]
	v_cvt_f32_f64_e32 v120, v[121:122]
	;; [unrolled: 1-line block ×4, first 2 shown]
	v_min3_f32 v119, v119, v120, v203
	v_min_f32_e32 v120, v121, v122
	v_min3_f32 v118, v118, v120, v119
	v_lshlrev_b64 v[120:121], 3, v[132:133]
	v_cvt_f64_f32_e32 v[118:119], v118
	v_add_co_u32 v120, vcc_lo, v114, v120
	v_add_co_ci_u32_e64 v121, null, v115, v121, vcc_lo
	flat_store_dwordx2 v[120:121], v[118:119]
	s_or_b32 exec_lo, exec_lo, s12
	s_and_b32 s15, s3, s8
	s_and_saveexec_b32 s12, s15
	s_cbranch_execz .LBB120_141
.LBB120_157:
	v_cmp_ne_u32_e32 vcc_lo, 1, v144
	s_cbranch_vccnz .LBB120_159
; %bb.158:
	v_lshlrev_b64 v[118:119], 3, v[134:135]
	v_add_co_u32 v118, vcc_lo, v116, v118
	v_add_co_ci_u32_e64 v119, null, v117, v119, vcc_lo
	flat_load_dwordx2 v[118:119], v[118:119]
	s_waitcnt vmcnt(0) lgkmcnt(0)
	v_mul_f64 v[118:119], s[10:11], v[118:119]
	v_cvt_f32_f64_e32 v118, v[118:119]
	s_branch .LBB120_160
.LBB120_159:
	v_mov_b32_e32 v118, 0
.LBB120_160:
	v_add_f64 v[119:120], v[46:47], v[110:111]
	v_add_f64 v[121:122], v[48:49], v[112:113]
	v_add_f64 v[123:124], v[42:43], v[106:107]
	v_add_f64 v[125:126], v[44:45], v[108:109]
	v_cvt_f32_f64_e32 v119, v[119:120]
	v_cvt_f32_f64_e32 v120, v[121:122]
	;; [unrolled: 1-line block ×4, first 2 shown]
	v_min3_f32 v119, v119, v120, v202
	v_min_f32_e32 v120, v121, v122
	v_min3_f32 v118, v118, v120, v119
	v_lshlrev_b64 v[120:121], 3, v[134:135]
	v_cvt_f64_f32_e32 v[118:119], v118
	v_add_co_u32 v120, vcc_lo, v114, v120
	v_add_co_ci_u32_e64 v121, null, v115, v121, vcc_lo
	flat_store_dwordx2 v[120:121], v[118:119]
	s_or_b32 exec_lo, exec_lo, s12
	s_and_b32 s15, s4, s8
	s_and_saveexec_b32 s12, s15
	s_cbranch_execz .LBB120_142
.LBB120_161:
	v_cmp_ne_u32_e32 vcc_lo, 1, v144
	s_cbranch_vccnz .LBB120_163
; %bb.162:
	v_lshlrev_b64 v[118:119], 3, v[136:137]
	v_add_co_u32 v118, vcc_lo, v116, v118
	v_add_co_ci_u32_e64 v119, null, v117, v119, vcc_lo
	flat_load_dwordx2 v[118:119], v[118:119]
	s_waitcnt vmcnt(0) lgkmcnt(0)
	v_mul_f64 v[118:119], s[10:11], v[118:119]
	v_cvt_f32_f64_e32 v118, v[118:119]
	s_branch .LBB120_164
.LBB120_163:
	v_mov_b32_e32 v118, 0
.LBB120_164:
	v_add_f64 v[119:120], v[38:39], v[110:111]
	v_add_f64 v[121:122], v[40:41], v[112:113]
	;; [unrolled: 1-line block ×4, first 2 shown]
	v_cvt_f32_f64_e32 v119, v[119:120]
	v_cvt_f32_f64_e32 v120, v[121:122]
	;; [unrolled: 1-line block ×4, first 2 shown]
	v_min3_f32 v119, v119, v120, v201
	v_min_f32_e32 v120, v121, v122
	v_min3_f32 v118, v118, v120, v119
	v_lshlrev_b64 v[120:121], 3, v[136:137]
	v_cvt_f64_f32_e32 v[118:119], v118
	v_add_co_u32 v120, vcc_lo, v114, v120
	v_add_co_ci_u32_e64 v121, null, v115, v121, vcc_lo
	flat_store_dwordx2 v[120:121], v[118:119]
	s_or_b32 exec_lo, exec_lo, s12
	s_and_b32 s15, s5, s8
	s_and_saveexec_b32 s12, s15
	s_cbranch_execz .LBB120_143
.LBB120_165:
	v_cmp_ne_u32_e32 vcc_lo, 1, v144
	s_cbranch_vccnz .LBB120_167
; %bb.166:
	v_lshlrev_b64 v[118:119], 3, v[138:139]
	v_add_co_u32 v118, vcc_lo, v116, v118
	v_add_co_ci_u32_e64 v119, null, v117, v119, vcc_lo
	flat_load_dwordx2 v[118:119], v[118:119]
	s_waitcnt vmcnt(0) lgkmcnt(0)
	v_mul_f64 v[118:119], s[10:11], v[118:119]
	v_cvt_f32_f64_e32 v118, v[118:119]
	s_branch .LBB120_168
.LBB120_167:
	v_mov_b32_e32 v118, 0
.LBB120_168:
	v_add_f64 v[119:120], v[30:31], v[110:111]
	v_add_f64 v[121:122], v[32:33], v[112:113]
	;; [unrolled: 1-line block ×4, first 2 shown]
	v_cvt_f32_f64_e32 v119, v[119:120]
	v_cvt_f32_f64_e32 v120, v[121:122]
	;; [unrolled: 1-line block ×4, first 2 shown]
	v_min3_f32 v119, v119, v120, v200
	v_min_f32_e32 v120, v121, v122
	v_min3_f32 v118, v118, v120, v119
	v_lshlrev_b64 v[120:121], 3, v[138:139]
	v_cvt_f64_f32_e32 v[118:119], v118
	v_add_co_u32 v120, vcc_lo, v114, v120
	v_add_co_ci_u32_e64 v121, null, v115, v121, vcc_lo
	flat_store_dwordx2 v[120:121], v[118:119]
	s_or_b32 exec_lo, exec_lo, s12
	s_and_b32 s15, s6, s8
	s_and_saveexec_b32 s12, s15
	s_cbranch_execz .LBB120_144
.LBB120_169:
	v_cmp_ne_u32_e32 vcc_lo, 1, v144
	s_cbranch_vccnz .LBB120_171
; %bb.170:
	v_lshlrev_b64 v[118:119], 3, v[140:141]
	v_add_co_u32 v118, vcc_lo, v116, v118
	v_add_co_ci_u32_e64 v119, null, v117, v119, vcc_lo
	flat_load_dwordx2 v[118:119], v[118:119]
	s_waitcnt vmcnt(0) lgkmcnt(0)
	v_mul_f64 v[118:119], s[10:11], v[118:119]
	v_cvt_f32_f64_e32 v118, v[118:119]
	s_branch .LBB120_172
.LBB120_171:
	v_mov_b32_e32 v118, 0
.LBB120_172:
	v_add_f64 v[119:120], v[22:23], v[110:111]
	v_add_f64 v[121:122], v[24:25], v[112:113]
	;; [unrolled: 1-line block ×4, first 2 shown]
	v_cvt_f32_f64_e32 v119, v[119:120]
	v_cvt_f32_f64_e32 v120, v[121:122]
	;; [unrolled: 1-line block ×4, first 2 shown]
	v_min3_f32 v119, v119, v120, v199
	v_min_f32_e32 v120, v121, v122
	v_min3_f32 v118, v118, v120, v119
	v_lshlrev_b64 v[120:121], 3, v[140:141]
	v_cvt_f64_f32_e32 v[118:119], v118
	v_add_co_u32 v120, vcc_lo, v114, v120
	v_add_co_ci_u32_e64 v121, null, v115, v121, vcc_lo
	flat_store_dwordx2 v[120:121], v[118:119]
	s_or_b32 exec_lo, exec_lo, s12
	s_and_b32 s12, s7, s8
	s_and_saveexec_b32 s8, s12
	s_cbranch_execz .LBB120_177
.LBB120_173:
	v_cmp_ne_u32_e32 vcc_lo, 1, v144
	s_cbranch_vccnz .LBB120_175
; %bb.174:
	v_lshlrev_b64 v[118:119], 3, v[142:143]
	v_add_co_u32 v116, vcc_lo, v116, v118
	v_add_co_ci_u32_e64 v117, null, v117, v119, vcc_lo
	flat_load_dwordx2 v[116:117], v[116:117]
	s_waitcnt vmcnt(0) lgkmcnt(0)
	v_mul_f64 v[116:117], s[10:11], v[116:117]
	v_cvt_f32_f64_e32 v116, v[116:117]
	s_branch .LBB120_176
.LBB120_175:
	v_mov_b32_e32 v116, 0
.LBB120_176:
	v_add_f64 v[110:111], v[6:7], v[110:111]
	v_add_f64 v[112:113], v[8:9], v[112:113]
	;; [unrolled: 1-line block ×4, first 2 shown]
	v_cvt_f32_f64_e32 v110, v[110:111]
	v_cvt_f32_f64_e32 v111, v[112:113]
	;; [unrolled: 1-line block ×4, first 2 shown]
	v_min3_f32 v108, v110, v111, v198
	v_min_f32_e32 v106, v106, v107
	v_min3_f32 v106, v116, v106, v108
	v_lshlrev_b64 v[108:109], 3, v[142:143]
	v_cvt_f64_f32_e32 v[106:107], v106
	v_add_co_u32 v108, vcc_lo, v114, v108
	v_add_co_ci_u32_e64 v109, null, v115, v109, vcc_lo
	flat_store_dwordx2 v[108:109], v[106:107]
.LBB120_177:
	s_or_b32 exec_lo, exec_lo, s8
	v_add_nc_u32_e32 v110, 0x60, v145
	v_mad_i64_i32 v[106:107], null, v110, s18, 0
	v_mad_i64_i32 v[108:109], null, v110, s14, 0
	v_cmp_gt_i32_e64 s8, s13, v110
	v_lshlrev_b64 v[106:107], 3, v[106:107]
	s_and_b32 s15, s0, s8
	v_lshlrev_b64 v[110:111], 3, v[108:109]
	v_add_co_u32 v108, vcc_lo, s16, v106
	v_add_co_ci_u32_e64 v109, null, s17, v107, vcc_lo
	v_add_co_u32 v106, vcc_lo, s19, v110
	v_add_co_ci_u32_e64 v107, null, s9, v111, vcc_lo
	s_and_saveexec_b32 s12, s15
	s_cbranch_execnz .LBB120_185
; %bb.178:
	s_or_b32 exec_lo, exec_lo, s12
	s_and_b32 s15, s1, s8
	s_and_saveexec_b32 s12, s15
	s_cbranch_execnz .LBB120_189
.LBB120_179:
	s_or_b32 exec_lo, exec_lo, s12
	s_and_b32 s15, s2, s8
	s_and_saveexec_b32 s12, s15
	s_cbranch_execnz .LBB120_193
.LBB120_180:
	s_or_b32 exec_lo, exec_lo, s12
	s_and_b32 s15, s3, s8
	s_and_saveexec_b32 s12, s15
	s_cbranch_execnz .LBB120_197
.LBB120_181:
	s_or_b32 exec_lo, exec_lo, s12
	s_and_b32 s15, s4, s8
	s_and_saveexec_b32 s12, s15
	s_cbranch_execnz .LBB120_201
.LBB120_182:
	s_or_b32 exec_lo, exec_lo, s12
	s_and_b32 s15, s5, s8
	s_and_saveexec_b32 s12, s15
	s_cbranch_execnz .LBB120_205
.LBB120_183:
	s_or_b32 exec_lo, exec_lo, s12
	s_and_b32 s15, s6, s8
	s_and_saveexec_b32 s12, s15
	s_cbranch_execnz .LBB120_209
.LBB120_184:
	s_or_b32 exec_lo, exec_lo, s12
	s_and_b32 s12, s7, s8
	s_and_saveexec_b32 s8, s12
	s_cbranch_execnz .LBB120_213
	s_branch .LBB120_217
.LBB120_185:
	v_cmp_ne_u32_e32 vcc_lo, 1, v144
	s_cbranch_vccnz .LBB120_187
; %bb.186:
	v_lshlrev_b64 v[110:111], 3, v[0:1]
	v_add_co_u32 v110, vcc_lo, v108, v110
	v_add_co_ci_u32_e64 v111, null, v109, v111, vcc_lo
	flat_load_dwordx2 v[110:111], v[110:111]
	s_waitcnt vmcnt(0) lgkmcnt(0)
	v_mul_f64 v[110:111], s[10:11], v[110:111]
	v_cvt_f32_f64_e32 v110, v[110:111]
	s_branch .LBB120_188
.LBB120_187:
	v_mov_b32_e32 v110, 0
.LBB120_188:
	v_add_f64 v[111:112], v[70:71], v[102:103]
	v_add_f64 v[113:114], v[72:73], v[104:105]
	;; [unrolled: 1-line block ×4, first 2 shown]
	v_cvt_f32_f64_e32 v111, v[111:112]
	v_cvt_f32_f64_e32 v112, v[113:114]
	;; [unrolled: 1-line block ×4, first 2 shown]
	v_min3_f32 v111, v111, v112, v197
	v_min_f32_e32 v112, v113, v114
	v_min3_f32 v110, v110, v112, v111
	v_lshlrev_b64 v[112:113], 3, v[0:1]
	v_cvt_f64_f32_e32 v[110:111], v110
	v_add_co_u32 v112, vcc_lo, v106, v112
	v_add_co_ci_u32_e64 v113, null, v107, v113, vcc_lo
	flat_store_dwordx2 v[112:113], v[110:111]
	s_or_b32 exec_lo, exec_lo, s12
	s_and_b32 s15, s1, s8
	s_and_saveexec_b32 s12, s15
	s_cbranch_execz .LBB120_179
.LBB120_189:
	v_cmp_ne_u32_e32 vcc_lo, 1, v144
	s_cbranch_vccnz .LBB120_191
; %bb.190:
	v_lshlrev_b64 v[110:111], 3, v[130:131]
	v_add_co_u32 v110, vcc_lo, v108, v110
	v_add_co_ci_u32_e64 v111, null, v109, v111, vcc_lo
	flat_load_dwordx2 v[110:111], v[110:111]
	s_waitcnt vmcnt(0) lgkmcnt(0)
	v_mul_f64 v[110:111], s[10:11], v[110:111]
	v_cvt_f32_f64_e32 v110, v[110:111]
	s_branch .LBB120_192
.LBB120_191:
	v_mov_b32_e32 v110, 0
.LBB120_192:
	v_add_f64 v[111:112], v[62:63], v[102:103]
	v_add_f64 v[113:114], v[64:65], v[104:105]
	;; [unrolled: 1-line block ×4, first 2 shown]
	v_cvt_f32_f64_e32 v111, v[111:112]
	v_cvt_f32_f64_e32 v112, v[113:114]
	;; [unrolled: 1-line block ×4, first 2 shown]
	v_min3_f32 v111, v111, v112, v196
	v_min_f32_e32 v112, v113, v114
	v_min3_f32 v110, v110, v112, v111
	v_lshlrev_b64 v[112:113], 3, v[130:131]
	v_cvt_f64_f32_e32 v[110:111], v110
	v_add_co_u32 v112, vcc_lo, v106, v112
	v_add_co_ci_u32_e64 v113, null, v107, v113, vcc_lo
	flat_store_dwordx2 v[112:113], v[110:111]
	s_or_b32 exec_lo, exec_lo, s12
	s_and_b32 s15, s2, s8
	s_and_saveexec_b32 s12, s15
	s_cbranch_execz .LBB120_180
.LBB120_193:
	v_cmp_ne_u32_e32 vcc_lo, 1, v144
	s_cbranch_vccnz .LBB120_195
; %bb.194:
	v_lshlrev_b64 v[110:111], 3, v[132:133]
	v_add_co_u32 v110, vcc_lo, v108, v110
	v_add_co_ci_u32_e64 v111, null, v109, v111, vcc_lo
	flat_load_dwordx2 v[110:111], v[110:111]
	s_waitcnt vmcnt(0) lgkmcnt(0)
	v_mul_f64 v[110:111], s[10:11], v[110:111]
	v_cvt_f32_f64_e32 v110, v[110:111]
	s_branch .LBB120_196
.LBB120_195:
	v_mov_b32_e32 v110, 0
.LBB120_196:
	v_add_f64 v[111:112], v[54:55], v[102:103]
	v_add_f64 v[113:114], v[56:57], v[104:105]
	;; [unrolled: 1-line block ×4, first 2 shown]
	v_cvt_f32_f64_e32 v111, v[111:112]
	v_cvt_f32_f64_e32 v112, v[113:114]
	;; [unrolled: 1-line block ×4, first 2 shown]
	v_min3_f32 v111, v111, v112, v195
	v_min_f32_e32 v112, v113, v114
	v_min3_f32 v110, v110, v112, v111
	v_lshlrev_b64 v[112:113], 3, v[132:133]
	v_cvt_f64_f32_e32 v[110:111], v110
	v_add_co_u32 v112, vcc_lo, v106, v112
	v_add_co_ci_u32_e64 v113, null, v107, v113, vcc_lo
	flat_store_dwordx2 v[112:113], v[110:111]
	s_or_b32 exec_lo, exec_lo, s12
	s_and_b32 s15, s3, s8
	s_and_saveexec_b32 s12, s15
	s_cbranch_execz .LBB120_181
.LBB120_197:
	v_cmp_ne_u32_e32 vcc_lo, 1, v144
	s_cbranch_vccnz .LBB120_199
; %bb.198:
	v_lshlrev_b64 v[110:111], 3, v[134:135]
	v_add_co_u32 v110, vcc_lo, v108, v110
	v_add_co_ci_u32_e64 v111, null, v109, v111, vcc_lo
	flat_load_dwordx2 v[110:111], v[110:111]
	s_waitcnt vmcnt(0) lgkmcnt(0)
	v_mul_f64 v[110:111], s[10:11], v[110:111]
	v_cvt_f32_f64_e32 v110, v[110:111]
	s_branch .LBB120_200
.LBB120_199:
	v_mov_b32_e32 v110, 0
.LBB120_200:
	v_add_f64 v[111:112], v[46:47], v[102:103]
	v_add_f64 v[113:114], v[48:49], v[104:105]
	;; [unrolled: 1-line block ×4, first 2 shown]
	v_cvt_f32_f64_e32 v111, v[111:112]
	v_cvt_f32_f64_e32 v112, v[113:114]
	;; [unrolled: 1-line block ×4, first 2 shown]
	v_min3_f32 v111, v111, v112, v194
	v_min_f32_e32 v112, v113, v114
	v_min3_f32 v110, v110, v112, v111
	v_lshlrev_b64 v[112:113], 3, v[134:135]
	v_cvt_f64_f32_e32 v[110:111], v110
	v_add_co_u32 v112, vcc_lo, v106, v112
	v_add_co_ci_u32_e64 v113, null, v107, v113, vcc_lo
	flat_store_dwordx2 v[112:113], v[110:111]
	s_or_b32 exec_lo, exec_lo, s12
	s_and_b32 s15, s4, s8
	s_and_saveexec_b32 s12, s15
	s_cbranch_execz .LBB120_182
.LBB120_201:
	v_cmp_ne_u32_e32 vcc_lo, 1, v144
	s_cbranch_vccnz .LBB120_203
; %bb.202:
	v_lshlrev_b64 v[110:111], 3, v[136:137]
	v_add_co_u32 v110, vcc_lo, v108, v110
	v_add_co_ci_u32_e64 v111, null, v109, v111, vcc_lo
	flat_load_dwordx2 v[110:111], v[110:111]
	s_waitcnt vmcnt(0) lgkmcnt(0)
	v_mul_f64 v[110:111], s[10:11], v[110:111]
	v_cvt_f32_f64_e32 v110, v[110:111]
	s_branch .LBB120_204
.LBB120_203:
	v_mov_b32_e32 v110, 0
.LBB120_204:
	v_add_f64 v[111:112], v[38:39], v[102:103]
	v_add_f64 v[113:114], v[40:41], v[104:105]
	v_add_f64 v[115:116], v[34:35], v[98:99]
	v_add_f64 v[117:118], v[36:37], v[100:101]
	v_cvt_f32_f64_e32 v111, v[111:112]
	v_cvt_f32_f64_e32 v112, v[113:114]
	;; [unrolled: 1-line block ×4, first 2 shown]
	v_min3_f32 v111, v111, v112, v193
	v_min_f32_e32 v112, v113, v114
	v_min3_f32 v110, v110, v112, v111
	v_lshlrev_b64 v[112:113], 3, v[136:137]
	v_cvt_f64_f32_e32 v[110:111], v110
	v_add_co_u32 v112, vcc_lo, v106, v112
	v_add_co_ci_u32_e64 v113, null, v107, v113, vcc_lo
	flat_store_dwordx2 v[112:113], v[110:111]
	s_or_b32 exec_lo, exec_lo, s12
	s_and_b32 s15, s5, s8
	s_and_saveexec_b32 s12, s15
	s_cbranch_execz .LBB120_183
.LBB120_205:
	v_cmp_ne_u32_e32 vcc_lo, 1, v144
	s_cbranch_vccnz .LBB120_207
; %bb.206:
	v_lshlrev_b64 v[110:111], 3, v[138:139]
	v_add_co_u32 v110, vcc_lo, v108, v110
	v_add_co_ci_u32_e64 v111, null, v109, v111, vcc_lo
	flat_load_dwordx2 v[110:111], v[110:111]
	s_waitcnt vmcnt(0) lgkmcnt(0)
	v_mul_f64 v[110:111], s[10:11], v[110:111]
	v_cvt_f32_f64_e32 v110, v[110:111]
	s_branch .LBB120_208
.LBB120_207:
	v_mov_b32_e32 v110, 0
.LBB120_208:
	v_add_f64 v[111:112], v[30:31], v[102:103]
	v_add_f64 v[113:114], v[32:33], v[104:105]
	;; [unrolled: 1-line block ×4, first 2 shown]
	v_cvt_f32_f64_e32 v111, v[111:112]
	v_cvt_f32_f64_e32 v112, v[113:114]
	;; [unrolled: 1-line block ×4, first 2 shown]
	v_min3_f32 v111, v111, v112, v192
	v_min_f32_e32 v112, v113, v114
	v_min3_f32 v110, v110, v112, v111
	v_lshlrev_b64 v[112:113], 3, v[138:139]
	v_cvt_f64_f32_e32 v[110:111], v110
	v_add_co_u32 v112, vcc_lo, v106, v112
	v_add_co_ci_u32_e64 v113, null, v107, v113, vcc_lo
	flat_store_dwordx2 v[112:113], v[110:111]
	s_or_b32 exec_lo, exec_lo, s12
	s_and_b32 s15, s6, s8
	s_and_saveexec_b32 s12, s15
	s_cbranch_execz .LBB120_184
.LBB120_209:
	v_cmp_ne_u32_e32 vcc_lo, 1, v144
	s_cbranch_vccnz .LBB120_211
; %bb.210:
	v_lshlrev_b64 v[110:111], 3, v[140:141]
	v_add_co_u32 v110, vcc_lo, v108, v110
	v_add_co_ci_u32_e64 v111, null, v109, v111, vcc_lo
	flat_load_dwordx2 v[110:111], v[110:111]
	s_waitcnt vmcnt(0) lgkmcnt(0)
	v_mul_f64 v[110:111], s[10:11], v[110:111]
	v_cvt_f32_f64_e32 v110, v[110:111]
	s_branch .LBB120_212
.LBB120_211:
	v_mov_b32_e32 v110, 0
.LBB120_212:
	v_add_f64 v[111:112], v[22:23], v[102:103]
	v_add_f64 v[113:114], v[24:25], v[104:105]
	;; [unrolled: 1-line block ×4, first 2 shown]
	v_cvt_f32_f64_e32 v111, v[111:112]
	v_cvt_f32_f64_e32 v112, v[113:114]
	;; [unrolled: 1-line block ×4, first 2 shown]
	v_min3_f32 v111, v111, v112, v191
	v_min_f32_e32 v112, v113, v114
	v_min3_f32 v110, v110, v112, v111
	v_lshlrev_b64 v[112:113], 3, v[140:141]
	v_cvt_f64_f32_e32 v[110:111], v110
	v_add_co_u32 v112, vcc_lo, v106, v112
	v_add_co_ci_u32_e64 v113, null, v107, v113, vcc_lo
	flat_store_dwordx2 v[112:113], v[110:111]
	s_or_b32 exec_lo, exec_lo, s12
	s_and_b32 s12, s7, s8
	s_and_saveexec_b32 s8, s12
	s_cbranch_execz .LBB120_217
.LBB120_213:
	v_cmp_ne_u32_e32 vcc_lo, 1, v144
	s_cbranch_vccnz .LBB120_215
; %bb.214:
	v_lshlrev_b64 v[110:111], 3, v[142:143]
	v_add_co_u32 v108, vcc_lo, v108, v110
	v_add_co_ci_u32_e64 v109, null, v109, v111, vcc_lo
	flat_load_dwordx2 v[108:109], v[108:109]
	s_waitcnt vmcnt(0) lgkmcnt(0)
	v_mul_f64 v[108:109], s[10:11], v[108:109]
	v_cvt_f32_f64_e32 v108, v[108:109]
	s_branch .LBB120_216
.LBB120_215:
	v_mov_b32_e32 v108, 0
.LBB120_216:
	v_add_f64 v[102:103], v[6:7], v[102:103]
	v_add_f64 v[104:105], v[8:9], v[104:105]
	;; [unrolled: 1-line block ×4, first 2 shown]
	v_cvt_f32_f64_e32 v102, v[102:103]
	v_cvt_f32_f64_e32 v103, v[104:105]
	;; [unrolled: 1-line block ×4, first 2 shown]
	v_min3_f32 v100, v102, v103, v190
	v_min_f32_e32 v98, v98, v99
	v_min3_f32 v98, v108, v98, v100
	v_lshlrev_b64 v[100:101], 3, v[142:143]
	v_cvt_f64_f32_e32 v[98:99], v98
	v_add_co_u32 v100, vcc_lo, v106, v100
	v_add_co_ci_u32_e64 v101, null, v107, v101, vcc_lo
	flat_store_dwordx2 v[100:101], v[98:99]
.LBB120_217:
	s_or_b32 exec_lo, exec_lo, s8
	v_add_nc_u32_e32 v102, 0x80, v145
	v_mad_i64_i32 v[98:99], null, v102, s18, 0
	v_mad_i64_i32 v[100:101], null, v102, s14, 0
	v_cmp_gt_i32_e64 s8, s13, v102
	v_lshlrev_b64 v[98:99], 3, v[98:99]
	s_and_b32 s15, s0, s8
	v_lshlrev_b64 v[102:103], 3, v[100:101]
	v_add_co_u32 v100, vcc_lo, s16, v98
	v_add_co_ci_u32_e64 v101, null, s17, v99, vcc_lo
	v_add_co_u32 v98, vcc_lo, s19, v102
	v_add_co_ci_u32_e64 v99, null, s9, v103, vcc_lo
	s_and_saveexec_b32 s12, s15
	s_cbranch_execnz .LBB120_225
; %bb.218:
	s_or_b32 exec_lo, exec_lo, s12
	s_and_b32 s15, s1, s8
	s_and_saveexec_b32 s12, s15
	s_cbranch_execnz .LBB120_229
.LBB120_219:
	s_or_b32 exec_lo, exec_lo, s12
	s_and_b32 s15, s2, s8
	s_and_saveexec_b32 s12, s15
	s_cbranch_execnz .LBB120_233
.LBB120_220:
	s_or_b32 exec_lo, exec_lo, s12
	s_and_b32 s15, s3, s8
	s_and_saveexec_b32 s12, s15
	s_cbranch_execnz .LBB120_237
.LBB120_221:
	s_or_b32 exec_lo, exec_lo, s12
	s_and_b32 s15, s4, s8
	s_and_saveexec_b32 s12, s15
	s_cbranch_execnz .LBB120_241
.LBB120_222:
	s_or_b32 exec_lo, exec_lo, s12
	s_and_b32 s15, s5, s8
	s_and_saveexec_b32 s12, s15
	s_cbranch_execnz .LBB120_245
.LBB120_223:
	s_or_b32 exec_lo, exec_lo, s12
	s_and_b32 s15, s6, s8
	s_and_saveexec_b32 s12, s15
	s_cbranch_execnz .LBB120_249
.LBB120_224:
	s_or_b32 exec_lo, exec_lo, s12
	s_and_b32 s12, s7, s8
	s_and_saveexec_b32 s8, s12
	s_cbranch_execnz .LBB120_253
	s_branch .LBB120_257
.LBB120_225:
	v_cmp_ne_u32_e32 vcc_lo, 1, v144
	s_cbranch_vccnz .LBB120_227
; %bb.226:
	v_lshlrev_b64 v[102:103], 3, v[0:1]
	v_add_co_u32 v102, vcc_lo, v100, v102
	v_add_co_ci_u32_e64 v103, null, v101, v103, vcc_lo
	flat_load_dwordx2 v[102:103], v[102:103]
	s_waitcnt vmcnt(0) lgkmcnt(0)
	v_mul_f64 v[102:103], s[10:11], v[102:103]
	v_cvt_f32_f64_e32 v102, v[102:103]
	s_branch .LBB120_228
.LBB120_227:
	v_mov_b32_e32 v102, 0
.LBB120_228:
	v_add_f64 v[103:104], v[70:71], v[94:95]
	v_add_f64 v[105:106], v[72:73], v[96:97]
	v_add_f64 v[107:108], v[66:67], v[90:91]
	v_add_f64 v[109:110], v[68:69], v[92:93]
	v_cvt_f32_f64_e32 v103, v[103:104]
	v_cvt_f32_f64_e32 v104, v[105:106]
	;; [unrolled: 1-line block ×4, first 2 shown]
	v_min3_f32 v103, v103, v104, v189
	v_min_f32_e32 v104, v105, v106
	v_min3_f32 v102, v102, v104, v103
	v_lshlrev_b64 v[104:105], 3, v[0:1]
	v_cvt_f64_f32_e32 v[102:103], v102
	v_add_co_u32 v104, vcc_lo, v98, v104
	v_add_co_ci_u32_e64 v105, null, v99, v105, vcc_lo
	flat_store_dwordx2 v[104:105], v[102:103]
	s_or_b32 exec_lo, exec_lo, s12
	s_and_b32 s15, s1, s8
	s_and_saveexec_b32 s12, s15
	s_cbranch_execz .LBB120_219
.LBB120_229:
	v_cmp_ne_u32_e32 vcc_lo, 1, v144
	s_cbranch_vccnz .LBB120_231
; %bb.230:
	v_lshlrev_b64 v[102:103], 3, v[130:131]
	v_add_co_u32 v102, vcc_lo, v100, v102
	v_add_co_ci_u32_e64 v103, null, v101, v103, vcc_lo
	flat_load_dwordx2 v[102:103], v[102:103]
	s_waitcnt vmcnt(0) lgkmcnt(0)
	v_mul_f64 v[102:103], s[10:11], v[102:103]
	v_cvt_f32_f64_e32 v102, v[102:103]
	s_branch .LBB120_232
.LBB120_231:
	v_mov_b32_e32 v102, 0
.LBB120_232:
	v_add_f64 v[103:104], v[62:63], v[94:95]
	v_add_f64 v[105:106], v[64:65], v[96:97]
	;; [unrolled: 1-line block ×4, first 2 shown]
	v_cvt_f32_f64_e32 v103, v[103:104]
	v_cvt_f32_f64_e32 v104, v[105:106]
	;; [unrolled: 1-line block ×4, first 2 shown]
	v_min3_f32 v103, v103, v104, v188
	v_min_f32_e32 v104, v105, v106
	v_min3_f32 v102, v102, v104, v103
	v_lshlrev_b64 v[104:105], 3, v[130:131]
	v_cvt_f64_f32_e32 v[102:103], v102
	v_add_co_u32 v104, vcc_lo, v98, v104
	v_add_co_ci_u32_e64 v105, null, v99, v105, vcc_lo
	flat_store_dwordx2 v[104:105], v[102:103]
	s_or_b32 exec_lo, exec_lo, s12
	s_and_b32 s15, s2, s8
	s_and_saveexec_b32 s12, s15
	s_cbranch_execz .LBB120_220
.LBB120_233:
	v_cmp_ne_u32_e32 vcc_lo, 1, v144
	s_cbranch_vccnz .LBB120_235
; %bb.234:
	v_lshlrev_b64 v[102:103], 3, v[132:133]
	v_add_co_u32 v102, vcc_lo, v100, v102
	v_add_co_ci_u32_e64 v103, null, v101, v103, vcc_lo
	flat_load_dwordx2 v[102:103], v[102:103]
	s_waitcnt vmcnt(0) lgkmcnt(0)
	v_mul_f64 v[102:103], s[10:11], v[102:103]
	v_cvt_f32_f64_e32 v102, v[102:103]
	s_branch .LBB120_236
.LBB120_235:
	v_mov_b32_e32 v102, 0
.LBB120_236:
	v_add_f64 v[103:104], v[54:55], v[94:95]
	v_add_f64 v[105:106], v[56:57], v[96:97]
	;; [unrolled: 1-line block ×4, first 2 shown]
	v_cvt_f32_f64_e32 v103, v[103:104]
	v_cvt_f32_f64_e32 v104, v[105:106]
	;; [unrolled: 1-line block ×4, first 2 shown]
	v_min3_f32 v103, v103, v104, v187
	v_min_f32_e32 v104, v105, v106
	v_min3_f32 v102, v102, v104, v103
	v_lshlrev_b64 v[104:105], 3, v[132:133]
	v_cvt_f64_f32_e32 v[102:103], v102
	v_add_co_u32 v104, vcc_lo, v98, v104
	v_add_co_ci_u32_e64 v105, null, v99, v105, vcc_lo
	flat_store_dwordx2 v[104:105], v[102:103]
	s_or_b32 exec_lo, exec_lo, s12
	s_and_b32 s15, s3, s8
	s_and_saveexec_b32 s12, s15
	s_cbranch_execz .LBB120_221
.LBB120_237:
	v_cmp_ne_u32_e32 vcc_lo, 1, v144
	s_cbranch_vccnz .LBB120_239
; %bb.238:
	v_lshlrev_b64 v[102:103], 3, v[134:135]
	v_add_co_u32 v102, vcc_lo, v100, v102
	v_add_co_ci_u32_e64 v103, null, v101, v103, vcc_lo
	flat_load_dwordx2 v[102:103], v[102:103]
	s_waitcnt vmcnt(0) lgkmcnt(0)
	v_mul_f64 v[102:103], s[10:11], v[102:103]
	v_cvt_f32_f64_e32 v102, v[102:103]
	s_branch .LBB120_240
.LBB120_239:
	v_mov_b32_e32 v102, 0
.LBB120_240:
	v_add_f64 v[103:104], v[46:47], v[94:95]
	v_add_f64 v[105:106], v[48:49], v[96:97]
	;; [unrolled: 1-line block ×4, first 2 shown]
	v_cvt_f32_f64_e32 v103, v[103:104]
	v_cvt_f32_f64_e32 v104, v[105:106]
	;; [unrolled: 1-line block ×4, first 2 shown]
	v_min3_f32 v103, v103, v104, v186
	v_min_f32_e32 v104, v105, v106
	v_min3_f32 v102, v102, v104, v103
	v_lshlrev_b64 v[104:105], 3, v[134:135]
	v_cvt_f64_f32_e32 v[102:103], v102
	v_add_co_u32 v104, vcc_lo, v98, v104
	v_add_co_ci_u32_e64 v105, null, v99, v105, vcc_lo
	flat_store_dwordx2 v[104:105], v[102:103]
	s_or_b32 exec_lo, exec_lo, s12
	s_and_b32 s15, s4, s8
	s_and_saveexec_b32 s12, s15
	s_cbranch_execz .LBB120_222
.LBB120_241:
	v_cmp_ne_u32_e32 vcc_lo, 1, v144
	s_cbranch_vccnz .LBB120_243
; %bb.242:
	v_lshlrev_b64 v[102:103], 3, v[136:137]
	v_add_co_u32 v102, vcc_lo, v100, v102
	v_add_co_ci_u32_e64 v103, null, v101, v103, vcc_lo
	flat_load_dwordx2 v[102:103], v[102:103]
	s_waitcnt vmcnt(0) lgkmcnt(0)
	v_mul_f64 v[102:103], s[10:11], v[102:103]
	v_cvt_f32_f64_e32 v102, v[102:103]
	s_branch .LBB120_244
.LBB120_243:
	v_mov_b32_e32 v102, 0
.LBB120_244:
	v_add_f64 v[103:104], v[38:39], v[94:95]
	v_add_f64 v[105:106], v[40:41], v[96:97]
	;; [unrolled: 1-line block ×4, first 2 shown]
	v_cvt_f32_f64_e32 v103, v[103:104]
	v_cvt_f32_f64_e32 v104, v[105:106]
	;; [unrolled: 1-line block ×4, first 2 shown]
	v_min3_f32 v103, v103, v104, v185
	v_min_f32_e32 v104, v105, v106
	v_min3_f32 v102, v102, v104, v103
	v_lshlrev_b64 v[104:105], 3, v[136:137]
	v_cvt_f64_f32_e32 v[102:103], v102
	v_add_co_u32 v104, vcc_lo, v98, v104
	v_add_co_ci_u32_e64 v105, null, v99, v105, vcc_lo
	flat_store_dwordx2 v[104:105], v[102:103]
	s_or_b32 exec_lo, exec_lo, s12
	s_and_b32 s15, s5, s8
	s_and_saveexec_b32 s12, s15
	s_cbranch_execz .LBB120_223
.LBB120_245:
	v_cmp_ne_u32_e32 vcc_lo, 1, v144
	s_cbranch_vccnz .LBB120_247
; %bb.246:
	v_lshlrev_b64 v[102:103], 3, v[138:139]
	v_add_co_u32 v102, vcc_lo, v100, v102
	v_add_co_ci_u32_e64 v103, null, v101, v103, vcc_lo
	flat_load_dwordx2 v[102:103], v[102:103]
	s_waitcnt vmcnt(0) lgkmcnt(0)
	v_mul_f64 v[102:103], s[10:11], v[102:103]
	v_cvt_f32_f64_e32 v102, v[102:103]
	s_branch .LBB120_248
.LBB120_247:
	v_mov_b32_e32 v102, 0
.LBB120_248:
	v_add_f64 v[103:104], v[30:31], v[94:95]
	v_add_f64 v[105:106], v[32:33], v[96:97]
	;; [unrolled: 1-line block ×4, first 2 shown]
	v_cvt_f32_f64_e32 v103, v[103:104]
	v_cvt_f32_f64_e32 v104, v[105:106]
	;; [unrolled: 1-line block ×4, first 2 shown]
	v_min3_f32 v103, v103, v104, v184
	v_min_f32_e32 v104, v105, v106
	v_min3_f32 v102, v102, v104, v103
	v_lshlrev_b64 v[104:105], 3, v[138:139]
	v_cvt_f64_f32_e32 v[102:103], v102
	v_add_co_u32 v104, vcc_lo, v98, v104
	v_add_co_ci_u32_e64 v105, null, v99, v105, vcc_lo
	flat_store_dwordx2 v[104:105], v[102:103]
	s_or_b32 exec_lo, exec_lo, s12
	s_and_b32 s15, s6, s8
	s_and_saveexec_b32 s12, s15
	s_cbranch_execz .LBB120_224
.LBB120_249:
	v_cmp_ne_u32_e32 vcc_lo, 1, v144
	s_cbranch_vccnz .LBB120_251
; %bb.250:
	v_lshlrev_b64 v[102:103], 3, v[140:141]
	v_add_co_u32 v102, vcc_lo, v100, v102
	v_add_co_ci_u32_e64 v103, null, v101, v103, vcc_lo
	flat_load_dwordx2 v[102:103], v[102:103]
	s_waitcnt vmcnt(0) lgkmcnt(0)
	v_mul_f64 v[102:103], s[10:11], v[102:103]
	v_cvt_f32_f64_e32 v102, v[102:103]
	s_branch .LBB120_252
.LBB120_251:
	v_mov_b32_e32 v102, 0
.LBB120_252:
	v_add_f64 v[103:104], v[22:23], v[94:95]
	v_add_f64 v[105:106], v[24:25], v[96:97]
	;; [unrolled: 1-line block ×4, first 2 shown]
	v_cvt_f32_f64_e32 v103, v[103:104]
	v_cvt_f32_f64_e32 v104, v[105:106]
	v_cvt_f32_f64_e32 v105, v[107:108]
	v_cvt_f32_f64_e32 v106, v[109:110]
	v_min3_f32 v103, v103, v104, v183
	v_min_f32_e32 v104, v105, v106
	v_min3_f32 v102, v102, v104, v103
	v_lshlrev_b64 v[104:105], 3, v[140:141]
	v_cvt_f64_f32_e32 v[102:103], v102
	v_add_co_u32 v104, vcc_lo, v98, v104
	v_add_co_ci_u32_e64 v105, null, v99, v105, vcc_lo
	flat_store_dwordx2 v[104:105], v[102:103]
	s_or_b32 exec_lo, exec_lo, s12
	s_and_b32 s12, s7, s8
	s_and_saveexec_b32 s8, s12
	s_cbranch_execz .LBB120_257
.LBB120_253:
	v_cmp_ne_u32_e32 vcc_lo, 1, v144
	s_cbranch_vccnz .LBB120_255
; %bb.254:
	v_lshlrev_b64 v[102:103], 3, v[142:143]
	v_add_co_u32 v100, vcc_lo, v100, v102
	v_add_co_ci_u32_e64 v101, null, v101, v103, vcc_lo
	flat_load_dwordx2 v[100:101], v[100:101]
	s_waitcnt vmcnt(0) lgkmcnt(0)
	v_mul_f64 v[100:101], s[10:11], v[100:101]
	v_cvt_f32_f64_e32 v100, v[100:101]
	s_branch .LBB120_256
.LBB120_255:
	v_mov_b32_e32 v100, 0
.LBB120_256:
	v_add_f64 v[94:95], v[6:7], v[94:95]
	v_add_f64 v[96:97], v[8:9], v[96:97]
	;; [unrolled: 1-line block ×4, first 2 shown]
	v_cvt_f32_f64_e32 v94, v[94:95]
	v_cvt_f32_f64_e32 v95, v[96:97]
	;; [unrolled: 1-line block ×4, first 2 shown]
	v_min3_f32 v92, v94, v95, v182
	v_min_f32_e32 v90, v90, v91
	v_min3_f32 v90, v100, v90, v92
	v_lshlrev_b64 v[92:93], 3, v[142:143]
	v_cvt_f64_f32_e32 v[90:91], v90
	v_add_co_u32 v92, vcc_lo, v98, v92
	v_add_co_ci_u32_e64 v93, null, v99, v93, vcc_lo
	flat_store_dwordx2 v[92:93], v[90:91]
.LBB120_257:
	s_or_b32 exec_lo, exec_lo, s8
	v_add_nc_u32_e32 v94, 0xa0, v145
	v_mad_i64_i32 v[90:91], null, v94, s18, 0
	v_mad_i64_i32 v[92:93], null, v94, s14, 0
	v_cmp_gt_i32_e64 s8, s13, v94
	v_lshlrev_b64 v[90:91], 3, v[90:91]
	s_and_b32 s15, s0, s8
	v_lshlrev_b64 v[94:95], 3, v[92:93]
	v_add_co_u32 v92, vcc_lo, s16, v90
	v_add_co_ci_u32_e64 v93, null, s17, v91, vcc_lo
	v_add_co_u32 v90, vcc_lo, s19, v94
	v_add_co_ci_u32_e64 v91, null, s9, v95, vcc_lo
	s_and_saveexec_b32 s12, s15
	s_cbranch_execnz .LBB120_265
; %bb.258:
	s_or_b32 exec_lo, exec_lo, s12
	s_and_b32 s15, s1, s8
	s_and_saveexec_b32 s12, s15
	s_cbranch_execnz .LBB120_269
.LBB120_259:
	s_or_b32 exec_lo, exec_lo, s12
	s_and_b32 s15, s2, s8
	s_and_saveexec_b32 s12, s15
	s_cbranch_execnz .LBB120_273
.LBB120_260:
	s_or_b32 exec_lo, exec_lo, s12
	s_and_b32 s15, s3, s8
	s_and_saveexec_b32 s12, s15
	s_cbranch_execnz .LBB120_277
.LBB120_261:
	s_or_b32 exec_lo, exec_lo, s12
	s_and_b32 s15, s4, s8
	s_and_saveexec_b32 s12, s15
	s_cbranch_execnz .LBB120_281
.LBB120_262:
	s_or_b32 exec_lo, exec_lo, s12
	s_and_b32 s15, s5, s8
	s_and_saveexec_b32 s12, s15
	s_cbranch_execnz .LBB120_285
.LBB120_263:
	s_or_b32 exec_lo, exec_lo, s12
	s_and_b32 s15, s6, s8
	s_and_saveexec_b32 s12, s15
	s_cbranch_execnz .LBB120_289
.LBB120_264:
	s_or_b32 exec_lo, exec_lo, s12
	s_and_b32 s12, s7, s8
	s_and_saveexec_b32 s8, s12
	s_cbranch_execnz .LBB120_293
	s_branch .LBB120_297
.LBB120_265:
	v_cmp_ne_u32_e32 vcc_lo, 1, v144
	s_cbranch_vccnz .LBB120_267
; %bb.266:
	v_lshlrev_b64 v[94:95], 3, v[0:1]
	v_add_co_u32 v94, vcc_lo, v92, v94
	v_add_co_ci_u32_e64 v95, null, v93, v95, vcc_lo
	flat_load_dwordx2 v[94:95], v[94:95]
	s_waitcnt vmcnt(0) lgkmcnt(0)
	v_mul_f64 v[94:95], s[10:11], v[94:95]
	v_cvt_f32_f64_e32 v94, v[94:95]
	s_branch .LBB120_268
.LBB120_267:
	v_mov_b32_e32 v94, 0
.LBB120_268:
	v_add_f64 v[95:96], v[70:71], v[86:87]
	v_add_f64 v[97:98], v[72:73], v[88:89]
	;; [unrolled: 1-line block ×4, first 2 shown]
	v_cvt_f32_f64_e32 v95, v[95:96]
	v_cvt_f32_f64_e32 v96, v[97:98]
	;; [unrolled: 1-line block ×4, first 2 shown]
	v_min3_f32 v95, v95, v96, v181
	v_min_f32_e32 v96, v97, v98
	v_min3_f32 v94, v94, v96, v95
	v_lshlrev_b64 v[96:97], 3, v[0:1]
	v_cvt_f64_f32_e32 v[94:95], v94
	v_add_co_u32 v96, vcc_lo, v90, v96
	v_add_co_ci_u32_e64 v97, null, v91, v97, vcc_lo
	flat_store_dwordx2 v[96:97], v[94:95]
	s_or_b32 exec_lo, exec_lo, s12
	s_and_b32 s15, s1, s8
	s_and_saveexec_b32 s12, s15
	s_cbranch_execz .LBB120_259
.LBB120_269:
	v_cmp_ne_u32_e32 vcc_lo, 1, v144
	s_cbranch_vccnz .LBB120_271
; %bb.270:
	v_lshlrev_b64 v[94:95], 3, v[130:131]
	v_add_co_u32 v94, vcc_lo, v92, v94
	v_add_co_ci_u32_e64 v95, null, v93, v95, vcc_lo
	flat_load_dwordx2 v[94:95], v[94:95]
	s_waitcnt vmcnt(0) lgkmcnt(0)
	v_mul_f64 v[94:95], s[10:11], v[94:95]
	v_cvt_f32_f64_e32 v94, v[94:95]
	s_branch .LBB120_272
.LBB120_271:
	v_mov_b32_e32 v94, 0
.LBB120_272:
	v_add_f64 v[95:96], v[62:63], v[86:87]
	v_add_f64 v[97:98], v[64:65], v[88:89]
	;; [unrolled: 1-line block ×4, first 2 shown]
	v_cvt_f32_f64_e32 v95, v[95:96]
	v_cvt_f32_f64_e32 v96, v[97:98]
	;; [unrolled: 1-line block ×4, first 2 shown]
	v_min3_f32 v95, v95, v96, v180
	v_min_f32_e32 v96, v97, v98
	v_min3_f32 v94, v94, v96, v95
	v_lshlrev_b64 v[96:97], 3, v[130:131]
	v_cvt_f64_f32_e32 v[94:95], v94
	v_add_co_u32 v96, vcc_lo, v90, v96
	v_add_co_ci_u32_e64 v97, null, v91, v97, vcc_lo
	flat_store_dwordx2 v[96:97], v[94:95]
	s_or_b32 exec_lo, exec_lo, s12
	s_and_b32 s15, s2, s8
	s_and_saveexec_b32 s12, s15
	s_cbranch_execz .LBB120_260
.LBB120_273:
	v_cmp_ne_u32_e32 vcc_lo, 1, v144
	s_cbranch_vccnz .LBB120_275
; %bb.274:
	v_lshlrev_b64 v[94:95], 3, v[132:133]
	v_add_co_u32 v94, vcc_lo, v92, v94
	v_add_co_ci_u32_e64 v95, null, v93, v95, vcc_lo
	flat_load_dwordx2 v[94:95], v[94:95]
	s_waitcnt vmcnt(0) lgkmcnt(0)
	v_mul_f64 v[94:95], s[10:11], v[94:95]
	v_cvt_f32_f64_e32 v94, v[94:95]
	s_branch .LBB120_276
.LBB120_275:
	v_mov_b32_e32 v94, 0
.LBB120_276:
	v_add_f64 v[95:96], v[54:55], v[86:87]
	v_add_f64 v[97:98], v[56:57], v[88:89]
	;; [unrolled: 1-line block ×4, first 2 shown]
	v_cvt_f32_f64_e32 v95, v[95:96]
	v_cvt_f32_f64_e32 v96, v[97:98]
	;; [unrolled: 1-line block ×4, first 2 shown]
	v_min3_f32 v95, v95, v96, v175
	v_min_f32_e32 v96, v97, v98
	v_min3_f32 v94, v94, v96, v95
	v_lshlrev_b64 v[96:97], 3, v[132:133]
	v_cvt_f64_f32_e32 v[94:95], v94
	v_add_co_u32 v96, vcc_lo, v90, v96
	v_add_co_ci_u32_e64 v97, null, v91, v97, vcc_lo
	flat_store_dwordx2 v[96:97], v[94:95]
	s_or_b32 exec_lo, exec_lo, s12
	s_and_b32 s15, s3, s8
	s_and_saveexec_b32 s12, s15
	s_cbranch_execz .LBB120_261
.LBB120_277:
	v_cmp_ne_u32_e32 vcc_lo, 1, v144
	s_cbranch_vccnz .LBB120_279
; %bb.278:
	v_lshlrev_b64 v[94:95], 3, v[134:135]
	v_add_co_u32 v94, vcc_lo, v92, v94
	v_add_co_ci_u32_e64 v95, null, v93, v95, vcc_lo
	flat_load_dwordx2 v[94:95], v[94:95]
	s_waitcnt vmcnt(0) lgkmcnt(0)
	v_mul_f64 v[94:95], s[10:11], v[94:95]
	v_cvt_f32_f64_e32 v94, v[94:95]
	s_branch .LBB120_280
.LBB120_279:
	v_mov_b32_e32 v94, 0
.LBB120_280:
	v_add_f64 v[95:96], v[46:47], v[86:87]
	v_add_f64 v[97:98], v[48:49], v[88:89]
	;; [unrolled: 1-line block ×4, first 2 shown]
	v_cvt_f32_f64_e32 v95, v[95:96]
	v_cvt_f32_f64_e32 v96, v[97:98]
	;; [unrolled: 1-line block ×4, first 2 shown]
	v_min3_f32 v95, v95, v96, v170
	v_min_f32_e32 v96, v97, v98
	v_min3_f32 v94, v94, v96, v95
	v_lshlrev_b64 v[96:97], 3, v[134:135]
	v_cvt_f64_f32_e32 v[94:95], v94
	v_add_co_u32 v96, vcc_lo, v90, v96
	v_add_co_ci_u32_e64 v97, null, v91, v97, vcc_lo
	flat_store_dwordx2 v[96:97], v[94:95]
	s_or_b32 exec_lo, exec_lo, s12
	s_and_b32 s15, s4, s8
	s_and_saveexec_b32 s12, s15
	s_cbranch_execz .LBB120_262
.LBB120_281:
	v_cmp_ne_u32_e32 vcc_lo, 1, v144
	s_cbranch_vccnz .LBB120_283
; %bb.282:
	v_lshlrev_b64 v[94:95], 3, v[136:137]
	v_add_co_u32 v94, vcc_lo, v92, v94
	v_add_co_ci_u32_e64 v95, null, v93, v95, vcc_lo
	flat_load_dwordx2 v[94:95], v[94:95]
	s_waitcnt vmcnt(0) lgkmcnt(0)
	v_mul_f64 v[94:95], s[10:11], v[94:95]
	v_cvt_f32_f64_e32 v94, v[94:95]
	s_branch .LBB120_284
.LBB120_283:
	v_mov_b32_e32 v94, 0
.LBB120_284:
	v_add_f64 v[95:96], v[38:39], v[86:87]
	v_add_f64 v[97:98], v[40:41], v[88:89]
	;; [unrolled: 1-line block ×4, first 2 shown]
	v_cvt_f32_f64_e32 v95, v[95:96]
	v_cvt_f32_f64_e32 v96, v[97:98]
	;; [unrolled: 1-line block ×4, first 2 shown]
	v_min3_f32 v95, v95, v96, v169
	v_min_f32_e32 v96, v97, v98
	v_min3_f32 v94, v94, v96, v95
	v_lshlrev_b64 v[96:97], 3, v[136:137]
	v_cvt_f64_f32_e32 v[94:95], v94
	v_add_co_u32 v96, vcc_lo, v90, v96
	v_add_co_ci_u32_e64 v97, null, v91, v97, vcc_lo
	flat_store_dwordx2 v[96:97], v[94:95]
	s_or_b32 exec_lo, exec_lo, s12
	s_and_b32 s15, s5, s8
	s_and_saveexec_b32 s12, s15
	s_cbranch_execz .LBB120_263
.LBB120_285:
	v_cmp_ne_u32_e32 vcc_lo, 1, v144
	s_cbranch_vccnz .LBB120_287
; %bb.286:
	v_lshlrev_b64 v[94:95], 3, v[138:139]
	v_add_co_u32 v94, vcc_lo, v92, v94
	v_add_co_ci_u32_e64 v95, null, v93, v95, vcc_lo
	flat_load_dwordx2 v[94:95], v[94:95]
	s_waitcnt vmcnt(0) lgkmcnt(0)
	v_mul_f64 v[94:95], s[10:11], v[94:95]
	v_cvt_f32_f64_e32 v94, v[94:95]
	s_branch .LBB120_288
.LBB120_287:
	v_mov_b32_e32 v94, 0
.LBB120_288:
	v_add_f64 v[95:96], v[30:31], v[86:87]
	v_add_f64 v[97:98], v[32:33], v[88:89]
	;; [unrolled: 1-line block ×4, first 2 shown]
	v_cvt_f32_f64_e32 v95, v[95:96]
	v_cvt_f32_f64_e32 v96, v[97:98]
	;; [unrolled: 1-line block ×4, first 2 shown]
	v_min3_f32 v95, v95, v96, v168
	v_min_f32_e32 v96, v97, v98
	v_min3_f32 v94, v94, v96, v95
	v_lshlrev_b64 v[96:97], 3, v[138:139]
	v_cvt_f64_f32_e32 v[94:95], v94
	v_add_co_u32 v96, vcc_lo, v90, v96
	v_add_co_ci_u32_e64 v97, null, v91, v97, vcc_lo
	flat_store_dwordx2 v[96:97], v[94:95]
	s_or_b32 exec_lo, exec_lo, s12
	s_and_b32 s15, s6, s8
	s_and_saveexec_b32 s12, s15
	s_cbranch_execz .LBB120_264
.LBB120_289:
	v_cmp_ne_u32_e32 vcc_lo, 1, v144
	s_cbranch_vccnz .LBB120_291
; %bb.290:
	v_lshlrev_b64 v[94:95], 3, v[140:141]
	v_add_co_u32 v94, vcc_lo, v92, v94
	v_add_co_ci_u32_e64 v95, null, v93, v95, vcc_lo
	flat_load_dwordx2 v[94:95], v[94:95]
	s_waitcnt vmcnt(0) lgkmcnt(0)
	v_mul_f64 v[94:95], s[10:11], v[94:95]
	v_cvt_f32_f64_e32 v94, v[94:95]
	s_branch .LBB120_292
.LBB120_291:
	v_mov_b32_e32 v94, 0
.LBB120_292:
	v_add_f64 v[95:96], v[22:23], v[86:87]
	v_add_f64 v[97:98], v[24:25], v[88:89]
	;; [unrolled: 1-line block ×4, first 2 shown]
	v_cvt_f32_f64_e32 v95, v[95:96]
	v_cvt_f32_f64_e32 v96, v[97:98]
	;; [unrolled: 1-line block ×4, first 2 shown]
	v_min3_f32 v95, v95, v96, v167
	v_min_f32_e32 v96, v97, v98
	v_min3_f32 v94, v94, v96, v95
	v_lshlrev_b64 v[96:97], 3, v[140:141]
	v_cvt_f64_f32_e32 v[94:95], v94
	v_add_co_u32 v96, vcc_lo, v90, v96
	v_add_co_ci_u32_e64 v97, null, v91, v97, vcc_lo
	flat_store_dwordx2 v[96:97], v[94:95]
	s_or_b32 exec_lo, exec_lo, s12
	s_and_b32 s12, s7, s8
	s_and_saveexec_b32 s8, s12
	s_cbranch_execz .LBB120_297
.LBB120_293:
	v_cmp_ne_u32_e32 vcc_lo, 1, v144
	s_cbranch_vccnz .LBB120_295
; %bb.294:
	v_lshlrev_b64 v[94:95], 3, v[142:143]
	v_add_co_u32 v92, vcc_lo, v92, v94
	v_add_co_ci_u32_e64 v93, null, v93, v95, vcc_lo
	flat_load_dwordx2 v[92:93], v[92:93]
	s_waitcnt vmcnt(0) lgkmcnt(0)
	v_mul_f64 v[92:93], s[10:11], v[92:93]
	v_cvt_f32_f64_e32 v92, v[92:93]
	s_branch .LBB120_296
.LBB120_295:
	v_mov_b32_e32 v92, 0
.LBB120_296:
	v_add_f64 v[86:87], v[6:7], v[86:87]
	v_add_f64 v[88:89], v[8:9], v[88:89]
	;; [unrolled: 1-line block ×4, first 2 shown]
	v_cvt_f32_f64_e32 v86, v[86:87]
	v_cvt_f32_f64_e32 v87, v[88:89]
	;; [unrolled: 1-line block ×4, first 2 shown]
	v_min3_f32 v84, v86, v87, v166
	v_min_f32_e32 v82, v82, v83
	v_min3_f32 v82, v92, v82, v84
	v_lshlrev_b64 v[84:85], 3, v[142:143]
	v_cvt_f64_f32_e32 v[82:83], v82
	v_add_co_u32 v84, vcc_lo, v90, v84
	v_add_co_ci_u32_e64 v85, null, v91, v85, vcc_lo
	flat_store_dwordx2 v[84:85], v[82:83]
.LBB120_297:
	s_or_b32 exec_lo, exec_lo, s8
	v_add_nc_u32_e32 v86, 0xc0, v145
	v_mad_i64_i32 v[82:83], null, v86, s18, 0
	v_mad_i64_i32 v[84:85], null, v86, s14, 0
	v_cmp_gt_i32_e64 s8, s13, v86
	v_lshlrev_b64 v[82:83], 3, v[82:83]
	s_and_b32 s15, s0, s8
	v_lshlrev_b64 v[86:87], 3, v[84:85]
	v_add_co_u32 v84, vcc_lo, s16, v82
	v_add_co_ci_u32_e64 v85, null, s17, v83, vcc_lo
	v_add_co_u32 v82, vcc_lo, s19, v86
	v_add_co_ci_u32_e64 v83, null, s9, v87, vcc_lo
	s_and_saveexec_b32 s12, s15
	s_cbranch_execnz .LBB120_305
; %bb.298:
	s_or_b32 exec_lo, exec_lo, s12
	s_and_b32 s15, s1, s8
	s_and_saveexec_b32 s12, s15
	s_cbranch_execnz .LBB120_309
.LBB120_299:
	s_or_b32 exec_lo, exec_lo, s12
	s_and_b32 s15, s2, s8
	s_and_saveexec_b32 s12, s15
	s_cbranch_execnz .LBB120_313
.LBB120_300:
	s_or_b32 exec_lo, exec_lo, s12
	s_and_b32 s15, s3, s8
	s_and_saveexec_b32 s12, s15
	s_cbranch_execnz .LBB120_317
.LBB120_301:
	s_or_b32 exec_lo, exec_lo, s12
	s_and_b32 s15, s4, s8
	s_and_saveexec_b32 s12, s15
	s_cbranch_execnz .LBB120_321
.LBB120_302:
	s_or_b32 exec_lo, exec_lo, s12
	s_and_b32 s15, s5, s8
	s_and_saveexec_b32 s12, s15
	s_cbranch_execnz .LBB120_325
.LBB120_303:
	s_or_b32 exec_lo, exec_lo, s12
	s_and_b32 s15, s6, s8
	s_and_saveexec_b32 s12, s15
	s_cbranch_execnz .LBB120_329
.LBB120_304:
	s_or_b32 exec_lo, exec_lo, s12
	s_and_b32 s12, s7, s8
	s_and_saveexec_b32 s8, s12
	s_cbranch_execnz .LBB120_333
	s_branch .LBB120_337
.LBB120_305:
	v_cmp_ne_u32_e32 vcc_lo, 1, v144
	s_cbranch_vccnz .LBB120_307
; %bb.306:
	v_lshlrev_b64 v[86:87], 3, v[0:1]
	v_add_co_u32 v86, vcc_lo, v84, v86
	v_add_co_ci_u32_e64 v87, null, v85, v87, vcc_lo
	flat_load_dwordx2 v[86:87], v[86:87]
	s_waitcnt vmcnt(0) lgkmcnt(0)
	v_mul_f64 v[86:87], s[10:11], v[86:87]
	v_cvt_f32_f64_e32 v86, v[86:87]
	s_branch .LBB120_308
.LBB120_307:
	v_mov_b32_e32 v86, 0
.LBB120_308:
	v_add_f64 v[87:88], v[70:71], v[78:79]
	v_add_f64 v[89:90], v[72:73], v[80:81]
	;; [unrolled: 1-line block ×4, first 2 shown]
	v_cvt_f32_f64_e32 v87, v[87:88]
	v_cvt_f32_f64_e32 v88, v[89:90]
	;; [unrolled: 1-line block ×4, first 2 shown]
	v_min3_f32 v87, v87, v88, v165
	v_min_f32_e32 v88, v89, v90
	v_min3_f32 v86, v86, v88, v87
	v_lshlrev_b64 v[88:89], 3, v[0:1]
	v_cvt_f64_f32_e32 v[86:87], v86
	v_add_co_u32 v88, vcc_lo, v82, v88
	v_add_co_ci_u32_e64 v89, null, v83, v89, vcc_lo
	flat_store_dwordx2 v[88:89], v[86:87]
	s_or_b32 exec_lo, exec_lo, s12
	s_and_b32 s15, s1, s8
	s_and_saveexec_b32 s12, s15
	s_cbranch_execz .LBB120_299
.LBB120_309:
	v_cmp_ne_u32_e32 vcc_lo, 1, v144
	s_cbranch_vccnz .LBB120_311
; %bb.310:
	v_lshlrev_b64 v[86:87], 3, v[130:131]
	v_add_co_u32 v86, vcc_lo, v84, v86
	v_add_co_ci_u32_e64 v87, null, v85, v87, vcc_lo
	flat_load_dwordx2 v[86:87], v[86:87]
	s_waitcnt vmcnt(0) lgkmcnt(0)
	v_mul_f64 v[86:87], s[10:11], v[86:87]
	v_cvt_f32_f64_e32 v86, v[86:87]
	s_branch .LBB120_312
.LBB120_311:
	v_mov_b32_e32 v86, 0
.LBB120_312:
	v_add_f64 v[87:88], v[62:63], v[78:79]
	v_add_f64 v[89:90], v[64:65], v[80:81]
	;; [unrolled: 1-line block ×4, first 2 shown]
	v_cvt_f32_f64_e32 v87, v[87:88]
	v_cvt_f32_f64_e32 v88, v[89:90]
	;; [unrolled: 1-line block ×4, first 2 shown]
	v_min3_f32 v87, v87, v88, v164
	v_min_f32_e32 v88, v89, v90
	v_min3_f32 v86, v86, v88, v87
	v_lshlrev_b64 v[88:89], 3, v[130:131]
	v_cvt_f64_f32_e32 v[86:87], v86
	v_add_co_u32 v88, vcc_lo, v82, v88
	v_add_co_ci_u32_e64 v89, null, v83, v89, vcc_lo
	flat_store_dwordx2 v[88:89], v[86:87]
	s_or_b32 exec_lo, exec_lo, s12
	s_and_b32 s15, s2, s8
	s_and_saveexec_b32 s12, s15
	s_cbranch_execz .LBB120_300
.LBB120_313:
	v_cmp_ne_u32_e32 vcc_lo, 1, v144
	s_cbranch_vccnz .LBB120_315
; %bb.314:
	v_lshlrev_b64 v[86:87], 3, v[132:133]
	v_add_co_u32 v86, vcc_lo, v84, v86
	v_add_co_ci_u32_e64 v87, null, v85, v87, vcc_lo
	flat_load_dwordx2 v[86:87], v[86:87]
	s_waitcnt vmcnt(0) lgkmcnt(0)
	v_mul_f64 v[86:87], s[10:11], v[86:87]
	v_cvt_f32_f64_e32 v86, v[86:87]
	s_branch .LBB120_316
.LBB120_315:
	v_mov_b32_e32 v86, 0
.LBB120_316:
	v_add_f64 v[87:88], v[54:55], v[78:79]
	v_add_f64 v[89:90], v[56:57], v[80:81]
	;; [unrolled: 1-line block ×4, first 2 shown]
	v_cvt_f32_f64_e32 v87, v[87:88]
	v_cvt_f32_f64_e32 v88, v[89:90]
	;; [unrolled: 1-line block ×4, first 2 shown]
	v_min3_f32 v87, v87, v88, v163
	v_min_f32_e32 v88, v89, v90
	v_min3_f32 v86, v86, v88, v87
	v_lshlrev_b64 v[88:89], 3, v[132:133]
	v_cvt_f64_f32_e32 v[86:87], v86
	v_add_co_u32 v88, vcc_lo, v82, v88
	v_add_co_ci_u32_e64 v89, null, v83, v89, vcc_lo
	flat_store_dwordx2 v[88:89], v[86:87]
	s_or_b32 exec_lo, exec_lo, s12
	s_and_b32 s15, s3, s8
	s_and_saveexec_b32 s12, s15
	s_cbranch_execz .LBB120_301
.LBB120_317:
	v_cmp_ne_u32_e32 vcc_lo, 1, v144
	s_cbranch_vccnz .LBB120_319
; %bb.318:
	v_lshlrev_b64 v[86:87], 3, v[134:135]
	v_add_co_u32 v86, vcc_lo, v84, v86
	v_add_co_ci_u32_e64 v87, null, v85, v87, vcc_lo
	flat_load_dwordx2 v[86:87], v[86:87]
	s_waitcnt vmcnt(0) lgkmcnt(0)
	v_mul_f64 v[86:87], s[10:11], v[86:87]
	v_cvt_f32_f64_e32 v86, v[86:87]
	s_branch .LBB120_320
.LBB120_319:
	v_mov_b32_e32 v86, 0
.LBB120_320:
	v_add_f64 v[87:88], v[46:47], v[78:79]
	v_add_f64 v[89:90], v[48:49], v[80:81]
	v_add_f64 v[91:92], v[42:43], v[74:75]
	v_add_f64 v[93:94], v[44:45], v[76:77]
	v_cvt_f32_f64_e32 v87, v[87:88]
	v_cvt_f32_f64_e32 v88, v[89:90]
	;; [unrolled: 1-line block ×4, first 2 shown]
	v_min3_f32 v87, v87, v88, v162
	v_min_f32_e32 v88, v89, v90
	v_min3_f32 v86, v86, v88, v87
	v_lshlrev_b64 v[88:89], 3, v[134:135]
	v_cvt_f64_f32_e32 v[86:87], v86
	v_add_co_u32 v88, vcc_lo, v82, v88
	v_add_co_ci_u32_e64 v89, null, v83, v89, vcc_lo
	flat_store_dwordx2 v[88:89], v[86:87]
	s_or_b32 exec_lo, exec_lo, s12
	s_and_b32 s15, s4, s8
	s_and_saveexec_b32 s12, s15
	s_cbranch_execz .LBB120_302
.LBB120_321:
	v_cmp_ne_u32_e32 vcc_lo, 1, v144
	s_cbranch_vccnz .LBB120_323
; %bb.322:
	v_lshlrev_b64 v[86:87], 3, v[136:137]
	v_add_co_u32 v86, vcc_lo, v84, v86
	v_add_co_ci_u32_e64 v87, null, v85, v87, vcc_lo
	flat_load_dwordx2 v[86:87], v[86:87]
	s_waitcnt vmcnt(0) lgkmcnt(0)
	v_mul_f64 v[86:87], s[10:11], v[86:87]
	v_cvt_f32_f64_e32 v86, v[86:87]
	s_branch .LBB120_324
.LBB120_323:
	v_mov_b32_e32 v86, 0
.LBB120_324:
	v_add_f64 v[87:88], v[38:39], v[78:79]
	v_add_f64 v[89:90], v[40:41], v[80:81]
	;; [unrolled: 1-line block ×4, first 2 shown]
	v_cvt_f32_f64_e32 v87, v[87:88]
	v_cvt_f32_f64_e32 v88, v[89:90]
	;; [unrolled: 1-line block ×4, first 2 shown]
	v_min3_f32 v87, v87, v88, v161
	v_min_f32_e32 v88, v89, v90
	v_min3_f32 v86, v86, v88, v87
	v_lshlrev_b64 v[88:89], 3, v[136:137]
	v_cvt_f64_f32_e32 v[86:87], v86
	v_add_co_u32 v88, vcc_lo, v82, v88
	v_add_co_ci_u32_e64 v89, null, v83, v89, vcc_lo
	flat_store_dwordx2 v[88:89], v[86:87]
	s_or_b32 exec_lo, exec_lo, s12
	s_and_b32 s15, s5, s8
	s_and_saveexec_b32 s12, s15
	s_cbranch_execz .LBB120_303
.LBB120_325:
	v_cmp_ne_u32_e32 vcc_lo, 1, v144
	s_cbranch_vccnz .LBB120_327
; %bb.326:
	v_lshlrev_b64 v[86:87], 3, v[138:139]
	v_add_co_u32 v86, vcc_lo, v84, v86
	v_add_co_ci_u32_e64 v87, null, v85, v87, vcc_lo
	flat_load_dwordx2 v[86:87], v[86:87]
	s_waitcnt vmcnt(0) lgkmcnt(0)
	v_mul_f64 v[86:87], s[10:11], v[86:87]
	v_cvt_f32_f64_e32 v86, v[86:87]
	s_branch .LBB120_328
.LBB120_327:
	v_mov_b32_e32 v86, 0
.LBB120_328:
	v_add_f64 v[87:88], v[30:31], v[78:79]
	v_add_f64 v[89:90], v[32:33], v[80:81]
	;; [unrolled: 1-line block ×4, first 2 shown]
	v_cvt_f32_f64_e32 v87, v[87:88]
	v_cvt_f32_f64_e32 v88, v[89:90]
	v_cvt_f32_f64_e32 v89, v[91:92]
	v_cvt_f32_f64_e32 v90, v[93:94]
	v_min3_f32 v87, v87, v88, v160
	v_min_f32_e32 v88, v89, v90
	v_min3_f32 v86, v86, v88, v87
	v_lshlrev_b64 v[88:89], 3, v[138:139]
	v_cvt_f64_f32_e32 v[86:87], v86
	v_add_co_u32 v88, vcc_lo, v82, v88
	v_add_co_ci_u32_e64 v89, null, v83, v89, vcc_lo
	flat_store_dwordx2 v[88:89], v[86:87]
	s_or_b32 exec_lo, exec_lo, s12
	s_and_b32 s15, s6, s8
	s_and_saveexec_b32 s12, s15
	s_cbranch_execz .LBB120_304
.LBB120_329:
	v_cmp_ne_u32_e32 vcc_lo, 1, v144
	s_cbranch_vccnz .LBB120_331
; %bb.330:
	v_lshlrev_b64 v[86:87], 3, v[140:141]
	v_add_co_u32 v86, vcc_lo, v84, v86
	v_add_co_ci_u32_e64 v87, null, v85, v87, vcc_lo
	flat_load_dwordx2 v[86:87], v[86:87]
	s_waitcnt vmcnt(0) lgkmcnt(0)
	v_mul_f64 v[86:87], s[10:11], v[86:87]
	v_cvt_f32_f64_e32 v86, v[86:87]
	s_branch .LBB120_332
.LBB120_331:
	v_mov_b32_e32 v86, 0
.LBB120_332:
	v_add_f64 v[87:88], v[22:23], v[78:79]
	v_add_f64 v[89:90], v[24:25], v[80:81]
	;; [unrolled: 1-line block ×4, first 2 shown]
	v_cvt_f32_f64_e32 v87, v[87:88]
	v_cvt_f32_f64_e32 v88, v[89:90]
	;; [unrolled: 1-line block ×4, first 2 shown]
	v_min3_f32 v87, v87, v88, v159
	v_min_f32_e32 v88, v89, v90
	v_min3_f32 v86, v86, v88, v87
	v_lshlrev_b64 v[88:89], 3, v[140:141]
	v_cvt_f64_f32_e32 v[86:87], v86
	v_add_co_u32 v88, vcc_lo, v82, v88
	v_add_co_ci_u32_e64 v89, null, v83, v89, vcc_lo
	flat_store_dwordx2 v[88:89], v[86:87]
	s_or_b32 exec_lo, exec_lo, s12
	s_and_b32 s12, s7, s8
	s_and_saveexec_b32 s8, s12
	s_cbranch_execz .LBB120_337
.LBB120_333:
	v_cmp_ne_u32_e32 vcc_lo, 1, v144
	s_cbranch_vccnz .LBB120_335
; %bb.334:
	v_lshlrev_b64 v[86:87], 3, v[142:143]
	v_add_co_u32 v84, vcc_lo, v84, v86
	v_add_co_ci_u32_e64 v85, null, v85, v87, vcc_lo
	flat_load_dwordx2 v[84:85], v[84:85]
	s_waitcnt vmcnt(0) lgkmcnt(0)
	v_mul_f64 v[84:85], s[10:11], v[84:85]
	v_cvt_f32_f64_e32 v84, v[84:85]
	s_branch .LBB120_336
.LBB120_335:
	v_mov_b32_e32 v84, 0
.LBB120_336:
	v_add_f64 v[78:79], v[6:7], v[78:79]
	v_add_f64 v[80:81], v[8:9], v[80:81]
	;; [unrolled: 1-line block ×4, first 2 shown]
	v_cvt_f32_f64_e32 v78, v[78:79]
	v_cvt_f32_f64_e32 v79, v[80:81]
	;; [unrolled: 1-line block ×4, first 2 shown]
	v_min3_f32 v76, v78, v79, v158
	v_min_f32_e32 v74, v74, v75
	v_min3_f32 v74, v84, v74, v76
	v_lshlrev_b64 v[76:77], 3, v[142:143]
	v_cvt_f64_f32_e32 v[74:75], v74
	v_add_co_u32 v76, vcc_lo, v82, v76
	v_add_co_ci_u32_e64 v77, null, v83, v77, vcc_lo
	flat_store_dwordx2 v[76:77], v[74:75]
.LBB120_337:
	s_or_b32 exec_lo, exec_lo, s8
	v_add_nc_u32_e32 v78, 0xe0, v145
	v_mad_i64_i32 v[74:75], null, v78, s18, 0
	v_mad_i64_i32 v[76:77], null, v78, s14, 0
	v_cmp_gt_i32_e64 s8, s13, v78
	v_lshlrev_b64 v[74:75], 3, v[74:75]
	v_lshlrev_b64 v[78:79], 3, v[76:77]
	v_add_co_u32 v76, vcc_lo, s16, v74
	v_add_co_ci_u32_e64 v77, null, s17, v75, vcc_lo
	v_add_co_u32 v74, vcc_lo, s19, v78
	v_add_co_ci_u32_e64 v75, null, s9, v79, vcc_lo
	s_and_b32 s9, s0, s8
	s_and_saveexec_b32 s0, s9
	s_cbranch_execnz .LBB120_346
; %bb.338:
	s_or_b32 exec_lo, exec_lo, s0
	s_and_b32 s1, s1, s8
	s_and_saveexec_b32 s0, s1
	s_cbranch_execnz .LBB120_350
.LBB120_339:
	s_or_b32 exec_lo, exec_lo, s0
	s_and_b32 s1, s2, s8
	s_and_saveexec_b32 s0, s1
	s_cbranch_execnz .LBB120_354
.LBB120_340:
	s_or_b32 exec_lo, exec_lo, s0
	s_and_b32 s1, s3, s8
	s_and_saveexec_b32 s0, s1
	s_cbranch_execnz .LBB120_358
.LBB120_341:
	s_or_b32 exec_lo, exec_lo, s0
	s_and_b32 s1, s4, s8
	s_and_saveexec_b32 s0, s1
	s_cbranch_execnz .LBB120_362
.LBB120_342:
	s_or_b32 exec_lo, exec_lo, s0
	s_and_b32 s1, s5, s8
	s_and_saveexec_b32 s0, s1
	s_cbranch_execnz .LBB120_366
.LBB120_343:
	s_or_b32 exec_lo, exec_lo, s0
	s_and_b32 s1, s6, s8
	s_and_saveexec_b32 s0, s1
	s_cbranch_execnz .LBB120_370
.LBB120_344:
	s_or_b32 exec_lo, exec_lo, s0
	s_and_b32 s0, s7, s8
	s_and_saveexec_b32 s1, s0
	s_cbranch_execnz .LBB120_374
.LBB120_345:
	s_endpgm
.LBB120_346:
	v_cmp_ne_u32_e32 vcc_lo, 1, v144
	v_lshlrev_b64 v[0:1], 3, v[0:1]
	s_cbranch_vccnz .LBB120_348
; %bb.347:
	v_add_co_u32 v78, vcc_lo, v76, v0
	v_add_co_ci_u32_e64 v79, null, v77, v1, vcc_lo
	flat_load_dwordx2 v[78:79], v[78:79]
	s_waitcnt vmcnt(0) lgkmcnt(0)
	v_mul_f64 v[78:79], s[10:11], v[78:79]
	v_cvt_f32_f64_e32 v78, v[78:79]
	s_branch .LBB120_349
.LBB120_348:
	v_mov_b32_e32 v78, 0
.LBB120_349:
	v_add_f64 v[70:71], v[70:71], v[14:15]
	v_add_f64 v[72:73], v[72:73], v[16:17]
	;; [unrolled: 1-line block ×4, first 2 shown]
	v_add_co_u32 v0, vcc_lo, v74, v0
	v_add_co_ci_u32_e64 v1, null, v75, v1, vcc_lo
	v_cvt_f32_f64_e32 v70, v[70:71]
	v_cvt_f32_f64_e32 v71, v[72:73]
	;; [unrolled: 1-line block ×4, first 2 shown]
	v_min3_f32 v68, v70, v71, v157
	v_min_f32_e32 v66, v66, v67
	v_min3_f32 v66, v78, v66, v68
	v_cvt_f64_f32_e32 v[66:67], v66
	flat_store_dwordx2 v[0:1], v[66:67]
	s_or_b32 exec_lo, exec_lo, s0
	s_and_b32 s1, s1, s8
	s_and_saveexec_b32 s0, s1
	s_cbranch_execz .LBB120_339
.LBB120_350:
	v_cmp_ne_u32_e32 vcc_lo, 1, v144
	v_lshlrev_b64 v[0:1], 3, v[130:131]
	s_cbranch_vccnz .LBB120_352
; %bb.351:
	v_add_co_u32 v66, vcc_lo, v76, v0
	v_add_co_ci_u32_e64 v67, null, v77, v1, vcc_lo
	flat_load_dwordx2 v[66:67], v[66:67]
	s_waitcnt vmcnt(0) lgkmcnt(0)
	v_mul_f64 v[66:67], s[10:11], v[66:67]
	v_cvt_f32_f64_e32 v66, v[66:67]
	s_branch .LBB120_353
.LBB120_352:
	v_mov_b32_e32 v66, 0
.LBB120_353:
	v_add_f64 v[62:63], v[62:63], v[14:15]
	v_add_f64 v[64:65], v[64:65], v[16:17]
	v_add_f64 v[58:59], v[58:59], v[10:11]
	v_add_f64 v[60:61], v[60:61], v[12:13]
	v_add_co_u32 v0, vcc_lo, v74, v0
	v_add_co_ci_u32_e64 v1, null, v75, v1, vcc_lo
	v_cvt_f32_f64_e32 v62, v[62:63]
	v_cvt_f32_f64_e32 v63, v[64:65]
	;; [unrolled: 1-line block ×4, first 2 shown]
	v_min3_f32 v60, v62, v63, v156
	v_min_f32_e32 v58, v58, v59
	v_min3_f32 v58, v66, v58, v60
	v_cvt_f64_f32_e32 v[58:59], v58
	flat_store_dwordx2 v[0:1], v[58:59]
	s_or_b32 exec_lo, exec_lo, s0
	s_and_b32 s1, s2, s8
	s_and_saveexec_b32 s0, s1
	s_cbranch_execz .LBB120_340
.LBB120_354:
	v_cmp_ne_u32_e32 vcc_lo, 1, v144
	v_lshlrev_b64 v[0:1], 3, v[132:133]
	s_cbranch_vccnz .LBB120_356
; %bb.355:
	v_add_co_u32 v58, vcc_lo, v76, v0
	v_add_co_ci_u32_e64 v59, null, v77, v1, vcc_lo
	flat_load_dwordx2 v[58:59], v[58:59]
	s_waitcnt vmcnt(0) lgkmcnt(0)
	v_mul_f64 v[58:59], s[10:11], v[58:59]
	v_cvt_f32_f64_e32 v58, v[58:59]
	s_branch .LBB120_357
.LBB120_356:
	v_mov_b32_e32 v58, 0
.LBB120_357:
	v_add_f64 v[54:55], v[54:55], v[14:15]
	v_add_f64 v[56:57], v[56:57], v[16:17]
	;; [unrolled: 1-line block ×4, first 2 shown]
	v_add_co_u32 v0, vcc_lo, v74, v0
	v_add_co_ci_u32_e64 v1, null, v75, v1, vcc_lo
	v_cvt_f32_f64_e32 v54, v[54:55]
	v_cvt_f32_f64_e32 v55, v[56:57]
	v_cvt_f32_f64_e32 v50, v[50:51]
	v_cvt_f32_f64_e32 v51, v[52:53]
	v_min3_f32 v52, v54, v55, v155
	v_min_f32_e32 v50, v50, v51
	v_min3_f32 v50, v58, v50, v52
	v_cvt_f64_f32_e32 v[50:51], v50
	flat_store_dwordx2 v[0:1], v[50:51]
	s_or_b32 exec_lo, exec_lo, s0
	s_and_b32 s1, s3, s8
	s_and_saveexec_b32 s0, s1
	s_cbranch_execz .LBB120_341
.LBB120_358:
	v_cmp_ne_u32_e32 vcc_lo, 1, v144
	v_lshlrev_b64 v[0:1], 3, v[134:135]
	s_cbranch_vccnz .LBB120_360
; %bb.359:
	v_add_co_u32 v50, vcc_lo, v76, v0
	v_add_co_ci_u32_e64 v51, null, v77, v1, vcc_lo
	flat_load_dwordx2 v[50:51], v[50:51]
	s_waitcnt vmcnt(0) lgkmcnt(0)
	v_mul_f64 v[50:51], s[10:11], v[50:51]
	v_cvt_f32_f64_e32 v50, v[50:51]
	s_branch .LBB120_361
.LBB120_360:
	v_mov_b32_e32 v50, 0
.LBB120_361:
	v_add_f64 v[46:47], v[46:47], v[14:15]
	v_add_f64 v[48:49], v[48:49], v[16:17]
	;; [unrolled: 1-line block ×4, first 2 shown]
	v_add_co_u32 v0, vcc_lo, v74, v0
	v_add_co_ci_u32_e64 v1, null, v75, v1, vcc_lo
	v_cvt_f32_f64_e32 v46, v[46:47]
	v_cvt_f32_f64_e32 v47, v[48:49]
	;; [unrolled: 1-line block ×4, first 2 shown]
	v_min3_f32 v44, v46, v47, v154
	v_min_f32_e32 v42, v42, v43
	v_min3_f32 v42, v50, v42, v44
	v_cvt_f64_f32_e32 v[42:43], v42
	flat_store_dwordx2 v[0:1], v[42:43]
	s_or_b32 exec_lo, exec_lo, s0
	s_and_b32 s1, s4, s8
	s_and_saveexec_b32 s0, s1
	s_cbranch_execz .LBB120_342
.LBB120_362:
	v_cmp_ne_u32_e32 vcc_lo, 1, v144
	v_lshlrev_b64 v[0:1], 3, v[136:137]
	s_cbranch_vccnz .LBB120_364
; %bb.363:
	v_add_co_u32 v42, vcc_lo, v76, v0
	v_add_co_ci_u32_e64 v43, null, v77, v1, vcc_lo
	flat_load_dwordx2 v[42:43], v[42:43]
	s_waitcnt vmcnt(0) lgkmcnt(0)
	v_mul_f64 v[42:43], s[10:11], v[42:43]
	v_cvt_f32_f64_e32 v42, v[42:43]
	s_branch .LBB120_365
.LBB120_364:
	v_mov_b32_e32 v42, 0
.LBB120_365:
	v_add_f64 v[38:39], v[38:39], v[14:15]
	v_add_f64 v[40:41], v[40:41], v[16:17]
	;; [unrolled: 1-line block ×4, first 2 shown]
	v_add_co_u32 v0, vcc_lo, v74, v0
	v_add_co_ci_u32_e64 v1, null, v75, v1, vcc_lo
	v_cvt_f32_f64_e32 v38, v[38:39]
	v_cvt_f32_f64_e32 v39, v[40:41]
	;; [unrolled: 1-line block ×4, first 2 shown]
	v_min3_f32 v36, v38, v39, v153
	v_min_f32_e32 v34, v34, v35
	v_min3_f32 v34, v42, v34, v36
	v_cvt_f64_f32_e32 v[34:35], v34
	flat_store_dwordx2 v[0:1], v[34:35]
	s_or_b32 exec_lo, exec_lo, s0
	s_and_b32 s1, s5, s8
	s_and_saveexec_b32 s0, s1
	s_cbranch_execz .LBB120_343
.LBB120_366:
	v_cmp_ne_u32_e32 vcc_lo, 1, v144
	v_lshlrev_b64 v[0:1], 3, v[138:139]
	s_cbranch_vccnz .LBB120_368
; %bb.367:
	v_add_co_u32 v34, vcc_lo, v76, v0
	v_add_co_ci_u32_e64 v35, null, v77, v1, vcc_lo
	flat_load_dwordx2 v[34:35], v[34:35]
	s_waitcnt vmcnt(0) lgkmcnt(0)
	v_mul_f64 v[34:35], s[10:11], v[34:35]
	v_cvt_f32_f64_e32 v34, v[34:35]
	s_branch .LBB120_369
.LBB120_368:
	v_mov_b32_e32 v34, 0
.LBB120_369:
	v_add_f64 v[30:31], v[30:31], v[14:15]
	v_add_f64 v[32:33], v[32:33], v[16:17]
	;; [unrolled: 1-line block ×4, first 2 shown]
	v_add_co_u32 v0, vcc_lo, v74, v0
	v_add_co_ci_u32_e64 v1, null, v75, v1, vcc_lo
	v_cvt_f32_f64_e32 v30, v[30:31]
	v_cvt_f32_f64_e32 v31, v[32:33]
	;; [unrolled: 1-line block ×4, first 2 shown]
	v_min3_f32 v28, v30, v31, v152
	v_min_f32_e32 v26, v26, v27
	v_min3_f32 v26, v34, v26, v28
	v_cvt_f64_f32_e32 v[26:27], v26
	flat_store_dwordx2 v[0:1], v[26:27]
	s_or_b32 exec_lo, exec_lo, s0
	s_and_b32 s1, s6, s8
	s_and_saveexec_b32 s0, s1
	s_cbranch_execz .LBB120_344
.LBB120_370:
	v_cmp_ne_u32_e32 vcc_lo, 1, v144
	v_lshlrev_b64 v[0:1], 3, v[140:141]
	s_cbranch_vccnz .LBB120_372
; %bb.371:
	v_add_co_u32 v26, vcc_lo, v76, v0
	v_add_co_ci_u32_e64 v27, null, v77, v1, vcc_lo
	flat_load_dwordx2 v[26:27], v[26:27]
	s_waitcnt vmcnt(0) lgkmcnt(0)
	v_mul_f64 v[26:27], s[10:11], v[26:27]
	v_cvt_f32_f64_e32 v26, v[26:27]
	s_branch .LBB120_373
.LBB120_372:
	v_mov_b32_e32 v26, 0
.LBB120_373:
	v_add_f64 v[22:23], v[22:23], v[14:15]
	v_add_f64 v[24:25], v[24:25], v[16:17]
	;; [unrolled: 1-line block ×4, first 2 shown]
	v_add_co_u32 v0, vcc_lo, v74, v0
	v_add_co_ci_u32_e64 v1, null, v75, v1, vcc_lo
	v_cvt_f32_f64_e32 v22, v[22:23]
	v_cvt_f32_f64_e32 v23, v[24:25]
	;; [unrolled: 1-line block ×4, first 2 shown]
	v_min3_f32 v20, v22, v23, v151
	v_min_f32_e32 v18, v18, v19
	v_min3_f32 v18, v26, v18, v20
	v_cvt_f64_f32_e32 v[18:19], v18
	flat_store_dwordx2 v[0:1], v[18:19]
	s_or_b32 exec_lo, exec_lo, s0
	s_and_b32 s0, s7, s8
	s_and_saveexec_b32 s1, s0
	s_cbranch_execz .LBB120_345
.LBB120_374:
	v_cmp_ne_u32_e32 vcc_lo, 1, v144
	v_lshlrev_b64 v[0:1], 3, v[142:143]
	s_cbranch_vccnz .LBB120_376
; %bb.375:
	v_add_co_u32 v18, vcc_lo, v76, v0
	v_add_co_ci_u32_e64 v19, null, v77, v1, vcc_lo
	flat_load_dwordx2 v[18:19], v[18:19]
	s_waitcnt vmcnt(0) lgkmcnt(0)
	v_mul_f64 v[18:19], s[10:11], v[18:19]
	v_cvt_f32_f64_e32 v18, v[18:19]
	s_branch .LBB120_377
.LBB120_376:
	v_mov_b32_e32 v18, 0
.LBB120_377:
	v_add_f64 v[6:7], v[6:7], v[14:15]
	v_add_f64 v[8:9], v[8:9], v[16:17]
	;; [unrolled: 1-line block ×4, first 2 shown]
	v_add_co_u32 v0, vcc_lo, v74, v0
	v_add_co_ci_u32_e64 v1, null, v75, v1, vcc_lo
	v_cvt_f32_f64_e32 v6, v[6:7]
	v_cvt_f32_f64_e32 v7, v[8:9]
	;; [unrolled: 1-line block ×4, first 2 shown]
	v_min3_f32 v4, v6, v7, v150
	v_min_f32_e32 v2, v2, v3
	v_min3_f32 v2, v18, v2, v4
	v_cvt_f64_f32_e32 v[2:3], v2
	flat_store_dwordx2 v[0:1], v[2:3]
	s_endpgm
	.section	.rodata,"a",@progbits
	.p2align	6, 0x0
	.amdhsa_kernel _ZN12_GLOBAL__N_120geam_min_plus_kernelId15HIP_vector_typeIdLj2EEdLi8ELi32ELi64ELi256ELi4ELi64ELi4ELi64ELi4ELc78ELc84ELb0ELb1ELb1EPKdKS4_KPdEEviiiT16_PT17_ilSA_ilS8_SA_ilPT18_ili26rocblas_geam_ex_operation_
		.amdhsa_group_segment_fixed_size 20480
		.amdhsa_private_segment_fixed_size 0
		.amdhsa_kernarg_size 136
		.amdhsa_user_sgpr_count 6
		.amdhsa_user_sgpr_private_segment_buffer 1
		.amdhsa_user_sgpr_dispatch_ptr 0
		.amdhsa_user_sgpr_queue_ptr 0
		.amdhsa_user_sgpr_kernarg_segment_ptr 1
		.amdhsa_user_sgpr_dispatch_id 0
		.amdhsa_user_sgpr_flat_scratch_init 0
		.amdhsa_user_sgpr_private_segment_size 0
		.amdhsa_wavefront_size32 1
		.amdhsa_uses_dynamic_stack 0
		.amdhsa_system_sgpr_private_segment_wavefront_offset 0
		.amdhsa_system_sgpr_workgroup_id_x 1
		.amdhsa_system_sgpr_workgroup_id_y 0
		.amdhsa_system_sgpr_workgroup_id_z 1
		.amdhsa_system_sgpr_workgroup_info 0
		.amdhsa_system_vgpr_workitem_id 1
		.amdhsa_next_free_vgpr 226
		.amdhsa_next_free_sgpr 34
		.amdhsa_reserve_vcc 1
		.amdhsa_reserve_flat_scratch 0
		.amdhsa_float_round_mode_32 0
		.amdhsa_float_round_mode_16_64 0
		.amdhsa_float_denorm_mode_32 3
		.amdhsa_float_denorm_mode_16_64 3
		.amdhsa_dx10_clamp 1
		.amdhsa_ieee_mode 1
		.amdhsa_fp16_overflow 0
		.amdhsa_workgroup_processor_mode 1
		.amdhsa_memory_ordered 1
		.amdhsa_forward_progress 1
		.amdhsa_shared_vgpr_count 0
		.amdhsa_exception_fp_ieee_invalid_op 0
		.amdhsa_exception_fp_denorm_src 0
		.amdhsa_exception_fp_ieee_div_zero 0
		.amdhsa_exception_fp_ieee_overflow 0
		.amdhsa_exception_fp_ieee_underflow 0
		.amdhsa_exception_fp_ieee_inexact 0
		.amdhsa_exception_int_div_zero 0
	.end_amdhsa_kernel
	.section	.text._ZN12_GLOBAL__N_120geam_min_plus_kernelId15HIP_vector_typeIdLj2EEdLi8ELi32ELi64ELi256ELi4ELi64ELi4ELi64ELi4ELc78ELc84ELb0ELb1ELb1EPKdKS4_KPdEEviiiT16_PT17_ilSA_ilS8_SA_ilPT18_ili26rocblas_geam_ex_operation_,"axG",@progbits,_ZN12_GLOBAL__N_120geam_min_plus_kernelId15HIP_vector_typeIdLj2EEdLi8ELi32ELi64ELi256ELi4ELi64ELi4ELi64ELi4ELc78ELc84ELb0ELb1ELb1EPKdKS4_KPdEEviiiT16_PT17_ilSA_ilS8_SA_ilPT18_ili26rocblas_geam_ex_operation_,comdat
.Lfunc_end120:
	.size	_ZN12_GLOBAL__N_120geam_min_plus_kernelId15HIP_vector_typeIdLj2EEdLi8ELi32ELi64ELi256ELi4ELi64ELi4ELi64ELi4ELc78ELc84ELb0ELb1ELb1EPKdKS4_KPdEEviiiT16_PT17_ilSA_ilS8_SA_ilPT18_ili26rocblas_geam_ex_operation_, .Lfunc_end120-_ZN12_GLOBAL__N_120geam_min_plus_kernelId15HIP_vector_typeIdLj2EEdLi8ELi32ELi64ELi256ELi4ELi64ELi4ELi64ELi4ELc78ELc84ELb0ELb1ELb1EPKdKS4_KPdEEviiiT16_PT17_ilSA_ilS8_SA_ilPT18_ili26rocblas_geam_ex_operation_
                                        ; -- End function
	.set _ZN12_GLOBAL__N_120geam_min_plus_kernelId15HIP_vector_typeIdLj2EEdLi8ELi32ELi64ELi256ELi4ELi64ELi4ELi64ELi4ELc78ELc84ELb0ELb1ELb1EPKdKS4_KPdEEviiiT16_PT17_ilSA_ilS8_SA_ilPT18_ili26rocblas_geam_ex_operation_.num_vgpr, 226
	.set _ZN12_GLOBAL__N_120geam_min_plus_kernelId15HIP_vector_typeIdLj2EEdLi8ELi32ELi64ELi256ELi4ELi64ELi4ELi64ELi4ELc78ELc84ELb0ELb1ELb1EPKdKS4_KPdEEviiiT16_PT17_ilSA_ilS8_SA_ilPT18_ili26rocblas_geam_ex_operation_.num_agpr, 0
	.set _ZN12_GLOBAL__N_120geam_min_plus_kernelId15HIP_vector_typeIdLj2EEdLi8ELi32ELi64ELi256ELi4ELi64ELi4ELi64ELi4ELc78ELc84ELb0ELb1ELb1EPKdKS4_KPdEEviiiT16_PT17_ilSA_ilS8_SA_ilPT18_ili26rocblas_geam_ex_operation_.numbered_sgpr, 34
	.set _ZN12_GLOBAL__N_120geam_min_plus_kernelId15HIP_vector_typeIdLj2EEdLi8ELi32ELi64ELi256ELi4ELi64ELi4ELi64ELi4ELc78ELc84ELb0ELb1ELb1EPKdKS4_KPdEEviiiT16_PT17_ilSA_ilS8_SA_ilPT18_ili26rocblas_geam_ex_operation_.num_named_barrier, 0
	.set _ZN12_GLOBAL__N_120geam_min_plus_kernelId15HIP_vector_typeIdLj2EEdLi8ELi32ELi64ELi256ELi4ELi64ELi4ELi64ELi4ELc78ELc84ELb0ELb1ELb1EPKdKS4_KPdEEviiiT16_PT17_ilSA_ilS8_SA_ilPT18_ili26rocblas_geam_ex_operation_.private_seg_size, 0
	.set _ZN12_GLOBAL__N_120geam_min_plus_kernelId15HIP_vector_typeIdLj2EEdLi8ELi32ELi64ELi256ELi4ELi64ELi4ELi64ELi4ELc78ELc84ELb0ELb1ELb1EPKdKS4_KPdEEviiiT16_PT17_ilSA_ilS8_SA_ilPT18_ili26rocblas_geam_ex_operation_.uses_vcc, 1
	.set _ZN12_GLOBAL__N_120geam_min_plus_kernelId15HIP_vector_typeIdLj2EEdLi8ELi32ELi64ELi256ELi4ELi64ELi4ELi64ELi4ELc78ELc84ELb0ELb1ELb1EPKdKS4_KPdEEviiiT16_PT17_ilSA_ilS8_SA_ilPT18_ili26rocblas_geam_ex_operation_.uses_flat_scratch, 0
	.set _ZN12_GLOBAL__N_120geam_min_plus_kernelId15HIP_vector_typeIdLj2EEdLi8ELi32ELi64ELi256ELi4ELi64ELi4ELi64ELi4ELc78ELc84ELb0ELb1ELb1EPKdKS4_KPdEEviiiT16_PT17_ilSA_ilS8_SA_ilPT18_ili26rocblas_geam_ex_operation_.has_dyn_sized_stack, 0
	.set _ZN12_GLOBAL__N_120geam_min_plus_kernelId15HIP_vector_typeIdLj2EEdLi8ELi32ELi64ELi256ELi4ELi64ELi4ELi64ELi4ELc78ELc84ELb0ELb1ELb1EPKdKS4_KPdEEviiiT16_PT17_ilSA_ilS8_SA_ilPT18_ili26rocblas_geam_ex_operation_.has_recursion, 0
	.set _ZN12_GLOBAL__N_120geam_min_plus_kernelId15HIP_vector_typeIdLj2EEdLi8ELi32ELi64ELi256ELi4ELi64ELi4ELi64ELi4ELc78ELc84ELb0ELb1ELb1EPKdKS4_KPdEEviiiT16_PT17_ilSA_ilS8_SA_ilPT18_ili26rocblas_geam_ex_operation_.has_indirect_call, 0
	.section	.AMDGPU.csdata,"",@progbits
; Kernel info:
; codeLenInByte = 29768
; TotalNumSgprs: 36
; NumVgprs: 226
; ScratchSize: 0
; MemoryBound: 0
; FloatMode: 240
; IeeeMode: 1
; LDSByteSize: 20480 bytes/workgroup (compile time only)
; SGPRBlocks: 0
; VGPRBlocks: 28
; NumSGPRsForWavesPerEU: 36
; NumVGPRsForWavesPerEU: 226
; Occupancy: 4
; WaveLimiterHint : 1
; COMPUTE_PGM_RSRC2:SCRATCH_EN: 0
; COMPUTE_PGM_RSRC2:USER_SGPR: 6
; COMPUTE_PGM_RSRC2:TRAP_HANDLER: 0
; COMPUTE_PGM_RSRC2:TGID_X_EN: 1
; COMPUTE_PGM_RSRC2:TGID_Y_EN: 0
; COMPUTE_PGM_RSRC2:TGID_Z_EN: 1
; COMPUTE_PGM_RSRC2:TIDIG_COMP_CNT: 1
	.section	.text._ZN12_GLOBAL__N_120geam_min_plus_kernelId15HIP_vector_typeIdLj2EEdLi8ELi32ELi64ELi256ELi4ELi64ELi4ELi64ELi4ELc78ELc84ELb1ELb1ELb1EdKPKdKPdEEviiiT16_PT17_ilSA_ilS8_SA_ilPT18_ili26rocblas_geam_ex_operation_,"axG",@progbits,_ZN12_GLOBAL__N_120geam_min_plus_kernelId15HIP_vector_typeIdLj2EEdLi8ELi32ELi64ELi256ELi4ELi64ELi4ELi64ELi4ELc78ELc84ELb1ELb1ELb1EdKPKdKPdEEviiiT16_PT17_ilSA_ilS8_SA_ilPT18_ili26rocblas_geam_ex_operation_,comdat
	.globl	_ZN12_GLOBAL__N_120geam_min_plus_kernelId15HIP_vector_typeIdLj2EEdLi8ELi32ELi64ELi256ELi4ELi64ELi4ELi64ELi4ELc78ELc84ELb1ELb1ELb1EdKPKdKPdEEviiiT16_PT17_ilSA_ilS8_SA_ilPT18_ili26rocblas_geam_ex_operation_ ; -- Begin function _ZN12_GLOBAL__N_120geam_min_plus_kernelId15HIP_vector_typeIdLj2EEdLi8ELi32ELi64ELi256ELi4ELi64ELi4ELi64ELi4ELc78ELc84ELb1ELb1ELb1EdKPKdKPdEEviiiT16_PT17_ilSA_ilS8_SA_ilPT18_ili26rocblas_geam_ex_operation_
	.p2align	8
	.type	_ZN12_GLOBAL__N_120geam_min_plus_kernelId15HIP_vector_typeIdLj2EEdLi8ELi32ELi64ELi256ELi4ELi64ELi4ELi64ELi4ELc78ELc84ELb1ELb1ELb1EdKPKdKPdEEviiiT16_PT17_ilSA_ilS8_SA_ilPT18_ili26rocblas_geam_ex_operation_,@function
_ZN12_GLOBAL__N_120geam_min_plus_kernelId15HIP_vector_typeIdLj2EEdLi8ELi32ELi64ELi256ELi4ELi64ELi4ELi64ELi4ELc78ELc84ELb1ELb1ELb1EdKPKdKPdEEviiiT16_PT17_ilSA_ilS8_SA_ilPT18_ili26rocblas_geam_ex_operation_: ; @_ZN12_GLOBAL__N_120geam_min_plus_kernelId15HIP_vector_typeIdLj2EEdLi8ELi32ELi64ELi256ELi4ELi64ELi4ELi64ELi4ELc78ELc84ELb1ELb1ELb1EdKPKdKPdEEviiiT16_PT17_ilSA_ilS8_SA_ilPT18_ili26rocblas_geam_ex_operation_
; %bb.0:
	s_clause 0x1
	s_load_dwordx4 s[8:11], s[4:5], 0x10
	s_load_dwordx4 s[0:3], s[4:5], 0x28
	s_mov_b32 s24, s7
	s_mov_b64 s[18:19], 0
	s_waitcnt lgkmcnt(0)
	v_cmp_eq_f64_e64 s7, s[8:9], 0
	s_and_b32 vcc_lo, exec_lo, s7
	s_cbranch_vccnz .LBB121_2
; %bb.1:
	s_mov_b32 s25, 0
	s_lshl_b64 s[8:9], s[24:25], 3
	s_add_u32 s8, s10, s8
	s_addc_u32 s9, s11, s9
	s_lshl_b64 s[0:1], s[0:1], 3
	s_load_dwordx2 s[8:9], s[8:9], 0x0
	s_waitcnt lgkmcnt(0)
	s_add_u32 s18, s8, s0
	s_addc_u32 s19, s9, s1
.LBB121_2:
	s_clause 0x1
	s_load_dwordx4 s[8:11], s[4:5], 0x40
	s_load_dwordx2 s[12:13], s[4:5], 0x50
	s_andn2_b32 vcc_lo, exec_lo, s7
	s_mov_b32 s25, 0
	s_cbranch_vccnz .LBB121_4
; %bb.3:
	s_mov_b32 s0, s25
	s_mov_b64 s[16:17], 0
	s_andn2_b32 vcc_lo, exec_lo, s0
	s_mov_b64 s[20:21], 0
	s_cbranch_vccz .LBB121_5
	s_branch .LBB121_6
.LBB121_4:
	s_mov_b64 s[16:17], 0
	s_mov_b64 s[20:21], 0
.LBB121_5:
	s_lshl_b64 s[0:1], s[24:25], 3
	s_add_u32 s0, s2, s0
	s_addc_u32 s1, s3, s1
	s_waitcnt lgkmcnt(0)
	s_lshl_b64 s[2:3], s[8:9], 3
	s_load_dwordx2 s[0:1], s[0:1], 0x0
	s_waitcnt lgkmcnt(0)
	s_add_u32 s20, s0, s2
	s_addc_u32 s21, s1, s3
.LBB121_6:
	s_waitcnt lgkmcnt(0)
	v_cmp_eq_f64_e64 s7, s[10:11], 0
	v_cmp_neq_f64_e64 s26, s[10:11], 0
	s_load_dwordx4 s[0:3], s[4:5], 0x60
	s_and_b32 vcc_lo, exec_lo, s7
	s_cbranch_vccnz .LBB121_8
; %bb.7:
	s_lshl_b64 s[8:9], s[24:25], 3
	s_add_u32 s8, s12, s8
	s_addc_u32 s9, s13, s9
	s_waitcnt lgkmcnt(0)
	s_lshl_b64 s[0:1], s[0:1], 3
	s_load_dwordx2 s[8:9], s[8:9], 0x0
	s_waitcnt lgkmcnt(0)
	s_add_u32 s16, s8, s0
	s_addc_u32 s17, s9, s1
.LBB121_8:
	s_clause 0x1
	s_load_dword s22, s[4:5], 0x20
	s_load_dwordx4 s[12:15], s[4:5], 0x0
	s_waitcnt lgkmcnt(0)
	s_lshl_b64 s[0:1], s[24:25], 3
	v_mov_b32_e32 v3, 0x7fefffff
	s_ashr_i32 s23, s22, 31
	s_add_u32 s8, s2, s0
	s_addc_u32 s9, s3, s1
	s_add_i32 s0, s12, -1
	s_ashr_i32 s1, s0, 31
	s_lshr_b32 s1, s1, 26
	s_add_i32 s0, s0, s1
	s_ashr_i32 s0, s0, 6
	s_add_i32 s2, s0, 1
	s_not_b32 s0, s0
	v_cvt_f32_u32_e32 v2, s2
	v_rcp_iflag_f32_e32 v2, v2
	v_mul_f32_e32 v2, 0x4f7ffffe, v2
	v_cvt_u32_f32_e32 v2, v2
	v_readfirstlane_b32 s1, v2
	v_lshl_add_u32 v2, v1, 3, v0
	s_mul_i32 s0, s0, s1
	v_and_b32_e32 v12, 63, v2
	s_mul_hi_u32 s0, s1, s0
	v_lshrrev_b32_e32 v150, 6, v2
	s_add_i32 s1, s1, s0
	v_mov_b32_e32 v2, -1
	s_mul_hi_u32 s0, s6, s1
	v_mov_b32_e32 v5, v3
	s_mul_i32 s1, s0, s2
	s_add_i32 s3, s0, 1
	s_sub_i32 s1, s6, s1
	v_mov_b32_e32 v4, v2
	s_sub_i32 s7, s1, s2
	s_cmp_ge_u32 s1, s2
	s_cselect_b32 s0, s3, s0
	s_cselect_b32 s1, s7, s1
	s_add_i32 s3, s0, 1
	s_cmp_ge_u32 s1, s2
	s_cselect_b32 s1, s3, s0
	s_mul_i32 s0, s1, s2
	s_sub_i32 s0, s6, s0
	v_cmp_le_i32_e64 s6, s14, v150
	s_lshl_b32 s15, s0, 6
	v_or_b32_e32 v66, s15, v12
	v_cmp_le_i32_e32 vcc_lo, s12, v66
	v_ashrrev_i32_e32 v67, 31, v66
	s_nor_b32 s0, vcc_lo, s6
	s_and_saveexec_b32 s2, s0
	s_cbranch_execz .LBB121_10
; %bb.9:
	v_mad_i64_i32 v[4:5], null, s22, v150, 0
	v_lshlrev_b64 v[6:7], 3, v[66:67]
	v_lshlrev_b64 v[4:5], 3, v[4:5]
	v_add_co_u32 v4, s0, s18, v4
	v_add_co_ci_u32_e64 v5, null, s19, v5, s0
	v_add_co_u32 v4, s0, v4, v6
	v_add_co_ci_u32_e64 v5, null, v5, v7, s0
	flat_load_dwordx2 v[4:5], v[4:5]
.LBB121_10:
	s_or_b32 exec_lo, exec_lo, s2
	s_load_dword s24, s[4:5], 0x38
	s_lshl_b32 s27, s1, 8
	v_or_b32_e32 v68, s27, v12
	v_cmp_le_i32_e64 s0, s13, v68
	v_ashrrev_i32_e32 v69, 31, v68
	s_waitcnt lgkmcnt(0)
	v_mad_i64_i32 v[6:7], null, v150, s24, 0
	v_lshlrev_b64 v[6:7], 3, v[6:7]
	v_add_co_u32 v13, s1, s20, v6
	v_add_co_ci_u32_e64 v14, null, s21, v7, s1
	s_nor_b32 s1, s0, s6
	s_and_saveexec_b32 s2, s1
	s_cbranch_execz .LBB121_12
; %bb.11:
	v_lshlrev_b64 v[2:3], 3, v[68:69]
	v_add_co_u32 v2, s1, v13, v2
	v_add_co_ci_u32_e64 v3, null, v14, v3, s1
	flat_load_dwordx2 v[2:3], v[2:3]
.LBB121_12:
	s_or_b32 exec_lo, exec_lo, s2
	v_or_b32_e32 v8, 64, v68
	v_mov_b32_e32 v7, 0x7fefffff
	v_mov_b32_e32 v6, -1
	v_cmp_le_i32_e64 s1, s13, v8
	v_mov_b32_e32 v9, v7
	v_mov_b32_e32 v8, v6
	s_nor_b32 s2, s1, s6
	s_and_saveexec_b32 s3, s2
	s_cbranch_execz .LBB121_14
; %bb.13:
	v_lshlrev_b64 v[8:9], 3, v[68:69]
	v_add_co_u32 v8, s2, v13, v8
	v_add_co_ci_u32_e64 v9, null, v14, v9, s2
	flat_load_dwordx2 v[8:9], v[8:9] offset:512
.LBB121_14:
	s_or_b32 exec_lo, exec_lo, s3
	v_or_b32_e32 v10, 0x80, v68
	s_ashr_i32 s25, s24, 31
	v_cmp_le_i32_e64 s2, s13, v10
	s_nor_b32 s3, s2, s6
	s_and_saveexec_b32 s7, s3
	s_cbranch_execz .LBB121_16
; %bb.15:
	v_lshlrev_b64 v[6:7], 3, v[68:69]
	v_add_co_u32 v6, s3, v13, v6
	v_add_co_ci_u32_e64 v7, null, v14, v7, s3
	flat_load_dwordx2 v[6:7], v[6:7] offset:1024
.LBB121_16:
	s_or_b32 exec_lo, exec_lo, s7
	v_or_b32_e32 v10, 0xc0, v68
	v_mov_b32_e32 v74, -1
	v_mov_b32_e32 v75, 0x7fefffff
	v_cmp_le_i32_e64 s3, s13, v10
	v_mov_b32_e32 v10, v74
	v_mov_b32_e32 v11, v75
	s_nor_b32 s6, s3, s6
	s_and_saveexec_b32 s7, s6
	s_cbranch_execz .LBB121_18
; %bb.17:
	v_lshlrev_b64 v[10:11], 3, v[68:69]
	v_add_co_u32 v10, s6, v13, v10
	v_add_co_ci_u32_e64 v11, null, v14, v11, s6
	flat_load_dwordx2 v[10:11], v[10:11] offset:1536
.LBB121_18:
	s_or_b32 exec_lo, exec_lo, s7
	v_add_nc_u32_e32 v13, 4, v150
	v_cmp_le_i32_e64 s6, s14, v13
	s_nor_b32 s7, vcc_lo, s6
	s_and_saveexec_b32 s28, s7
	s_cbranch_execz .LBB121_20
; %bb.19:
	v_mad_u64_u32 v[14:15], null, s22, v13, 0
	v_mad_u64_u32 v[15:16], null, s23, v13, v[15:16]
	v_lshlrev_b64 v[16:17], 3, v[66:67]
	v_lshlrev_b64 v[14:15], 3, v[14:15]
	v_add_co_u32 v14, s7, s18, v14
	v_add_co_ci_u32_e64 v15, null, s19, v15, s7
	v_add_co_u32 v14, s7, v14, v16
	v_add_co_ci_u32_e64 v15, null, v15, v17, s7
	flat_load_dwordx2 v[74:75], v[14:15]
.LBB121_20:
	s_or_b32 exec_lo, exec_lo, s28
	v_mad_u64_u32 v[14:15], null, v13, s24, 0
	v_mov_b32_e32 v77, 0x7fefffff
	v_mov_b32_e32 v76, -1
	v_mov_b32_e32 v79, v77
	v_mad_u64_u32 v[15:16], null, v13, s25, v[15:16]
	v_mov_b32_e32 v78, v76
	v_lshlrev_b64 v[13:14], 3, v[14:15]
	v_add_co_u32 v13, s7, s20, v13
	v_add_co_ci_u32_e64 v14, null, s21, v14, s7
	s_nor_b32 s7, s0, s6
	s_and_saveexec_b32 s28, s7
	s_cbranch_execz .LBB121_22
; %bb.21:
	v_lshlrev_b64 v[15:16], 3, v[68:69]
	v_add_co_u32 v15, s7, v13, v15
	v_add_co_ci_u32_e64 v16, null, v14, v16, s7
	flat_load_dwordx2 v[78:79], v[15:16]
.LBB121_22:
	s_or_b32 exec_lo, exec_lo, s28
	s_nor_b32 s7, s1, s6
	s_and_saveexec_b32 s28, s7
	s_cbranch_execz .LBB121_24
; %bb.23:
	v_lshlrev_b64 v[15:16], 3, v[68:69]
	v_add_co_u32 v15, s7, v13, v15
	v_add_co_ci_u32_e64 v16, null, v14, v16, s7
	flat_load_dwordx2 v[76:77], v[15:16] offset:512
.LBB121_24:
	s_or_b32 exec_lo, exec_lo, s28
	v_mov_b32_e32 v71, 0x7fefffff
	v_mov_b32_e32 v70, -1
	s_nor_b32 s7, s2, s6
	v_mov_b32_e32 v73, v71
	v_mov_b32_e32 v72, v70
	s_and_saveexec_b32 s28, s7
	s_cbranch_execz .LBB121_26
; %bb.25:
	v_lshlrev_b64 v[15:16], 3, v[68:69]
	v_add_co_u32 v15, s7, v13, v15
	v_add_co_ci_u32_e64 v16, null, v14, v16, s7
	flat_load_dwordx2 v[72:73], v[15:16] offset:1024
.LBB121_26:
	s_or_b32 exec_lo, exec_lo, s28
	s_nor_b32 s6, s3, s6
	s_and_saveexec_b32 s7, s6
	s_cbranch_execz .LBB121_28
; %bb.27:
	v_lshlrev_b64 v[15:16], 3, v[68:69]
	v_add_co_u32 v13, s6, v13, v15
	v_add_co_ci_u32_e64 v14, null, v14, v16, s6
	flat_load_dwordx2 v[70:71], v[13:14] offset:1536
.LBB121_28:
	s_or_b32 exec_lo, exec_lo, s7
	v_lshlrev_b32_e32 v12, 5, v12
	v_lshlrev_b32_e32 v152, 5, v0
	s_load_dwordx2 s[8:9], s[8:9], 0x0
	v_lshlrev_b32_e32 v151, 5, v1
	s_cmp_lt_i32 s14, 9
	v_lshl_add_u32 v153, v150, 3, v12
	s_waitcnt vmcnt(0)
	ds_write_b64 v153, v[4:5] offset:16384
	s_waitcnt lgkmcnt(0)
	ds_write2st64_b64 v153, v[2:3], v[8:9] offset1:4
	ds_write2st64_b64 v153, v[6:7], v[10:11] offset0:8 offset1:12
	s_waitcnt lgkmcnt(0)
	s_barrier
	buffer_gl0_inv
	ds_read_b128 v[10:13], v152 offset:16640
	ds_read_b128 v[14:17], v152 offset:16896
	;; [unrolled: 1-line block ×16, first 2 shown]
	ds_read_b128 v[84:87], v151
	ds_read_b128 v[6:9], v151 offset:16
	s_waitcnt lgkmcnt(1)
	v_add_f64 v[88:89], v[82:83], v[86:87]
	v_add_f64 v[90:91], v[80:81], v[84:85]
	s_waitcnt lgkmcnt(0)
	v_add_f64 v[144:145], v[4:5], v[8:9]
	v_add_f64 v[146:147], v[2:3], v[6:7]
	v_cvt_f32_f64_e32 v88, v[88:89]
	v_cvt_f32_f64_e32 v90, v[90:91]
	;; [unrolled: 1-line block ×4, first 2 shown]
	v_min3_f32 v143, v90, v88, 0x7f800000
	v_add_f64 v[88:89], v[12:13], v[86:87]
	v_add_f64 v[90:91], v[10:11], v[84:85]
	v_min3_f32 v227, v146, v144, v143
	v_cvt_f32_f64_e32 v88, v[88:89]
	v_cvt_f32_f64_e32 v90, v[90:91]
	v_min3_f32 v142, v90, v88, 0x7f800000
	v_add_f64 v[88:89], v[16:17], v[86:87]
	v_add_f64 v[90:91], v[14:15], v[84:85]
	v_cvt_f32_f64_e32 v88, v[88:89]
	v_cvt_f32_f64_e32 v90, v[90:91]
	v_min3_f32 v141, v90, v88, 0x7f800000
	v_add_f64 v[88:89], v[20:21], v[86:87]
	v_add_f64 v[90:91], v[18:19], v[84:85]
	;; [unrolled: 5-line block ×5, first 2 shown]
	v_add_f64 v[86:87], v[36:37], v[86:87]
	v_add_f64 v[84:85], v[34:35], v[84:85]
	v_cvt_f32_f64_e32 v88, v[88:89]
	v_cvt_f32_f64_e32 v90, v[90:91]
	v_cvt_f32_f64_e32 v84, v[84:85]
	v_cvt_f32_f64_e32 v85, v[86:87]
	v_add_f64 v[86:87], v[80:81], v[38:39]
	v_min3_f32 v137, v90, v88, 0x7f800000
	v_min3_f32 v136, v84, v85, 0x7f800000
	v_add_f64 v[84:85], v[82:83], v[40:41]
	v_cvt_f32_f64_e32 v86, v[86:87]
	v_cvt_f32_f64_e32 v84, v[84:85]
	v_min3_f32 v135, v86, v84, 0x7f800000
	v_add_f64 v[84:85], v[12:13], v[40:41]
	v_add_f64 v[86:87], v[10:11], v[38:39]
	v_cvt_f32_f64_e32 v84, v[84:85]
	v_cvt_f32_f64_e32 v86, v[86:87]
	v_min3_f32 v134, v86, v84, 0x7f800000
	v_add_f64 v[84:85], v[16:17], v[40:41]
	;; [unrolled: 5-line block ×6, first 2 shown]
	v_add_f64 v[86:87], v[30:31], v[38:39]
	v_add_f64 v[40:41], v[36:37], v[40:41]
	;; [unrolled: 1-line block ×3, first 2 shown]
	v_cvt_f32_f64_e32 v84, v[84:85]
	v_cvt_f32_f64_e32 v86, v[86:87]
	;; [unrolled: 1-line block ×4, first 2 shown]
	v_add_f64 v[40:41], v[80:81], v[42:43]
	v_min3_f32 v129, v86, v84, 0x7f800000
	v_min3_f32 v128, v38, v39, 0x7f800000
	v_add_f64 v[38:39], v[82:83], v[44:45]
	v_cvt_f32_f64_e32 v40, v[40:41]
	v_cvt_f32_f64_e32 v38, v[38:39]
	v_min3_f32 v127, v40, v38, 0x7f800000
	v_add_f64 v[38:39], v[12:13], v[44:45]
	v_add_f64 v[40:41], v[10:11], v[42:43]
	v_cvt_f32_f64_e32 v38, v[38:39]
	v_cvt_f32_f64_e32 v40, v[40:41]
	v_min3_f32 v126, v40, v38, 0x7f800000
	v_add_f64 v[38:39], v[16:17], v[44:45]
	;; [unrolled: 5-line block ×33, first 2 shown]
	v_add_f64 v[40:41], v[10:11], v[58:59]
	v_add_f64 v[12:13], v[12:13], v[64:65]
	;; [unrolled: 1-line block ×3, first 2 shown]
	v_cvt_f32_f64_e32 v38, v[38:39]
	v_cvt_f32_f64_e32 v40, v[40:41]
	;; [unrolled: 1-line block ×4, first 2 shown]
	v_add_f64 v[12:13], v[14:15], v[62:63]
	v_min3_f32 v94, v40, v38, 0x7f800000
	v_add_f64 v[38:39], v[16:17], v[60:61]
	v_add_f64 v[40:41], v[14:15], v[58:59]
	v_min3_f32 v86, v10, v11, 0x7f800000
	v_add_f64 v[10:11], v[16:17], v[64:65]
	v_cvt_f32_f64_e32 v12, v[12:13]
	v_cvt_f32_f64_e32 v38, v[38:39]
	;; [unrolled: 1-line block ×4, first 2 shown]
	v_min3_f32 v93, v40, v38, 0x7f800000
	v_add_f64 v[38:39], v[20:21], v[60:61]
	v_add_f64 v[40:41], v[18:19], v[58:59]
	v_min3_f32 v85, v12, v10, 0x7f800000
	v_add_f64 v[10:11], v[20:21], v[64:65]
	v_add_f64 v[12:13], v[18:19], v[62:63]
	v_cvt_f32_f64_e32 v38, v[38:39]
	v_cvt_f32_f64_e32 v40, v[40:41]
	;; [unrolled: 1-line block ×4, first 2 shown]
	v_min3_f32 v92, v40, v38, 0x7f800000
	v_add_f64 v[38:39], v[24:25], v[60:61]
	v_add_f64 v[40:41], v[22:23], v[58:59]
	v_min3_f32 v84, v12, v10, 0x7f800000
	v_add_f64 v[10:11], v[24:25], v[64:65]
	v_add_f64 v[12:13], v[22:23], v[62:63]
	v_cvt_f32_f64_e32 v38, v[38:39]
	v_cvt_f32_f64_e32 v40, v[40:41]
	;; [unrolled: 1-line block ×4, first 2 shown]
	v_min3_f32 v91, v40, v38, 0x7f800000
	v_add_f64 v[38:39], v[28:29], v[60:61]
	v_add_f64 v[40:41], v[26:27], v[58:59]
	v_cvt_f32_f64_e32 v38, v[38:39]
	v_cvt_f32_f64_e32 v40, v[40:41]
	v_min3_f32 v90, v40, v38, 0x7f800000
	v_add_f64 v[38:39], v[32:33], v[60:61]
	v_add_f64 v[40:41], v[30:31], v[58:59]
	v_cvt_f32_f64_e32 v38, v[38:39]
	v_cvt_f32_f64_e32 v40, v[40:41]
	;; [unrolled: 5-line block ×3, first 2 shown]
	v_min3_f32 v88, v40, v38, 0x7f800000
	v_add_f64 v[38:39], v[82:83], v[64:65]
	v_min3_f32 v83, v12, v10, 0x7f800000
	v_add_f64 v[10:11], v[28:29], v[64:65]
	v_add_f64 v[12:13], v[26:27], v[62:63]
	;; [unrolled: 1-line block ×3, first 2 shown]
	v_cvt_f32_f64_e32 v38, v[38:39]
	v_cvt_f32_f64_e32 v10, v[10:11]
	;; [unrolled: 1-line block ×4, first 2 shown]
	v_min3_f32 v82, v12, v10, 0x7f800000
	v_add_f64 v[10:11], v[32:33], v[64:65]
	v_add_f64 v[12:13], v[30:31], v[62:63]
	v_min3_f32 v87, v40, v38, 0x7f800000
	v_cvt_f32_f64_e32 v10, v[10:11]
	v_cvt_f32_f64_e32 v12, v[12:13]
	v_min3_f32 v81, v12, v10, 0x7f800000
	v_add_f64 v[10:11], v[36:37], v[64:65]
	v_add_f64 v[12:13], v[34:35], v[62:63]
	v_cvt_f32_f64_e32 v10, v[10:11]
	v_cvt_f32_f64_e32 v12, v[12:13]
	v_min3_f32 v80, v12, v10, 0x7f800000
	ds_read_b128 v[34:37], v152 offset:16656
	ds_read_b128 v[30:33], v152 offset:16912
	;; [unrolled: 1-line block ×14, first 2 shown]
	ds_write_b64 v153, v[74:75] offset:18432
	ds_write2st64_b64 v153, v[78:79], v[76:77] offset0:16 offset1:20
	ds_write2st64_b64 v153, v[72:73], v[70:71] offset0:24 offset1:28
	s_waitcnt lgkmcnt(0)
	s_barrier
	buffer_gl0_inv
	v_add_f64 v[143:144], v[36:37], v[8:9]
	v_add_f64 v[145:146], v[34:35], v[6:7]
	v_cvt_f32_f64_e32 v143, v[143:144]
	v_cvt_f32_f64_e32 v145, v[145:146]
	v_min3_f32 v226, v145, v143, v142
	v_add_f64 v[142:143], v[32:33], v[8:9]
	v_add_f64 v[144:145], v[30:31], v[6:7]
	v_cvt_f32_f64_e32 v142, v[142:143]
	v_cvt_f32_f64_e32 v144, v[144:145]
	v_min3_f32 v225, v144, v142, v141
	;; [unrolled: 5-line block ×5, first 2 shown]
	v_add_f64 v[138:139], v[16:17], v[8:9]
	v_add_f64 v[140:141], v[14:15], v[6:7]
	v_add_f64 v[8:9], v[12:13], v[8:9]
	v_add_f64 v[6:7], v[10:11], v[6:7]
	v_cvt_f32_f64_e32 v138, v[138:139]
	v_cvt_f32_f64_e32 v140, v[140:141]
	;; [unrolled: 1-line block ×4, first 2 shown]
	v_add_f64 v[8:9], v[2:3], v[62:63]
	v_min3_f32 v221, v140, v138, v137
	v_min3_f32 v220, v6, v7, v136
	v_add_f64 v[6:7], v[4:5], v[64:65]
	v_cvt_f32_f64_e32 v8, v[8:9]
	v_cvt_f32_f64_e32 v6, v[6:7]
	v_min3_f32 v219, v8, v6, v135
	v_add_f64 v[6:7], v[36:37], v[64:65]
	v_add_f64 v[8:9], v[34:35], v[62:63]
	v_cvt_f32_f64_e32 v6, v[6:7]
	v_cvt_f32_f64_e32 v8, v[8:9]
	v_min3_f32 v218, v8, v6, v134
	v_add_f64 v[6:7], v[32:33], v[64:65]
	v_add_f64 v[8:9], v[30:31], v[62:63]
	v_cvt_f32_f64_e32 v6, v[6:7]
	v_cvt_f32_f64_e32 v8, v[8:9]
	v_min3_f32 v217, v8, v6, v133
	v_add_f64 v[6:7], v[28:29], v[64:65]
	v_add_f64 v[8:9], v[26:27], v[62:63]
	v_cvt_f32_f64_e32 v6, v[6:7]
	v_cvt_f32_f64_e32 v8, v[8:9]
	v_min3_f32 v216, v8, v6, v132
	v_add_f64 v[6:7], v[24:25], v[64:65]
	v_add_f64 v[8:9], v[22:23], v[62:63]
	v_cvt_f32_f64_e32 v6, v[6:7]
	v_cvt_f32_f64_e32 v8, v[8:9]
	v_min3_f32 v215, v8, v6, v131
	v_add_f64 v[6:7], v[20:21], v[64:65]
	v_add_f64 v[8:9], v[18:19], v[62:63]
	v_cvt_f32_f64_e32 v6, v[6:7]
	v_cvt_f32_f64_e32 v8, v[8:9]
	v_min3_f32 v214, v8, v6, v130
	v_add_f64 v[6:7], v[16:17], v[64:65]
	v_add_f64 v[8:9], v[14:15], v[62:63]
	v_cvt_f32_f64_e32 v6, v[6:7]
	v_cvt_f32_f64_e32 v8, v[8:9]
	v_min3_f32 v213, v8, v6, v129
	v_add_f64 v[6:7], v[12:13], v[64:65]
	v_add_f64 v[8:9], v[10:11], v[62:63]
	v_cvt_f32_f64_e32 v6, v[6:7]
	v_cvt_f32_f64_e32 v8, v[8:9]
	v_min3_f32 v212, v8, v6, v128
	v_add_f64 v[6:7], v[4:5], v[60:61]
	v_add_f64 v[8:9], v[2:3], v[58:59]
	v_cvt_f32_f64_e32 v6, v[6:7]
	v_cvt_f32_f64_e32 v8, v[8:9]
	v_min3_f32 v211, v8, v6, v127
	v_add_f64 v[6:7], v[36:37], v[60:61]
	v_add_f64 v[8:9], v[34:35], v[58:59]
	v_cvt_f32_f64_e32 v6, v[6:7]
	v_cvt_f32_f64_e32 v8, v[8:9]
	v_min3_f32 v210, v8, v6, v126
	v_add_f64 v[6:7], v[32:33], v[60:61]
	v_add_f64 v[8:9], v[30:31], v[58:59]
	v_cvt_f32_f64_e32 v6, v[6:7]
	v_cvt_f32_f64_e32 v8, v[8:9]
	v_min3_f32 v209, v8, v6, v125
	v_add_f64 v[6:7], v[28:29], v[60:61]
	v_add_f64 v[8:9], v[26:27], v[58:59]
	v_cvt_f32_f64_e32 v6, v[6:7]
	v_cvt_f32_f64_e32 v8, v[8:9]
	v_min3_f32 v208, v8, v6, v124
	v_add_f64 v[6:7], v[24:25], v[60:61]
	v_add_f64 v[8:9], v[22:23], v[58:59]
	v_cvt_f32_f64_e32 v6, v[6:7]
	v_cvt_f32_f64_e32 v8, v[8:9]
	v_min3_f32 v207, v8, v6, v123
	v_add_f64 v[6:7], v[20:21], v[60:61]
	v_add_f64 v[8:9], v[18:19], v[58:59]
	v_cvt_f32_f64_e32 v6, v[6:7]
	v_cvt_f32_f64_e32 v8, v[8:9]
	v_min3_f32 v206, v8, v6, v122
	v_add_f64 v[6:7], v[16:17], v[60:61]
	v_add_f64 v[8:9], v[14:15], v[58:59]
	v_cvt_f32_f64_e32 v6, v[6:7]
	v_cvt_f32_f64_e32 v8, v[8:9]
	v_min3_f32 v205, v8, v6, v121
	v_add_f64 v[6:7], v[12:13], v[60:61]
	v_add_f64 v[8:9], v[10:11], v[58:59]
	v_cvt_f32_f64_e32 v6, v[6:7]
	v_cvt_f32_f64_e32 v8, v[8:9]
	v_min3_f32 v204, v8, v6, v120
	v_add_f64 v[6:7], v[4:5], v[56:57]
	v_add_f64 v[8:9], v[2:3], v[54:55]
	v_cvt_f32_f64_e32 v6, v[6:7]
	v_cvt_f32_f64_e32 v8, v[8:9]
	v_min3_f32 v203, v8, v6, v119
	v_add_f64 v[6:7], v[36:37], v[56:57]
	v_add_f64 v[8:9], v[34:35], v[54:55]
	v_cvt_f32_f64_e32 v6, v[6:7]
	v_cvt_f32_f64_e32 v8, v[8:9]
	v_min3_f32 v202, v8, v6, v118
	v_add_f64 v[6:7], v[32:33], v[56:57]
	v_add_f64 v[8:9], v[30:31], v[54:55]
	v_cvt_f32_f64_e32 v6, v[6:7]
	v_cvt_f32_f64_e32 v8, v[8:9]
	v_min3_f32 v201, v8, v6, v117
	v_add_f64 v[6:7], v[28:29], v[56:57]
	v_add_f64 v[8:9], v[26:27], v[54:55]
	v_cvt_f32_f64_e32 v6, v[6:7]
	v_cvt_f32_f64_e32 v8, v[8:9]
	v_min3_f32 v200, v8, v6, v116
	v_add_f64 v[6:7], v[24:25], v[56:57]
	v_add_f64 v[8:9], v[22:23], v[54:55]
	v_cvt_f32_f64_e32 v6, v[6:7]
	v_cvt_f32_f64_e32 v8, v[8:9]
	v_min3_f32 v199, v8, v6, v115
	v_add_f64 v[6:7], v[20:21], v[56:57]
	v_add_f64 v[8:9], v[18:19], v[54:55]
	v_cvt_f32_f64_e32 v6, v[6:7]
	v_cvt_f32_f64_e32 v8, v[8:9]
	v_min3_f32 v198, v8, v6, v114
	v_add_f64 v[6:7], v[16:17], v[56:57]
	v_add_f64 v[8:9], v[14:15], v[54:55]
	v_cvt_f32_f64_e32 v6, v[6:7]
	v_cvt_f32_f64_e32 v8, v[8:9]
	v_min3_f32 v197, v8, v6, v113
	v_add_f64 v[6:7], v[12:13], v[56:57]
	v_add_f64 v[8:9], v[10:11], v[54:55]
	v_cvt_f32_f64_e32 v6, v[6:7]
	v_cvt_f32_f64_e32 v8, v[8:9]
	v_min3_f32 v196, v8, v6, v112
	v_add_f64 v[6:7], v[4:5], v[52:53]
	v_add_f64 v[8:9], v[2:3], v[50:51]
	v_cvt_f32_f64_e32 v6, v[6:7]
	v_cvt_f32_f64_e32 v8, v[8:9]
	v_min3_f32 v195, v8, v6, v111
	v_add_f64 v[6:7], v[36:37], v[52:53]
	v_add_f64 v[8:9], v[34:35], v[50:51]
	v_cvt_f32_f64_e32 v6, v[6:7]
	v_cvt_f32_f64_e32 v8, v[8:9]
	v_min3_f32 v194, v8, v6, v110
	v_add_f64 v[6:7], v[32:33], v[52:53]
	v_add_f64 v[8:9], v[30:31], v[50:51]
	v_cvt_f32_f64_e32 v6, v[6:7]
	v_cvt_f32_f64_e32 v8, v[8:9]
	v_min3_f32 v193, v8, v6, v109
	v_add_f64 v[6:7], v[28:29], v[52:53]
	v_add_f64 v[8:9], v[26:27], v[50:51]
	v_cvt_f32_f64_e32 v6, v[6:7]
	v_cvt_f32_f64_e32 v8, v[8:9]
	v_min3_f32 v192, v8, v6, v108
	v_add_f64 v[6:7], v[24:25], v[52:53]
	v_add_f64 v[8:9], v[22:23], v[50:51]
	v_cvt_f32_f64_e32 v6, v[6:7]
	v_cvt_f32_f64_e32 v8, v[8:9]
	v_min3_f32 v191, v8, v6, v107
	v_add_f64 v[6:7], v[20:21], v[52:53]
	v_add_f64 v[8:9], v[18:19], v[50:51]
	v_cvt_f32_f64_e32 v6, v[6:7]
	v_cvt_f32_f64_e32 v8, v[8:9]
	v_min3_f32 v190, v8, v6, v106
	v_add_f64 v[6:7], v[16:17], v[52:53]
	v_add_f64 v[8:9], v[14:15], v[50:51]
	v_cvt_f32_f64_e32 v6, v[6:7]
	v_cvt_f32_f64_e32 v8, v[8:9]
	v_min3_f32 v189, v8, v6, v105
	v_add_f64 v[6:7], v[12:13], v[52:53]
	v_add_f64 v[8:9], v[10:11], v[50:51]
	v_cvt_f32_f64_e32 v6, v[6:7]
	v_cvt_f32_f64_e32 v8, v[8:9]
	v_min3_f32 v188, v8, v6, v104
	v_add_f64 v[6:7], v[4:5], v[48:49]
	v_add_f64 v[8:9], v[2:3], v[46:47]
	v_cvt_f32_f64_e32 v6, v[6:7]
	v_cvt_f32_f64_e32 v8, v[8:9]
	v_min3_f32 v187, v8, v6, v103
	v_add_f64 v[6:7], v[36:37], v[48:49]
	v_add_f64 v[8:9], v[34:35], v[46:47]
	v_cvt_f32_f64_e32 v6, v[6:7]
	v_cvt_f32_f64_e32 v8, v[8:9]
	v_min3_f32 v183, v8, v6, v102
	v_add_f64 v[6:7], v[32:33], v[48:49]
	v_add_f64 v[8:9], v[30:31], v[46:47]
	v_cvt_f32_f64_e32 v6, v[6:7]
	v_cvt_f32_f64_e32 v8, v[8:9]
	v_min3_f32 v180, v8, v6, v101
	v_add_f64 v[6:7], v[28:29], v[48:49]
	v_add_f64 v[8:9], v[26:27], v[46:47]
	v_cvt_f32_f64_e32 v6, v[6:7]
	v_cvt_f32_f64_e32 v8, v[8:9]
	v_min3_f32 v174, v8, v6, v100
	v_add_f64 v[6:7], v[24:25], v[48:49]
	v_add_f64 v[8:9], v[22:23], v[46:47]
	v_cvt_f32_f64_e32 v6, v[6:7]
	v_cvt_f32_f64_e32 v8, v[8:9]
	v_min3_f32 v173, v8, v6, v99
	v_add_f64 v[6:7], v[20:21], v[48:49]
	v_add_f64 v[8:9], v[18:19], v[46:47]
	v_cvt_f32_f64_e32 v6, v[6:7]
	v_cvt_f32_f64_e32 v8, v[8:9]
	v_min3_f32 v172, v8, v6, v98
	v_add_f64 v[6:7], v[16:17], v[48:49]
	v_add_f64 v[8:9], v[14:15], v[46:47]
	v_cvt_f32_f64_e32 v6, v[6:7]
	v_cvt_f32_f64_e32 v8, v[8:9]
	v_min3_f32 v171, v8, v6, v97
	v_add_f64 v[6:7], v[12:13], v[48:49]
	v_add_f64 v[8:9], v[10:11], v[46:47]
	v_cvt_f32_f64_e32 v6, v[6:7]
	v_cvt_f32_f64_e32 v8, v[8:9]
	v_min3_f32 v170, v8, v6, v96
	v_add_f64 v[6:7], v[4:5], v[44:45]
	v_add_f64 v[8:9], v[2:3], v[42:43]
	v_add_f64 v[4:5], v[4:5], v[40:41]
	v_add_f64 v[2:3], v[2:3], v[38:39]
	v_cvt_f32_f64_e32 v6, v[6:7]
	v_cvt_f32_f64_e32 v8, v[8:9]
	;; [unrolled: 1-line block ×4, first 2 shown]
	v_add_f64 v[4:5], v[34:35], v[38:39]
	v_min3_f32 v169, v8, v6, v95
	v_add_f64 v[6:7], v[36:37], v[44:45]
	v_add_f64 v[8:9], v[34:35], v[42:43]
	v_min3_f32 v161, v2, v3, v87
	v_add_f64 v[2:3], v[36:37], v[40:41]
	v_cvt_f32_f64_e32 v4, v[4:5]
	v_cvt_f32_f64_e32 v6, v[6:7]
	v_cvt_f32_f64_e32 v8, v[8:9]
	v_cvt_f32_f64_e32 v2, v[2:3]
	v_min3_f32 v168, v8, v6, v94
	v_add_f64 v[6:7], v[32:33], v[44:45]
	v_add_f64 v[8:9], v[30:31], v[42:43]
	v_min3_f32 v160, v4, v2, v86
	v_add_f64 v[2:3], v[32:33], v[40:41]
	v_add_f64 v[4:5], v[30:31], v[38:39]
	v_cvt_f32_f64_e32 v6, v[6:7]
	v_cvt_f32_f64_e32 v8, v[8:9]
	v_cvt_f32_f64_e32 v2, v[2:3]
	v_cvt_f32_f64_e32 v4, v[4:5]
	v_min3_f32 v167, v8, v6, v93
	v_add_f64 v[6:7], v[28:29], v[44:45]
	v_add_f64 v[8:9], v[26:27], v[42:43]
	v_min3_f32 v159, v4, v2, v85
	v_add_f64 v[2:3], v[28:29], v[40:41]
	;; [unrolled: 10-line block ×6, first 2 shown]
	v_add_f64 v[4:5], v[10:11], v[38:39]
	v_cvt_f32_f64_e32 v6, v[6:7]
	v_cvt_f32_f64_e32 v8, v[8:9]
	;; [unrolled: 1-line block ×4, first 2 shown]
	v_min3_f32 v162, v8, v6, v88
	v_min3_f32 v154, v4, v2, v80
	s_cbranch_scc1 .LBB121_51
; %bb.29:
	v_lshlrev_b64 v[2:3], 3, v[66:67]
	v_add_nc_u32_e32 v4, 8, v150
	v_add_nc_u32_e32 v10, 12, v150
	v_lshlrev_b64 v[6:7], 3, v[68:69]
	v_or_b32_e32 v175, 0x4000, v153
	v_or_b32_e32 v176, 0x4000, v152
	v_add_co_u32 v179, s6, s18, v2
	v_add_co_ci_u32_e64 v181, null, s19, v3, s6
	v_mad_i64_i32 v[2:3], null, v4, s22, 0
	v_mad_i64_i32 v[4:5], null, v4, s24, 0
	;; [unrolled: 1-line block ×4, first 2 shown]
	v_add_co_u32 v185, s6, s20, v6
	v_lshlrev_b64 v[130:131], 3, v[2:3]
	v_lshlrev_b64 v[132:133], 3, v[4:5]
	;; [unrolled: 1-line block ×3, first 2 shown]
	v_add_nc_u32_e32 v177, 0x4800, v153
	v_lshlrev_b64 v[136:137], 3, v[10:11]
	v_or_b32_e32 v178, 0x2000, v153
	v_lshl_add_u32 v182, v0, 5, 0x4800
	v_lshl_or_b32 v184, v1, 5, 0x2000
	v_add_co_ci_u32_e64 v186, null, s21, v7, s6
	v_mov_b32_e32 v138, -1
	v_mov_b32_e32 v139, 0x7fefffff
	s_add_i32 s28, s14, -8
	s_lshl_b64 s[18:19], s[22:23], 6
	s_lshl_b64 s[20:21], s[24:25], 6
	s_mov_b32 s22, 0
	s_branch .LBB121_31
.LBB121_30:                             ;   in Loop: Header=BB121_31 Depth=1
	s_or_b32 exec_lo, exec_lo, s7
	v_add_f64 v[228:229], v[100:101], v[128:129]
	v_add_f64 v[230:231], v[98:99], v[126:127]
	v_add_co_u32 v179, s6, v179, s18
	v_add_co_ci_u32_e64 v181, null, s19, v181, s6
	v_add_co_u32 v185, s6, v185, s20
	v_add_co_ci_u32_e64 v186, null, s21, v186, s6
	s_add_i32 s22, s22, 8
	s_cmp_ge_i32 s22, s28
	v_cvt_f32_f64_e32 v228, v[228:229]
	v_cvt_f32_f64_e32 v230, v[230:231]
	v_min3_f32 v227, v230, v228, v227
	v_add_f64 v[228:229], v[96:97], v[128:129]
	v_add_f64 v[230:231], v[94:95], v[126:127]
	v_cvt_f32_f64_e32 v228, v[228:229]
	v_cvt_f32_f64_e32 v230, v[230:231]
	v_min3_f32 v226, v230, v228, v226
	v_add_f64 v[228:229], v[92:93], v[128:129]
	v_add_f64 v[230:231], v[90:91], v[126:127]
	v_cvt_f32_f64_e32 v228, v[228:229]
	v_cvt_f32_f64_e32 v230, v[230:231]
	v_min3_f32 v225, v230, v228, v225
	v_add_f64 v[228:229], v[88:89], v[128:129]
	v_add_f64 v[230:231], v[86:87], v[126:127]
	v_cvt_f32_f64_e32 v228, v[228:229]
	v_cvt_f32_f64_e32 v230, v[230:231]
	v_min3_f32 v224, v230, v228, v224
	v_add_f64 v[228:229], v[84:85], v[128:129]
	v_add_f64 v[230:231], v[82:83], v[126:127]
	v_cvt_f32_f64_e32 v228, v[228:229]
	v_cvt_f32_f64_e32 v230, v[230:231]
	v_min3_f32 v223, v230, v228, v223
	v_add_f64 v[228:229], v[80:81], v[128:129]
	v_add_f64 v[230:231], v[78:79], v[126:127]
	v_cvt_f32_f64_e32 v228, v[228:229]
	v_cvt_f32_f64_e32 v230, v[230:231]
	v_min3_f32 v222, v230, v228, v222
	v_add_f64 v[228:229], v[72:73], v[128:129]
	v_add_f64 v[230:231], v[70:71], v[126:127]
	v_add_f64 v[128:129], v[68:69], v[128:129]
	v_add_f64 v[126:127], v[66:67], v[126:127]
	v_cvt_f32_f64_e32 v228, v[228:229]
	v_cvt_f32_f64_e32 v230, v[230:231]
	v_cvt_f32_f64_e32 v126, v[126:127]
	v_cvt_f32_f64_e32 v127, v[128:129]
	v_add_f64 v[128:129], v[98:99], v[122:123]
	v_min3_f32 v221, v230, v228, v221
	v_min3_f32 v220, v126, v127, v220
	v_add_f64 v[126:127], v[100:101], v[124:125]
	v_cvt_f32_f64_e32 v128, v[128:129]
	v_cvt_f32_f64_e32 v126, v[126:127]
	v_min3_f32 v219, v128, v126, v219
	v_add_f64 v[126:127], v[96:97], v[124:125]
	v_add_f64 v[128:129], v[94:95], v[122:123]
	v_cvt_f32_f64_e32 v126, v[126:127]
	v_cvt_f32_f64_e32 v128, v[128:129]
	v_min3_f32 v218, v128, v126, v218
	v_add_f64 v[126:127], v[92:93], v[124:125]
	v_add_f64 v[128:129], v[90:91], v[122:123]
	v_cvt_f32_f64_e32 v126, v[126:127]
	v_cvt_f32_f64_e32 v128, v[128:129]
	v_min3_f32 v217, v128, v126, v217
	v_add_f64 v[126:127], v[88:89], v[124:125]
	v_add_f64 v[128:129], v[86:87], v[122:123]
	v_cvt_f32_f64_e32 v126, v[126:127]
	v_cvt_f32_f64_e32 v128, v[128:129]
	v_min3_f32 v216, v128, v126, v216
	v_add_f64 v[126:127], v[84:85], v[124:125]
	v_add_f64 v[128:129], v[82:83], v[122:123]
	v_cvt_f32_f64_e32 v126, v[126:127]
	v_cvt_f32_f64_e32 v128, v[128:129]
	v_min3_f32 v215, v128, v126, v215
	v_add_f64 v[126:127], v[80:81], v[124:125]
	v_add_f64 v[128:129], v[78:79], v[122:123]
	v_cvt_f32_f64_e32 v126, v[126:127]
	v_cvt_f32_f64_e32 v128, v[128:129]
	v_min3_f32 v214, v128, v126, v214
	v_add_f64 v[126:127], v[72:73], v[124:125]
	v_add_f64 v[128:129], v[70:71], v[122:123]
	v_add_f64 v[124:125], v[68:69], v[124:125]
	v_add_f64 v[122:123], v[66:67], v[122:123]
	v_cvt_f32_f64_e32 v126, v[126:127]
	v_cvt_f32_f64_e32 v128, v[128:129]
	v_cvt_f32_f64_e32 v122, v[122:123]
	v_cvt_f32_f64_e32 v123, v[124:125]
	v_add_f64 v[124:125], v[98:99], v[118:119]
	v_min3_f32 v213, v128, v126, v213
	v_min3_f32 v212, v122, v123, v212
	v_add_f64 v[122:123], v[100:101], v[120:121]
	;; [unrolled: 40-line block ×3, first 2 shown]
	v_cvt_f32_f64_e32 v120, v[120:121]
	v_cvt_f32_f64_e32 v118, v[118:119]
	v_min3_f32 v203, v120, v118, v203
	v_add_f64 v[118:119], v[96:97], v[116:117]
	v_add_f64 v[120:121], v[94:95], v[114:115]
	v_cvt_f32_f64_e32 v118, v[118:119]
	v_cvt_f32_f64_e32 v120, v[120:121]
	v_min3_f32 v202, v120, v118, v202
	v_add_f64 v[118:119], v[92:93], v[116:117]
	v_add_f64 v[120:121], v[90:91], v[114:115]
	;; [unrolled: 5-line block ×3, first 2 shown]
	v_cvt_f32_f64_e32 v118, v[118:119]
	v_cvt_f32_f64_e32 v120, v[120:121]
	v_add_f64 v[121:122], v[82:83], v[114:115]
	v_min3_f32 v118, v120, v118, v200
	v_add_f64 v[119:120], v[84:85], v[116:117]
	v_cvt_f32_f64_e32 v121, v[121:122]
	v_add_f64 v[122:123], v[78:79], v[114:115]
	v_cvt_f32_f64_e32 v119, v[119:120]
	v_cvt_f32_f64_e32 v122, v[122:123]
	v_add_f64 v[123:124], v[70:71], v[114:115]
	v_add_f64 v[114:115], v[66:67], v[114:115]
	v_min3_f32 v119, v121, v119, v199
	v_add_f64 v[120:121], v[80:81], v[116:117]
	v_cvt_f32_f64_e32 v123, v[123:124]
	v_cvt_f32_f64_e32 v114, v[114:115]
	v_add_f64 v[124:125], v[90:91], v[110:111]
	v_cvt_f32_f64_e32 v120, v[120:121]
	v_min3_f32 v120, v122, v120, v198
	v_add_f64 v[121:122], v[72:73], v[116:117]
	v_add_f64 v[116:117], v[68:69], v[116:117]
	v_cvt_f32_f64_e32 v121, v[121:122]
	v_cvt_f32_f64_e32 v115, v[116:117]
	v_min3_f32 v121, v123, v121, v197
	v_min3_f32 v114, v114, v115, v196
	v_add_f64 v[115:116], v[100:101], v[112:113]
	v_add_f64 v[122:123], v[98:99], v[110:111]
	v_cvt_f32_f64_e32 v115, v[115:116]
	v_cvt_f32_f64_e32 v117, v[122:123]
	v_add_f64 v[122:123], v[94:95], v[110:111]
	v_min3_f32 v115, v117, v115, v195
	v_add_f64 v[116:117], v[96:97], v[112:113]
	v_cvt_f32_f64_e32 v122, v[122:123]
	v_cvt_f32_f64_e32 v116, v[116:117]
	v_cvt_f32_f64_e32 v117, v[124:125]
	v_add_f64 v[124:125], v[86:87], v[110:111]
	v_min3_f32 v116, v122, v116, v194
	v_add_f64 v[122:123], v[92:93], v[112:113]
	v_cvt_f32_f64_e32 v124, v[124:125]
	v_add_f64 v[125:126], v[82:83], v[110:111]
	v_cvt_f32_f64_e32 v122, v[122:123]
	v_cvt_f32_f64_e32 v125, v[125:126]
	v_add_f64 v[126:127], v[78:79], v[110:111]
	v_min3_f32 v117, v117, v122, v193
	v_add_f64 v[122:123], v[88:89], v[112:113]
	v_cvt_f32_f64_e32 v126, v[126:127]
	v_add_f64 v[127:128], v[70:71], v[110:111]
	v_add_f64 v[110:111], v[66:67], v[110:111]
	v_cvt_f32_f64_e32 v122, v[122:123]
	v_cvt_f32_f64_e32 v127, v[127:128]
	;; [unrolled: 1-line block ×3, first 2 shown]
	v_min3_f32 v122, v124, v122, v192
	v_add_f64 v[123:124], v[84:85], v[112:113]
	v_cvt_f32_f64_e32 v123, v[123:124]
	v_min3_f32 v123, v125, v123, v191
	v_add_f64 v[124:125], v[80:81], v[112:113]
	v_cvt_f32_f64_e32 v124, v[124:125]
	v_min3_f32 v124, v126, v124, v190
	v_add_f64 v[125:126], v[72:73], v[112:113]
	v_add_f64 v[112:113], v[68:69], v[112:113]
	v_cvt_f32_f64_e32 v125, v[125:126]
	v_cvt_f32_f64_e32 v111, v[112:113]
	v_min3_f32 v125, v127, v125, v189
	v_min3_f32 v112, v110, v111, v188
	v_add_f64 v[110:111], v[100:101], v[108:109]
	v_add_f64 v[126:127], v[98:99], v[106:107]
	v_cvt_f32_f64_e32 v110, v[110:111]
	v_cvt_f32_f64_e32 v113, v[126:127]
	v_add_f64 v[126:127], v[94:95], v[106:107]
	v_min3_f32 v113, v113, v110, v187
	v_add_f64 v[110:111], v[96:97], v[108:109]
	v_cvt_f32_f64_e32 v126, v[126:127]
	v_add_f64 v[127:128], v[90:91], v[106:107]
	v_add_f64 v[187:188], v[82:83], v[106:107]
	v_cvt_f32_f64_e32 v110, v[110:111]
	v_cvt_f32_f64_e32 v127, v[127:128]
	v_add_f64 v[128:129], v[86:87], v[106:107]
	v_min3_f32 v126, v126, v110, v183
	v_add_f64 v[110:111], v[92:93], v[108:109]
	v_cvt_f32_f64_e32 v128, v[128:129]
	v_cvt_f32_f64_e32 v129, v[187:188]
	;; [unrolled: 1-line block ×3, first 2 shown]
	v_min3_f32 v127, v127, v110, v180
	v_add_f64 v[110:111], v[88:89], v[108:109]
	v_cvt_f32_f64_e32 v110, v[110:111]
	v_min3_f32 v128, v128, v110, v174
	v_add_f64 v[110:111], v[84:85], v[108:109]
	v_cvt_f32_f64_e32 v110, v[110:111]
	v_min3_f32 v129, v129, v110, v173
	v_add_f64 v[110:111], v[80:81], v[108:109]
	v_add_f64 v[173:174], v[78:79], v[106:107]
	v_cvt_f32_f64_e32 v110, v[110:111]
	v_cvt_f32_f64_e32 v173, v[173:174]
	v_min3_f32 v172, v173, v110, v172
	v_add_f64 v[110:111], v[72:73], v[108:109]
	v_add_f64 v[173:174], v[70:71], v[106:107]
	;; [unrolled: 1-line block ×4, first 2 shown]
	v_cvt_f32_f64_e32 v110, v[110:111]
	v_cvt_f32_f64_e32 v173, v[173:174]
	;; [unrolled: 1-line block ×4, first 2 shown]
	v_add_f64 v[108:109], v[98:99], v[102:103]
	v_add_f64 v[98:99], v[98:99], v[74:75]
	v_min3_f32 v171, v173, v110, v171
	v_min3_f32 v170, v106, v107, v170
	v_add_f64 v[106:107], v[100:101], v[104:105]
	v_cvt_f32_f64_e32 v108, v[108:109]
	v_add_f64 v[100:101], v[100:101], v[76:77]
	v_cvt_f32_f64_e32 v98, v[98:99]
	v_cvt_f32_f64_e32 v106, v[106:107]
	v_cvt_f32_f64_e32 v99, v[100:101]
	v_min3_f32 v169, v108, v106, v169
	v_add_f64 v[106:107], v[96:97], v[104:105]
	v_add_f64 v[108:109], v[94:95], v[102:103]
	;; [unrolled: 1-line block ×4, first 2 shown]
	v_min3_f32 v98, v98, v99, v161
	v_add_f64 v[99:100], v[10:11], v[46:47]
	v_cvt_f32_f64_e32 v106, v[106:107]
	v_cvt_f32_f64_e32 v108, v[108:109]
	v_add_f64 v[109:110], v[90:91], v[102:103]
	v_add_f64 v[90:91], v[90:91], v[74:75]
	v_cvt_f32_f64_e32 v94, v[94:95]
	v_cvt_f32_f64_e32 v95, v[96:97]
	v_min3_f32 v106, v108, v106, v168
	v_add_f64 v[107:108], v[92:93], v[104:105]
	v_cvt_f32_f64_e32 v109, v[109:110]
	v_add_f64 v[110:111], v[86:87], v[102:103]
	v_add_f64 v[86:87], v[86:87], v[74:75]
	;; [unrolled: 1-line block ×3, first 2 shown]
	v_cvt_f32_f64_e32 v90, v[90:91]
	v_min3_f32 v94, v94, v95, v160
	v_add_f64 v[95:96], v[6:7], v[50:51]
	v_cvt_f32_f64_e32 v107, v[107:108]
	v_cvt_f32_f64_e32 v110, v[110:111]
	;; [unrolled: 1-line block ×4, first 2 shown]
	v_min3_f32 v107, v109, v107, v167
	v_add_f64 v[108:109], v[88:89], v[104:105]
	v_add_f64 v[88:89], v[88:89], v[76:77]
	v_min3_f32 v90, v90, v91, v159
	v_add_f64 v[91:92], v[26:27], v[50:51]
	v_cvt_f32_f64_e32 v108, v[108:109]
	v_cvt_f32_f64_e32 v87, v[88:89]
	v_min3_f32 v108, v110, v108, v166
	v_add_f64 v[109:110], v[84:85], v[104:105]
	v_add_f64 v[166:167], v[82:83], v[102:103]
	v_add_f64 v[82:83], v[82:83], v[74:75]
	v_add_f64 v[84:85], v[84:85], v[76:77]
	v_min3_f32 v86, v86, v87, v158
	v_add_f64 v[87:88], v[14:15], v[54:55]
	v_cvt_f32_f64_e32 v109, v[109:110]
	v_cvt_f32_f64_e32 v111, v[166:167]
	;; [unrolled: 1-line block ×4, first 2 shown]
	v_min3_f32 v109, v111, v109, v165
	v_add_f64 v[110:111], v[80:81], v[104:105]
	v_add_f64 v[165:166], v[78:79], v[102:103]
	;; [unrolled: 1-line block ×4, first 2 shown]
	v_min3_f32 v82, v82, v83, v157
	v_add_f64 v[83:84], v[10:11], v[58:59]
	v_cvt_f32_f64_e32 v110, v[110:111]
	v_cvt_f32_f64_e32 v165, v[165:166]
	v_add_f64 v[166:167], v[70:71], v[102:103]
	v_add_f64 v[102:103], v[66:67], v[102:103]
	;; [unrolled: 1-line block ×5, first 2 shown]
	v_cvt_f32_f64_e32 v78, v[78:79]
	v_cvt_f32_f64_e32 v79, v[80:81]
	v_min3_f32 v110, v165, v110, v164
	v_add_f64 v[164:165], v[72:73], v[104:105]
	v_add_f64 v[104:105], v[68:69], v[104:105]
	;; [unrolled: 1-line block ×4, first 2 shown]
	v_cvt_f32_f64_e32 v66, v[66:67]
	v_cvt_f32_f64_e32 v70, v[70:71]
	v_add_f64 v[76:77], v[14:15], v[62:63]
	v_min3_f32 v78, v78, v79, v156
	v_add_f64 v[79:80], v[26:27], v[58:59]
	v_cvt_f32_f64_e32 v102, v[102:103]
	v_cvt_f32_f64_e32 v111, v[166:167]
	;; [unrolled: 1-line block ×6, first 2 shown]
	v_add_f64 v[68:69], v[34:35], v[62:63]
	v_min3_f32 v111, v111, v164, v163
	v_min3_f32 v102, v102, v103, v162
	;; [unrolled: 1-line block ×3, first 2 shown]
	v_add_f64 v[66:67], v[36:37], v[64:65]
	v_cvt_f32_f64_e32 v68, v[68:69]
	v_min3_f32 v71, v70, v71, v155
	v_add_f64 v[69:70], v[30:31], v[62:63]
	v_cvt_f32_f64_e32 v66, v[66:67]
	v_cvt_f32_f64_e32 v69, v[69:70]
	v_cvt_f32_f64_e32 v70, v[74:75]
	v_add_f64 v[74:75], v[18:19], v[62:63]
	v_min3_f32 v66, v68, v66, v227
	v_add_f64 v[67:68], v[32:33], v[64:65]
	v_cvt_f32_f64_e32 v72, v[74:75]
	v_add_f64 v[74:75], v[16:17], v[64:65]
	v_cvt_f32_f64_e32 v67, v[67:68]
	v_min3_f32 v67, v69, v67, v226
	v_add_f64 v[68:69], v[28:29], v[64:65]
	v_cvt_f32_f64_e32 v68, v[68:69]
	v_min3_f32 v68, v70, v68, v225
	v_add_f64 v[69:70], v[20:21], v[64:65]
	v_cvt_f32_f64_e32 v69, v[69:70]
	v_cvt_f32_f64_e32 v70, v[76:77]
	v_add_f64 v[76:77], v[10:11], v[62:63]
	v_min3_f32 v69, v72, v69, v224
	v_cvt_f32_f64_e32 v72, v[74:75]
	v_add_f64 v[74:75], v[12:13], v[64:65]
	v_min3_f32 v70, v70, v72, v223
	v_cvt_f32_f64_e32 v72, v[76:77]
	v_cvt_f32_f64_e32 v74, v[74:75]
	v_add_f64 v[76:77], v[6:7], v[62:63]
	v_add_f64 v[62:63], v[2:3], v[62:63]
	v_min3_f32 v72, v72, v74, v222
	v_add_f64 v[74:75], v[8:9], v[64:65]
	v_add_f64 v[64:65], v[4:5], v[64:65]
	v_cvt_f32_f64_e32 v76, v[76:77]
	v_cvt_f32_f64_e32 v62, v[62:63]
	;; [unrolled: 1-line block ×4, first 2 shown]
	v_min3_f32 v74, v76, v74, v221
	v_min3_f32 v62, v62, v63, v220
	v_add_f64 v[63:64], v[36:37], v[60:61]
	v_add_f64 v[75:76], v[34:35], v[58:59]
	v_cvt_f32_f64_e32 v63, v[63:64]
	v_cvt_f32_f64_e32 v65, v[75:76]
	v_add_f64 v[75:76], v[30:31], v[58:59]
	v_min3_f32 v63, v65, v63, v219
	v_add_f64 v[64:65], v[32:33], v[60:61]
	v_cvt_f32_f64_e32 v75, v[75:76]
	v_cvt_f32_f64_e32 v64, v[64:65]
	v_cvt_f32_f64_e32 v65, v[79:80]
	v_add_f64 v[79:80], v[18:19], v[58:59]
	v_min3_f32 v64, v75, v64, v218
	v_add_f64 v[75:76], v[28:29], v[60:61]
	v_cvt_f32_f64_e32 v77, v[79:80]
	v_add_f64 v[79:80], v[14:15], v[58:59]
	v_cvt_f32_f64_e32 v75, v[75:76]
	v_cvt_f32_f64_e32 v79, v[79:80]
	v_min3_f32 v65, v65, v75, v217
	v_add_f64 v[75:76], v[20:21], v[60:61]
	v_cvt_f32_f64_e32 v75, v[75:76]
	v_min3_f32 v75, v77, v75, v216
	v_add_f64 v[76:77], v[16:17], v[60:61]
	v_cvt_f32_f64_e32 v76, v[76:77]
	v_cvt_f32_f64_e32 v77, v[83:84]
	v_add_f64 v[83:84], v[6:7], v[58:59]
	v_add_f64 v[58:59], v[2:3], v[58:59]
	v_min3_f32 v76, v79, v76, v215
	v_add_f64 v[79:80], v[12:13], v[60:61]
	v_cvt_f32_f64_e32 v81, v[83:84]
	v_cvt_f32_f64_e32 v58, v[58:59]
	v_add_f64 v[83:84], v[26:27], v[54:55]
	v_cvt_f32_f64_e32 v79, v[79:80]
	v_min3_f32 v77, v77, v79, v214
	v_add_f64 v[79:80], v[8:9], v[60:61]
	v_add_f64 v[60:61], v[4:5], v[60:61]
	v_cvt_f32_f64_e32 v79, v[79:80]
	v_cvt_f32_f64_e32 v59, v[60:61]
	v_min3_f32 v79, v81, v79, v213
	v_min3_f32 v58, v58, v59, v212
	v_add_f64 v[59:60], v[36:37], v[56:57]
	v_add_f64 v[80:81], v[34:35], v[54:55]
	v_cvt_f32_f64_e32 v59, v[59:60]
	v_cvt_f32_f64_e32 v61, v[80:81]
	v_add_f64 v[80:81], v[30:31], v[54:55]
	v_min3_f32 v59, v61, v59, v211
	v_add_f64 v[60:61], v[32:33], v[56:57]
	v_cvt_f32_f64_e32 v80, v[80:81]
	v_cvt_f32_f64_e32 v60, v[60:61]
	;; [unrolled: 1-line block ×3, first 2 shown]
	v_add_f64 v[83:84], v[18:19], v[54:55]
	v_min3_f32 v60, v80, v60, v210
	v_add_f64 v[80:81], v[28:29], v[56:57]
	v_cvt_f32_f64_e32 v83, v[83:84]
	v_cvt_f32_f64_e32 v80, v[80:81]
	v_min3_f32 v61, v61, v80, v209
	v_add_f64 v[80:81], v[20:21], v[56:57]
	v_cvt_f32_f64_e32 v80, v[80:81]
	v_cvt_f32_f64_e32 v81, v[87:88]
	v_add_f64 v[87:88], v[10:11], v[54:55]
	v_min3_f32 v80, v83, v80, v208
	v_add_f64 v[83:84], v[16:17], v[56:57]
	v_cvt_f32_f64_e32 v85, v[87:88]
	v_add_f64 v[87:88], v[6:7], v[54:55]
	v_add_f64 v[54:55], v[2:3], v[54:55]
	v_cvt_f32_f64_e32 v83, v[83:84]
	v_cvt_f32_f64_e32 v87, v[87:88]
	;; [unrolled: 1-line block ×3, first 2 shown]
	v_min3_f32 v81, v81, v83, v207
	v_add_f64 v[83:84], v[12:13], v[56:57]
	v_cvt_f32_f64_e32 v83, v[83:84]
	v_min3_f32 v83, v85, v83, v206
	v_add_f64 v[84:85], v[8:9], v[56:57]
	v_add_f64 v[56:57], v[4:5], v[56:57]
	v_cvt_f32_f64_e32 v84, v[84:85]
	v_cvt_f32_f64_e32 v55, v[56:57]
	v_min3_f32 v84, v87, v84, v205
	v_min3_f32 v54, v54, v55, v204
	v_add_f64 v[55:56], v[36:37], v[52:53]
	v_add_f64 v[87:88], v[34:35], v[50:51]
	v_cvt_f32_f64_e32 v55, v[55:56]
	v_cvt_f32_f64_e32 v57, v[87:88]
	v_add_f64 v[87:88], v[30:31], v[50:51]
	v_min3_f32 v55, v57, v55, v203
	v_add_f64 v[56:57], v[32:33], v[52:53]
	v_cvt_f32_f64_e32 v85, v[87:88]
	v_add_f64 v[87:88], v[28:29], v[52:53]
	v_cvt_f32_f64_e32 v56, v[56:57]
	v_cvt_f32_f64_e32 v57, v[91:92]
	v_add_f64 v[91:92], v[18:19], v[50:51]
	v_min3_f32 v56, v85, v56, v202
	v_cvt_f32_f64_e32 v85, v[87:88]
	v_add_f64 v[87:88], v[20:21], v[52:53]
	v_min3_f32 v57, v57, v85, v201
	v_cvt_f32_f64_e32 v85, v[91:92]
	v_cvt_f32_f64_e32 v87, v[87:88]
	v_add_f64 v[91:92], v[14:15], v[50:51]
	v_min3_f32 v85, v85, v87, v118
	v_add_f64 v[87:88], v[16:17], v[52:53]
	v_cvt_f32_f64_e32 v89, v[91:92]
	v_add_f64 v[91:92], v[10:11], v[50:51]
	v_add_f64 v[50:51], v[2:3], v[50:51]
	v_cvt_f32_f64_e32 v87, v[87:88]
	v_cvt_f32_f64_e32 v91, v[91:92]
	;; [unrolled: 1-line block ×3, first 2 shown]
	v_min3_f32 v87, v89, v87, v119
	v_add_f64 v[88:89], v[12:13], v[52:53]
	v_cvt_f32_f64_e32 v88, v[88:89]
	v_cvt_f32_f64_e32 v89, v[95:96]
	v_add_f64 v[95:96], v[26:27], v[46:47]
	v_min3_f32 v88, v91, v88, v120
	v_add_f64 v[91:92], v[8:9], v[52:53]
	v_add_f64 v[52:53], v[4:5], v[52:53]
	v_cvt_f32_f64_e32 v91, v[91:92]
	v_cvt_f32_f64_e32 v51, v[52:53]
	v_min3_f32 v89, v89, v91, v121
	v_min3_f32 v50, v50, v51, v114
	v_add_f64 v[51:52], v[36:37], v[48:49]
	v_add_f64 v[91:92], v[34:35], v[46:47]
	v_cvt_f32_f64_e32 v51, v[51:52]
	v_cvt_f32_f64_e32 v53, v[91:92]
	v_add_f64 v[91:92], v[30:31], v[46:47]
	v_min3_f32 v51, v53, v51, v115
	v_add_f64 v[52:53], v[32:33], v[48:49]
	v_cvt_f32_f64_e32 v91, v[91:92]
	v_cvt_f32_f64_e32 v52, v[52:53]
	;; [unrolled: 1-line block ×3, first 2 shown]
	v_add_f64 v[95:96], v[18:19], v[46:47]
	v_min3_f32 v52, v91, v52, v116
	v_add_f64 v[91:92], v[28:29], v[48:49]
	v_cvt_f32_f64_e32 v93, v[95:96]
	v_add_f64 v[95:96], v[14:15], v[46:47]
	v_cvt_f32_f64_e32 v91, v[91:92]
	v_cvt_f32_f64_e32 v95, v[95:96]
	v_min3_f32 v53, v53, v91, v117
	v_add_f64 v[91:92], v[20:21], v[48:49]
	v_cvt_f32_f64_e32 v91, v[91:92]
	v_min3_f32 v91, v93, v91, v122
	v_add_f64 v[92:93], v[16:17], v[48:49]
	v_cvt_f32_f64_e32 v92, v[92:93]
	v_cvt_f32_f64_e32 v93, v[99:100]
	v_add_f64 v[99:100], v[6:7], v[46:47]
	v_add_f64 v[46:47], v[2:3], v[46:47]
	v_min3_f32 v92, v95, v92, v123
	v_add_f64 v[95:96], v[12:13], v[48:49]
	v_cvt_f32_f64_e32 v46, v[46:47]
	v_cvt_f32_f64_e32 v95, v[95:96]
	v_min3_f32 v154, v93, v95, v124
	v_add_f64 v[95:96], v[8:9], v[48:49]
	v_add_f64 v[48:49], v[4:5], v[48:49]
	v_cvt_f32_f64_e32 v93, v[99:100]
	v_add_f64 v[99:100], v[26:27], v[42:43]
	v_cvt_f32_f64_e32 v95, v[95:96]
	v_cvt_f32_f64_e32 v47, v[48:49]
	v_min3_f32 v155, v93, v95, v125
	v_min3_f32 v46, v46, v47, v112
	v_add_f64 v[47:48], v[36:37], v[44:45]
	v_add_f64 v[95:96], v[34:35], v[42:43]
	v_cvt_f32_f64_e32 v47, v[47:48]
	v_cvt_f32_f64_e32 v49, v[95:96]
	v_add_f64 v[95:96], v[30:31], v[42:43]
	v_min3_f32 v47, v49, v47, v113
	v_add_f64 v[48:49], v[32:33], v[44:45]
	v_cvt_f32_f64_e32 v93, v[95:96]
	v_add_f64 v[95:96], v[28:29], v[44:45]
	v_cvt_f32_f64_e32 v48, v[48:49]
	v_cvt_f32_f64_e32 v49, v[99:100]
	v_add_f64 v[99:100], v[18:19], v[42:43]
	v_min3_f32 v48, v93, v48, v126
	v_cvt_f32_f64_e32 v93, v[95:96]
	v_add_f64 v[95:96], v[20:21], v[44:45]
	v_min3_f32 v49, v49, v93, v127
	v_cvt_f32_f64_e32 v93, v[99:100]
	v_cvt_f32_f64_e32 v95, v[95:96]
	v_add_f64 v[99:100], v[14:15], v[42:43]
	v_min3_f32 v156, v93, v95, v128
	v_add_f64 v[95:96], v[16:17], v[44:45]
	v_cvt_f32_f64_e32 v93, v[99:100]
	v_add_f64 v[99:100], v[10:11], v[42:43]
	v_cvt_f32_f64_e32 v95, v[95:96]
	v_min3_f32 v157, v93, v95, v129
	v_add_f64 v[95:96], v[12:13], v[44:45]
	v_cvt_f32_f64_e32 v93, v[99:100]
	v_add_f64 v[99:100], v[6:7], v[42:43]
	v_add_f64 v[42:43], v[2:3], v[42:43]
	v_cvt_f32_f64_e32 v95, v[95:96]
	v_cvt_f32_f64_e32 v42, v[42:43]
	v_min3_f32 v158, v93, v95, v172
	v_add_f64 v[95:96], v[8:9], v[44:45]
	v_add_f64 v[44:45], v[4:5], v[44:45]
	v_cvt_f32_f64_e32 v93, v[99:100]
	v_add_f64 v[99:100], v[26:27], v[38:39]
	v_add_f64 v[26:27], v[26:27], v[22:23]
	v_cvt_f32_f64_e32 v95, v[95:96]
	v_cvt_f32_f64_e32 v43, v[44:45]
	;; [unrolled: 1-line block ×3, first 2 shown]
	v_min3_f32 v159, v93, v95, v171
	v_min3_f32 v42, v42, v43, v170
	v_add_f64 v[43:44], v[36:37], v[40:41]
	v_add_f64 v[95:96], v[34:35], v[38:39]
	;; [unrolled: 1-line block ×4, first 2 shown]
	v_cvt_f32_f64_e32 v43, v[43:44]
	v_cvt_f32_f64_e32 v45, v[95:96]
	v_add_f64 v[95:96], v[30:31], v[38:39]
	v_add_f64 v[30:31], v[30:31], v[22:23]
	v_cvt_f32_f64_e32 v34, v[34:35]
	v_cvt_f32_f64_e32 v35, v[36:37]
	v_min3_f32 v43, v45, v43, v169
	v_add_f64 v[44:45], v[32:33], v[40:41]
	v_cvt_f32_f64_e32 v93, v[95:96]
	v_add_f64 v[95:96], v[28:29], v[40:41]
	v_add_f64 v[32:33], v[32:33], v[24:25]
	;; [unrolled: 1-line block ×3, first 2 shown]
	v_cvt_f32_f64_e32 v30, v[30:31]
	v_min3_f32 v199, v34, v35, v98
	v_cvt_f32_f64_e32 v44, v[44:45]
	v_cvt_f32_f64_e32 v45, v[99:100]
	v_add_f64 v[99:100], v[18:19], v[38:39]
	v_add_f64 v[18:19], v[18:19], v[22:23]
	v_cvt_f32_f64_e32 v31, v[32:33]
	v_cvt_f32_f64_e32 v27, v[28:29]
	v_min3_f32 v44, v93, v44, v106
	v_cvt_f32_f64_e32 v93, v[95:96]
	v_add_f64 v[95:96], v[20:21], v[40:41]
	v_add_f64 v[20:21], v[20:21], v[24:25]
	v_cvt_f32_f64_e32 v18, v[18:19]
	v_min3_f32 v200, v30, v31, v94
	v_min3_f32 v201, v26, v27, v90
	v_min3_f32 v45, v45, v93, v107
	v_cvt_f32_f64_e32 v93, v[99:100]
	v_cvt_f32_f64_e32 v95, v[95:96]
	v_add_f64 v[99:100], v[14:15], v[38:39]
	v_add_f64 v[14:15], v[14:15], v[22:23]
	v_cvt_f32_f64_e32 v19, v[20:21]
	v_min3_f32 v160, v93, v95, v108
	v_add_f64 v[95:96], v[16:17], v[40:41]
	v_cvt_f32_f64_e32 v93, v[99:100]
	v_add_f64 v[99:100], v[10:11], v[38:39]
	v_add_f64 v[16:17], v[16:17], v[24:25]
	;; [unrolled: 1-line block ×3, first 2 shown]
	v_cvt_f32_f64_e32 v14, v[14:15]
	v_min3_f32 v202, v18, v19, v86
	v_cvt_f32_f64_e32 v95, v[95:96]
	v_cvt_f32_f64_e32 v15, v[16:17]
	;; [unrolled: 1-line block ×3, first 2 shown]
	v_min3_f32 v161, v93, v95, v109
	v_add_f64 v[95:96], v[12:13], v[40:41]
	v_cvt_f32_f64_e32 v93, v[99:100]
	v_add_f64 v[99:100], v[6:7], v[38:39]
	v_add_f64 v[38:39], v[2:3], v[38:39]
	;; [unrolled: 1-line block ×5, first 2 shown]
	v_min3_f32 v203, v14, v15, v82
	v_cvt_f32_f64_e32 v95, v[95:96]
	v_cvt_f32_f64_e32 v38, v[38:39]
	;; [unrolled: 1-line block ×5, first 2 shown]
	v_min3_f32 v162, v93, v95, v110
	v_add_f64 v[95:96], v[8:9], v[40:41]
	v_add_f64 v[40:41], v[4:5], v[40:41]
	;; [unrolled: 1-line block ×4, first 2 shown]
	v_cvt_f32_f64_e32 v93, v[99:100]
	v_min3_f32 v204, v10, v11, v78
	v_cvt_f32_f64_e32 v95, v[95:96]
	v_cvt_f32_f64_e32 v39, v[40:41]
	;; [unrolled: 1-line block ×4, first 2 shown]
	v_min3_f32 v180, v93, v95, v111
	v_min3_f32 v183, v38, v39, v102
	;; [unrolled: 1-line block ×4, first 2 shown]
	ds_read_b128 v[6:9], v176 offset:256
	ds_read_b128 v[10:13], v176 offset:512
	;; [unrolled: 1-line block ×14, first 2 shown]
	ds_read_b128 v[97:100], v151
	ds_read_b128 v[34:37], v151 offset:16
	ds_read_b128 v[195:198], v176
	ds_read_b128 v[2:5], v176 offset:16
	s_waitcnt lgkmcnt(1)
	v_add_f64 v[101:102], v[197:198], v[99:100]
	v_add_f64 v[103:104], v[195:196], v[97:98]
	v_cvt_f32_f64_e32 v73, v[101:102]
	v_cvt_f32_f64_e32 v71, v[103:104]
	v_add_f64 v[101:102], v[8:9], v[99:100]
	v_add_f64 v[103:104], v[6:7], v[97:98]
	v_min3_f32 v129, v71, v73, v66
	v_cvt_f32_f64_e32 v71, v[101:102]
	v_cvt_f32_f64_e32 v66, v[103:104]
	v_add_f64 v[101:102], v[10:11], v[97:98]
	v_min3_f32 v128, v66, v71, v67
	v_add_f64 v[66:67], v[12:13], v[99:100]
	v_cvt_f32_f64_e32 v71, v[101:102]
	v_add_f64 v[101:102], v[14:15], v[97:98]
	v_cvt_f32_f64_e32 v66, v[66:67]
	v_min3_f32 v127, v71, v66, v68
	v_add_f64 v[66:67], v[16:17], v[99:100]
	v_cvt_f32_f64_e32 v68, v[101:102]
	v_cvt_f32_f64_e32 v66, v[66:67]
	v_min3_f32 v126, v68, v66, v69
	v_add_f64 v[66:67], v[20:21], v[99:100]
	v_add_f64 v[68:69], v[18:19], v[97:98]
	v_cvt_f32_f64_e32 v66, v[66:67]
	v_cvt_f32_f64_e32 v68, v[68:69]
	v_min3_f32 v125, v68, v66, v70
	v_add_f64 v[66:67], v[24:25], v[99:100]
	;; [unrolled: 5-line block ×11, first 2 shown]
	v_add_f64 v[64:65], v[26:27], v[38:39]
	v_add_f64 v[40:41], v[32:33], v[40:41]
	;; [unrolled: 1-line block ×3, first 2 shown]
	v_cvt_f32_f64_e32 v62, v[62:63]
	v_cvt_f32_f64_e32 v64, v[64:65]
	;; [unrolled: 1-line block ×4, first 2 shown]
	v_add_f64 v[40:41], v[195:196], v[93:94]
	v_min3_f32 v115, v64, v62, v79
	v_min3_f32 v114, v38, v39, v58
	v_add_f64 v[38:39], v[197:198], v[95:96]
	v_cvt_f32_f64_e32 v40, v[40:41]
	v_cvt_f32_f64_e32 v38, v[38:39]
	v_min3_f32 v113, v40, v38, v59
	v_add_f64 v[38:39], v[8:9], v[95:96]
	v_add_f64 v[40:41], v[6:7], v[93:94]
	v_cvt_f32_f64_e32 v38, v[38:39]
	v_cvt_f32_f64_e32 v40, v[40:41]
	v_min3_f32 v112, v40, v38, v60
	v_add_f64 v[38:39], v[12:13], v[95:96]
	v_add_f64 v[40:41], v[10:11], v[93:94]
	v_cvt_f32_f64_e32 v38, v[38:39]
	v_cvt_f32_f64_e32 v40, v[40:41]
	v_min3_f32 v111, v40, v38, v61
	v_add_f64 v[38:39], v[16:17], v[95:96]
	v_add_f64 v[40:41], v[14:15], v[93:94]
	v_cvt_f32_f64_e32 v38, v[38:39]
	v_cvt_f32_f64_e32 v40, v[40:41]
	v_min3_f32 v110, v40, v38, v80
	v_add_f64 v[38:39], v[20:21], v[95:96]
	v_add_f64 v[40:41], v[18:19], v[93:94]
	v_cvt_f32_f64_e32 v38, v[38:39]
	v_cvt_f32_f64_e32 v40, v[40:41]
	v_min3_f32 v109, v40, v38, v81
	v_add_f64 v[38:39], v[24:25], v[95:96]
	v_add_f64 v[40:41], v[22:23], v[93:94]
	v_cvt_f32_f64_e32 v38, v[38:39]
	v_cvt_f32_f64_e32 v40, v[40:41]
	v_min3_f32 v108, v40, v38, v83
	v_add_f64 v[38:39], v[28:29], v[95:96]
	v_add_f64 v[40:41], v[26:27], v[93:94]
	v_cvt_f32_f64_e32 v38, v[38:39]
	v_cvt_f32_f64_e32 v40, v[40:41]
	v_min3_f32 v107, v40, v38, v84
	v_add_f64 v[38:39], v[32:33], v[95:96]
	v_add_f64 v[40:41], v[30:31], v[93:94]
	v_cvt_f32_f64_e32 v38, v[38:39]
	v_cvt_f32_f64_e32 v40, v[40:41]
	v_min3_f32 v106, v40, v38, v54
	v_add_f64 v[38:39], v[197:198], v[165:166]
	v_add_f64 v[40:41], v[195:196], v[163:164]
	v_cvt_f32_f64_e32 v38, v[38:39]
	v_cvt_f32_f64_e32 v40, v[40:41]
	v_min3_f32 v105, v40, v38, v55
	v_add_f64 v[38:39], v[8:9], v[165:166]
	v_add_f64 v[40:41], v[6:7], v[163:164]
	v_cvt_f32_f64_e32 v38, v[38:39]
	v_cvt_f32_f64_e32 v40, v[40:41]
	v_min3_f32 v104, v40, v38, v56
	v_add_f64 v[38:39], v[12:13], v[165:166]
	v_add_f64 v[40:41], v[10:11], v[163:164]
	v_cvt_f32_f64_e32 v38, v[38:39]
	v_cvt_f32_f64_e32 v40, v[40:41]
	v_min3_f32 v103, v40, v38, v57
	v_add_f64 v[38:39], v[16:17], v[165:166]
	v_add_f64 v[40:41], v[14:15], v[163:164]
	v_cvt_f32_f64_e32 v38, v[38:39]
	v_cvt_f32_f64_e32 v40, v[40:41]
	v_min3_f32 v102, v40, v38, v85
	v_add_f64 v[38:39], v[20:21], v[165:166]
	v_add_f64 v[40:41], v[18:19], v[163:164]
	v_cvt_f32_f64_e32 v38, v[38:39]
	v_cvt_f32_f64_e32 v40, v[40:41]
	v_min3_f32 v101, v40, v38, v87
	v_add_f64 v[38:39], v[24:25], v[165:166]
	v_add_f64 v[40:41], v[22:23], v[163:164]
	v_cvt_f32_f64_e32 v38, v[38:39]
	v_cvt_f32_f64_e32 v40, v[40:41]
	v_min3_f32 v100, v40, v38, v88
	v_add_f64 v[38:39], v[28:29], v[165:166]
	v_add_f64 v[40:41], v[26:27], v[163:164]
	v_cvt_f32_f64_e32 v38, v[38:39]
	v_cvt_f32_f64_e32 v40, v[40:41]
	v_min3_f32 v99, v40, v38, v89
	v_add_f64 v[38:39], v[32:33], v[165:166]
	v_add_f64 v[40:41], v[30:31], v[163:164]
	v_cvt_f32_f64_e32 v38, v[38:39]
	v_cvt_f32_f64_e32 v40, v[40:41]
	v_min3_f32 v98, v40, v38, v50
	v_add_f64 v[38:39], v[197:198], v[169:170]
	v_add_f64 v[40:41], v[195:196], v[167:168]
	v_cvt_f32_f64_e32 v38, v[38:39]
	v_cvt_f32_f64_e32 v40, v[40:41]
	v_min3_f32 v97, v40, v38, v51
	v_add_f64 v[38:39], v[8:9], v[169:170]
	v_add_f64 v[40:41], v[6:7], v[167:168]
	v_cvt_f32_f64_e32 v38, v[38:39]
	v_cvt_f32_f64_e32 v40, v[40:41]
	v_min3_f32 v96, v40, v38, v52
	v_add_f64 v[38:39], v[12:13], v[169:170]
	v_add_f64 v[40:41], v[10:11], v[167:168]
	v_cvt_f32_f64_e32 v38, v[38:39]
	v_cvt_f32_f64_e32 v40, v[40:41]
	v_min3_f32 v95, v40, v38, v53
	v_add_f64 v[38:39], v[16:17], v[169:170]
	v_add_f64 v[40:41], v[14:15], v[167:168]
	v_cvt_f32_f64_e32 v38, v[38:39]
	v_cvt_f32_f64_e32 v40, v[40:41]
	v_min3_f32 v94, v40, v38, v91
	v_add_f64 v[38:39], v[20:21], v[169:170]
	v_add_f64 v[40:41], v[18:19], v[167:168]
	v_cvt_f32_f64_e32 v38, v[38:39]
	v_cvt_f32_f64_e32 v40, v[40:41]
	v_min3_f32 v93, v40, v38, v92
	v_add_f64 v[38:39], v[24:25], v[169:170]
	v_add_f64 v[40:41], v[22:23], v[167:168]
	v_cvt_f32_f64_e32 v38, v[38:39]
	v_cvt_f32_f64_e32 v40, v[40:41]
	v_min3_f32 v92, v40, v38, v154
	v_add_f64 v[38:39], v[28:29], v[169:170]
	v_add_f64 v[40:41], v[26:27], v[167:168]
	v_cvt_f32_f64_e32 v38, v[38:39]
	v_cvt_f32_f64_e32 v40, v[40:41]
	v_min3_f32 v91, v40, v38, v155
	v_add_f64 v[38:39], v[32:33], v[169:170]
	v_add_f64 v[40:41], v[30:31], v[167:168]
	s_waitcnt lgkmcnt(0)
	v_add_f64 v[154:155], v[4:5], v[36:37]
	v_cvt_f32_f64_e32 v38, v[38:39]
	v_cvt_f32_f64_e32 v40, v[40:41]
	;; [unrolled: 1-line block ×3, first 2 shown]
	v_min3_f32 v90, v40, v38, v46
	v_add_f64 v[38:39], v[197:198], v[173:174]
	v_add_f64 v[40:41], v[195:196], v[171:172]
	v_cvt_f32_f64_e32 v38, v[38:39]
	v_cvt_f32_f64_e32 v40, v[40:41]
	v_min3_f32 v89, v40, v38, v47
	v_add_f64 v[38:39], v[8:9], v[173:174]
	v_add_f64 v[40:41], v[6:7], v[171:172]
	v_cvt_f32_f64_e32 v38, v[38:39]
	v_cvt_f32_f64_e32 v40, v[40:41]
	;; [unrolled: 5-line block ×5, first 2 shown]
	v_min3_f32 v85, v40, v38, v157
	v_add_f64 v[38:39], v[24:25], v[173:174]
	v_add_f64 v[40:41], v[22:23], v[171:172]
	;; [unrolled: 1-line block ×3, first 2 shown]
	v_cvt_f32_f64_e32 v38, v[38:39]
	v_cvt_f32_f64_e32 v40, v[40:41]
	;; [unrolled: 1-line block ×3, first 2 shown]
	v_min3_f32 v84, v40, v38, v158
	v_add_f64 v[38:39], v[28:29], v[173:174]
	v_add_f64 v[40:41], v[26:27], v[171:172]
	v_min3_f32 v227, v156, v154, v129
	v_cvt_f32_f64_e32 v38, v[38:39]
	v_cvt_f32_f64_e32 v40, v[40:41]
	v_min3_f32 v83, v40, v38, v159
	v_add_f64 v[38:39], v[32:33], v[173:174]
	v_add_f64 v[40:41], v[30:31], v[171:172]
	v_cvt_f32_f64_e32 v38, v[38:39]
	v_cvt_f32_f64_e32 v40, v[40:41]
	v_min3_f32 v82, v40, v38, v42
	v_add_f64 v[38:39], v[197:198], v[189:190]
	v_add_f64 v[40:41], v[195:196], v[187:188]
	;; [unrolled: 5-line block ×3, first 2 shown]
	v_add_f64 v[8:9], v[8:9], v[193:194]
	v_add_f64 v[6:7], v[6:7], v[191:192]
	v_cvt_f32_f64_e32 v38, v[38:39]
	v_cvt_f32_f64_e32 v40, v[40:41]
	;; [unrolled: 1-line block ×4, first 2 shown]
	v_add_f64 v[8:9], v[10:11], v[191:192]
	v_min3_f32 v80, v40, v38, v44
	v_add_f64 v[38:39], v[12:13], v[189:190]
	v_add_f64 v[40:41], v[10:11], v[187:188]
	v_min3_f32 v72, v6, v7, v200
	v_add_f64 v[6:7], v[12:13], v[193:194]
	v_cvt_f32_f64_e32 v8, v[8:9]
	v_cvt_f32_f64_e32 v38, v[38:39]
	v_cvt_f32_f64_e32 v40, v[40:41]
	v_cvt_f32_f64_e32 v6, v[6:7]
	v_min3_f32 v79, v40, v38, v45
	v_add_f64 v[38:39], v[16:17], v[189:190]
	v_add_f64 v[40:41], v[14:15], v[187:188]
	v_min3_f32 v71, v8, v6, v201
	v_add_f64 v[6:7], v[16:17], v[193:194]
	v_add_f64 v[8:9], v[14:15], v[191:192]
	v_cvt_f32_f64_e32 v38, v[38:39]
	v_cvt_f32_f64_e32 v40, v[40:41]
	v_cvt_f32_f64_e32 v6, v[6:7]
	v_cvt_f32_f64_e32 v8, v[8:9]
	v_min3_f32 v78, v40, v38, v160
	v_add_f64 v[38:39], v[20:21], v[189:190]
	v_add_f64 v[40:41], v[18:19], v[187:188]
	v_min3_f32 v70, v8, v6, v202
	v_add_f64 v[6:7], v[20:21], v[193:194]
	;; [unrolled: 10-line block ×5, first 2 shown]
	v_add_f64 v[8:9], v[30:31], v[191:192]
	v_cvt_f32_f64_e32 v38, v[38:39]
	v_cvt_f32_f64_e32 v40, v[40:41]
	;; [unrolled: 1-line block ×4, first 2 shown]
	v_min3_f32 v74, v40, v38, v183
	v_add_f64 v[38:39], v[197:198], v[193:194]
	v_add_f64 v[40:41], v[195:196], v[191:192]
	v_min3_f32 v66, v8, v6, v206
	v_cvt_f32_f64_e32 v38, v[38:39]
	v_cvt_f32_f64_e32 v40, v[40:41]
	v_min3_f32 v73, v40, v38, v199
	ds_read_b128 v[22:25], v176 offset:272
	ds_read_b128 v[18:21], v176 offset:528
	;; [unrolled: 1-line block ×14, first 2 shown]
	s_waitcnt vmcnt(0)
	ds_write_b64 v177, v[144:145]
	ds_write2st64_b64 v178, v[140:141], v[142:143] offset1:4
	ds_write2st64_b64 v178, v[146:147], v[148:149] offset0:8 offset1:12
	s_waitcnt lgkmcnt(0)
	s_barrier
	buffer_gl0_inv
	v_add_f64 v[154:155], v[24:25], v[36:37]
	v_add_f64 v[156:157], v[22:23], v[34:35]
	v_cvt_f32_f64_e32 v154, v[154:155]
	v_cvt_f32_f64_e32 v129, v[156:157]
	v_min3_f32 v226, v129, v154, v128
	v_add_f64 v[128:129], v[20:21], v[36:37]
	v_add_f64 v[154:155], v[18:19], v[34:35]
	v_cvt_f32_f64_e32 v128, v[128:129]
	v_cvt_f32_f64_e32 v154, v[154:155]
	v_min3_f32 v225, v154, v128, v127
	;; [unrolled: 5-line block ×5, first 2 shown]
	v_add_f64 v[124:125], v[32:33], v[36:37]
	v_add_f64 v[126:127], v[30:31], v[34:35]
	;; [unrolled: 1-line block ×4, first 2 shown]
	v_cvt_f32_f64_e32 v124, v[124:125]
	v_cvt_f32_f64_e32 v126, v[126:127]
	;; [unrolled: 1-line block ×4, first 2 shown]
	v_add_f64 v[36:37], v[2:3], v[62:63]
	v_min3_f32 v221, v126, v124, v123
	v_min3_f32 v220, v34, v35, v122
	v_add_f64 v[34:35], v[4:5], v[64:65]
	v_cvt_f32_f64_e32 v36, v[36:37]
	v_cvt_f32_f64_e32 v34, v[34:35]
	v_min3_f32 v219, v36, v34, v121
	v_add_f64 v[34:35], v[24:25], v[64:65]
	v_add_f64 v[36:37], v[22:23], v[62:63]
	v_cvt_f32_f64_e32 v34, v[34:35]
	v_cvt_f32_f64_e32 v36, v[36:37]
	v_min3_f32 v218, v36, v34, v120
	v_add_f64 v[34:35], v[20:21], v[64:65]
	;; [unrolled: 5-line block ×40, first 2 shown]
	v_add_f64 v[36:37], v[2:3], v[42:43]
	v_add_f64 v[4:5], v[4:5], v[40:41]
	;; [unrolled: 1-line block ×3, first 2 shown]
	v_cvt_f32_f64_e32 v34, v[34:35]
	v_cvt_f32_f64_e32 v36, v[36:37]
	;; [unrolled: 1-line block ×4, first 2 shown]
	v_add_f64 v[4:5], v[22:23], v[38:39]
	v_min3_f32 v169, v36, v34, v81
	v_add_f64 v[34:35], v[24:25], v[44:45]
	v_add_f64 v[36:37], v[22:23], v[42:43]
	v_min3_f32 v161, v2, v3, v73
	v_add_f64 v[2:3], v[24:25], v[40:41]
	v_cvt_f32_f64_e32 v4, v[4:5]
	v_cvt_f32_f64_e32 v34, v[34:35]
	v_cvt_f32_f64_e32 v36, v[36:37]
	v_cvt_f32_f64_e32 v2, v[2:3]
	v_min3_f32 v168, v36, v34, v80
	v_add_f64 v[34:35], v[20:21], v[44:45]
	v_add_f64 v[36:37], v[18:19], v[42:43]
	v_min3_f32 v160, v4, v2, v72
	v_add_f64 v[2:3], v[20:21], v[40:41]
	v_add_f64 v[4:5], v[18:19], v[38:39]
	v_cvt_f32_f64_e32 v34, v[34:35]
	v_cvt_f32_f64_e32 v36, v[36:37]
	v_cvt_f32_f64_e32 v2, v[2:3]
	v_cvt_f32_f64_e32 v4, v[4:5]
	v_min3_f32 v167, v36, v34, v79
	v_add_f64 v[34:35], v[16:17], v[44:45]
	v_add_f64 v[36:37], v[14:15], v[42:43]
	v_min3_f32 v159, v4, v2, v71
	v_add_f64 v[2:3], v[16:17], v[40:41]
	;; [unrolled: 10-line block ×6, first 2 shown]
	v_add_f64 v[4:5], v[26:27], v[38:39]
	v_cvt_f32_f64_e32 v34, v[34:35]
	v_cvt_f32_f64_e32 v36, v[36:37]
	v_cvt_f32_f64_e32 v2, v[2:3]
	v_cvt_f32_f64_e32 v4, v[4:5]
	v_min3_f32 v162, v36, v34, v74
	v_min3_f32 v154, v4, v2, v66
	s_cbranch_scc1 .LBB121_51
.LBB121_31:                             ; =>This Inner Loop Header: Depth=1
	v_add_nc_u32_e32 v228, s22, v150
	v_mov_b32_e32 v141, v139
	v_mov_b32_e32 v140, v138
	v_add_nc_u32_e32 v2, 8, v228
	v_cmp_le_i32_e64 s6, s14, v2
	s_nor_b32 s7, vcc_lo, s6
	s_and_saveexec_b32 s23, s7
	s_cbranch_execz .LBB121_33
; %bb.32:                               ;   in Loop: Header=BB121_31 Depth=1
	v_add_co_u32 v2, s7, v179, v130
	v_add_co_ci_u32_e64 v3, null, v181, v131, s7
	flat_load_dwordx2 v[140:141], v[2:3]
.LBB121_33:                             ;   in Loop: Header=BB121_31 Depth=1
	s_or_b32 exec_lo, exec_lo, s23
	v_mov_b32_e32 v143, v139
	v_mov_b32_e32 v142, v138
	s_nor_b32 s7, s0, s6
	s_and_saveexec_b32 s23, s7
	s_cbranch_execz .LBB121_35
; %bb.34:                               ;   in Loop: Header=BB121_31 Depth=1
	v_add_co_u32 v2, s7, v185, v132
	v_add_co_ci_u32_e64 v3, null, v186, v133, s7
	flat_load_dwordx2 v[142:143], v[2:3]
.LBB121_35:                             ;   in Loop: Header=BB121_31 Depth=1
	s_or_b32 exec_lo, exec_lo, s23
	v_mov_b32_e32 v145, v139
	v_mov_b32_e32 v144, v138
	s_nor_b32 s7, s1, s6
	s_and_saveexec_b32 s23, s7
	s_cbranch_execz .LBB121_37
; %bb.36:                               ;   in Loop: Header=BB121_31 Depth=1
	v_add_co_u32 v2, s7, v185, v132
	v_add_co_ci_u32_e64 v3, null, v186, v133, s7
	flat_load_dwordx2 v[144:145], v[2:3] offset:512
.LBB121_37:                             ;   in Loop: Header=BB121_31 Depth=1
	s_or_b32 exec_lo, exec_lo, s23
	v_mov_b32_e32 v147, v139
	v_mov_b32_e32 v146, v138
	s_nor_b32 s7, s2, s6
	s_and_saveexec_b32 s23, s7
	s_cbranch_execz .LBB121_39
; %bb.38:                               ;   in Loop: Header=BB121_31 Depth=1
	v_add_co_u32 v2, s7, v185, v132
	v_add_co_ci_u32_e64 v3, null, v186, v133, s7
	flat_load_dwordx2 v[146:147], v[2:3] offset:1024
.LBB121_39:                             ;   in Loop: Header=BB121_31 Depth=1
	s_or_b32 exec_lo, exec_lo, s23
	v_mov_b32_e32 v149, v139
	v_mov_b32_e32 v148, v138
	s_nor_b32 s6, s3, s6
	s_and_saveexec_b32 s7, s6
	s_cbranch_execz .LBB121_41
; %bb.40:                               ;   in Loop: Header=BB121_31 Depth=1
	v_add_co_u32 v2, s6, v185, v132
	v_add_co_ci_u32_e64 v3, null, v186, v133, s6
	flat_load_dwordx2 v[148:149], v[2:3] offset:1536
.LBB121_41:                             ;   in Loop: Header=BB121_31 Depth=1
	s_or_b32 exec_lo, exec_lo, s7
	ds_read_b128 v[126:129], v184
	ds_read_b128 v[62:65], v184 offset:16
	ds_read_b128 v[98:101], v182
	ds_read_b128 v[34:37], v182 offset:16
	ds_read_b128 v[94:97], v182 offset:256
	;; [unrolled: 1-line block ×29, first 2 shown]
	v_add_nc_u32_e32 v228, 12, v228
	s_waitcnt vmcnt(0) lgkmcnt(32)
	ds_write_b64 v175, v[140:141]
	ds_write2st64_b64 v153, v[142:143], v[144:145] offset1:4
	v_mov_b32_e32 v145, v139
	v_mov_b32_e32 v144, v138
	ds_write2st64_b64 v153, v[146:147], v[148:149] offset0:8 offset1:12
	v_cmp_le_i32_e64 s6, s14, v228
	s_waitcnt lgkmcnt(0)
	s_barrier
	buffer_gl0_inv
	s_nor_b32 s7, vcc_lo, s6
	s_and_saveexec_b32 s23, s7
	s_cbranch_execz .LBB121_43
; %bb.42:                               ;   in Loop: Header=BB121_31 Depth=1
	v_add_co_u32 v140, s7, v179, v136
	v_add_co_ci_u32_e64 v141, null, v181, v137, s7
	flat_load_dwordx2 v[144:145], v[140:141]
.LBB121_43:                             ;   in Loop: Header=BB121_31 Depth=1
	s_or_b32 exec_lo, exec_lo, s23
	v_mov_b32_e32 v141, v139
	v_mov_b32_e32 v140, v138
	s_nor_b32 s7, s0, s6
	s_and_saveexec_b32 s23, s7
	s_cbranch_execz .LBB121_45
; %bb.44:                               ;   in Loop: Header=BB121_31 Depth=1
	v_add_co_u32 v140, s7, v185, v134
	v_add_co_ci_u32_e64 v141, null, v186, v135, s7
	flat_load_dwordx2 v[140:141], v[140:141]
.LBB121_45:                             ;   in Loop: Header=BB121_31 Depth=1
	s_or_b32 exec_lo, exec_lo, s23
	v_mov_b32_e32 v143, v139
	v_mov_b32_e32 v142, v138
	s_nor_b32 s7, s1, s6
	s_and_saveexec_b32 s23, s7
	s_cbranch_execz .LBB121_47
; %bb.46:                               ;   in Loop: Header=BB121_31 Depth=1
	v_add_co_u32 v142, s7, v185, v134
	v_add_co_ci_u32_e64 v143, null, v186, v135, s7
	flat_load_dwordx2 v[142:143], v[142:143] offset:512
.LBB121_47:                             ;   in Loop: Header=BB121_31 Depth=1
	s_or_b32 exec_lo, exec_lo, s23
	v_mov_b32_e32 v147, v139
	v_mov_b32_e32 v146, v138
	s_nor_b32 s7, s2, s6
	s_and_saveexec_b32 s23, s7
	s_cbranch_execz .LBB121_49
; %bb.48:                               ;   in Loop: Header=BB121_31 Depth=1
	v_add_co_u32 v146, s7, v185, v134
	v_add_co_ci_u32_e64 v147, null, v186, v135, s7
	flat_load_dwordx2 v[146:147], v[146:147] offset:1024
.LBB121_49:                             ;   in Loop: Header=BB121_31 Depth=1
	s_or_b32 exec_lo, exec_lo, s23
	v_mov_b32_e32 v149, v139
	v_mov_b32_e32 v148, v138
	s_nor_b32 s6, s3, s6
	s_and_saveexec_b32 s7, s6
	s_cbranch_execz .LBB121_30
; %bb.50:                               ;   in Loop: Header=BB121_31 Depth=1
	v_add_co_u32 v148, s6, v185, v134
	v_add_co_ci_u32_e64 v149, null, v186, v135, s6
	flat_load_dwordx2 v[148:149], v[148:149] offset:1536
	s_branch .LBB121_30
.LBB121_51:
	s_clause 0x2
	s_load_dwordx2 s[0:1], s[4:5], 0x78
	s_load_dword s18, s[4:5], 0x58
	s_load_dword s14, s[4:5], 0x70
	ds_read_b128 v[70:73], v152 offset:18432
	ds_read_b128 v[66:69], v152 offset:18448
	;; [unrolled: 1-line block ×17, first 2 shown]
	v_add_nc_u32_e32 v145, s27, v1
	ds_read_b128 v[2:5], v152 offset:20240
	ds_read_b128 v[118:121], v151 offset:9216
	;; [unrolled: 1-line block ×15, first 2 shown]
	v_add_nc_u32_e32 v0, s15, v0
	v_cndmask_b32_e64 v144, 0, 1, s26
	v_ashrrev_i32_e32 v1, 31, v0
	s_waitcnt lgkmcnt(0)
	s_lshl_b64 s[0:1], s[0:1], 3
	v_mad_i64_i32 v[130:131], null, v145, s18, 0
	v_mad_i64_i32 v[132:133], null, v145, s14, 0
	s_add_u32 s19, s8, s0
	s_addc_u32 s9, s9, s1
	v_cmp_gt_i32_e64 s0, s12, v0
	v_cmp_gt_i32_e64 s8, s13, v145
	v_lshlrev_b64 v[130:131], 3, v[130:131]
	v_lshlrev_b64 v[132:133], 3, v[132:133]
	s_and_b32 s2, s0, s8
	v_add_co_u32 v148, vcc_lo, s16, v130
	v_add_co_ci_u32_e64 v149, null, s17, v131, vcc_lo
	v_add_co_u32 v146, vcc_lo, s19, v132
	v_add_co_ci_u32_e64 v147, null, s9, v133, vcc_lo
	s_and_saveexec_b32 s1, s2
	s_cbranch_execz .LBB121_56
; %bb.52:
	s_andn2_b32 vcc_lo, exec_lo, s26
	s_cbranch_vccnz .LBB121_54
; %bb.53:
	v_lshlrev_b64 v[130:131], 3, v[0:1]
	v_add_co_u32 v130, vcc_lo, v148, v130
	v_add_co_ci_u32_e64 v131, null, v149, v131, vcc_lo
	flat_load_dwordx2 v[130:131], v[130:131]
	s_waitcnt vmcnt(0) lgkmcnt(0)
	v_mul_f64 v[130:131], s[10:11], v[130:131]
	v_cvt_f32_f64_e32 v130, v[130:131]
	s_branch .LBB121_55
.LBB121_54:
	v_mov_b32_e32 v130, 0
.LBB121_55:
	v_add_f64 v[131:132], v[70:71], v[126:127]
	v_add_f64 v[133:134], v[72:73], v[128:129]
	;; [unrolled: 1-line block ×4, first 2 shown]
	v_cvt_f32_f64_e32 v131, v[131:132]
	v_cvt_f32_f64_e32 v132, v[133:134]
	;; [unrolled: 1-line block ×4, first 2 shown]
	v_min3_f32 v131, v131, v132, v227
	v_min_f32_e32 v132, v133, v134
	v_min3_f32 v130, v130, v132, v131
	v_lshlrev_b64 v[132:133], 3, v[0:1]
	v_cvt_f64_f32_e32 v[130:131], v130
	v_add_co_u32 v132, vcc_lo, v146, v132
	v_add_co_ci_u32_e64 v133, null, v147, v133, vcc_lo
	flat_store_dwordx2 v[132:133], v[130:131]
.LBB121_56:
	s_or_b32 exec_lo, exec_lo, s1
	v_add_nc_u32_e32 v130, 8, v0
	v_cmp_gt_i32_e64 s1, s12, v130
	v_ashrrev_i32_e32 v131, 31, v130
	s_and_b32 s3, s1, s8
	s_and_saveexec_b32 s2, s3
	s_cbranch_execz .LBB121_61
; %bb.57:
	v_cmp_ne_u32_e32 vcc_lo, 1, v144
	s_cbranch_vccnz .LBB121_59
; %bb.58:
	v_lshlrev_b64 v[132:133], 3, v[130:131]
	v_add_co_u32 v132, vcc_lo, v148, v132
	v_add_co_ci_u32_e64 v133, null, v149, v133, vcc_lo
	flat_load_dwordx2 v[132:133], v[132:133]
	s_waitcnt vmcnt(0) lgkmcnt(0)
	v_mul_f64 v[132:133], s[10:11], v[132:133]
	v_cvt_f32_f64_e32 v132, v[132:133]
	s_branch .LBB121_60
.LBB121_59:
	v_mov_b32_e32 v132, 0
.LBB121_60:
	v_add_f64 v[133:134], v[62:63], v[126:127]
	v_add_f64 v[135:136], v[64:65], v[128:129]
	v_add_f64 v[137:138], v[58:59], v[122:123]
	v_add_f64 v[139:140], v[60:61], v[124:125]
	v_cvt_f32_f64_e32 v133, v[133:134]
	v_cvt_f32_f64_e32 v134, v[135:136]
	v_cvt_f32_f64_e32 v135, v[137:138]
	v_cvt_f32_f64_e32 v136, v[139:140]
	v_min3_f32 v133, v133, v134, v226
	v_min_f32_e32 v134, v135, v136
	v_min3_f32 v132, v132, v134, v133
	v_lshlrev_b64 v[134:135], 3, v[130:131]
	v_cvt_f64_f32_e32 v[132:133], v132
	v_add_co_u32 v134, vcc_lo, v146, v134
	v_add_co_ci_u32_e64 v135, null, v147, v135, vcc_lo
	flat_store_dwordx2 v[134:135], v[132:133]
.LBB121_61:
	s_or_b32 exec_lo, exec_lo, s2
	v_add_nc_u32_e32 v132, 16, v0
	v_cmp_gt_i32_e64 s2, s12, v132
	v_ashrrev_i32_e32 v133, 31, v132
	s_and_b32 s4, s2, s8
	s_and_saveexec_b32 s3, s4
	s_cbranch_execz .LBB121_66
; %bb.62:
	v_cmp_ne_u32_e32 vcc_lo, 1, v144
	s_cbranch_vccnz .LBB121_64
; %bb.63:
	v_lshlrev_b64 v[134:135], 3, v[132:133]
	v_add_co_u32 v134, vcc_lo, v148, v134
	v_add_co_ci_u32_e64 v135, null, v149, v135, vcc_lo
	flat_load_dwordx2 v[134:135], v[134:135]
	s_waitcnt vmcnt(0) lgkmcnt(0)
	v_mul_f64 v[134:135], s[10:11], v[134:135]
	v_cvt_f32_f64_e32 v134, v[134:135]
	s_branch .LBB121_65
.LBB121_64:
	v_mov_b32_e32 v134, 0
.LBB121_65:
	v_add_f64 v[135:136], v[54:55], v[126:127]
	v_add_f64 v[137:138], v[56:57], v[128:129]
	v_add_f64 v[139:140], v[50:51], v[122:123]
	v_add_f64 v[141:142], v[52:53], v[124:125]
	v_cvt_f32_f64_e32 v135, v[135:136]
	v_cvt_f32_f64_e32 v136, v[137:138]
	v_cvt_f32_f64_e32 v137, v[139:140]
	v_cvt_f32_f64_e32 v138, v[141:142]
	v_min3_f32 v135, v135, v136, v225
	v_min_f32_e32 v136, v137, v138
	v_min3_f32 v134, v134, v136, v135
	v_lshlrev_b64 v[136:137], 3, v[132:133]
	v_cvt_f64_f32_e32 v[134:135], v134
	v_add_co_u32 v136, vcc_lo, v146, v136
	v_add_co_ci_u32_e64 v137, null, v147, v137, vcc_lo
	flat_store_dwordx2 v[136:137], v[134:135]
.LBB121_66:
	;; [unrolled: 39-line block ×7, first 2 shown]
	s_or_b32 exec_lo, exec_lo, s8
	v_add_nc_u32_e32 v126, 32, v145
	v_mad_i64_i32 v[122:123], null, v126, s18, 0
	v_mad_i64_i32 v[124:125], null, v126, s14, 0
	v_cmp_gt_i32_e64 s8, s13, v126
	v_lshlrev_b64 v[122:123], 3, v[122:123]
	s_and_b32 s15, s0, s8
	v_lshlrev_b64 v[126:127], 3, v[124:125]
	v_add_co_u32 v124, vcc_lo, s16, v122
	v_add_co_ci_u32_e64 v125, null, s17, v123, vcc_lo
	v_add_co_u32 v122, vcc_lo, s19, v126
	v_add_co_ci_u32_e64 v123, null, s9, v127, vcc_lo
	s_and_saveexec_b32 s12, s15
	s_cbranch_execnz .LBB121_99
; %bb.92:
	s_or_b32 exec_lo, exec_lo, s12
	s_and_b32 s15, s1, s8
	s_and_saveexec_b32 s12, s15
	s_cbranch_execnz .LBB121_103
.LBB121_93:
	s_or_b32 exec_lo, exec_lo, s12
	s_and_b32 s15, s2, s8
	s_and_saveexec_b32 s12, s15
	s_cbranch_execnz .LBB121_107
.LBB121_94:
	s_or_b32 exec_lo, exec_lo, s12
	s_and_b32 s15, s3, s8
	s_and_saveexec_b32 s12, s15
	s_cbranch_execnz .LBB121_111
.LBB121_95:
	s_or_b32 exec_lo, exec_lo, s12
	s_and_b32 s15, s4, s8
	s_and_saveexec_b32 s12, s15
	s_cbranch_execnz .LBB121_115
.LBB121_96:
	s_or_b32 exec_lo, exec_lo, s12
	s_and_b32 s15, s5, s8
	s_and_saveexec_b32 s12, s15
	s_cbranch_execnz .LBB121_119
.LBB121_97:
	s_or_b32 exec_lo, exec_lo, s12
	s_and_b32 s15, s6, s8
	s_and_saveexec_b32 s12, s15
	s_cbranch_execnz .LBB121_123
.LBB121_98:
	s_or_b32 exec_lo, exec_lo, s12
	s_and_b32 s12, s7, s8
	s_and_saveexec_b32 s8, s12
	s_cbranch_execnz .LBB121_127
	s_branch .LBB121_131
.LBB121_99:
	v_cmp_ne_u32_e32 vcc_lo, 1, v144
	s_cbranch_vccnz .LBB121_101
; %bb.100:
	v_lshlrev_b64 v[126:127], 3, v[0:1]
	v_add_co_u32 v126, vcc_lo, v124, v126
	v_add_co_ci_u32_e64 v127, null, v125, v127, vcc_lo
	flat_load_dwordx2 v[126:127], v[126:127]
	s_waitcnt vmcnt(0) lgkmcnt(0)
	v_mul_f64 v[126:127], s[10:11], v[126:127]
	v_cvt_f32_f64_e32 v126, v[126:127]
	s_branch .LBB121_102
.LBB121_101:
	v_mov_b32_e32 v126, 0
.LBB121_102:
	v_add_f64 v[127:128], v[70:71], v[118:119]
	v_add_f64 v[146:147], v[72:73], v[120:121]
	;; [unrolled: 1-line block ×4, first 2 shown]
	v_cvt_f32_f64_e32 v127, v[127:128]
	v_cvt_f32_f64_e32 v128, v[146:147]
	;; [unrolled: 1-line block ×4, first 2 shown]
	v_min3_f32 v127, v127, v128, v219
	v_min_f32_e32 v128, v129, v146
	v_min3_f32 v126, v126, v128, v127
	v_lshlrev_b64 v[128:129], 3, v[0:1]
	v_cvt_f64_f32_e32 v[126:127], v126
	v_add_co_u32 v128, vcc_lo, v122, v128
	v_add_co_ci_u32_e64 v129, null, v123, v129, vcc_lo
	flat_store_dwordx2 v[128:129], v[126:127]
	s_or_b32 exec_lo, exec_lo, s12
	s_and_b32 s15, s1, s8
	s_and_saveexec_b32 s12, s15
	s_cbranch_execz .LBB121_93
.LBB121_103:
	v_cmp_ne_u32_e32 vcc_lo, 1, v144
	s_cbranch_vccnz .LBB121_105
; %bb.104:
	v_lshlrev_b64 v[126:127], 3, v[130:131]
	v_add_co_u32 v126, vcc_lo, v124, v126
	v_add_co_ci_u32_e64 v127, null, v125, v127, vcc_lo
	flat_load_dwordx2 v[126:127], v[126:127]
	s_waitcnt vmcnt(0) lgkmcnt(0)
	v_mul_f64 v[126:127], s[10:11], v[126:127]
	v_cvt_f32_f64_e32 v126, v[126:127]
	s_branch .LBB121_106
.LBB121_105:
	v_mov_b32_e32 v126, 0
.LBB121_106:
	v_add_f64 v[127:128], v[62:63], v[118:119]
	v_add_f64 v[146:147], v[64:65], v[120:121]
	;; [unrolled: 1-line block ×4, first 2 shown]
	v_cvt_f32_f64_e32 v127, v[127:128]
	v_cvt_f32_f64_e32 v128, v[146:147]
	;; [unrolled: 1-line block ×4, first 2 shown]
	v_min3_f32 v127, v127, v128, v218
	v_min_f32_e32 v128, v129, v146
	v_min3_f32 v126, v126, v128, v127
	v_lshlrev_b64 v[128:129], 3, v[130:131]
	v_cvt_f64_f32_e32 v[126:127], v126
	v_add_co_u32 v128, vcc_lo, v122, v128
	v_add_co_ci_u32_e64 v129, null, v123, v129, vcc_lo
	flat_store_dwordx2 v[128:129], v[126:127]
	s_or_b32 exec_lo, exec_lo, s12
	s_and_b32 s15, s2, s8
	s_and_saveexec_b32 s12, s15
	s_cbranch_execz .LBB121_94
.LBB121_107:
	v_cmp_ne_u32_e32 vcc_lo, 1, v144
	s_cbranch_vccnz .LBB121_109
; %bb.108:
	v_lshlrev_b64 v[126:127], 3, v[132:133]
	v_add_co_u32 v126, vcc_lo, v124, v126
	v_add_co_ci_u32_e64 v127, null, v125, v127, vcc_lo
	flat_load_dwordx2 v[126:127], v[126:127]
	s_waitcnt vmcnt(0) lgkmcnt(0)
	v_mul_f64 v[126:127], s[10:11], v[126:127]
	v_cvt_f32_f64_e32 v126, v[126:127]
	s_branch .LBB121_110
.LBB121_109:
	v_mov_b32_e32 v126, 0
.LBB121_110:
	v_add_f64 v[127:128], v[54:55], v[118:119]
	v_add_f64 v[146:147], v[56:57], v[120:121]
	;; [unrolled: 1-line block ×4, first 2 shown]
	v_cvt_f32_f64_e32 v127, v[127:128]
	v_cvt_f32_f64_e32 v128, v[146:147]
	;; [unrolled: 1-line block ×4, first 2 shown]
	v_min3_f32 v127, v127, v128, v217
	v_min_f32_e32 v128, v129, v146
	v_min3_f32 v126, v126, v128, v127
	v_lshlrev_b64 v[128:129], 3, v[132:133]
	v_cvt_f64_f32_e32 v[126:127], v126
	v_add_co_u32 v128, vcc_lo, v122, v128
	v_add_co_ci_u32_e64 v129, null, v123, v129, vcc_lo
	flat_store_dwordx2 v[128:129], v[126:127]
	s_or_b32 exec_lo, exec_lo, s12
	s_and_b32 s15, s3, s8
	s_and_saveexec_b32 s12, s15
	s_cbranch_execz .LBB121_95
.LBB121_111:
	v_cmp_ne_u32_e32 vcc_lo, 1, v144
	s_cbranch_vccnz .LBB121_113
; %bb.112:
	v_lshlrev_b64 v[126:127], 3, v[134:135]
	v_add_co_u32 v126, vcc_lo, v124, v126
	v_add_co_ci_u32_e64 v127, null, v125, v127, vcc_lo
	flat_load_dwordx2 v[126:127], v[126:127]
	s_waitcnt vmcnt(0) lgkmcnt(0)
	v_mul_f64 v[126:127], s[10:11], v[126:127]
	v_cvt_f32_f64_e32 v126, v[126:127]
	s_branch .LBB121_114
.LBB121_113:
	v_mov_b32_e32 v126, 0
.LBB121_114:
	v_add_f64 v[127:128], v[46:47], v[118:119]
	v_add_f64 v[146:147], v[48:49], v[120:121]
	;; [unrolled: 1-line block ×4, first 2 shown]
	v_cvt_f32_f64_e32 v127, v[127:128]
	v_cvt_f32_f64_e32 v128, v[146:147]
	;; [unrolled: 1-line block ×4, first 2 shown]
	v_min3_f32 v127, v127, v128, v216
	v_min_f32_e32 v128, v129, v146
	v_min3_f32 v126, v126, v128, v127
	v_lshlrev_b64 v[128:129], 3, v[134:135]
	v_cvt_f64_f32_e32 v[126:127], v126
	v_add_co_u32 v128, vcc_lo, v122, v128
	v_add_co_ci_u32_e64 v129, null, v123, v129, vcc_lo
	flat_store_dwordx2 v[128:129], v[126:127]
	s_or_b32 exec_lo, exec_lo, s12
	s_and_b32 s15, s4, s8
	s_and_saveexec_b32 s12, s15
	s_cbranch_execz .LBB121_96
.LBB121_115:
	v_cmp_ne_u32_e32 vcc_lo, 1, v144
	s_cbranch_vccnz .LBB121_117
; %bb.116:
	v_lshlrev_b64 v[126:127], 3, v[136:137]
	v_add_co_u32 v126, vcc_lo, v124, v126
	v_add_co_ci_u32_e64 v127, null, v125, v127, vcc_lo
	flat_load_dwordx2 v[126:127], v[126:127]
	s_waitcnt vmcnt(0) lgkmcnt(0)
	v_mul_f64 v[126:127], s[10:11], v[126:127]
	v_cvt_f32_f64_e32 v126, v[126:127]
	s_branch .LBB121_118
.LBB121_117:
	v_mov_b32_e32 v126, 0
.LBB121_118:
	v_add_f64 v[127:128], v[38:39], v[118:119]
	v_add_f64 v[146:147], v[40:41], v[120:121]
	;; [unrolled: 1-line block ×4, first 2 shown]
	v_cvt_f32_f64_e32 v127, v[127:128]
	v_cvt_f32_f64_e32 v128, v[146:147]
	;; [unrolled: 1-line block ×4, first 2 shown]
	v_min3_f32 v127, v127, v128, v215
	v_min_f32_e32 v128, v129, v146
	v_min3_f32 v126, v126, v128, v127
	v_lshlrev_b64 v[128:129], 3, v[136:137]
	v_cvt_f64_f32_e32 v[126:127], v126
	v_add_co_u32 v128, vcc_lo, v122, v128
	v_add_co_ci_u32_e64 v129, null, v123, v129, vcc_lo
	flat_store_dwordx2 v[128:129], v[126:127]
	s_or_b32 exec_lo, exec_lo, s12
	s_and_b32 s15, s5, s8
	s_and_saveexec_b32 s12, s15
	s_cbranch_execz .LBB121_97
.LBB121_119:
	v_cmp_ne_u32_e32 vcc_lo, 1, v144
	s_cbranch_vccnz .LBB121_121
; %bb.120:
	v_lshlrev_b64 v[126:127], 3, v[138:139]
	v_add_co_u32 v126, vcc_lo, v124, v126
	v_add_co_ci_u32_e64 v127, null, v125, v127, vcc_lo
	flat_load_dwordx2 v[126:127], v[126:127]
	s_waitcnt vmcnt(0) lgkmcnt(0)
	v_mul_f64 v[126:127], s[10:11], v[126:127]
	v_cvt_f32_f64_e32 v126, v[126:127]
	s_branch .LBB121_122
.LBB121_121:
	v_mov_b32_e32 v126, 0
.LBB121_122:
	v_add_f64 v[127:128], v[30:31], v[118:119]
	v_add_f64 v[146:147], v[32:33], v[120:121]
	;; [unrolled: 1-line block ×4, first 2 shown]
	v_cvt_f32_f64_e32 v127, v[127:128]
	v_cvt_f32_f64_e32 v128, v[146:147]
	;; [unrolled: 1-line block ×4, first 2 shown]
	v_min3_f32 v127, v127, v128, v214
	v_min_f32_e32 v128, v129, v146
	v_min3_f32 v126, v126, v128, v127
	v_lshlrev_b64 v[128:129], 3, v[138:139]
	v_cvt_f64_f32_e32 v[126:127], v126
	v_add_co_u32 v128, vcc_lo, v122, v128
	v_add_co_ci_u32_e64 v129, null, v123, v129, vcc_lo
	flat_store_dwordx2 v[128:129], v[126:127]
	s_or_b32 exec_lo, exec_lo, s12
	s_and_b32 s15, s6, s8
	s_and_saveexec_b32 s12, s15
	s_cbranch_execz .LBB121_98
.LBB121_123:
	v_cmp_ne_u32_e32 vcc_lo, 1, v144
	s_cbranch_vccnz .LBB121_125
; %bb.124:
	v_lshlrev_b64 v[126:127], 3, v[140:141]
	v_add_co_u32 v126, vcc_lo, v124, v126
	v_add_co_ci_u32_e64 v127, null, v125, v127, vcc_lo
	flat_load_dwordx2 v[126:127], v[126:127]
	s_waitcnt vmcnt(0) lgkmcnt(0)
	v_mul_f64 v[126:127], s[10:11], v[126:127]
	v_cvt_f32_f64_e32 v126, v[126:127]
	s_branch .LBB121_126
.LBB121_125:
	v_mov_b32_e32 v126, 0
.LBB121_126:
	v_add_f64 v[127:128], v[22:23], v[118:119]
	v_add_f64 v[146:147], v[24:25], v[120:121]
	;; [unrolled: 1-line block ×4, first 2 shown]
	v_cvt_f32_f64_e32 v127, v[127:128]
	v_cvt_f32_f64_e32 v128, v[146:147]
	;; [unrolled: 1-line block ×4, first 2 shown]
	v_min3_f32 v127, v127, v128, v213
	v_min_f32_e32 v128, v129, v146
	v_min3_f32 v126, v126, v128, v127
	v_lshlrev_b64 v[128:129], 3, v[140:141]
	v_cvt_f64_f32_e32 v[126:127], v126
	v_add_co_u32 v128, vcc_lo, v122, v128
	v_add_co_ci_u32_e64 v129, null, v123, v129, vcc_lo
	flat_store_dwordx2 v[128:129], v[126:127]
	s_or_b32 exec_lo, exec_lo, s12
	s_and_b32 s12, s7, s8
	s_and_saveexec_b32 s8, s12
	s_cbranch_execz .LBB121_131
.LBB121_127:
	v_cmp_ne_u32_e32 vcc_lo, 1, v144
	s_cbranch_vccnz .LBB121_129
; %bb.128:
	v_lshlrev_b64 v[126:127], 3, v[142:143]
	v_add_co_u32 v124, vcc_lo, v124, v126
	v_add_co_ci_u32_e64 v125, null, v125, v127, vcc_lo
	flat_load_dwordx2 v[124:125], v[124:125]
	s_waitcnt vmcnt(0) lgkmcnt(0)
	v_mul_f64 v[124:125], s[10:11], v[124:125]
	v_cvt_f32_f64_e32 v124, v[124:125]
	s_branch .LBB121_130
.LBB121_129:
	v_mov_b32_e32 v124, 0
.LBB121_130:
	v_add_f64 v[118:119], v[6:7], v[118:119]
	v_add_f64 v[120:121], v[8:9], v[120:121]
	;; [unrolled: 1-line block ×4, first 2 shown]
	v_cvt_f32_f64_e32 v118, v[118:119]
	v_cvt_f32_f64_e32 v119, v[120:121]
	;; [unrolled: 1-line block ×4, first 2 shown]
	v_min3_f32 v116, v118, v119, v212
	v_min_f32_e32 v114, v114, v115
	v_min3_f32 v114, v124, v114, v116
	v_lshlrev_b64 v[116:117], 3, v[142:143]
	v_cvt_f64_f32_e32 v[114:115], v114
	v_add_co_u32 v116, vcc_lo, v122, v116
	v_add_co_ci_u32_e64 v117, null, v123, v117, vcc_lo
	flat_store_dwordx2 v[116:117], v[114:115]
.LBB121_131:
	s_or_b32 exec_lo, exec_lo, s8
	v_add_nc_u32_e32 v118, 64, v145
	v_mad_i64_i32 v[114:115], null, v118, s18, 0
	v_mad_i64_i32 v[116:117], null, v118, s14, 0
	v_cmp_gt_i32_e64 s8, s13, v118
	v_lshlrev_b64 v[114:115], 3, v[114:115]
	s_and_b32 s15, s0, s8
	v_lshlrev_b64 v[118:119], 3, v[116:117]
	v_add_co_u32 v116, vcc_lo, s16, v114
	v_add_co_ci_u32_e64 v117, null, s17, v115, vcc_lo
	v_add_co_u32 v114, vcc_lo, s19, v118
	v_add_co_ci_u32_e64 v115, null, s9, v119, vcc_lo
	s_and_saveexec_b32 s12, s15
	s_cbranch_execnz .LBB121_139
; %bb.132:
	s_or_b32 exec_lo, exec_lo, s12
	s_and_b32 s15, s1, s8
	s_and_saveexec_b32 s12, s15
	s_cbranch_execnz .LBB121_143
.LBB121_133:
	s_or_b32 exec_lo, exec_lo, s12
	s_and_b32 s15, s2, s8
	s_and_saveexec_b32 s12, s15
	s_cbranch_execnz .LBB121_147
.LBB121_134:
	s_or_b32 exec_lo, exec_lo, s12
	s_and_b32 s15, s3, s8
	s_and_saveexec_b32 s12, s15
	s_cbranch_execnz .LBB121_151
.LBB121_135:
	s_or_b32 exec_lo, exec_lo, s12
	s_and_b32 s15, s4, s8
	s_and_saveexec_b32 s12, s15
	s_cbranch_execnz .LBB121_155
.LBB121_136:
	s_or_b32 exec_lo, exec_lo, s12
	s_and_b32 s15, s5, s8
	s_and_saveexec_b32 s12, s15
	s_cbranch_execnz .LBB121_159
.LBB121_137:
	s_or_b32 exec_lo, exec_lo, s12
	s_and_b32 s15, s6, s8
	s_and_saveexec_b32 s12, s15
	s_cbranch_execnz .LBB121_163
.LBB121_138:
	s_or_b32 exec_lo, exec_lo, s12
	s_and_b32 s12, s7, s8
	s_and_saveexec_b32 s8, s12
	s_cbranch_execnz .LBB121_167
	s_branch .LBB121_171
.LBB121_139:
	v_cmp_ne_u32_e32 vcc_lo, 1, v144
	s_cbranch_vccnz .LBB121_141
; %bb.140:
	v_lshlrev_b64 v[118:119], 3, v[0:1]
	v_add_co_u32 v118, vcc_lo, v116, v118
	v_add_co_ci_u32_e64 v119, null, v117, v119, vcc_lo
	flat_load_dwordx2 v[118:119], v[118:119]
	s_waitcnt vmcnt(0) lgkmcnt(0)
	v_mul_f64 v[118:119], s[10:11], v[118:119]
	v_cvt_f32_f64_e32 v118, v[118:119]
	s_branch .LBB121_142
.LBB121_141:
	v_mov_b32_e32 v118, 0
.LBB121_142:
	v_add_f64 v[119:120], v[70:71], v[110:111]
	v_add_f64 v[121:122], v[72:73], v[112:113]
	;; [unrolled: 1-line block ×4, first 2 shown]
	v_cvt_f32_f64_e32 v119, v[119:120]
	v_cvt_f32_f64_e32 v120, v[121:122]
	;; [unrolled: 1-line block ×4, first 2 shown]
	v_min3_f32 v119, v119, v120, v211
	v_min_f32_e32 v120, v121, v122
	v_min3_f32 v118, v118, v120, v119
	v_lshlrev_b64 v[120:121], 3, v[0:1]
	v_cvt_f64_f32_e32 v[118:119], v118
	v_add_co_u32 v120, vcc_lo, v114, v120
	v_add_co_ci_u32_e64 v121, null, v115, v121, vcc_lo
	flat_store_dwordx2 v[120:121], v[118:119]
	s_or_b32 exec_lo, exec_lo, s12
	s_and_b32 s15, s1, s8
	s_and_saveexec_b32 s12, s15
	s_cbranch_execz .LBB121_133
.LBB121_143:
	v_cmp_ne_u32_e32 vcc_lo, 1, v144
	s_cbranch_vccnz .LBB121_145
; %bb.144:
	v_lshlrev_b64 v[118:119], 3, v[130:131]
	v_add_co_u32 v118, vcc_lo, v116, v118
	v_add_co_ci_u32_e64 v119, null, v117, v119, vcc_lo
	flat_load_dwordx2 v[118:119], v[118:119]
	s_waitcnt vmcnt(0) lgkmcnt(0)
	v_mul_f64 v[118:119], s[10:11], v[118:119]
	v_cvt_f32_f64_e32 v118, v[118:119]
	s_branch .LBB121_146
.LBB121_145:
	v_mov_b32_e32 v118, 0
.LBB121_146:
	v_add_f64 v[119:120], v[62:63], v[110:111]
	v_add_f64 v[121:122], v[64:65], v[112:113]
	;; [unrolled: 1-line block ×4, first 2 shown]
	v_cvt_f32_f64_e32 v119, v[119:120]
	v_cvt_f32_f64_e32 v120, v[121:122]
	;; [unrolled: 1-line block ×4, first 2 shown]
	v_min3_f32 v119, v119, v120, v210
	v_min_f32_e32 v120, v121, v122
	v_min3_f32 v118, v118, v120, v119
	v_lshlrev_b64 v[120:121], 3, v[130:131]
	v_cvt_f64_f32_e32 v[118:119], v118
	v_add_co_u32 v120, vcc_lo, v114, v120
	v_add_co_ci_u32_e64 v121, null, v115, v121, vcc_lo
	flat_store_dwordx2 v[120:121], v[118:119]
	s_or_b32 exec_lo, exec_lo, s12
	s_and_b32 s15, s2, s8
	s_and_saveexec_b32 s12, s15
	s_cbranch_execz .LBB121_134
.LBB121_147:
	v_cmp_ne_u32_e32 vcc_lo, 1, v144
	s_cbranch_vccnz .LBB121_149
; %bb.148:
	v_lshlrev_b64 v[118:119], 3, v[132:133]
	v_add_co_u32 v118, vcc_lo, v116, v118
	v_add_co_ci_u32_e64 v119, null, v117, v119, vcc_lo
	flat_load_dwordx2 v[118:119], v[118:119]
	s_waitcnt vmcnt(0) lgkmcnt(0)
	v_mul_f64 v[118:119], s[10:11], v[118:119]
	v_cvt_f32_f64_e32 v118, v[118:119]
	s_branch .LBB121_150
.LBB121_149:
	v_mov_b32_e32 v118, 0
.LBB121_150:
	v_add_f64 v[119:120], v[54:55], v[110:111]
	v_add_f64 v[121:122], v[56:57], v[112:113]
	;; [unrolled: 1-line block ×4, first 2 shown]
	v_cvt_f32_f64_e32 v119, v[119:120]
	v_cvt_f32_f64_e32 v120, v[121:122]
	;; [unrolled: 1-line block ×4, first 2 shown]
	v_min3_f32 v119, v119, v120, v209
	v_min_f32_e32 v120, v121, v122
	v_min3_f32 v118, v118, v120, v119
	v_lshlrev_b64 v[120:121], 3, v[132:133]
	v_cvt_f64_f32_e32 v[118:119], v118
	v_add_co_u32 v120, vcc_lo, v114, v120
	v_add_co_ci_u32_e64 v121, null, v115, v121, vcc_lo
	flat_store_dwordx2 v[120:121], v[118:119]
	s_or_b32 exec_lo, exec_lo, s12
	s_and_b32 s15, s3, s8
	s_and_saveexec_b32 s12, s15
	s_cbranch_execz .LBB121_135
.LBB121_151:
	v_cmp_ne_u32_e32 vcc_lo, 1, v144
	s_cbranch_vccnz .LBB121_153
; %bb.152:
	v_lshlrev_b64 v[118:119], 3, v[134:135]
	v_add_co_u32 v118, vcc_lo, v116, v118
	v_add_co_ci_u32_e64 v119, null, v117, v119, vcc_lo
	flat_load_dwordx2 v[118:119], v[118:119]
	s_waitcnt vmcnt(0) lgkmcnt(0)
	v_mul_f64 v[118:119], s[10:11], v[118:119]
	v_cvt_f32_f64_e32 v118, v[118:119]
	s_branch .LBB121_154
.LBB121_153:
	v_mov_b32_e32 v118, 0
.LBB121_154:
	v_add_f64 v[119:120], v[46:47], v[110:111]
	v_add_f64 v[121:122], v[48:49], v[112:113]
	;; [unrolled: 1-line block ×4, first 2 shown]
	v_cvt_f32_f64_e32 v119, v[119:120]
	v_cvt_f32_f64_e32 v120, v[121:122]
	;; [unrolled: 1-line block ×4, first 2 shown]
	v_min3_f32 v119, v119, v120, v208
	v_min_f32_e32 v120, v121, v122
	v_min3_f32 v118, v118, v120, v119
	v_lshlrev_b64 v[120:121], 3, v[134:135]
	v_cvt_f64_f32_e32 v[118:119], v118
	v_add_co_u32 v120, vcc_lo, v114, v120
	v_add_co_ci_u32_e64 v121, null, v115, v121, vcc_lo
	flat_store_dwordx2 v[120:121], v[118:119]
	s_or_b32 exec_lo, exec_lo, s12
	s_and_b32 s15, s4, s8
	s_and_saveexec_b32 s12, s15
	s_cbranch_execz .LBB121_136
.LBB121_155:
	v_cmp_ne_u32_e32 vcc_lo, 1, v144
	s_cbranch_vccnz .LBB121_157
; %bb.156:
	v_lshlrev_b64 v[118:119], 3, v[136:137]
	v_add_co_u32 v118, vcc_lo, v116, v118
	v_add_co_ci_u32_e64 v119, null, v117, v119, vcc_lo
	flat_load_dwordx2 v[118:119], v[118:119]
	s_waitcnt vmcnt(0) lgkmcnt(0)
	v_mul_f64 v[118:119], s[10:11], v[118:119]
	v_cvt_f32_f64_e32 v118, v[118:119]
	s_branch .LBB121_158
.LBB121_157:
	v_mov_b32_e32 v118, 0
.LBB121_158:
	v_add_f64 v[119:120], v[38:39], v[110:111]
	v_add_f64 v[121:122], v[40:41], v[112:113]
	;; [unrolled: 1-line block ×4, first 2 shown]
	v_cvt_f32_f64_e32 v119, v[119:120]
	v_cvt_f32_f64_e32 v120, v[121:122]
	v_cvt_f32_f64_e32 v121, v[123:124]
	v_cvt_f32_f64_e32 v122, v[125:126]
	v_min3_f32 v119, v119, v120, v207
	v_min_f32_e32 v120, v121, v122
	v_min3_f32 v118, v118, v120, v119
	v_lshlrev_b64 v[120:121], 3, v[136:137]
	v_cvt_f64_f32_e32 v[118:119], v118
	v_add_co_u32 v120, vcc_lo, v114, v120
	v_add_co_ci_u32_e64 v121, null, v115, v121, vcc_lo
	flat_store_dwordx2 v[120:121], v[118:119]
	s_or_b32 exec_lo, exec_lo, s12
	s_and_b32 s15, s5, s8
	s_and_saveexec_b32 s12, s15
	s_cbranch_execz .LBB121_137
.LBB121_159:
	v_cmp_ne_u32_e32 vcc_lo, 1, v144
	s_cbranch_vccnz .LBB121_161
; %bb.160:
	v_lshlrev_b64 v[118:119], 3, v[138:139]
	v_add_co_u32 v118, vcc_lo, v116, v118
	v_add_co_ci_u32_e64 v119, null, v117, v119, vcc_lo
	flat_load_dwordx2 v[118:119], v[118:119]
	s_waitcnt vmcnt(0) lgkmcnt(0)
	v_mul_f64 v[118:119], s[10:11], v[118:119]
	v_cvt_f32_f64_e32 v118, v[118:119]
	s_branch .LBB121_162
.LBB121_161:
	v_mov_b32_e32 v118, 0
.LBB121_162:
	v_add_f64 v[119:120], v[30:31], v[110:111]
	v_add_f64 v[121:122], v[32:33], v[112:113]
	;; [unrolled: 1-line block ×4, first 2 shown]
	v_cvt_f32_f64_e32 v119, v[119:120]
	v_cvt_f32_f64_e32 v120, v[121:122]
	;; [unrolled: 1-line block ×4, first 2 shown]
	v_min3_f32 v119, v119, v120, v206
	v_min_f32_e32 v120, v121, v122
	v_min3_f32 v118, v118, v120, v119
	v_lshlrev_b64 v[120:121], 3, v[138:139]
	v_cvt_f64_f32_e32 v[118:119], v118
	v_add_co_u32 v120, vcc_lo, v114, v120
	v_add_co_ci_u32_e64 v121, null, v115, v121, vcc_lo
	flat_store_dwordx2 v[120:121], v[118:119]
	s_or_b32 exec_lo, exec_lo, s12
	s_and_b32 s15, s6, s8
	s_and_saveexec_b32 s12, s15
	s_cbranch_execz .LBB121_138
.LBB121_163:
	v_cmp_ne_u32_e32 vcc_lo, 1, v144
	s_cbranch_vccnz .LBB121_165
; %bb.164:
	v_lshlrev_b64 v[118:119], 3, v[140:141]
	v_add_co_u32 v118, vcc_lo, v116, v118
	v_add_co_ci_u32_e64 v119, null, v117, v119, vcc_lo
	flat_load_dwordx2 v[118:119], v[118:119]
	s_waitcnt vmcnt(0) lgkmcnt(0)
	v_mul_f64 v[118:119], s[10:11], v[118:119]
	v_cvt_f32_f64_e32 v118, v[118:119]
	s_branch .LBB121_166
.LBB121_165:
	v_mov_b32_e32 v118, 0
.LBB121_166:
	v_add_f64 v[119:120], v[22:23], v[110:111]
	v_add_f64 v[121:122], v[24:25], v[112:113]
	;; [unrolled: 1-line block ×4, first 2 shown]
	v_cvt_f32_f64_e32 v119, v[119:120]
	v_cvt_f32_f64_e32 v120, v[121:122]
	v_cvt_f32_f64_e32 v121, v[123:124]
	v_cvt_f32_f64_e32 v122, v[125:126]
	v_min3_f32 v119, v119, v120, v205
	v_min_f32_e32 v120, v121, v122
	v_min3_f32 v118, v118, v120, v119
	v_lshlrev_b64 v[120:121], 3, v[140:141]
	v_cvt_f64_f32_e32 v[118:119], v118
	v_add_co_u32 v120, vcc_lo, v114, v120
	v_add_co_ci_u32_e64 v121, null, v115, v121, vcc_lo
	flat_store_dwordx2 v[120:121], v[118:119]
	s_or_b32 exec_lo, exec_lo, s12
	s_and_b32 s12, s7, s8
	s_and_saveexec_b32 s8, s12
	s_cbranch_execz .LBB121_171
.LBB121_167:
	v_cmp_ne_u32_e32 vcc_lo, 1, v144
	s_cbranch_vccnz .LBB121_169
; %bb.168:
	v_lshlrev_b64 v[118:119], 3, v[142:143]
	v_add_co_u32 v116, vcc_lo, v116, v118
	v_add_co_ci_u32_e64 v117, null, v117, v119, vcc_lo
	flat_load_dwordx2 v[116:117], v[116:117]
	s_waitcnt vmcnt(0) lgkmcnt(0)
	v_mul_f64 v[116:117], s[10:11], v[116:117]
	v_cvt_f32_f64_e32 v116, v[116:117]
	s_branch .LBB121_170
.LBB121_169:
	v_mov_b32_e32 v116, 0
.LBB121_170:
	v_add_f64 v[110:111], v[6:7], v[110:111]
	v_add_f64 v[112:113], v[8:9], v[112:113]
	;; [unrolled: 1-line block ×4, first 2 shown]
	v_cvt_f32_f64_e32 v110, v[110:111]
	v_cvt_f32_f64_e32 v111, v[112:113]
	;; [unrolled: 1-line block ×4, first 2 shown]
	v_min3_f32 v108, v110, v111, v204
	v_min_f32_e32 v106, v106, v107
	v_min3_f32 v106, v116, v106, v108
	v_lshlrev_b64 v[108:109], 3, v[142:143]
	v_cvt_f64_f32_e32 v[106:107], v106
	v_add_co_u32 v108, vcc_lo, v114, v108
	v_add_co_ci_u32_e64 v109, null, v115, v109, vcc_lo
	flat_store_dwordx2 v[108:109], v[106:107]
.LBB121_171:
	s_or_b32 exec_lo, exec_lo, s8
	v_add_nc_u32_e32 v110, 0x60, v145
	v_mad_i64_i32 v[106:107], null, v110, s18, 0
	v_mad_i64_i32 v[108:109], null, v110, s14, 0
	v_cmp_gt_i32_e64 s8, s13, v110
	v_lshlrev_b64 v[106:107], 3, v[106:107]
	s_and_b32 s15, s0, s8
	v_lshlrev_b64 v[110:111], 3, v[108:109]
	v_add_co_u32 v108, vcc_lo, s16, v106
	v_add_co_ci_u32_e64 v109, null, s17, v107, vcc_lo
	v_add_co_u32 v106, vcc_lo, s19, v110
	v_add_co_ci_u32_e64 v107, null, s9, v111, vcc_lo
	s_and_saveexec_b32 s12, s15
	s_cbranch_execnz .LBB121_179
; %bb.172:
	s_or_b32 exec_lo, exec_lo, s12
	s_and_b32 s15, s1, s8
	s_and_saveexec_b32 s12, s15
	s_cbranch_execnz .LBB121_183
.LBB121_173:
	s_or_b32 exec_lo, exec_lo, s12
	s_and_b32 s15, s2, s8
	s_and_saveexec_b32 s12, s15
	s_cbranch_execnz .LBB121_187
.LBB121_174:
	s_or_b32 exec_lo, exec_lo, s12
	s_and_b32 s15, s3, s8
	s_and_saveexec_b32 s12, s15
	s_cbranch_execnz .LBB121_191
.LBB121_175:
	s_or_b32 exec_lo, exec_lo, s12
	s_and_b32 s15, s4, s8
	s_and_saveexec_b32 s12, s15
	s_cbranch_execnz .LBB121_195
.LBB121_176:
	s_or_b32 exec_lo, exec_lo, s12
	s_and_b32 s15, s5, s8
	s_and_saveexec_b32 s12, s15
	s_cbranch_execnz .LBB121_199
.LBB121_177:
	s_or_b32 exec_lo, exec_lo, s12
	s_and_b32 s15, s6, s8
	s_and_saveexec_b32 s12, s15
	s_cbranch_execnz .LBB121_203
.LBB121_178:
	s_or_b32 exec_lo, exec_lo, s12
	s_and_b32 s12, s7, s8
	s_and_saveexec_b32 s8, s12
	s_cbranch_execnz .LBB121_207
	s_branch .LBB121_211
.LBB121_179:
	v_cmp_ne_u32_e32 vcc_lo, 1, v144
	s_cbranch_vccnz .LBB121_181
; %bb.180:
	v_lshlrev_b64 v[110:111], 3, v[0:1]
	v_add_co_u32 v110, vcc_lo, v108, v110
	v_add_co_ci_u32_e64 v111, null, v109, v111, vcc_lo
	flat_load_dwordx2 v[110:111], v[110:111]
	s_waitcnt vmcnt(0) lgkmcnt(0)
	v_mul_f64 v[110:111], s[10:11], v[110:111]
	v_cvt_f32_f64_e32 v110, v[110:111]
	s_branch .LBB121_182
.LBB121_181:
	v_mov_b32_e32 v110, 0
.LBB121_182:
	v_add_f64 v[111:112], v[70:71], v[102:103]
	v_add_f64 v[113:114], v[72:73], v[104:105]
	;; [unrolled: 1-line block ×4, first 2 shown]
	v_cvt_f32_f64_e32 v111, v[111:112]
	v_cvt_f32_f64_e32 v112, v[113:114]
	;; [unrolled: 1-line block ×4, first 2 shown]
	v_min3_f32 v111, v111, v112, v203
	v_min_f32_e32 v112, v113, v114
	v_min3_f32 v110, v110, v112, v111
	v_lshlrev_b64 v[112:113], 3, v[0:1]
	v_cvt_f64_f32_e32 v[110:111], v110
	v_add_co_u32 v112, vcc_lo, v106, v112
	v_add_co_ci_u32_e64 v113, null, v107, v113, vcc_lo
	flat_store_dwordx2 v[112:113], v[110:111]
	s_or_b32 exec_lo, exec_lo, s12
	s_and_b32 s15, s1, s8
	s_and_saveexec_b32 s12, s15
	s_cbranch_execz .LBB121_173
.LBB121_183:
	v_cmp_ne_u32_e32 vcc_lo, 1, v144
	s_cbranch_vccnz .LBB121_185
; %bb.184:
	v_lshlrev_b64 v[110:111], 3, v[130:131]
	v_add_co_u32 v110, vcc_lo, v108, v110
	v_add_co_ci_u32_e64 v111, null, v109, v111, vcc_lo
	flat_load_dwordx2 v[110:111], v[110:111]
	s_waitcnt vmcnt(0) lgkmcnt(0)
	v_mul_f64 v[110:111], s[10:11], v[110:111]
	v_cvt_f32_f64_e32 v110, v[110:111]
	s_branch .LBB121_186
.LBB121_185:
	v_mov_b32_e32 v110, 0
.LBB121_186:
	v_add_f64 v[111:112], v[62:63], v[102:103]
	v_add_f64 v[113:114], v[64:65], v[104:105]
	v_add_f64 v[115:116], v[58:59], v[98:99]
	v_add_f64 v[117:118], v[60:61], v[100:101]
	v_cvt_f32_f64_e32 v111, v[111:112]
	v_cvt_f32_f64_e32 v112, v[113:114]
	v_cvt_f32_f64_e32 v113, v[115:116]
	v_cvt_f32_f64_e32 v114, v[117:118]
	v_min3_f32 v111, v111, v112, v202
	v_min_f32_e32 v112, v113, v114
	v_min3_f32 v110, v110, v112, v111
	v_lshlrev_b64 v[112:113], 3, v[130:131]
	v_cvt_f64_f32_e32 v[110:111], v110
	v_add_co_u32 v112, vcc_lo, v106, v112
	v_add_co_ci_u32_e64 v113, null, v107, v113, vcc_lo
	flat_store_dwordx2 v[112:113], v[110:111]
	s_or_b32 exec_lo, exec_lo, s12
	s_and_b32 s15, s2, s8
	s_and_saveexec_b32 s12, s15
	s_cbranch_execz .LBB121_174
.LBB121_187:
	v_cmp_ne_u32_e32 vcc_lo, 1, v144
	s_cbranch_vccnz .LBB121_189
; %bb.188:
	v_lshlrev_b64 v[110:111], 3, v[132:133]
	v_add_co_u32 v110, vcc_lo, v108, v110
	v_add_co_ci_u32_e64 v111, null, v109, v111, vcc_lo
	flat_load_dwordx2 v[110:111], v[110:111]
	s_waitcnt vmcnt(0) lgkmcnt(0)
	v_mul_f64 v[110:111], s[10:11], v[110:111]
	v_cvt_f32_f64_e32 v110, v[110:111]
	s_branch .LBB121_190
.LBB121_189:
	v_mov_b32_e32 v110, 0
.LBB121_190:
	v_add_f64 v[111:112], v[54:55], v[102:103]
	v_add_f64 v[113:114], v[56:57], v[104:105]
	;; [unrolled: 1-line block ×4, first 2 shown]
	v_cvt_f32_f64_e32 v111, v[111:112]
	v_cvt_f32_f64_e32 v112, v[113:114]
	;; [unrolled: 1-line block ×4, first 2 shown]
	v_min3_f32 v111, v111, v112, v201
	v_min_f32_e32 v112, v113, v114
	v_min3_f32 v110, v110, v112, v111
	v_lshlrev_b64 v[112:113], 3, v[132:133]
	v_cvt_f64_f32_e32 v[110:111], v110
	v_add_co_u32 v112, vcc_lo, v106, v112
	v_add_co_ci_u32_e64 v113, null, v107, v113, vcc_lo
	flat_store_dwordx2 v[112:113], v[110:111]
	s_or_b32 exec_lo, exec_lo, s12
	s_and_b32 s15, s3, s8
	s_and_saveexec_b32 s12, s15
	s_cbranch_execz .LBB121_175
.LBB121_191:
	v_cmp_ne_u32_e32 vcc_lo, 1, v144
	s_cbranch_vccnz .LBB121_193
; %bb.192:
	v_lshlrev_b64 v[110:111], 3, v[134:135]
	v_add_co_u32 v110, vcc_lo, v108, v110
	v_add_co_ci_u32_e64 v111, null, v109, v111, vcc_lo
	flat_load_dwordx2 v[110:111], v[110:111]
	s_waitcnt vmcnt(0) lgkmcnt(0)
	v_mul_f64 v[110:111], s[10:11], v[110:111]
	v_cvt_f32_f64_e32 v110, v[110:111]
	s_branch .LBB121_194
.LBB121_193:
	v_mov_b32_e32 v110, 0
.LBB121_194:
	v_add_f64 v[111:112], v[46:47], v[102:103]
	v_add_f64 v[113:114], v[48:49], v[104:105]
	;; [unrolled: 1-line block ×4, first 2 shown]
	v_cvt_f32_f64_e32 v111, v[111:112]
	v_cvt_f32_f64_e32 v112, v[113:114]
	;; [unrolled: 1-line block ×4, first 2 shown]
	v_min3_f32 v111, v111, v112, v200
	v_min_f32_e32 v112, v113, v114
	v_min3_f32 v110, v110, v112, v111
	v_lshlrev_b64 v[112:113], 3, v[134:135]
	v_cvt_f64_f32_e32 v[110:111], v110
	v_add_co_u32 v112, vcc_lo, v106, v112
	v_add_co_ci_u32_e64 v113, null, v107, v113, vcc_lo
	flat_store_dwordx2 v[112:113], v[110:111]
	s_or_b32 exec_lo, exec_lo, s12
	s_and_b32 s15, s4, s8
	s_and_saveexec_b32 s12, s15
	s_cbranch_execz .LBB121_176
.LBB121_195:
	v_cmp_ne_u32_e32 vcc_lo, 1, v144
	s_cbranch_vccnz .LBB121_197
; %bb.196:
	v_lshlrev_b64 v[110:111], 3, v[136:137]
	v_add_co_u32 v110, vcc_lo, v108, v110
	v_add_co_ci_u32_e64 v111, null, v109, v111, vcc_lo
	flat_load_dwordx2 v[110:111], v[110:111]
	s_waitcnt vmcnt(0) lgkmcnt(0)
	v_mul_f64 v[110:111], s[10:11], v[110:111]
	v_cvt_f32_f64_e32 v110, v[110:111]
	s_branch .LBB121_198
.LBB121_197:
	v_mov_b32_e32 v110, 0
.LBB121_198:
	v_add_f64 v[111:112], v[38:39], v[102:103]
	v_add_f64 v[113:114], v[40:41], v[104:105]
	;; [unrolled: 1-line block ×4, first 2 shown]
	v_cvt_f32_f64_e32 v111, v[111:112]
	v_cvt_f32_f64_e32 v112, v[113:114]
	;; [unrolled: 1-line block ×4, first 2 shown]
	v_min3_f32 v111, v111, v112, v199
	v_min_f32_e32 v112, v113, v114
	v_min3_f32 v110, v110, v112, v111
	v_lshlrev_b64 v[112:113], 3, v[136:137]
	v_cvt_f64_f32_e32 v[110:111], v110
	v_add_co_u32 v112, vcc_lo, v106, v112
	v_add_co_ci_u32_e64 v113, null, v107, v113, vcc_lo
	flat_store_dwordx2 v[112:113], v[110:111]
	s_or_b32 exec_lo, exec_lo, s12
	s_and_b32 s15, s5, s8
	s_and_saveexec_b32 s12, s15
	s_cbranch_execz .LBB121_177
.LBB121_199:
	v_cmp_ne_u32_e32 vcc_lo, 1, v144
	s_cbranch_vccnz .LBB121_201
; %bb.200:
	v_lshlrev_b64 v[110:111], 3, v[138:139]
	v_add_co_u32 v110, vcc_lo, v108, v110
	v_add_co_ci_u32_e64 v111, null, v109, v111, vcc_lo
	flat_load_dwordx2 v[110:111], v[110:111]
	s_waitcnt vmcnt(0) lgkmcnt(0)
	v_mul_f64 v[110:111], s[10:11], v[110:111]
	v_cvt_f32_f64_e32 v110, v[110:111]
	s_branch .LBB121_202
.LBB121_201:
	v_mov_b32_e32 v110, 0
.LBB121_202:
	v_add_f64 v[111:112], v[30:31], v[102:103]
	v_add_f64 v[113:114], v[32:33], v[104:105]
	;; [unrolled: 1-line block ×4, first 2 shown]
	v_cvt_f32_f64_e32 v111, v[111:112]
	v_cvt_f32_f64_e32 v112, v[113:114]
	;; [unrolled: 1-line block ×4, first 2 shown]
	v_min3_f32 v111, v111, v112, v198
	v_min_f32_e32 v112, v113, v114
	v_min3_f32 v110, v110, v112, v111
	v_lshlrev_b64 v[112:113], 3, v[138:139]
	v_cvt_f64_f32_e32 v[110:111], v110
	v_add_co_u32 v112, vcc_lo, v106, v112
	v_add_co_ci_u32_e64 v113, null, v107, v113, vcc_lo
	flat_store_dwordx2 v[112:113], v[110:111]
	s_or_b32 exec_lo, exec_lo, s12
	s_and_b32 s15, s6, s8
	s_and_saveexec_b32 s12, s15
	s_cbranch_execz .LBB121_178
.LBB121_203:
	v_cmp_ne_u32_e32 vcc_lo, 1, v144
	s_cbranch_vccnz .LBB121_205
; %bb.204:
	v_lshlrev_b64 v[110:111], 3, v[140:141]
	v_add_co_u32 v110, vcc_lo, v108, v110
	v_add_co_ci_u32_e64 v111, null, v109, v111, vcc_lo
	flat_load_dwordx2 v[110:111], v[110:111]
	s_waitcnt vmcnt(0) lgkmcnt(0)
	v_mul_f64 v[110:111], s[10:11], v[110:111]
	v_cvt_f32_f64_e32 v110, v[110:111]
	s_branch .LBB121_206
.LBB121_205:
	v_mov_b32_e32 v110, 0
.LBB121_206:
	v_add_f64 v[111:112], v[22:23], v[102:103]
	v_add_f64 v[113:114], v[24:25], v[104:105]
	;; [unrolled: 1-line block ×4, first 2 shown]
	v_cvt_f32_f64_e32 v111, v[111:112]
	v_cvt_f32_f64_e32 v112, v[113:114]
	;; [unrolled: 1-line block ×4, first 2 shown]
	v_min3_f32 v111, v111, v112, v197
	v_min_f32_e32 v112, v113, v114
	v_min3_f32 v110, v110, v112, v111
	v_lshlrev_b64 v[112:113], 3, v[140:141]
	v_cvt_f64_f32_e32 v[110:111], v110
	v_add_co_u32 v112, vcc_lo, v106, v112
	v_add_co_ci_u32_e64 v113, null, v107, v113, vcc_lo
	flat_store_dwordx2 v[112:113], v[110:111]
	s_or_b32 exec_lo, exec_lo, s12
	s_and_b32 s12, s7, s8
	s_and_saveexec_b32 s8, s12
	s_cbranch_execz .LBB121_211
.LBB121_207:
	v_cmp_ne_u32_e32 vcc_lo, 1, v144
	s_cbranch_vccnz .LBB121_209
; %bb.208:
	v_lshlrev_b64 v[110:111], 3, v[142:143]
	v_add_co_u32 v108, vcc_lo, v108, v110
	v_add_co_ci_u32_e64 v109, null, v109, v111, vcc_lo
	flat_load_dwordx2 v[108:109], v[108:109]
	s_waitcnt vmcnt(0) lgkmcnt(0)
	v_mul_f64 v[108:109], s[10:11], v[108:109]
	v_cvt_f32_f64_e32 v108, v[108:109]
	s_branch .LBB121_210
.LBB121_209:
	v_mov_b32_e32 v108, 0
.LBB121_210:
	v_add_f64 v[102:103], v[6:7], v[102:103]
	v_add_f64 v[104:105], v[8:9], v[104:105]
	;; [unrolled: 1-line block ×4, first 2 shown]
	v_cvt_f32_f64_e32 v102, v[102:103]
	v_cvt_f32_f64_e32 v103, v[104:105]
	;; [unrolled: 1-line block ×4, first 2 shown]
	v_min3_f32 v100, v102, v103, v196
	v_min_f32_e32 v98, v98, v99
	v_min3_f32 v98, v108, v98, v100
	v_lshlrev_b64 v[100:101], 3, v[142:143]
	v_cvt_f64_f32_e32 v[98:99], v98
	v_add_co_u32 v100, vcc_lo, v106, v100
	v_add_co_ci_u32_e64 v101, null, v107, v101, vcc_lo
	flat_store_dwordx2 v[100:101], v[98:99]
.LBB121_211:
	s_or_b32 exec_lo, exec_lo, s8
	v_add_nc_u32_e32 v102, 0x80, v145
	v_mad_i64_i32 v[98:99], null, v102, s18, 0
	v_mad_i64_i32 v[100:101], null, v102, s14, 0
	v_cmp_gt_i32_e64 s8, s13, v102
	v_lshlrev_b64 v[98:99], 3, v[98:99]
	s_and_b32 s15, s0, s8
	v_lshlrev_b64 v[102:103], 3, v[100:101]
	v_add_co_u32 v100, vcc_lo, s16, v98
	v_add_co_ci_u32_e64 v101, null, s17, v99, vcc_lo
	v_add_co_u32 v98, vcc_lo, s19, v102
	v_add_co_ci_u32_e64 v99, null, s9, v103, vcc_lo
	s_and_saveexec_b32 s12, s15
	s_cbranch_execnz .LBB121_219
; %bb.212:
	s_or_b32 exec_lo, exec_lo, s12
	s_and_b32 s15, s1, s8
	s_and_saveexec_b32 s12, s15
	s_cbranch_execnz .LBB121_223
.LBB121_213:
	s_or_b32 exec_lo, exec_lo, s12
	s_and_b32 s15, s2, s8
	s_and_saveexec_b32 s12, s15
	s_cbranch_execnz .LBB121_227
.LBB121_214:
	s_or_b32 exec_lo, exec_lo, s12
	s_and_b32 s15, s3, s8
	s_and_saveexec_b32 s12, s15
	s_cbranch_execnz .LBB121_231
.LBB121_215:
	s_or_b32 exec_lo, exec_lo, s12
	s_and_b32 s15, s4, s8
	s_and_saveexec_b32 s12, s15
	s_cbranch_execnz .LBB121_235
.LBB121_216:
	s_or_b32 exec_lo, exec_lo, s12
	s_and_b32 s15, s5, s8
	s_and_saveexec_b32 s12, s15
	s_cbranch_execnz .LBB121_239
.LBB121_217:
	s_or_b32 exec_lo, exec_lo, s12
	s_and_b32 s15, s6, s8
	s_and_saveexec_b32 s12, s15
	s_cbranch_execnz .LBB121_243
.LBB121_218:
	s_or_b32 exec_lo, exec_lo, s12
	s_and_b32 s12, s7, s8
	s_and_saveexec_b32 s8, s12
	s_cbranch_execnz .LBB121_247
	s_branch .LBB121_251
.LBB121_219:
	v_cmp_ne_u32_e32 vcc_lo, 1, v144
	s_cbranch_vccnz .LBB121_221
; %bb.220:
	v_lshlrev_b64 v[102:103], 3, v[0:1]
	v_add_co_u32 v102, vcc_lo, v100, v102
	v_add_co_ci_u32_e64 v103, null, v101, v103, vcc_lo
	flat_load_dwordx2 v[102:103], v[102:103]
	s_waitcnt vmcnt(0) lgkmcnt(0)
	v_mul_f64 v[102:103], s[10:11], v[102:103]
	v_cvt_f32_f64_e32 v102, v[102:103]
	s_branch .LBB121_222
.LBB121_221:
	v_mov_b32_e32 v102, 0
.LBB121_222:
	v_add_f64 v[103:104], v[70:71], v[94:95]
	v_add_f64 v[105:106], v[72:73], v[96:97]
	;; [unrolled: 1-line block ×4, first 2 shown]
	v_cvt_f32_f64_e32 v103, v[103:104]
	v_cvt_f32_f64_e32 v104, v[105:106]
	;; [unrolled: 1-line block ×4, first 2 shown]
	v_min3_f32 v103, v103, v104, v195
	v_min_f32_e32 v104, v105, v106
	v_min3_f32 v102, v102, v104, v103
	v_lshlrev_b64 v[104:105], 3, v[0:1]
	v_cvt_f64_f32_e32 v[102:103], v102
	v_add_co_u32 v104, vcc_lo, v98, v104
	v_add_co_ci_u32_e64 v105, null, v99, v105, vcc_lo
	flat_store_dwordx2 v[104:105], v[102:103]
	s_or_b32 exec_lo, exec_lo, s12
	s_and_b32 s15, s1, s8
	s_and_saveexec_b32 s12, s15
	s_cbranch_execz .LBB121_213
.LBB121_223:
	v_cmp_ne_u32_e32 vcc_lo, 1, v144
	s_cbranch_vccnz .LBB121_225
; %bb.224:
	v_lshlrev_b64 v[102:103], 3, v[130:131]
	v_add_co_u32 v102, vcc_lo, v100, v102
	v_add_co_ci_u32_e64 v103, null, v101, v103, vcc_lo
	flat_load_dwordx2 v[102:103], v[102:103]
	s_waitcnt vmcnt(0) lgkmcnt(0)
	v_mul_f64 v[102:103], s[10:11], v[102:103]
	v_cvt_f32_f64_e32 v102, v[102:103]
	s_branch .LBB121_226
.LBB121_225:
	v_mov_b32_e32 v102, 0
.LBB121_226:
	v_add_f64 v[103:104], v[62:63], v[94:95]
	v_add_f64 v[105:106], v[64:65], v[96:97]
	;; [unrolled: 1-line block ×4, first 2 shown]
	v_cvt_f32_f64_e32 v103, v[103:104]
	v_cvt_f32_f64_e32 v104, v[105:106]
	;; [unrolled: 1-line block ×4, first 2 shown]
	v_min3_f32 v103, v103, v104, v194
	v_min_f32_e32 v104, v105, v106
	v_min3_f32 v102, v102, v104, v103
	v_lshlrev_b64 v[104:105], 3, v[130:131]
	v_cvt_f64_f32_e32 v[102:103], v102
	v_add_co_u32 v104, vcc_lo, v98, v104
	v_add_co_ci_u32_e64 v105, null, v99, v105, vcc_lo
	flat_store_dwordx2 v[104:105], v[102:103]
	s_or_b32 exec_lo, exec_lo, s12
	s_and_b32 s15, s2, s8
	s_and_saveexec_b32 s12, s15
	s_cbranch_execz .LBB121_214
.LBB121_227:
	v_cmp_ne_u32_e32 vcc_lo, 1, v144
	s_cbranch_vccnz .LBB121_229
; %bb.228:
	v_lshlrev_b64 v[102:103], 3, v[132:133]
	v_add_co_u32 v102, vcc_lo, v100, v102
	v_add_co_ci_u32_e64 v103, null, v101, v103, vcc_lo
	flat_load_dwordx2 v[102:103], v[102:103]
	s_waitcnt vmcnt(0) lgkmcnt(0)
	v_mul_f64 v[102:103], s[10:11], v[102:103]
	v_cvt_f32_f64_e32 v102, v[102:103]
	s_branch .LBB121_230
.LBB121_229:
	v_mov_b32_e32 v102, 0
.LBB121_230:
	v_add_f64 v[103:104], v[54:55], v[94:95]
	v_add_f64 v[105:106], v[56:57], v[96:97]
	;; [unrolled: 1-line block ×4, first 2 shown]
	v_cvt_f32_f64_e32 v103, v[103:104]
	v_cvt_f32_f64_e32 v104, v[105:106]
	;; [unrolled: 1-line block ×4, first 2 shown]
	v_min3_f32 v103, v103, v104, v193
	v_min_f32_e32 v104, v105, v106
	v_min3_f32 v102, v102, v104, v103
	v_lshlrev_b64 v[104:105], 3, v[132:133]
	v_cvt_f64_f32_e32 v[102:103], v102
	v_add_co_u32 v104, vcc_lo, v98, v104
	v_add_co_ci_u32_e64 v105, null, v99, v105, vcc_lo
	flat_store_dwordx2 v[104:105], v[102:103]
	s_or_b32 exec_lo, exec_lo, s12
	s_and_b32 s15, s3, s8
	s_and_saveexec_b32 s12, s15
	s_cbranch_execz .LBB121_215
.LBB121_231:
	v_cmp_ne_u32_e32 vcc_lo, 1, v144
	s_cbranch_vccnz .LBB121_233
; %bb.232:
	v_lshlrev_b64 v[102:103], 3, v[134:135]
	v_add_co_u32 v102, vcc_lo, v100, v102
	v_add_co_ci_u32_e64 v103, null, v101, v103, vcc_lo
	flat_load_dwordx2 v[102:103], v[102:103]
	s_waitcnt vmcnt(0) lgkmcnt(0)
	v_mul_f64 v[102:103], s[10:11], v[102:103]
	v_cvt_f32_f64_e32 v102, v[102:103]
	s_branch .LBB121_234
.LBB121_233:
	v_mov_b32_e32 v102, 0
.LBB121_234:
	v_add_f64 v[103:104], v[46:47], v[94:95]
	v_add_f64 v[105:106], v[48:49], v[96:97]
	;; [unrolled: 1-line block ×4, first 2 shown]
	v_cvt_f32_f64_e32 v103, v[103:104]
	v_cvt_f32_f64_e32 v104, v[105:106]
	;; [unrolled: 1-line block ×4, first 2 shown]
	v_min3_f32 v103, v103, v104, v192
	v_min_f32_e32 v104, v105, v106
	v_min3_f32 v102, v102, v104, v103
	v_lshlrev_b64 v[104:105], 3, v[134:135]
	v_cvt_f64_f32_e32 v[102:103], v102
	v_add_co_u32 v104, vcc_lo, v98, v104
	v_add_co_ci_u32_e64 v105, null, v99, v105, vcc_lo
	flat_store_dwordx2 v[104:105], v[102:103]
	s_or_b32 exec_lo, exec_lo, s12
	s_and_b32 s15, s4, s8
	s_and_saveexec_b32 s12, s15
	s_cbranch_execz .LBB121_216
.LBB121_235:
	v_cmp_ne_u32_e32 vcc_lo, 1, v144
	s_cbranch_vccnz .LBB121_237
; %bb.236:
	v_lshlrev_b64 v[102:103], 3, v[136:137]
	v_add_co_u32 v102, vcc_lo, v100, v102
	v_add_co_ci_u32_e64 v103, null, v101, v103, vcc_lo
	flat_load_dwordx2 v[102:103], v[102:103]
	s_waitcnt vmcnt(0) lgkmcnt(0)
	v_mul_f64 v[102:103], s[10:11], v[102:103]
	v_cvt_f32_f64_e32 v102, v[102:103]
	s_branch .LBB121_238
.LBB121_237:
	v_mov_b32_e32 v102, 0
.LBB121_238:
	v_add_f64 v[103:104], v[38:39], v[94:95]
	v_add_f64 v[105:106], v[40:41], v[96:97]
	v_add_f64 v[107:108], v[34:35], v[90:91]
	v_add_f64 v[109:110], v[36:37], v[92:93]
	v_cvt_f32_f64_e32 v103, v[103:104]
	v_cvt_f32_f64_e32 v104, v[105:106]
	v_cvt_f32_f64_e32 v105, v[107:108]
	v_cvt_f32_f64_e32 v106, v[109:110]
	v_min3_f32 v103, v103, v104, v191
	v_min_f32_e32 v104, v105, v106
	v_min3_f32 v102, v102, v104, v103
	v_lshlrev_b64 v[104:105], 3, v[136:137]
	v_cvt_f64_f32_e32 v[102:103], v102
	v_add_co_u32 v104, vcc_lo, v98, v104
	v_add_co_ci_u32_e64 v105, null, v99, v105, vcc_lo
	flat_store_dwordx2 v[104:105], v[102:103]
	s_or_b32 exec_lo, exec_lo, s12
	s_and_b32 s15, s5, s8
	s_and_saveexec_b32 s12, s15
	s_cbranch_execz .LBB121_217
.LBB121_239:
	v_cmp_ne_u32_e32 vcc_lo, 1, v144
	s_cbranch_vccnz .LBB121_241
; %bb.240:
	v_lshlrev_b64 v[102:103], 3, v[138:139]
	v_add_co_u32 v102, vcc_lo, v100, v102
	v_add_co_ci_u32_e64 v103, null, v101, v103, vcc_lo
	flat_load_dwordx2 v[102:103], v[102:103]
	s_waitcnt vmcnt(0) lgkmcnt(0)
	v_mul_f64 v[102:103], s[10:11], v[102:103]
	v_cvt_f32_f64_e32 v102, v[102:103]
	s_branch .LBB121_242
.LBB121_241:
	v_mov_b32_e32 v102, 0
.LBB121_242:
	v_add_f64 v[103:104], v[30:31], v[94:95]
	v_add_f64 v[105:106], v[32:33], v[96:97]
	;; [unrolled: 1-line block ×4, first 2 shown]
	v_cvt_f32_f64_e32 v103, v[103:104]
	v_cvt_f32_f64_e32 v104, v[105:106]
	;; [unrolled: 1-line block ×4, first 2 shown]
	v_min3_f32 v103, v103, v104, v190
	v_min_f32_e32 v104, v105, v106
	v_min3_f32 v102, v102, v104, v103
	v_lshlrev_b64 v[104:105], 3, v[138:139]
	v_cvt_f64_f32_e32 v[102:103], v102
	v_add_co_u32 v104, vcc_lo, v98, v104
	v_add_co_ci_u32_e64 v105, null, v99, v105, vcc_lo
	flat_store_dwordx2 v[104:105], v[102:103]
	s_or_b32 exec_lo, exec_lo, s12
	s_and_b32 s15, s6, s8
	s_and_saveexec_b32 s12, s15
	s_cbranch_execz .LBB121_218
.LBB121_243:
	v_cmp_ne_u32_e32 vcc_lo, 1, v144
	s_cbranch_vccnz .LBB121_245
; %bb.244:
	v_lshlrev_b64 v[102:103], 3, v[140:141]
	v_add_co_u32 v102, vcc_lo, v100, v102
	v_add_co_ci_u32_e64 v103, null, v101, v103, vcc_lo
	flat_load_dwordx2 v[102:103], v[102:103]
	s_waitcnt vmcnt(0) lgkmcnt(0)
	v_mul_f64 v[102:103], s[10:11], v[102:103]
	v_cvt_f32_f64_e32 v102, v[102:103]
	s_branch .LBB121_246
.LBB121_245:
	v_mov_b32_e32 v102, 0
.LBB121_246:
	v_add_f64 v[103:104], v[22:23], v[94:95]
	v_add_f64 v[105:106], v[24:25], v[96:97]
	;; [unrolled: 1-line block ×4, first 2 shown]
	v_cvt_f32_f64_e32 v103, v[103:104]
	v_cvt_f32_f64_e32 v104, v[105:106]
	;; [unrolled: 1-line block ×4, first 2 shown]
	v_min3_f32 v103, v103, v104, v189
	v_min_f32_e32 v104, v105, v106
	v_min3_f32 v102, v102, v104, v103
	v_lshlrev_b64 v[104:105], 3, v[140:141]
	v_cvt_f64_f32_e32 v[102:103], v102
	v_add_co_u32 v104, vcc_lo, v98, v104
	v_add_co_ci_u32_e64 v105, null, v99, v105, vcc_lo
	flat_store_dwordx2 v[104:105], v[102:103]
	s_or_b32 exec_lo, exec_lo, s12
	s_and_b32 s12, s7, s8
	s_and_saveexec_b32 s8, s12
	s_cbranch_execz .LBB121_251
.LBB121_247:
	v_cmp_ne_u32_e32 vcc_lo, 1, v144
	s_cbranch_vccnz .LBB121_249
; %bb.248:
	v_lshlrev_b64 v[102:103], 3, v[142:143]
	v_add_co_u32 v100, vcc_lo, v100, v102
	v_add_co_ci_u32_e64 v101, null, v101, v103, vcc_lo
	flat_load_dwordx2 v[100:101], v[100:101]
	s_waitcnt vmcnt(0) lgkmcnt(0)
	v_mul_f64 v[100:101], s[10:11], v[100:101]
	v_cvt_f32_f64_e32 v100, v[100:101]
	s_branch .LBB121_250
.LBB121_249:
	v_mov_b32_e32 v100, 0
.LBB121_250:
	v_add_f64 v[94:95], v[6:7], v[94:95]
	v_add_f64 v[96:97], v[8:9], v[96:97]
	;; [unrolled: 1-line block ×4, first 2 shown]
	v_cvt_f32_f64_e32 v94, v[94:95]
	v_cvt_f32_f64_e32 v95, v[96:97]
	;; [unrolled: 1-line block ×4, first 2 shown]
	v_min3_f32 v92, v94, v95, v188
	v_min_f32_e32 v90, v90, v91
	v_min3_f32 v90, v100, v90, v92
	v_lshlrev_b64 v[92:93], 3, v[142:143]
	v_cvt_f64_f32_e32 v[90:91], v90
	v_add_co_u32 v92, vcc_lo, v98, v92
	v_add_co_ci_u32_e64 v93, null, v99, v93, vcc_lo
	flat_store_dwordx2 v[92:93], v[90:91]
.LBB121_251:
	s_or_b32 exec_lo, exec_lo, s8
	v_add_nc_u32_e32 v94, 0xa0, v145
	v_mad_i64_i32 v[90:91], null, v94, s18, 0
	v_mad_i64_i32 v[92:93], null, v94, s14, 0
	v_cmp_gt_i32_e64 s8, s13, v94
	v_lshlrev_b64 v[90:91], 3, v[90:91]
	s_and_b32 s15, s0, s8
	v_lshlrev_b64 v[94:95], 3, v[92:93]
	v_add_co_u32 v92, vcc_lo, s16, v90
	v_add_co_ci_u32_e64 v93, null, s17, v91, vcc_lo
	v_add_co_u32 v90, vcc_lo, s19, v94
	v_add_co_ci_u32_e64 v91, null, s9, v95, vcc_lo
	s_and_saveexec_b32 s12, s15
	s_cbranch_execnz .LBB121_259
; %bb.252:
	s_or_b32 exec_lo, exec_lo, s12
	s_and_b32 s15, s1, s8
	s_and_saveexec_b32 s12, s15
	s_cbranch_execnz .LBB121_263
.LBB121_253:
	s_or_b32 exec_lo, exec_lo, s12
	s_and_b32 s15, s2, s8
	s_and_saveexec_b32 s12, s15
	s_cbranch_execnz .LBB121_267
.LBB121_254:
	s_or_b32 exec_lo, exec_lo, s12
	s_and_b32 s15, s3, s8
	s_and_saveexec_b32 s12, s15
	s_cbranch_execnz .LBB121_271
.LBB121_255:
	s_or_b32 exec_lo, exec_lo, s12
	s_and_b32 s15, s4, s8
	s_and_saveexec_b32 s12, s15
	s_cbranch_execnz .LBB121_275
.LBB121_256:
	s_or_b32 exec_lo, exec_lo, s12
	s_and_b32 s15, s5, s8
	s_and_saveexec_b32 s12, s15
	s_cbranch_execnz .LBB121_279
.LBB121_257:
	s_or_b32 exec_lo, exec_lo, s12
	s_and_b32 s15, s6, s8
	s_and_saveexec_b32 s12, s15
	s_cbranch_execnz .LBB121_283
.LBB121_258:
	s_or_b32 exec_lo, exec_lo, s12
	s_and_b32 s12, s7, s8
	s_and_saveexec_b32 s8, s12
	s_cbranch_execnz .LBB121_287
	s_branch .LBB121_291
.LBB121_259:
	v_cmp_ne_u32_e32 vcc_lo, 1, v144
	s_cbranch_vccnz .LBB121_261
; %bb.260:
	v_lshlrev_b64 v[94:95], 3, v[0:1]
	v_add_co_u32 v94, vcc_lo, v92, v94
	v_add_co_ci_u32_e64 v95, null, v93, v95, vcc_lo
	flat_load_dwordx2 v[94:95], v[94:95]
	s_waitcnt vmcnt(0) lgkmcnt(0)
	v_mul_f64 v[94:95], s[10:11], v[94:95]
	v_cvt_f32_f64_e32 v94, v[94:95]
	s_branch .LBB121_262
.LBB121_261:
	v_mov_b32_e32 v94, 0
.LBB121_262:
	v_add_f64 v[95:96], v[70:71], v[86:87]
	v_add_f64 v[97:98], v[72:73], v[88:89]
	;; [unrolled: 1-line block ×4, first 2 shown]
	v_cvt_f32_f64_e32 v95, v[95:96]
	v_cvt_f32_f64_e32 v96, v[97:98]
	v_cvt_f32_f64_e32 v97, v[99:100]
	v_cvt_f32_f64_e32 v98, v[101:102]
	v_min3_f32 v95, v95, v96, v187
	v_min_f32_e32 v96, v97, v98
	v_min3_f32 v94, v94, v96, v95
	v_lshlrev_b64 v[96:97], 3, v[0:1]
	v_cvt_f64_f32_e32 v[94:95], v94
	v_add_co_u32 v96, vcc_lo, v90, v96
	v_add_co_ci_u32_e64 v97, null, v91, v97, vcc_lo
	flat_store_dwordx2 v[96:97], v[94:95]
	s_or_b32 exec_lo, exec_lo, s12
	s_and_b32 s15, s1, s8
	s_and_saveexec_b32 s12, s15
	s_cbranch_execz .LBB121_253
.LBB121_263:
	v_cmp_ne_u32_e32 vcc_lo, 1, v144
	s_cbranch_vccnz .LBB121_265
; %bb.264:
	v_lshlrev_b64 v[94:95], 3, v[130:131]
	v_add_co_u32 v94, vcc_lo, v92, v94
	v_add_co_ci_u32_e64 v95, null, v93, v95, vcc_lo
	flat_load_dwordx2 v[94:95], v[94:95]
	s_waitcnt vmcnt(0) lgkmcnt(0)
	v_mul_f64 v[94:95], s[10:11], v[94:95]
	v_cvt_f32_f64_e32 v94, v[94:95]
	s_branch .LBB121_266
.LBB121_265:
	v_mov_b32_e32 v94, 0
.LBB121_266:
	v_add_f64 v[95:96], v[62:63], v[86:87]
	v_add_f64 v[97:98], v[64:65], v[88:89]
	;; [unrolled: 1-line block ×4, first 2 shown]
	v_cvt_f32_f64_e32 v95, v[95:96]
	v_cvt_f32_f64_e32 v96, v[97:98]
	;; [unrolled: 1-line block ×4, first 2 shown]
	v_min3_f32 v95, v95, v96, v183
	v_min_f32_e32 v96, v97, v98
	v_min3_f32 v94, v94, v96, v95
	v_lshlrev_b64 v[96:97], 3, v[130:131]
	v_cvt_f64_f32_e32 v[94:95], v94
	v_add_co_u32 v96, vcc_lo, v90, v96
	v_add_co_ci_u32_e64 v97, null, v91, v97, vcc_lo
	flat_store_dwordx2 v[96:97], v[94:95]
	s_or_b32 exec_lo, exec_lo, s12
	s_and_b32 s15, s2, s8
	s_and_saveexec_b32 s12, s15
	s_cbranch_execz .LBB121_254
.LBB121_267:
	v_cmp_ne_u32_e32 vcc_lo, 1, v144
	s_cbranch_vccnz .LBB121_269
; %bb.268:
	v_lshlrev_b64 v[94:95], 3, v[132:133]
	v_add_co_u32 v94, vcc_lo, v92, v94
	v_add_co_ci_u32_e64 v95, null, v93, v95, vcc_lo
	flat_load_dwordx2 v[94:95], v[94:95]
	s_waitcnt vmcnt(0) lgkmcnt(0)
	v_mul_f64 v[94:95], s[10:11], v[94:95]
	v_cvt_f32_f64_e32 v94, v[94:95]
	s_branch .LBB121_270
.LBB121_269:
	v_mov_b32_e32 v94, 0
.LBB121_270:
	v_add_f64 v[95:96], v[54:55], v[86:87]
	v_add_f64 v[97:98], v[56:57], v[88:89]
	;; [unrolled: 1-line block ×4, first 2 shown]
	v_cvt_f32_f64_e32 v95, v[95:96]
	v_cvt_f32_f64_e32 v96, v[97:98]
	v_cvt_f32_f64_e32 v97, v[99:100]
	v_cvt_f32_f64_e32 v98, v[101:102]
	v_min3_f32 v95, v95, v96, v180
	v_min_f32_e32 v96, v97, v98
	v_min3_f32 v94, v94, v96, v95
	v_lshlrev_b64 v[96:97], 3, v[132:133]
	v_cvt_f64_f32_e32 v[94:95], v94
	v_add_co_u32 v96, vcc_lo, v90, v96
	v_add_co_ci_u32_e64 v97, null, v91, v97, vcc_lo
	flat_store_dwordx2 v[96:97], v[94:95]
	s_or_b32 exec_lo, exec_lo, s12
	s_and_b32 s15, s3, s8
	s_and_saveexec_b32 s12, s15
	s_cbranch_execz .LBB121_255
.LBB121_271:
	v_cmp_ne_u32_e32 vcc_lo, 1, v144
	s_cbranch_vccnz .LBB121_273
; %bb.272:
	v_lshlrev_b64 v[94:95], 3, v[134:135]
	v_add_co_u32 v94, vcc_lo, v92, v94
	v_add_co_ci_u32_e64 v95, null, v93, v95, vcc_lo
	flat_load_dwordx2 v[94:95], v[94:95]
	s_waitcnt vmcnt(0) lgkmcnt(0)
	v_mul_f64 v[94:95], s[10:11], v[94:95]
	v_cvt_f32_f64_e32 v94, v[94:95]
	s_branch .LBB121_274
.LBB121_273:
	v_mov_b32_e32 v94, 0
.LBB121_274:
	v_add_f64 v[95:96], v[46:47], v[86:87]
	v_add_f64 v[97:98], v[48:49], v[88:89]
	;; [unrolled: 1-line block ×4, first 2 shown]
	v_cvt_f32_f64_e32 v95, v[95:96]
	v_cvt_f32_f64_e32 v96, v[97:98]
	;; [unrolled: 1-line block ×4, first 2 shown]
	v_min3_f32 v95, v95, v96, v174
	v_min_f32_e32 v96, v97, v98
	v_min3_f32 v94, v94, v96, v95
	v_lshlrev_b64 v[96:97], 3, v[134:135]
	v_cvt_f64_f32_e32 v[94:95], v94
	v_add_co_u32 v96, vcc_lo, v90, v96
	v_add_co_ci_u32_e64 v97, null, v91, v97, vcc_lo
	flat_store_dwordx2 v[96:97], v[94:95]
	s_or_b32 exec_lo, exec_lo, s12
	s_and_b32 s15, s4, s8
	s_and_saveexec_b32 s12, s15
	s_cbranch_execz .LBB121_256
.LBB121_275:
	v_cmp_ne_u32_e32 vcc_lo, 1, v144
	s_cbranch_vccnz .LBB121_277
; %bb.276:
	v_lshlrev_b64 v[94:95], 3, v[136:137]
	v_add_co_u32 v94, vcc_lo, v92, v94
	v_add_co_ci_u32_e64 v95, null, v93, v95, vcc_lo
	flat_load_dwordx2 v[94:95], v[94:95]
	s_waitcnt vmcnt(0) lgkmcnt(0)
	v_mul_f64 v[94:95], s[10:11], v[94:95]
	v_cvt_f32_f64_e32 v94, v[94:95]
	s_branch .LBB121_278
.LBB121_277:
	v_mov_b32_e32 v94, 0
.LBB121_278:
	v_add_f64 v[95:96], v[38:39], v[86:87]
	v_add_f64 v[97:98], v[40:41], v[88:89]
	;; [unrolled: 1-line block ×4, first 2 shown]
	v_cvt_f32_f64_e32 v95, v[95:96]
	v_cvt_f32_f64_e32 v96, v[97:98]
	;; [unrolled: 1-line block ×4, first 2 shown]
	v_min3_f32 v95, v95, v96, v173
	v_min_f32_e32 v96, v97, v98
	v_min3_f32 v94, v94, v96, v95
	v_lshlrev_b64 v[96:97], 3, v[136:137]
	v_cvt_f64_f32_e32 v[94:95], v94
	v_add_co_u32 v96, vcc_lo, v90, v96
	v_add_co_ci_u32_e64 v97, null, v91, v97, vcc_lo
	flat_store_dwordx2 v[96:97], v[94:95]
	s_or_b32 exec_lo, exec_lo, s12
	s_and_b32 s15, s5, s8
	s_and_saveexec_b32 s12, s15
	s_cbranch_execz .LBB121_257
.LBB121_279:
	v_cmp_ne_u32_e32 vcc_lo, 1, v144
	s_cbranch_vccnz .LBB121_281
; %bb.280:
	v_lshlrev_b64 v[94:95], 3, v[138:139]
	v_add_co_u32 v94, vcc_lo, v92, v94
	v_add_co_ci_u32_e64 v95, null, v93, v95, vcc_lo
	flat_load_dwordx2 v[94:95], v[94:95]
	s_waitcnt vmcnt(0) lgkmcnt(0)
	v_mul_f64 v[94:95], s[10:11], v[94:95]
	v_cvt_f32_f64_e32 v94, v[94:95]
	s_branch .LBB121_282
.LBB121_281:
	v_mov_b32_e32 v94, 0
.LBB121_282:
	v_add_f64 v[95:96], v[30:31], v[86:87]
	v_add_f64 v[97:98], v[32:33], v[88:89]
	;; [unrolled: 1-line block ×4, first 2 shown]
	v_cvt_f32_f64_e32 v95, v[95:96]
	v_cvt_f32_f64_e32 v96, v[97:98]
	;; [unrolled: 1-line block ×4, first 2 shown]
	v_min3_f32 v95, v95, v96, v172
	v_min_f32_e32 v96, v97, v98
	v_min3_f32 v94, v94, v96, v95
	v_lshlrev_b64 v[96:97], 3, v[138:139]
	v_cvt_f64_f32_e32 v[94:95], v94
	v_add_co_u32 v96, vcc_lo, v90, v96
	v_add_co_ci_u32_e64 v97, null, v91, v97, vcc_lo
	flat_store_dwordx2 v[96:97], v[94:95]
	s_or_b32 exec_lo, exec_lo, s12
	s_and_b32 s15, s6, s8
	s_and_saveexec_b32 s12, s15
	s_cbranch_execz .LBB121_258
.LBB121_283:
	v_cmp_ne_u32_e32 vcc_lo, 1, v144
	s_cbranch_vccnz .LBB121_285
; %bb.284:
	v_lshlrev_b64 v[94:95], 3, v[140:141]
	v_add_co_u32 v94, vcc_lo, v92, v94
	v_add_co_ci_u32_e64 v95, null, v93, v95, vcc_lo
	flat_load_dwordx2 v[94:95], v[94:95]
	s_waitcnt vmcnt(0) lgkmcnt(0)
	v_mul_f64 v[94:95], s[10:11], v[94:95]
	v_cvt_f32_f64_e32 v94, v[94:95]
	s_branch .LBB121_286
.LBB121_285:
	v_mov_b32_e32 v94, 0
.LBB121_286:
	v_add_f64 v[95:96], v[22:23], v[86:87]
	v_add_f64 v[97:98], v[24:25], v[88:89]
	;; [unrolled: 1-line block ×4, first 2 shown]
	v_cvt_f32_f64_e32 v95, v[95:96]
	v_cvt_f32_f64_e32 v96, v[97:98]
	;; [unrolled: 1-line block ×4, first 2 shown]
	v_min3_f32 v95, v95, v96, v171
	v_min_f32_e32 v96, v97, v98
	v_min3_f32 v94, v94, v96, v95
	v_lshlrev_b64 v[96:97], 3, v[140:141]
	v_cvt_f64_f32_e32 v[94:95], v94
	v_add_co_u32 v96, vcc_lo, v90, v96
	v_add_co_ci_u32_e64 v97, null, v91, v97, vcc_lo
	flat_store_dwordx2 v[96:97], v[94:95]
	s_or_b32 exec_lo, exec_lo, s12
	s_and_b32 s12, s7, s8
	s_and_saveexec_b32 s8, s12
	s_cbranch_execz .LBB121_291
.LBB121_287:
	v_cmp_ne_u32_e32 vcc_lo, 1, v144
	s_cbranch_vccnz .LBB121_289
; %bb.288:
	v_lshlrev_b64 v[94:95], 3, v[142:143]
	v_add_co_u32 v92, vcc_lo, v92, v94
	v_add_co_ci_u32_e64 v93, null, v93, v95, vcc_lo
	flat_load_dwordx2 v[92:93], v[92:93]
	s_waitcnt vmcnt(0) lgkmcnt(0)
	v_mul_f64 v[92:93], s[10:11], v[92:93]
	v_cvt_f32_f64_e32 v92, v[92:93]
	s_branch .LBB121_290
.LBB121_289:
	v_mov_b32_e32 v92, 0
.LBB121_290:
	v_add_f64 v[86:87], v[6:7], v[86:87]
	v_add_f64 v[88:89], v[8:9], v[88:89]
	v_add_f64 v[82:83], v[2:3], v[82:83]
	v_add_f64 v[84:85], v[4:5], v[84:85]
	v_cvt_f32_f64_e32 v86, v[86:87]
	v_cvt_f32_f64_e32 v87, v[88:89]
	;; [unrolled: 1-line block ×4, first 2 shown]
	v_min3_f32 v84, v86, v87, v170
	v_min_f32_e32 v82, v82, v83
	v_min3_f32 v82, v92, v82, v84
	v_lshlrev_b64 v[84:85], 3, v[142:143]
	v_cvt_f64_f32_e32 v[82:83], v82
	v_add_co_u32 v84, vcc_lo, v90, v84
	v_add_co_ci_u32_e64 v85, null, v91, v85, vcc_lo
	flat_store_dwordx2 v[84:85], v[82:83]
.LBB121_291:
	s_or_b32 exec_lo, exec_lo, s8
	v_add_nc_u32_e32 v86, 0xc0, v145
	v_mad_i64_i32 v[82:83], null, v86, s18, 0
	v_mad_i64_i32 v[84:85], null, v86, s14, 0
	v_cmp_gt_i32_e64 s8, s13, v86
	v_lshlrev_b64 v[82:83], 3, v[82:83]
	s_and_b32 s15, s0, s8
	v_lshlrev_b64 v[86:87], 3, v[84:85]
	v_add_co_u32 v84, vcc_lo, s16, v82
	v_add_co_ci_u32_e64 v85, null, s17, v83, vcc_lo
	v_add_co_u32 v82, vcc_lo, s19, v86
	v_add_co_ci_u32_e64 v83, null, s9, v87, vcc_lo
	s_and_saveexec_b32 s12, s15
	s_cbranch_execnz .LBB121_299
; %bb.292:
	s_or_b32 exec_lo, exec_lo, s12
	s_and_b32 s15, s1, s8
	s_and_saveexec_b32 s12, s15
	s_cbranch_execnz .LBB121_303
.LBB121_293:
	s_or_b32 exec_lo, exec_lo, s12
	s_and_b32 s15, s2, s8
	s_and_saveexec_b32 s12, s15
	s_cbranch_execnz .LBB121_307
.LBB121_294:
	s_or_b32 exec_lo, exec_lo, s12
	s_and_b32 s15, s3, s8
	s_and_saveexec_b32 s12, s15
	s_cbranch_execnz .LBB121_311
.LBB121_295:
	s_or_b32 exec_lo, exec_lo, s12
	s_and_b32 s15, s4, s8
	s_and_saveexec_b32 s12, s15
	s_cbranch_execnz .LBB121_315
.LBB121_296:
	s_or_b32 exec_lo, exec_lo, s12
	s_and_b32 s15, s5, s8
	s_and_saveexec_b32 s12, s15
	s_cbranch_execnz .LBB121_319
.LBB121_297:
	s_or_b32 exec_lo, exec_lo, s12
	s_and_b32 s15, s6, s8
	s_and_saveexec_b32 s12, s15
	s_cbranch_execnz .LBB121_323
.LBB121_298:
	s_or_b32 exec_lo, exec_lo, s12
	s_and_b32 s12, s7, s8
	s_and_saveexec_b32 s8, s12
	s_cbranch_execnz .LBB121_327
	s_branch .LBB121_331
.LBB121_299:
	v_cmp_ne_u32_e32 vcc_lo, 1, v144
	s_cbranch_vccnz .LBB121_301
; %bb.300:
	v_lshlrev_b64 v[86:87], 3, v[0:1]
	v_add_co_u32 v86, vcc_lo, v84, v86
	v_add_co_ci_u32_e64 v87, null, v85, v87, vcc_lo
	flat_load_dwordx2 v[86:87], v[86:87]
	s_waitcnt vmcnt(0) lgkmcnt(0)
	v_mul_f64 v[86:87], s[10:11], v[86:87]
	v_cvt_f32_f64_e32 v86, v[86:87]
	s_branch .LBB121_302
.LBB121_301:
	v_mov_b32_e32 v86, 0
.LBB121_302:
	v_add_f64 v[87:88], v[70:71], v[78:79]
	v_add_f64 v[89:90], v[72:73], v[80:81]
	;; [unrolled: 1-line block ×4, first 2 shown]
	v_cvt_f32_f64_e32 v87, v[87:88]
	v_cvt_f32_f64_e32 v88, v[89:90]
	;; [unrolled: 1-line block ×4, first 2 shown]
	v_min3_f32 v87, v87, v88, v169
	v_min_f32_e32 v88, v89, v90
	v_min3_f32 v86, v86, v88, v87
	v_lshlrev_b64 v[88:89], 3, v[0:1]
	v_cvt_f64_f32_e32 v[86:87], v86
	v_add_co_u32 v88, vcc_lo, v82, v88
	v_add_co_ci_u32_e64 v89, null, v83, v89, vcc_lo
	flat_store_dwordx2 v[88:89], v[86:87]
	s_or_b32 exec_lo, exec_lo, s12
	s_and_b32 s15, s1, s8
	s_and_saveexec_b32 s12, s15
	s_cbranch_execz .LBB121_293
.LBB121_303:
	v_cmp_ne_u32_e32 vcc_lo, 1, v144
	s_cbranch_vccnz .LBB121_305
; %bb.304:
	v_lshlrev_b64 v[86:87], 3, v[130:131]
	v_add_co_u32 v86, vcc_lo, v84, v86
	v_add_co_ci_u32_e64 v87, null, v85, v87, vcc_lo
	flat_load_dwordx2 v[86:87], v[86:87]
	s_waitcnt vmcnt(0) lgkmcnt(0)
	v_mul_f64 v[86:87], s[10:11], v[86:87]
	v_cvt_f32_f64_e32 v86, v[86:87]
	s_branch .LBB121_306
.LBB121_305:
	v_mov_b32_e32 v86, 0
.LBB121_306:
	v_add_f64 v[87:88], v[62:63], v[78:79]
	v_add_f64 v[89:90], v[64:65], v[80:81]
	;; [unrolled: 1-line block ×4, first 2 shown]
	v_cvt_f32_f64_e32 v87, v[87:88]
	v_cvt_f32_f64_e32 v88, v[89:90]
	;; [unrolled: 1-line block ×4, first 2 shown]
	v_min3_f32 v87, v87, v88, v168
	v_min_f32_e32 v88, v89, v90
	v_min3_f32 v86, v86, v88, v87
	v_lshlrev_b64 v[88:89], 3, v[130:131]
	v_cvt_f64_f32_e32 v[86:87], v86
	v_add_co_u32 v88, vcc_lo, v82, v88
	v_add_co_ci_u32_e64 v89, null, v83, v89, vcc_lo
	flat_store_dwordx2 v[88:89], v[86:87]
	s_or_b32 exec_lo, exec_lo, s12
	s_and_b32 s15, s2, s8
	s_and_saveexec_b32 s12, s15
	s_cbranch_execz .LBB121_294
.LBB121_307:
	v_cmp_ne_u32_e32 vcc_lo, 1, v144
	s_cbranch_vccnz .LBB121_309
; %bb.308:
	v_lshlrev_b64 v[86:87], 3, v[132:133]
	v_add_co_u32 v86, vcc_lo, v84, v86
	v_add_co_ci_u32_e64 v87, null, v85, v87, vcc_lo
	flat_load_dwordx2 v[86:87], v[86:87]
	s_waitcnt vmcnt(0) lgkmcnt(0)
	v_mul_f64 v[86:87], s[10:11], v[86:87]
	v_cvt_f32_f64_e32 v86, v[86:87]
	s_branch .LBB121_310
.LBB121_309:
	v_mov_b32_e32 v86, 0
.LBB121_310:
	v_add_f64 v[87:88], v[54:55], v[78:79]
	v_add_f64 v[89:90], v[56:57], v[80:81]
	;; [unrolled: 1-line block ×4, first 2 shown]
	v_cvt_f32_f64_e32 v87, v[87:88]
	v_cvt_f32_f64_e32 v88, v[89:90]
	;; [unrolled: 1-line block ×4, first 2 shown]
	v_min3_f32 v87, v87, v88, v167
	v_min_f32_e32 v88, v89, v90
	v_min3_f32 v86, v86, v88, v87
	v_lshlrev_b64 v[88:89], 3, v[132:133]
	v_cvt_f64_f32_e32 v[86:87], v86
	v_add_co_u32 v88, vcc_lo, v82, v88
	v_add_co_ci_u32_e64 v89, null, v83, v89, vcc_lo
	flat_store_dwordx2 v[88:89], v[86:87]
	s_or_b32 exec_lo, exec_lo, s12
	s_and_b32 s15, s3, s8
	s_and_saveexec_b32 s12, s15
	s_cbranch_execz .LBB121_295
.LBB121_311:
	v_cmp_ne_u32_e32 vcc_lo, 1, v144
	s_cbranch_vccnz .LBB121_313
; %bb.312:
	v_lshlrev_b64 v[86:87], 3, v[134:135]
	v_add_co_u32 v86, vcc_lo, v84, v86
	v_add_co_ci_u32_e64 v87, null, v85, v87, vcc_lo
	flat_load_dwordx2 v[86:87], v[86:87]
	s_waitcnt vmcnt(0) lgkmcnt(0)
	v_mul_f64 v[86:87], s[10:11], v[86:87]
	v_cvt_f32_f64_e32 v86, v[86:87]
	s_branch .LBB121_314
.LBB121_313:
	v_mov_b32_e32 v86, 0
.LBB121_314:
	v_add_f64 v[87:88], v[46:47], v[78:79]
	v_add_f64 v[89:90], v[48:49], v[80:81]
	;; [unrolled: 1-line block ×4, first 2 shown]
	v_cvt_f32_f64_e32 v87, v[87:88]
	v_cvt_f32_f64_e32 v88, v[89:90]
	;; [unrolled: 1-line block ×4, first 2 shown]
	v_min3_f32 v87, v87, v88, v166
	v_min_f32_e32 v88, v89, v90
	v_min3_f32 v86, v86, v88, v87
	v_lshlrev_b64 v[88:89], 3, v[134:135]
	v_cvt_f64_f32_e32 v[86:87], v86
	v_add_co_u32 v88, vcc_lo, v82, v88
	v_add_co_ci_u32_e64 v89, null, v83, v89, vcc_lo
	flat_store_dwordx2 v[88:89], v[86:87]
	s_or_b32 exec_lo, exec_lo, s12
	s_and_b32 s15, s4, s8
	s_and_saveexec_b32 s12, s15
	s_cbranch_execz .LBB121_296
.LBB121_315:
	v_cmp_ne_u32_e32 vcc_lo, 1, v144
	s_cbranch_vccnz .LBB121_317
; %bb.316:
	v_lshlrev_b64 v[86:87], 3, v[136:137]
	v_add_co_u32 v86, vcc_lo, v84, v86
	v_add_co_ci_u32_e64 v87, null, v85, v87, vcc_lo
	flat_load_dwordx2 v[86:87], v[86:87]
	s_waitcnt vmcnt(0) lgkmcnt(0)
	v_mul_f64 v[86:87], s[10:11], v[86:87]
	v_cvt_f32_f64_e32 v86, v[86:87]
	s_branch .LBB121_318
.LBB121_317:
	v_mov_b32_e32 v86, 0
.LBB121_318:
	v_add_f64 v[87:88], v[38:39], v[78:79]
	v_add_f64 v[89:90], v[40:41], v[80:81]
	;; [unrolled: 1-line block ×4, first 2 shown]
	v_cvt_f32_f64_e32 v87, v[87:88]
	v_cvt_f32_f64_e32 v88, v[89:90]
	;; [unrolled: 1-line block ×4, first 2 shown]
	v_min3_f32 v87, v87, v88, v165
	v_min_f32_e32 v88, v89, v90
	v_min3_f32 v86, v86, v88, v87
	v_lshlrev_b64 v[88:89], 3, v[136:137]
	v_cvt_f64_f32_e32 v[86:87], v86
	v_add_co_u32 v88, vcc_lo, v82, v88
	v_add_co_ci_u32_e64 v89, null, v83, v89, vcc_lo
	flat_store_dwordx2 v[88:89], v[86:87]
	s_or_b32 exec_lo, exec_lo, s12
	s_and_b32 s15, s5, s8
	s_and_saveexec_b32 s12, s15
	s_cbranch_execz .LBB121_297
.LBB121_319:
	v_cmp_ne_u32_e32 vcc_lo, 1, v144
	s_cbranch_vccnz .LBB121_321
; %bb.320:
	v_lshlrev_b64 v[86:87], 3, v[138:139]
	v_add_co_u32 v86, vcc_lo, v84, v86
	v_add_co_ci_u32_e64 v87, null, v85, v87, vcc_lo
	flat_load_dwordx2 v[86:87], v[86:87]
	s_waitcnt vmcnt(0) lgkmcnt(0)
	v_mul_f64 v[86:87], s[10:11], v[86:87]
	v_cvt_f32_f64_e32 v86, v[86:87]
	s_branch .LBB121_322
.LBB121_321:
	v_mov_b32_e32 v86, 0
.LBB121_322:
	v_add_f64 v[87:88], v[30:31], v[78:79]
	v_add_f64 v[89:90], v[32:33], v[80:81]
	;; [unrolled: 1-line block ×4, first 2 shown]
	v_cvt_f32_f64_e32 v87, v[87:88]
	v_cvt_f32_f64_e32 v88, v[89:90]
	;; [unrolled: 1-line block ×4, first 2 shown]
	v_min3_f32 v87, v87, v88, v164
	v_min_f32_e32 v88, v89, v90
	v_min3_f32 v86, v86, v88, v87
	v_lshlrev_b64 v[88:89], 3, v[138:139]
	v_cvt_f64_f32_e32 v[86:87], v86
	v_add_co_u32 v88, vcc_lo, v82, v88
	v_add_co_ci_u32_e64 v89, null, v83, v89, vcc_lo
	flat_store_dwordx2 v[88:89], v[86:87]
	s_or_b32 exec_lo, exec_lo, s12
	s_and_b32 s15, s6, s8
	s_and_saveexec_b32 s12, s15
	s_cbranch_execz .LBB121_298
.LBB121_323:
	v_cmp_ne_u32_e32 vcc_lo, 1, v144
	s_cbranch_vccnz .LBB121_325
; %bb.324:
	v_lshlrev_b64 v[86:87], 3, v[140:141]
	v_add_co_u32 v86, vcc_lo, v84, v86
	v_add_co_ci_u32_e64 v87, null, v85, v87, vcc_lo
	flat_load_dwordx2 v[86:87], v[86:87]
	s_waitcnt vmcnt(0) lgkmcnt(0)
	v_mul_f64 v[86:87], s[10:11], v[86:87]
	v_cvt_f32_f64_e32 v86, v[86:87]
	s_branch .LBB121_326
.LBB121_325:
	v_mov_b32_e32 v86, 0
.LBB121_326:
	v_add_f64 v[87:88], v[22:23], v[78:79]
	v_add_f64 v[89:90], v[24:25], v[80:81]
	;; [unrolled: 1-line block ×4, first 2 shown]
	v_cvt_f32_f64_e32 v87, v[87:88]
	v_cvt_f32_f64_e32 v88, v[89:90]
	;; [unrolled: 1-line block ×4, first 2 shown]
	v_min3_f32 v87, v87, v88, v163
	v_min_f32_e32 v88, v89, v90
	v_min3_f32 v86, v86, v88, v87
	v_lshlrev_b64 v[88:89], 3, v[140:141]
	v_cvt_f64_f32_e32 v[86:87], v86
	v_add_co_u32 v88, vcc_lo, v82, v88
	v_add_co_ci_u32_e64 v89, null, v83, v89, vcc_lo
	flat_store_dwordx2 v[88:89], v[86:87]
	s_or_b32 exec_lo, exec_lo, s12
	s_and_b32 s12, s7, s8
	s_and_saveexec_b32 s8, s12
	s_cbranch_execz .LBB121_331
.LBB121_327:
	v_cmp_ne_u32_e32 vcc_lo, 1, v144
	s_cbranch_vccnz .LBB121_329
; %bb.328:
	v_lshlrev_b64 v[86:87], 3, v[142:143]
	v_add_co_u32 v84, vcc_lo, v84, v86
	v_add_co_ci_u32_e64 v85, null, v85, v87, vcc_lo
	flat_load_dwordx2 v[84:85], v[84:85]
	s_waitcnt vmcnt(0) lgkmcnt(0)
	v_mul_f64 v[84:85], s[10:11], v[84:85]
	v_cvt_f32_f64_e32 v84, v[84:85]
	s_branch .LBB121_330
.LBB121_329:
	v_mov_b32_e32 v84, 0
.LBB121_330:
	v_add_f64 v[78:79], v[6:7], v[78:79]
	v_add_f64 v[80:81], v[8:9], v[80:81]
	;; [unrolled: 1-line block ×4, first 2 shown]
	v_cvt_f32_f64_e32 v78, v[78:79]
	v_cvt_f32_f64_e32 v79, v[80:81]
	;; [unrolled: 1-line block ×4, first 2 shown]
	v_min3_f32 v76, v78, v79, v162
	v_min_f32_e32 v74, v74, v75
	v_min3_f32 v74, v84, v74, v76
	v_lshlrev_b64 v[76:77], 3, v[142:143]
	v_cvt_f64_f32_e32 v[74:75], v74
	v_add_co_u32 v76, vcc_lo, v82, v76
	v_add_co_ci_u32_e64 v77, null, v83, v77, vcc_lo
	flat_store_dwordx2 v[76:77], v[74:75]
.LBB121_331:
	s_or_b32 exec_lo, exec_lo, s8
	v_add_nc_u32_e32 v78, 0xe0, v145
	v_mad_i64_i32 v[74:75], null, v78, s18, 0
	v_mad_i64_i32 v[76:77], null, v78, s14, 0
	v_cmp_gt_i32_e64 s8, s13, v78
	v_lshlrev_b64 v[74:75], 3, v[74:75]
	v_lshlrev_b64 v[78:79], 3, v[76:77]
	v_add_co_u32 v76, vcc_lo, s16, v74
	v_add_co_ci_u32_e64 v77, null, s17, v75, vcc_lo
	v_add_co_u32 v74, vcc_lo, s19, v78
	v_add_co_ci_u32_e64 v75, null, s9, v79, vcc_lo
	s_and_b32 s9, s0, s8
	s_and_saveexec_b32 s0, s9
	s_cbranch_execnz .LBB121_340
; %bb.332:
	s_or_b32 exec_lo, exec_lo, s0
	s_and_b32 s1, s1, s8
	s_and_saveexec_b32 s0, s1
	s_cbranch_execnz .LBB121_344
.LBB121_333:
	s_or_b32 exec_lo, exec_lo, s0
	s_and_b32 s1, s2, s8
	s_and_saveexec_b32 s0, s1
	s_cbranch_execnz .LBB121_348
.LBB121_334:
	s_or_b32 exec_lo, exec_lo, s0
	s_and_b32 s1, s3, s8
	s_and_saveexec_b32 s0, s1
	s_cbranch_execnz .LBB121_352
.LBB121_335:
	s_or_b32 exec_lo, exec_lo, s0
	s_and_b32 s1, s4, s8
	s_and_saveexec_b32 s0, s1
	s_cbranch_execnz .LBB121_356
.LBB121_336:
	s_or_b32 exec_lo, exec_lo, s0
	s_and_b32 s1, s5, s8
	s_and_saveexec_b32 s0, s1
	s_cbranch_execnz .LBB121_360
.LBB121_337:
	s_or_b32 exec_lo, exec_lo, s0
	s_and_b32 s1, s6, s8
	s_and_saveexec_b32 s0, s1
	s_cbranch_execnz .LBB121_364
.LBB121_338:
	s_or_b32 exec_lo, exec_lo, s0
	s_and_b32 s0, s7, s8
	s_and_saveexec_b32 s1, s0
	s_cbranch_execnz .LBB121_368
.LBB121_339:
	s_endpgm
.LBB121_340:
	v_cmp_ne_u32_e32 vcc_lo, 1, v144
	v_lshlrev_b64 v[0:1], 3, v[0:1]
	s_cbranch_vccnz .LBB121_342
; %bb.341:
	v_add_co_u32 v78, vcc_lo, v76, v0
	v_add_co_ci_u32_e64 v79, null, v77, v1, vcc_lo
	flat_load_dwordx2 v[78:79], v[78:79]
	s_waitcnt vmcnt(0) lgkmcnt(0)
	v_mul_f64 v[78:79], s[10:11], v[78:79]
	v_cvt_f32_f64_e32 v78, v[78:79]
	s_branch .LBB121_343
.LBB121_342:
	v_mov_b32_e32 v78, 0
.LBB121_343:
	v_add_f64 v[70:71], v[70:71], v[14:15]
	v_add_f64 v[72:73], v[72:73], v[16:17]
	v_add_f64 v[66:67], v[66:67], v[10:11]
	v_add_f64 v[68:69], v[68:69], v[12:13]
	v_add_co_u32 v0, vcc_lo, v74, v0
	v_add_co_ci_u32_e64 v1, null, v75, v1, vcc_lo
	v_cvt_f32_f64_e32 v70, v[70:71]
	v_cvt_f32_f64_e32 v71, v[72:73]
	;; [unrolled: 1-line block ×4, first 2 shown]
	v_min3_f32 v68, v70, v71, v161
	v_min_f32_e32 v66, v66, v67
	v_min3_f32 v66, v78, v66, v68
	v_cvt_f64_f32_e32 v[66:67], v66
	flat_store_dwordx2 v[0:1], v[66:67]
	s_or_b32 exec_lo, exec_lo, s0
	s_and_b32 s1, s1, s8
	s_and_saveexec_b32 s0, s1
	s_cbranch_execz .LBB121_333
.LBB121_344:
	v_cmp_ne_u32_e32 vcc_lo, 1, v144
	v_lshlrev_b64 v[0:1], 3, v[130:131]
	s_cbranch_vccnz .LBB121_346
; %bb.345:
	v_add_co_u32 v66, vcc_lo, v76, v0
	v_add_co_ci_u32_e64 v67, null, v77, v1, vcc_lo
	flat_load_dwordx2 v[66:67], v[66:67]
	s_waitcnt vmcnt(0) lgkmcnt(0)
	v_mul_f64 v[66:67], s[10:11], v[66:67]
	v_cvt_f32_f64_e32 v66, v[66:67]
	s_branch .LBB121_347
.LBB121_346:
	v_mov_b32_e32 v66, 0
.LBB121_347:
	v_add_f64 v[62:63], v[62:63], v[14:15]
	v_add_f64 v[64:65], v[64:65], v[16:17]
	;; [unrolled: 1-line block ×4, first 2 shown]
	v_add_co_u32 v0, vcc_lo, v74, v0
	v_add_co_ci_u32_e64 v1, null, v75, v1, vcc_lo
	v_cvt_f32_f64_e32 v62, v[62:63]
	v_cvt_f32_f64_e32 v63, v[64:65]
	;; [unrolled: 1-line block ×4, first 2 shown]
	v_min3_f32 v60, v62, v63, v160
	v_min_f32_e32 v58, v58, v59
	v_min3_f32 v58, v66, v58, v60
	v_cvt_f64_f32_e32 v[58:59], v58
	flat_store_dwordx2 v[0:1], v[58:59]
	s_or_b32 exec_lo, exec_lo, s0
	s_and_b32 s1, s2, s8
	s_and_saveexec_b32 s0, s1
	s_cbranch_execz .LBB121_334
.LBB121_348:
	v_cmp_ne_u32_e32 vcc_lo, 1, v144
	v_lshlrev_b64 v[0:1], 3, v[132:133]
	s_cbranch_vccnz .LBB121_350
; %bb.349:
	v_add_co_u32 v58, vcc_lo, v76, v0
	v_add_co_ci_u32_e64 v59, null, v77, v1, vcc_lo
	flat_load_dwordx2 v[58:59], v[58:59]
	s_waitcnt vmcnt(0) lgkmcnt(0)
	v_mul_f64 v[58:59], s[10:11], v[58:59]
	v_cvt_f32_f64_e32 v58, v[58:59]
	s_branch .LBB121_351
.LBB121_350:
	v_mov_b32_e32 v58, 0
.LBB121_351:
	v_add_f64 v[54:55], v[54:55], v[14:15]
	v_add_f64 v[56:57], v[56:57], v[16:17]
	;; [unrolled: 1-line block ×4, first 2 shown]
	v_add_co_u32 v0, vcc_lo, v74, v0
	v_add_co_ci_u32_e64 v1, null, v75, v1, vcc_lo
	v_cvt_f32_f64_e32 v54, v[54:55]
	v_cvt_f32_f64_e32 v55, v[56:57]
	;; [unrolled: 1-line block ×4, first 2 shown]
	v_min3_f32 v52, v54, v55, v159
	v_min_f32_e32 v50, v50, v51
	v_min3_f32 v50, v58, v50, v52
	v_cvt_f64_f32_e32 v[50:51], v50
	flat_store_dwordx2 v[0:1], v[50:51]
	s_or_b32 exec_lo, exec_lo, s0
	s_and_b32 s1, s3, s8
	s_and_saveexec_b32 s0, s1
	s_cbranch_execz .LBB121_335
.LBB121_352:
	v_cmp_ne_u32_e32 vcc_lo, 1, v144
	v_lshlrev_b64 v[0:1], 3, v[134:135]
	s_cbranch_vccnz .LBB121_354
; %bb.353:
	v_add_co_u32 v50, vcc_lo, v76, v0
	v_add_co_ci_u32_e64 v51, null, v77, v1, vcc_lo
	flat_load_dwordx2 v[50:51], v[50:51]
	s_waitcnt vmcnt(0) lgkmcnt(0)
	v_mul_f64 v[50:51], s[10:11], v[50:51]
	v_cvt_f32_f64_e32 v50, v[50:51]
	s_branch .LBB121_355
.LBB121_354:
	v_mov_b32_e32 v50, 0
.LBB121_355:
	v_add_f64 v[46:47], v[46:47], v[14:15]
	v_add_f64 v[48:49], v[48:49], v[16:17]
	;; [unrolled: 1-line block ×4, first 2 shown]
	v_add_co_u32 v0, vcc_lo, v74, v0
	v_add_co_ci_u32_e64 v1, null, v75, v1, vcc_lo
	v_cvt_f32_f64_e32 v46, v[46:47]
	v_cvt_f32_f64_e32 v47, v[48:49]
	;; [unrolled: 1-line block ×4, first 2 shown]
	v_min3_f32 v44, v46, v47, v158
	v_min_f32_e32 v42, v42, v43
	v_min3_f32 v42, v50, v42, v44
	v_cvt_f64_f32_e32 v[42:43], v42
	flat_store_dwordx2 v[0:1], v[42:43]
	s_or_b32 exec_lo, exec_lo, s0
	s_and_b32 s1, s4, s8
	s_and_saveexec_b32 s0, s1
	s_cbranch_execz .LBB121_336
.LBB121_356:
	v_cmp_ne_u32_e32 vcc_lo, 1, v144
	v_lshlrev_b64 v[0:1], 3, v[136:137]
	s_cbranch_vccnz .LBB121_358
; %bb.357:
	v_add_co_u32 v42, vcc_lo, v76, v0
	v_add_co_ci_u32_e64 v43, null, v77, v1, vcc_lo
	flat_load_dwordx2 v[42:43], v[42:43]
	s_waitcnt vmcnt(0) lgkmcnt(0)
	v_mul_f64 v[42:43], s[10:11], v[42:43]
	v_cvt_f32_f64_e32 v42, v[42:43]
	s_branch .LBB121_359
.LBB121_358:
	v_mov_b32_e32 v42, 0
.LBB121_359:
	v_add_f64 v[38:39], v[38:39], v[14:15]
	v_add_f64 v[40:41], v[40:41], v[16:17]
	;; [unrolled: 1-line block ×4, first 2 shown]
	v_add_co_u32 v0, vcc_lo, v74, v0
	v_add_co_ci_u32_e64 v1, null, v75, v1, vcc_lo
	v_cvt_f32_f64_e32 v38, v[38:39]
	v_cvt_f32_f64_e32 v39, v[40:41]
	;; [unrolled: 1-line block ×4, first 2 shown]
	v_min3_f32 v36, v38, v39, v157
	v_min_f32_e32 v34, v34, v35
	v_min3_f32 v34, v42, v34, v36
	v_cvt_f64_f32_e32 v[34:35], v34
	flat_store_dwordx2 v[0:1], v[34:35]
	s_or_b32 exec_lo, exec_lo, s0
	s_and_b32 s1, s5, s8
	s_and_saveexec_b32 s0, s1
	s_cbranch_execz .LBB121_337
.LBB121_360:
	v_cmp_ne_u32_e32 vcc_lo, 1, v144
	v_lshlrev_b64 v[0:1], 3, v[138:139]
	s_cbranch_vccnz .LBB121_362
; %bb.361:
	v_add_co_u32 v34, vcc_lo, v76, v0
	v_add_co_ci_u32_e64 v35, null, v77, v1, vcc_lo
	flat_load_dwordx2 v[34:35], v[34:35]
	s_waitcnt vmcnt(0) lgkmcnt(0)
	v_mul_f64 v[34:35], s[10:11], v[34:35]
	v_cvt_f32_f64_e32 v34, v[34:35]
	s_branch .LBB121_363
.LBB121_362:
	v_mov_b32_e32 v34, 0
.LBB121_363:
	v_add_f64 v[30:31], v[30:31], v[14:15]
	v_add_f64 v[32:33], v[32:33], v[16:17]
	;; [unrolled: 1-line block ×4, first 2 shown]
	v_add_co_u32 v0, vcc_lo, v74, v0
	v_add_co_ci_u32_e64 v1, null, v75, v1, vcc_lo
	v_cvt_f32_f64_e32 v30, v[30:31]
	v_cvt_f32_f64_e32 v31, v[32:33]
	;; [unrolled: 1-line block ×4, first 2 shown]
	v_min3_f32 v28, v30, v31, v156
	v_min_f32_e32 v26, v26, v27
	v_min3_f32 v26, v34, v26, v28
	v_cvt_f64_f32_e32 v[26:27], v26
	flat_store_dwordx2 v[0:1], v[26:27]
	s_or_b32 exec_lo, exec_lo, s0
	s_and_b32 s1, s6, s8
	s_and_saveexec_b32 s0, s1
	s_cbranch_execz .LBB121_338
.LBB121_364:
	v_cmp_ne_u32_e32 vcc_lo, 1, v144
	v_lshlrev_b64 v[0:1], 3, v[140:141]
	s_cbranch_vccnz .LBB121_366
; %bb.365:
	v_add_co_u32 v26, vcc_lo, v76, v0
	v_add_co_ci_u32_e64 v27, null, v77, v1, vcc_lo
	flat_load_dwordx2 v[26:27], v[26:27]
	s_waitcnt vmcnt(0) lgkmcnt(0)
	v_mul_f64 v[26:27], s[10:11], v[26:27]
	v_cvt_f32_f64_e32 v26, v[26:27]
	s_branch .LBB121_367
.LBB121_366:
	v_mov_b32_e32 v26, 0
.LBB121_367:
	v_add_f64 v[22:23], v[22:23], v[14:15]
	v_add_f64 v[24:25], v[24:25], v[16:17]
	;; [unrolled: 1-line block ×4, first 2 shown]
	v_add_co_u32 v0, vcc_lo, v74, v0
	v_add_co_ci_u32_e64 v1, null, v75, v1, vcc_lo
	v_cvt_f32_f64_e32 v22, v[22:23]
	v_cvt_f32_f64_e32 v23, v[24:25]
	;; [unrolled: 1-line block ×4, first 2 shown]
	v_min3_f32 v20, v22, v23, v155
	v_min_f32_e32 v18, v18, v19
	v_min3_f32 v18, v26, v18, v20
	v_cvt_f64_f32_e32 v[18:19], v18
	flat_store_dwordx2 v[0:1], v[18:19]
	s_or_b32 exec_lo, exec_lo, s0
	s_and_b32 s0, s7, s8
	s_and_saveexec_b32 s1, s0
	s_cbranch_execz .LBB121_339
.LBB121_368:
	v_cmp_ne_u32_e32 vcc_lo, 1, v144
	v_lshlrev_b64 v[0:1], 3, v[142:143]
	s_cbranch_vccnz .LBB121_370
; %bb.369:
	v_add_co_u32 v18, vcc_lo, v76, v0
	v_add_co_ci_u32_e64 v19, null, v77, v1, vcc_lo
	flat_load_dwordx2 v[18:19], v[18:19]
	s_waitcnt vmcnt(0) lgkmcnt(0)
	v_mul_f64 v[18:19], s[10:11], v[18:19]
	v_cvt_f32_f64_e32 v18, v[18:19]
	s_branch .LBB121_371
.LBB121_370:
	v_mov_b32_e32 v18, 0
.LBB121_371:
	v_add_f64 v[6:7], v[6:7], v[14:15]
	v_add_f64 v[8:9], v[8:9], v[16:17]
	;; [unrolled: 1-line block ×4, first 2 shown]
	v_add_co_u32 v0, vcc_lo, v74, v0
	v_add_co_ci_u32_e64 v1, null, v75, v1, vcc_lo
	v_cvt_f32_f64_e32 v6, v[6:7]
	v_cvt_f32_f64_e32 v7, v[8:9]
	;; [unrolled: 1-line block ×4, first 2 shown]
	v_min3_f32 v4, v6, v7, v154
	v_min_f32_e32 v2, v2, v3
	v_min3_f32 v2, v18, v2, v4
	v_cvt_f64_f32_e32 v[2:3], v2
	flat_store_dwordx2 v[0:1], v[2:3]
	s_endpgm
	.section	.rodata,"a",@progbits
	.p2align	6, 0x0
	.amdhsa_kernel _ZN12_GLOBAL__N_120geam_min_plus_kernelId15HIP_vector_typeIdLj2EEdLi8ELi32ELi64ELi256ELi4ELi64ELi4ELi64ELi4ELc78ELc84ELb1ELb1ELb1EdKPKdKPdEEviiiT16_PT17_ilSA_ilS8_SA_ilPT18_ili26rocblas_geam_ex_operation_
		.amdhsa_group_segment_fixed_size 20480
		.amdhsa_private_segment_fixed_size 0
		.amdhsa_kernarg_size 136
		.amdhsa_user_sgpr_count 6
		.amdhsa_user_sgpr_private_segment_buffer 1
		.amdhsa_user_sgpr_dispatch_ptr 0
		.amdhsa_user_sgpr_queue_ptr 0
		.amdhsa_user_sgpr_kernarg_segment_ptr 1
		.amdhsa_user_sgpr_dispatch_id 0
		.amdhsa_user_sgpr_flat_scratch_init 0
		.amdhsa_user_sgpr_private_segment_size 0
		.amdhsa_wavefront_size32 1
		.amdhsa_uses_dynamic_stack 0
		.amdhsa_system_sgpr_private_segment_wavefront_offset 0
		.amdhsa_system_sgpr_workgroup_id_x 1
		.amdhsa_system_sgpr_workgroup_id_y 0
		.amdhsa_system_sgpr_workgroup_id_z 1
		.amdhsa_system_sgpr_workgroup_info 0
		.amdhsa_system_vgpr_workitem_id 1
		.amdhsa_next_free_vgpr 232
		.amdhsa_next_free_sgpr 29
		.amdhsa_reserve_vcc 1
		.amdhsa_reserve_flat_scratch 0
		.amdhsa_float_round_mode_32 0
		.amdhsa_float_round_mode_16_64 0
		.amdhsa_float_denorm_mode_32 3
		.amdhsa_float_denorm_mode_16_64 3
		.amdhsa_dx10_clamp 1
		.amdhsa_ieee_mode 1
		.amdhsa_fp16_overflow 0
		.amdhsa_workgroup_processor_mode 1
		.amdhsa_memory_ordered 1
		.amdhsa_forward_progress 1
		.amdhsa_shared_vgpr_count 0
		.amdhsa_exception_fp_ieee_invalid_op 0
		.amdhsa_exception_fp_denorm_src 0
		.amdhsa_exception_fp_ieee_div_zero 0
		.amdhsa_exception_fp_ieee_overflow 0
		.amdhsa_exception_fp_ieee_underflow 0
		.amdhsa_exception_fp_ieee_inexact 0
		.amdhsa_exception_int_div_zero 0
	.end_amdhsa_kernel
	.section	.text._ZN12_GLOBAL__N_120geam_min_plus_kernelId15HIP_vector_typeIdLj2EEdLi8ELi32ELi64ELi256ELi4ELi64ELi4ELi64ELi4ELc78ELc84ELb1ELb1ELb1EdKPKdKPdEEviiiT16_PT17_ilSA_ilS8_SA_ilPT18_ili26rocblas_geam_ex_operation_,"axG",@progbits,_ZN12_GLOBAL__N_120geam_min_plus_kernelId15HIP_vector_typeIdLj2EEdLi8ELi32ELi64ELi256ELi4ELi64ELi4ELi64ELi4ELc78ELc84ELb1ELb1ELb1EdKPKdKPdEEviiiT16_PT17_ilSA_ilS8_SA_ilPT18_ili26rocblas_geam_ex_operation_,comdat
.Lfunc_end121:
	.size	_ZN12_GLOBAL__N_120geam_min_plus_kernelId15HIP_vector_typeIdLj2EEdLi8ELi32ELi64ELi256ELi4ELi64ELi4ELi64ELi4ELc78ELc84ELb1ELb1ELb1EdKPKdKPdEEviiiT16_PT17_ilSA_ilS8_SA_ilPT18_ili26rocblas_geam_ex_operation_, .Lfunc_end121-_ZN12_GLOBAL__N_120geam_min_plus_kernelId15HIP_vector_typeIdLj2EEdLi8ELi32ELi64ELi256ELi4ELi64ELi4ELi64ELi4ELc78ELc84ELb1ELb1ELb1EdKPKdKPdEEviiiT16_PT17_ilSA_ilS8_SA_ilPT18_ili26rocblas_geam_ex_operation_
                                        ; -- End function
	.set _ZN12_GLOBAL__N_120geam_min_plus_kernelId15HIP_vector_typeIdLj2EEdLi8ELi32ELi64ELi256ELi4ELi64ELi4ELi64ELi4ELc78ELc84ELb1ELb1ELb1EdKPKdKPdEEviiiT16_PT17_ilSA_ilS8_SA_ilPT18_ili26rocblas_geam_ex_operation_.num_vgpr, 232
	.set _ZN12_GLOBAL__N_120geam_min_plus_kernelId15HIP_vector_typeIdLj2EEdLi8ELi32ELi64ELi256ELi4ELi64ELi4ELi64ELi4ELc78ELc84ELb1ELb1ELb1EdKPKdKPdEEviiiT16_PT17_ilSA_ilS8_SA_ilPT18_ili26rocblas_geam_ex_operation_.num_agpr, 0
	.set _ZN12_GLOBAL__N_120geam_min_plus_kernelId15HIP_vector_typeIdLj2EEdLi8ELi32ELi64ELi256ELi4ELi64ELi4ELi64ELi4ELc78ELc84ELb1ELb1ELb1EdKPKdKPdEEviiiT16_PT17_ilSA_ilS8_SA_ilPT18_ili26rocblas_geam_ex_operation_.numbered_sgpr, 29
	.set _ZN12_GLOBAL__N_120geam_min_plus_kernelId15HIP_vector_typeIdLj2EEdLi8ELi32ELi64ELi256ELi4ELi64ELi4ELi64ELi4ELc78ELc84ELb1ELb1ELb1EdKPKdKPdEEviiiT16_PT17_ilSA_ilS8_SA_ilPT18_ili26rocblas_geam_ex_operation_.num_named_barrier, 0
	.set _ZN12_GLOBAL__N_120geam_min_plus_kernelId15HIP_vector_typeIdLj2EEdLi8ELi32ELi64ELi256ELi4ELi64ELi4ELi64ELi4ELc78ELc84ELb1ELb1ELb1EdKPKdKPdEEviiiT16_PT17_ilSA_ilS8_SA_ilPT18_ili26rocblas_geam_ex_operation_.private_seg_size, 0
	.set _ZN12_GLOBAL__N_120geam_min_plus_kernelId15HIP_vector_typeIdLj2EEdLi8ELi32ELi64ELi256ELi4ELi64ELi4ELi64ELi4ELc78ELc84ELb1ELb1ELb1EdKPKdKPdEEviiiT16_PT17_ilSA_ilS8_SA_ilPT18_ili26rocblas_geam_ex_operation_.uses_vcc, 1
	.set _ZN12_GLOBAL__N_120geam_min_plus_kernelId15HIP_vector_typeIdLj2EEdLi8ELi32ELi64ELi256ELi4ELi64ELi4ELi64ELi4ELc78ELc84ELb1ELb1ELb1EdKPKdKPdEEviiiT16_PT17_ilSA_ilS8_SA_ilPT18_ili26rocblas_geam_ex_operation_.uses_flat_scratch, 0
	.set _ZN12_GLOBAL__N_120geam_min_plus_kernelId15HIP_vector_typeIdLj2EEdLi8ELi32ELi64ELi256ELi4ELi64ELi4ELi64ELi4ELc78ELc84ELb1ELb1ELb1EdKPKdKPdEEviiiT16_PT17_ilSA_ilS8_SA_ilPT18_ili26rocblas_geam_ex_operation_.has_dyn_sized_stack, 0
	.set _ZN12_GLOBAL__N_120geam_min_plus_kernelId15HIP_vector_typeIdLj2EEdLi8ELi32ELi64ELi256ELi4ELi64ELi4ELi64ELi4ELc78ELc84ELb1ELb1ELb1EdKPKdKPdEEviiiT16_PT17_ilSA_ilS8_SA_ilPT18_ili26rocblas_geam_ex_operation_.has_recursion, 0
	.set _ZN12_GLOBAL__N_120geam_min_plus_kernelId15HIP_vector_typeIdLj2EEdLi8ELi32ELi64ELi256ELi4ELi64ELi4ELi64ELi4ELc78ELc84ELb1ELb1ELb1EdKPKdKPdEEviiiT16_PT17_ilSA_ilS8_SA_ilPT18_ili26rocblas_geam_ex_operation_.has_indirect_call, 0
	.section	.AMDGPU.csdata,"",@progbits
; Kernel info:
; codeLenInByte = 29172
; TotalNumSgprs: 31
; NumVgprs: 232
; ScratchSize: 0
; MemoryBound: 0
; FloatMode: 240
; IeeeMode: 1
; LDSByteSize: 20480 bytes/workgroup (compile time only)
; SGPRBlocks: 0
; VGPRBlocks: 28
; NumSGPRsForWavesPerEU: 31
; NumVGPRsForWavesPerEU: 232
; Occupancy: 4
; WaveLimiterHint : 1
; COMPUTE_PGM_RSRC2:SCRATCH_EN: 0
; COMPUTE_PGM_RSRC2:USER_SGPR: 6
; COMPUTE_PGM_RSRC2:TRAP_HANDLER: 0
; COMPUTE_PGM_RSRC2:TGID_X_EN: 1
; COMPUTE_PGM_RSRC2:TGID_Y_EN: 0
; COMPUTE_PGM_RSRC2:TGID_Z_EN: 1
; COMPUTE_PGM_RSRC2:TIDIG_COMP_CNT: 1
	.section	.text._ZN12_GLOBAL__N_120geam_min_plus_kernelId15HIP_vector_typeIdLj2EEdLi8ELi32ELi64ELi256ELi4ELi64ELi4ELi64ELi4ELc78ELc84ELb0ELb1ELb1EdKPKdKPdEEviiiT16_PT17_ilSA_ilS8_SA_ilPT18_ili26rocblas_geam_ex_operation_,"axG",@progbits,_ZN12_GLOBAL__N_120geam_min_plus_kernelId15HIP_vector_typeIdLj2EEdLi8ELi32ELi64ELi256ELi4ELi64ELi4ELi64ELi4ELc78ELc84ELb0ELb1ELb1EdKPKdKPdEEviiiT16_PT17_ilSA_ilS8_SA_ilPT18_ili26rocblas_geam_ex_operation_,comdat
	.globl	_ZN12_GLOBAL__N_120geam_min_plus_kernelId15HIP_vector_typeIdLj2EEdLi8ELi32ELi64ELi256ELi4ELi64ELi4ELi64ELi4ELc78ELc84ELb0ELb1ELb1EdKPKdKPdEEviiiT16_PT17_ilSA_ilS8_SA_ilPT18_ili26rocblas_geam_ex_operation_ ; -- Begin function _ZN12_GLOBAL__N_120geam_min_plus_kernelId15HIP_vector_typeIdLj2EEdLi8ELi32ELi64ELi256ELi4ELi64ELi4ELi64ELi4ELc78ELc84ELb0ELb1ELb1EdKPKdKPdEEviiiT16_PT17_ilSA_ilS8_SA_ilPT18_ili26rocblas_geam_ex_operation_
	.p2align	8
	.type	_ZN12_GLOBAL__N_120geam_min_plus_kernelId15HIP_vector_typeIdLj2EEdLi8ELi32ELi64ELi256ELi4ELi64ELi4ELi64ELi4ELc78ELc84ELb0ELb1ELb1EdKPKdKPdEEviiiT16_PT17_ilSA_ilS8_SA_ilPT18_ili26rocblas_geam_ex_operation_,@function
_ZN12_GLOBAL__N_120geam_min_plus_kernelId15HIP_vector_typeIdLj2EEdLi8ELi32ELi64ELi256ELi4ELi64ELi4ELi64ELi4ELc78ELc84ELb0ELb1ELb1EdKPKdKPdEEviiiT16_PT17_ilSA_ilS8_SA_ilPT18_ili26rocblas_geam_ex_operation_: ; @_ZN12_GLOBAL__N_120geam_min_plus_kernelId15HIP_vector_typeIdLj2EEdLi8ELi32ELi64ELi256ELi4ELi64ELi4ELi64ELi4ELc78ELc84ELb0ELb1ELb1EdKPKdKPdEEviiiT16_PT17_ilSA_ilS8_SA_ilPT18_ili26rocblas_geam_ex_operation_
; %bb.0:
	s_clause 0x1
	s_load_dwordx4 s[16:19], s[4:5], 0x10
	s_load_dwordx4 s[0:3], s[4:5], 0x28
	s_mov_b32 s26, s7
	s_mov_b64 s[22:23], 0
	s_waitcnt lgkmcnt(0)
	v_cmp_eq_f64_e64 s7, s[16:17], 0
	s_and_b32 vcc_lo, exec_lo, s7
	s_cbranch_vccnz .LBB122_2
; %bb.1:
	s_mov_b32 s27, 0
	s_lshl_b64 s[8:9], s[26:27], 3
	s_add_u32 s8, s18, s8
	s_addc_u32 s9, s19, s9
	s_lshl_b64 s[0:1], s[0:1], 3
	s_load_dwordx2 s[8:9], s[8:9], 0x0
	s_waitcnt lgkmcnt(0)
	s_add_u32 s22, s8, s0
	s_addc_u32 s23, s9, s1
.LBB122_2:
	s_clause 0x1
	s_load_dwordx4 s[8:11], s[4:5], 0x40
	s_load_dwordx2 s[12:13], s[4:5], 0x50
	s_andn2_b32 vcc_lo, exec_lo, s7
	s_mov_b32 s27, 0
	s_cbranch_vccnz .LBB122_4
; %bb.3:
	s_mov_b32 s0, s27
	s_mov_b64 s[18:19], 0
	s_andn2_b32 vcc_lo, exec_lo, s0
	s_mov_b64 s[20:21], 0
	s_cbranch_vccz .LBB122_5
	s_branch .LBB122_6
.LBB122_4:
	s_mov_b64 s[18:19], 0
	s_mov_b64 s[20:21], 0
.LBB122_5:
	s_lshl_b64 s[0:1], s[26:27], 3
	s_add_u32 s0, s2, s0
	s_addc_u32 s1, s3, s1
	s_waitcnt lgkmcnt(0)
	s_lshl_b64 s[2:3], s[8:9], 3
	s_load_dwordx2 s[0:1], s[0:1], 0x0
	s_waitcnt lgkmcnt(0)
	s_add_u32 s20, s0, s2
	s_addc_u32 s21, s1, s3
.LBB122_6:
	s_waitcnt lgkmcnt(0)
	v_cmp_eq_f64_e64 s7, s[10:11], 0
	v_cmp_neq_f64_e64 s28, s[10:11], 0
	s_load_dwordx4 s[0:3], s[4:5], 0x60
	s_and_b32 vcc_lo, exec_lo, s7
	s_cbranch_vccnz .LBB122_8
; %bb.7:
	s_lshl_b64 s[8:9], s[26:27], 3
	s_add_u32 s8, s12, s8
	s_addc_u32 s9, s13, s9
	s_waitcnt lgkmcnt(0)
	s_lshl_b64 s[0:1], s[0:1], 3
	s_load_dwordx2 s[8:9], s[8:9], 0x0
	s_waitcnt lgkmcnt(0)
	s_add_u32 s18, s8, s0
	s_addc_u32 s19, s9, s1
.LBB122_8:
	s_clause 0x1
	s_load_dword s24, s[4:5], 0x20
	s_load_dwordx4 s[12:15], s[4:5], 0x0
	s_waitcnt lgkmcnt(0)
	s_lshl_b64 s[0:1], s[26:27], 3
	v_cmp_eq_f64_e64 s27, s[16:17], 0
	s_ashr_i32 s25, s24, 31
	s_add_u32 s8, s2, s0
	s_addc_u32 s9, s3, s1
	s_add_i32 s0, s12, -1
	s_ashr_i32 s1, s0, 31
	s_lshr_b32 s1, s1, 26
	s_add_i32 s0, s0, s1
	s_ashr_i32 s0, s0, 6
	s_add_i32 s2, s0, 1
	s_not_b32 s0, s0
	v_cvt_f32_u32_e32 v2, s2
	v_rcp_iflag_f32_e32 v2, v2
	v_mul_f32_e32 v2, 0x4f7ffffe, v2
	v_cvt_u32_f32_e32 v2, v2
	v_readfirstlane_b32 s1, v2
	v_lshl_add_u32 v2, v1, 3, v0
	s_mul_i32 s0, s0, s1
	v_and_b32_e32 v12, 63, v2
	s_mul_hi_u32 s0, s1, s0
	v_lshrrev_b32_e32 v146, 6, v2
	s_add_i32 s1, s1, s0
                                        ; implicit-def: $vgpr2_vgpr3
	s_mul_hi_u32 s0, s6, s1
	s_mul_i32 s1, s0, s2
	s_add_i32 s3, s0, 1
	s_sub_i32 s1, s6, s1
	s_sub_i32 s7, s1, s2
	s_cmp_ge_u32 s1, s2
	s_cselect_b32 s0, s3, s0
	s_cselect_b32 s1, s7, s1
	s_add_i32 s3, s0, 1
	s_cmp_ge_u32 s1, s2
	s_cselect_b32 s1, s3, s0
                                        ; implicit-def: $sgpr3
	s_mul_i32 s0, s1, s2
	s_sub_i32 s0, s6, s0
	v_cmp_le_i32_e64 s6, s14, v146
	s_lshl_b32 s15, s0, 6
	v_or_b32_e32 v66, s15, v12
	v_cmp_le_i32_e32 vcc_lo, s12, v66
	v_ashrrev_i32_e32 v67, 31, v66
	s_or_b32 s2, vcc_lo, s6
	s_nor_b32 s0, s27, s2
	s_and_saveexec_b32 s7, s0
	s_xor_b32 s7, exec_lo, s7
	s_cbranch_execz .LBB122_10
; %bb.9:
	s_add_i32 s3, s14, -1
	v_lshlrev_b64 v[4:5], 3, v[66:67]
	v_min_u32_e32 v2, s3, v146
	v_mad_i64_i32 v[2:3], null, s24, v2, 0
	v_lshlrev_b64 v[2:3], 3, v[2:3]
	v_add_co_u32 v2, s0, s22, v2
	v_add_co_ci_u32_e64 v3, null, s23, v3, s0
	v_add_co_u32 v2, s0, v2, v4
	v_add_co_ci_u32_e64 v3, null, v3, v5, s0
	flat_load_dwordx2 v[2:3], v[2:3]
	s_waitcnt vmcnt(0) lgkmcnt(0)
	v_mul_f64 v[2:3], s[16:17], v[2:3]
.LBB122_10:
	s_or_saveexec_b32 s0, s7
	v_mov_b32_e32 v4, s3
	s_xor_b32 exec_lo, exec_lo, s0
; %bb.11:
	s_add_i32 s3, s14, -1
	v_cndmask_b32_e64 v3, 0, 0x7fefffff, s2
	v_cndmask_b32_e64 v2, 0, -1, s2
	v_mov_b32_e32 v4, s3
; %bb.12:
	s_or_b32 exec_lo, exec_lo, s0
	s_load_dword s29, s[4:5], 0x38
	v_min_i32_e32 v4, v146, v4
	s_lshl_b32 s26, s1, 8
	v_or_b32_e32 v68, s26, v12
	v_cmp_le_i32_e64 s0, s13, v68
	v_ashrrev_i32_e32 v69, 31, v68
	s_or_b32 s2, s0, s6
	s_waitcnt lgkmcnt(0)
	v_mad_i64_i32 v[4:5], null, v4, s29, 0
	v_lshlrev_b64 v[6:7], 3, v[4:5]
	v_cndmask_b32_e64 v5, 0, 0x7fefffff, s2
	v_cndmask_b32_e64 v4, 0, -1, s2
	v_add_co_u32 v13, s1, s20, v6
	v_add_co_ci_u32_e64 v14, null, s21, v7, s1
	s_nor_b32 s1, s27, s2
	s_and_saveexec_b32 s2, s1
	s_cbranch_execz .LBB122_14
; %bb.13:
	v_lshlrev_b64 v[4:5], 3, v[68:69]
	v_add_co_u32 v4, s1, v13, v4
	v_add_co_ci_u32_e64 v5, null, v14, v5, s1
	flat_load_dwordx2 v[4:5], v[4:5]
	s_waitcnt vmcnt(0) lgkmcnt(0)
	v_mul_f64 v[4:5], s[16:17], v[4:5]
.LBB122_14:
	s_or_b32 exec_lo, exec_lo, s2
	v_or_b32_e32 v6, 64, v68
	v_cmp_le_i32_e64 s1, s13, v6
	s_or_b32 s2, s1, s6
	v_cndmask_b32_e64 v7, 0, 0x7fefffff, s2
	v_cndmask_b32_e64 v6, 0, -1, s2
	s_nor_b32 s2, s27, s2
	s_and_saveexec_b32 s3, s2
	s_cbranch_execz .LBB122_16
; %bb.15:
	v_lshlrev_b64 v[6:7], 3, v[68:69]
	v_add_co_u32 v6, s2, v13, v6
	v_add_co_ci_u32_e64 v7, null, v14, v7, s2
	flat_load_dwordx2 v[6:7], v[6:7] offset:512
	s_waitcnt vmcnt(0) lgkmcnt(0)
	v_mul_f64 v[6:7], s[16:17], v[6:7]
.LBB122_16:
	s_or_b32 exec_lo, exec_lo, s3
	v_or_b32_e32 v8, 0x80, v68
	v_cmp_le_i32_e64 s2, s13, v8
	s_or_b32 s3, s2, s6
	v_cndmask_b32_e64 v9, 0, 0x7fefffff, s3
	v_cndmask_b32_e64 v8, 0, -1, s3
	s_nor_b32 s3, s27, s3
	s_and_saveexec_b32 s7, s3
	s_cbranch_execz .LBB122_18
; %bb.17:
	v_lshlrev_b64 v[8:9], 3, v[68:69]
	v_add_co_u32 v8, s3, v13, v8
	v_add_co_ci_u32_e64 v9, null, v14, v9, s3
	flat_load_dwordx2 v[8:9], v[8:9] offset:1024
	s_waitcnt vmcnt(0) lgkmcnt(0)
	v_mul_f64 v[8:9], s[16:17], v[8:9]
.LBB122_18:
	;; [unrolled: 17-line block ×3, first 2 shown]
	s_or_b32 exec_lo, exec_lo, s7
	v_add_nc_u32_e32 v13, 4, v146
                                        ; implicit-def: $vgpr74_vgpr75
                                        ; implicit-def: $sgpr31
	v_cmp_le_i32_e64 s6, s14, v13
	s_or_b32 s30, vcc_lo, s6
	s_nor_b32 s7, s27, s30
	s_and_saveexec_b32 s33, s7
	s_xor_b32 s33, exec_lo, s33
	s_cbranch_execz .LBB122_22
; %bb.21:
	s_add_i32 s31, s14, -1
	v_min_u32_e32 v16, s31, v13
	v_mad_u64_u32 v[14:15], null, s24, v16, 0
	v_mad_u64_u32 v[15:16], null, s25, v16, v[15:16]
	v_lshlrev_b64 v[16:17], 3, v[66:67]
	v_lshlrev_b64 v[14:15], 3, v[14:15]
	v_add_co_u32 v14, s7, s22, v14
	v_add_co_ci_u32_e64 v15, null, s23, v15, s7
	v_add_co_u32 v14, s7, v14, v16
	v_add_co_ci_u32_e64 v15, null, v15, v17, s7
	flat_load_dwordx2 v[14:15], v[14:15]
	s_waitcnt vmcnt(0) lgkmcnt(0)
	v_mul_f64 v[74:75], s[16:17], v[14:15]
.LBB122_22:
	s_or_saveexec_b32 s7, s33
	v_mov_b32_e32 v14, s31
	s_xor_b32 exec_lo, exec_lo, s7
; %bb.23:
	s_add_i32 s31, s14, -1
	v_cndmask_b32_e64 v75, 0, 0x7fefffff, s30
	v_cndmask_b32_e64 v74, 0, -1, s30
	v_mov_b32_e32 v14, s31
; %bb.24:
	s_or_b32 exec_lo, exec_lo, s7
	v_min_i32_e32 v13, v13, v14
	s_or_b32 s30, s0, s6
	v_cndmask_b32_e64 v77, 0, 0x7fefffff, s30
	v_cndmask_b32_e64 v76, 0, -1, s30
	v_mad_i64_i32 v[13:14], null, v13, s29, 0
	v_lshlrev_b64 v[13:14], 3, v[13:14]
	v_add_co_u32 v13, s7, s20, v13
	v_add_co_ci_u32_e64 v14, null, s21, v14, s7
	s_nor_b32 s7, s27, s30
	s_and_saveexec_b32 s30, s7
	s_cbranch_execz .LBB122_26
; %bb.25:
	v_lshlrev_b64 v[15:16], 3, v[68:69]
	v_add_co_u32 v15, s7, v13, v15
	v_add_co_ci_u32_e64 v16, null, v14, v16, s7
	flat_load_dwordx2 v[15:16], v[15:16]
	s_waitcnt vmcnt(0) lgkmcnt(0)
	v_mul_f64 v[76:77], s[16:17], v[15:16]
.LBB122_26:
	s_or_b32 exec_lo, exec_lo, s30
	s_or_b32 s7, s1, s6
	v_cndmask_b32_e64 v79, 0, 0x7fefffff, s7
	v_cndmask_b32_e64 v78, 0, -1, s7
	s_nor_b32 s7, s27, s7
	s_and_saveexec_b32 s30, s7
	s_cbranch_execz .LBB122_28
; %bb.27:
	v_lshlrev_b64 v[15:16], 3, v[68:69]
	v_add_co_u32 v15, s7, v13, v15
	v_add_co_ci_u32_e64 v16, null, v14, v16, s7
	flat_load_dwordx2 v[15:16], v[15:16] offset:512
	s_waitcnt vmcnt(0) lgkmcnt(0)
	v_mul_f64 v[78:79], s[16:17], v[15:16]
.LBB122_28:
	s_or_b32 exec_lo, exec_lo, s30
	s_or_b32 s7, s2, s6
	v_cndmask_b32_e64 v71, 0, 0x7fefffff, s7
	v_cndmask_b32_e64 v70, 0, -1, s7
	s_nor_b32 s7, s27, s7
	s_and_saveexec_b32 s30, s7
	s_cbranch_execz .LBB122_30
; %bb.29:
	v_lshlrev_b64 v[15:16], 3, v[68:69]
	v_add_co_u32 v15, s7, v13, v15
	v_add_co_ci_u32_e64 v16, null, v14, v16, s7
	flat_load_dwordx2 v[15:16], v[15:16] offset:1024
	s_waitcnt vmcnt(0) lgkmcnt(0)
	v_mul_f64 v[70:71], s[16:17], v[15:16]
.LBB122_30:
	;; [unrolled: 15-line block ×3, first 2 shown]
	s_or_b32 exec_lo, exec_lo, s7
	v_lshlrev_b32_e32 v12, 5, v12
	v_lshlrev_b32_e32 v148, 5, v0
	s_load_dwordx2 s[8:9], s[8:9], 0x0
	v_lshlrev_b32_e32 v147, 5, v1
	s_cmp_lt_i32 s14, 9
	v_lshl_add_u32 v149, v146, 3, v12
	ds_write_b64 v149, v[2:3] offset:16384
	ds_write2st64_b64 v149, v[4:5], v[6:7] offset1:4
	ds_write2st64_b64 v149, v[8:9], v[10:11] offset0:8 offset1:12
	s_waitcnt lgkmcnt(0)
	s_barrier
	buffer_gl0_inv
	ds_read_b128 v[10:13], v148 offset:16640
	ds_read_b128 v[14:17], v148 offset:16896
	;; [unrolled: 1-line block ×16, first 2 shown]
	ds_read_b128 v[84:87], v147
	ds_read_b128 v[6:9], v147 offset:16
	s_waitcnt lgkmcnt(1)
	v_add_f64 v[88:89], v[82:83], v[86:87]
	v_add_f64 v[90:91], v[80:81], v[84:85]
	s_waitcnt lgkmcnt(0)
	v_add_f64 v[144:145], v[4:5], v[8:9]
	v_add_f64 v[150:151], v[2:3], v[6:7]
	v_cvt_f32_f64_e32 v88, v[88:89]
	v_cvt_f32_f64_e32 v90, v[90:91]
	;; [unrolled: 1-line block ×4, first 2 shown]
	v_min3_f32 v143, v90, v88, 0x7f800000
	v_add_f64 v[88:89], v[12:13], v[86:87]
	v_add_f64 v[90:91], v[10:11], v[84:85]
	v_min3_f32 v221, v150, v144, v143
	v_cvt_f32_f64_e32 v88, v[88:89]
	v_cvt_f32_f64_e32 v90, v[90:91]
	v_min3_f32 v142, v90, v88, 0x7f800000
	v_add_f64 v[88:89], v[16:17], v[86:87]
	v_add_f64 v[90:91], v[14:15], v[84:85]
	v_cvt_f32_f64_e32 v88, v[88:89]
	v_cvt_f32_f64_e32 v90, v[90:91]
	v_min3_f32 v141, v90, v88, 0x7f800000
	v_add_f64 v[88:89], v[20:21], v[86:87]
	v_add_f64 v[90:91], v[18:19], v[84:85]
	;; [unrolled: 5-line block ×5, first 2 shown]
	v_add_f64 v[86:87], v[36:37], v[86:87]
	v_add_f64 v[84:85], v[34:35], v[84:85]
	v_cvt_f32_f64_e32 v88, v[88:89]
	v_cvt_f32_f64_e32 v90, v[90:91]
	;; [unrolled: 1-line block ×4, first 2 shown]
	v_add_f64 v[86:87], v[80:81], v[38:39]
	v_min3_f32 v137, v90, v88, 0x7f800000
	v_min3_f32 v136, v84, v85, 0x7f800000
	v_add_f64 v[84:85], v[82:83], v[40:41]
	v_cvt_f32_f64_e32 v86, v[86:87]
	v_cvt_f32_f64_e32 v84, v[84:85]
	v_min3_f32 v135, v86, v84, 0x7f800000
	v_add_f64 v[84:85], v[12:13], v[40:41]
	v_add_f64 v[86:87], v[10:11], v[38:39]
	v_cvt_f32_f64_e32 v84, v[84:85]
	v_cvt_f32_f64_e32 v86, v[86:87]
	v_min3_f32 v134, v86, v84, 0x7f800000
	v_add_f64 v[84:85], v[16:17], v[40:41]
	;; [unrolled: 5-line block ×6, first 2 shown]
	v_add_f64 v[86:87], v[30:31], v[38:39]
	v_add_f64 v[40:41], v[36:37], v[40:41]
	;; [unrolled: 1-line block ×3, first 2 shown]
	v_cvt_f32_f64_e32 v84, v[84:85]
	v_cvt_f32_f64_e32 v86, v[86:87]
	;; [unrolled: 1-line block ×4, first 2 shown]
	v_add_f64 v[40:41], v[80:81], v[42:43]
	v_min3_f32 v129, v86, v84, 0x7f800000
	v_min3_f32 v128, v38, v39, 0x7f800000
	v_add_f64 v[38:39], v[82:83], v[44:45]
	v_cvt_f32_f64_e32 v40, v[40:41]
	v_cvt_f32_f64_e32 v38, v[38:39]
	v_min3_f32 v127, v40, v38, 0x7f800000
	v_add_f64 v[38:39], v[12:13], v[44:45]
	v_add_f64 v[40:41], v[10:11], v[42:43]
	v_cvt_f32_f64_e32 v38, v[38:39]
	v_cvt_f32_f64_e32 v40, v[40:41]
	v_min3_f32 v126, v40, v38, 0x7f800000
	v_add_f64 v[38:39], v[16:17], v[44:45]
	;; [unrolled: 5-line block ×33, first 2 shown]
	v_add_f64 v[40:41], v[10:11], v[58:59]
	v_add_f64 v[12:13], v[12:13], v[64:65]
	;; [unrolled: 1-line block ×3, first 2 shown]
	v_cvt_f32_f64_e32 v38, v[38:39]
	v_cvt_f32_f64_e32 v40, v[40:41]
	;; [unrolled: 1-line block ×4, first 2 shown]
	v_add_f64 v[12:13], v[14:15], v[62:63]
	v_min3_f32 v94, v40, v38, 0x7f800000
	v_add_f64 v[38:39], v[16:17], v[60:61]
	v_add_f64 v[40:41], v[14:15], v[58:59]
	v_min3_f32 v86, v10, v11, 0x7f800000
	v_add_f64 v[10:11], v[16:17], v[64:65]
	v_cvt_f32_f64_e32 v12, v[12:13]
	v_cvt_f32_f64_e32 v38, v[38:39]
	;; [unrolled: 1-line block ×4, first 2 shown]
	v_min3_f32 v93, v40, v38, 0x7f800000
	v_add_f64 v[38:39], v[20:21], v[60:61]
	v_add_f64 v[40:41], v[18:19], v[58:59]
	v_min3_f32 v85, v12, v10, 0x7f800000
	v_add_f64 v[10:11], v[20:21], v[64:65]
	v_add_f64 v[12:13], v[18:19], v[62:63]
	v_cvt_f32_f64_e32 v38, v[38:39]
	v_cvt_f32_f64_e32 v40, v[40:41]
	;; [unrolled: 1-line block ×4, first 2 shown]
	v_min3_f32 v92, v40, v38, 0x7f800000
	v_add_f64 v[38:39], v[24:25], v[60:61]
	v_add_f64 v[40:41], v[22:23], v[58:59]
	v_min3_f32 v84, v12, v10, 0x7f800000
	v_add_f64 v[10:11], v[24:25], v[64:65]
	v_add_f64 v[12:13], v[22:23], v[62:63]
	v_cvt_f32_f64_e32 v38, v[38:39]
	v_cvt_f32_f64_e32 v40, v[40:41]
	;; [unrolled: 1-line block ×4, first 2 shown]
	v_min3_f32 v91, v40, v38, 0x7f800000
	v_add_f64 v[38:39], v[28:29], v[60:61]
	v_add_f64 v[40:41], v[26:27], v[58:59]
	v_cvt_f32_f64_e32 v38, v[38:39]
	v_cvt_f32_f64_e32 v40, v[40:41]
	v_min3_f32 v90, v40, v38, 0x7f800000
	v_add_f64 v[38:39], v[32:33], v[60:61]
	v_add_f64 v[40:41], v[30:31], v[58:59]
	v_cvt_f32_f64_e32 v38, v[38:39]
	v_cvt_f32_f64_e32 v40, v[40:41]
	;; [unrolled: 5-line block ×3, first 2 shown]
	v_min3_f32 v88, v40, v38, 0x7f800000
	v_add_f64 v[38:39], v[82:83], v[64:65]
	v_min3_f32 v83, v12, v10, 0x7f800000
	v_add_f64 v[10:11], v[28:29], v[64:65]
	v_add_f64 v[12:13], v[26:27], v[62:63]
	;; [unrolled: 1-line block ×3, first 2 shown]
	v_cvt_f32_f64_e32 v38, v[38:39]
	v_cvt_f32_f64_e32 v10, v[10:11]
	;; [unrolled: 1-line block ×4, first 2 shown]
	v_min3_f32 v82, v12, v10, 0x7f800000
	v_add_f64 v[10:11], v[32:33], v[64:65]
	v_add_f64 v[12:13], v[30:31], v[62:63]
	v_min3_f32 v87, v40, v38, 0x7f800000
	v_cvt_f32_f64_e32 v10, v[10:11]
	v_cvt_f32_f64_e32 v12, v[12:13]
	v_min3_f32 v81, v12, v10, 0x7f800000
	v_add_f64 v[10:11], v[36:37], v[64:65]
	v_add_f64 v[12:13], v[34:35], v[62:63]
	v_cvt_f32_f64_e32 v10, v[10:11]
	v_cvt_f32_f64_e32 v12, v[12:13]
	v_min3_f32 v80, v12, v10, 0x7f800000
	ds_read_b128 v[34:37], v148 offset:16656
	ds_read_b128 v[30:33], v148 offset:16912
	;; [unrolled: 1-line block ×14, first 2 shown]
	ds_write_b64 v149, v[74:75] offset:18432
	ds_write2st64_b64 v149, v[76:77], v[78:79] offset0:16 offset1:20
	ds_write2st64_b64 v149, v[70:71], v[72:73] offset0:24 offset1:28
	s_waitcnt lgkmcnt(0)
	s_barrier
	buffer_gl0_inv
	v_add_f64 v[143:144], v[36:37], v[8:9]
	v_add_f64 v[150:151], v[34:35], v[6:7]
	v_cvt_f32_f64_e32 v143, v[143:144]
	v_cvt_f32_f64_e32 v145, v[150:151]
	v_min3_f32 v220, v145, v143, v142
	v_add_f64 v[142:143], v[32:33], v[8:9]
	v_add_f64 v[144:145], v[30:31], v[6:7]
	v_cvt_f32_f64_e32 v142, v[142:143]
	v_cvt_f32_f64_e32 v144, v[144:145]
	v_min3_f32 v219, v144, v142, v141
	;; [unrolled: 5-line block ×5, first 2 shown]
	v_add_f64 v[138:139], v[16:17], v[8:9]
	v_add_f64 v[140:141], v[14:15], v[6:7]
	;; [unrolled: 1-line block ×4, first 2 shown]
	v_cvt_f32_f64_e32 v138, v[138:139]
	v_cvt_f32_f64_e32 v140, v[140:141]
	;; [unrolled: 1-line block ×4, first 2 shown]
	v_add_f64 v[8:9], v[2:3], v[62:63]
	v_min3_f32 v215, v140, v138, v137
	v_min3_f32 v214, v6, v7, v136
	v_add_f64 v[6:7], v[4:5], v[64:65]
	v_cvt_f32_f64_e32 v8, v[8:9]
	v_cvt_f32_f64_e32 v6, v[6:7]
	v_min3_f32 v213, v8, v6, v135
	v_add_f64 v[6:7], v[36:37], v[64:65]
	v_add_f64 v[8:9], v[34:35], v[62:63]
	v_cvt_f32_f64_e32 v6, v[6:7]
	v_cvt_f32_f64_e32 v8, v[8:9]
	v_min3_f32 v212, v8, v6, v134
	v_add_f64 v[6:7], v[32:33], v[64:65]
	;; [unrolled: 5-line block ×40, first 2 shown]
	v_add_f64 v[8:9], v[2:3], v[42:43]
	v_add_f64 v[4:5], v[4:5], v[40:41]
	;; [unrolled: 1-line block ×3, first 2 shown]
	v_cvt_f32_f64_e32 v6, v[6:7]
	v_cvt_f32_f64_e32 v8, v[8:9]
	;; [unrolled: 1-line block ×4, first 2 shown]
	v_add_f64 v[4:5], v[34:35], v[38:39]
	v_min3_f32 v165, v8, v6, v95
	v_add_f64 v[6:7], v[36:37], v[44:45]
	v_add_f64 v[8:9], v[34:35], v[42:43]
	v_min3_f32 v157, v2, v3, v87
	v_add_f64 v[2:3], v[36:37], v[40:41]
	v_cvt_f32_f64_e32 v4, v[4:5]
	v_cvt_f32_f64_e32 v6, v[6:7]
	v_cvt_f32_f64_e32 v8, v[8:9]
	v_cvt_f32_f64_e32 v2, v[2:3]
	v_min3_f32 v164, v8, v6, v94
	v_add_f64 v[6:7], v[32:33], v[44:45]
	v_add_f64 v[8:9], v[30:31], v[42:43]
	v_min3_f32 v156, v4, v2, v86
	v_add_f64 v[2:3], v[32:33], v[40:41]
	v_add_f64 v[4:5], v[30:31], v[38:39]
	v_cvt_f32_f64_e32 v6, v[6:7]
	v_cvt_f32_f64_e32 v8, v[8:9]
	v_cvt_f32_f64_e32 v2, v[2:3]
	v_cvt_f32_f64_e32 v4, v[4:5]
	v_min3_f32 v163, v8, v6, v93
	v_add_f64 v[6:7], v[28:29], v[44:45]
	v_add_f64 v[8:9], v[26:27], v[42:43]
	v_min3_f32 v155, v4, v2, v85
	v_add_f64 v[2:3], v[28:29], v[40:41]
	;; [unrolled: 10-line block ×6, first 2 shown]
	v_add_f64 v[4:5], v[10:11], v[38:39]
	v_cvt_f32_f64_e32 v6, v[6:7]
	v_cvt_f32_f64_e32 v8, v[8:9]
	;; [unrolled: 1-line block ×4, first 2 shown]
	v_min3_f32 v158, v8, v6, v88
	v_min3_f32 v150, v4, v2, v80
	s_cbranch_scc1 .LBB122_59
; %bb.33:
	v_add_nc_u32_e32 v4, 12, v146
	v_add_nc_u32_e32 v6, 8, v146
	v_lshlrev_b64 v[2:3], 3, v[66:67]
	v_lshlrev_b64 v[134:135], 3, v[68:69]
	v_or_b32_e32 v171, 0x4000, v149
	v_mad_i64_i32 v[4:5], null, v4, s24, 0
	v_mad_i64_i32 v[6:7], null, v6, s24, 0
	v_add_co_u32 v176, s6, s22, v2
	v_or_b32_e32 v172, 0x4000, v148
	v_add_nc_u32_e32 v173, 0x4800, v149
	v_lshlrev_b64 v[130:131], 3, v[4:5]
	v_or_b32_e32 v174, 0x2000, v149
	v_lshlrev_b64 v[132:133], 3, v[6:7]
	v_add_co_ci_u32_e64 v177, null, s23, v3, s6
	v_lshl_add_u32 v178, v0, 5, 0x4800
	v_lshl_or_b32 v179, v1, 5, 0x2000
	s_add_i32 s30, s14, -8
	s_add_i32 s31, s14, -1
	s_lshl_b64 s[22:23], s[24:25], 6
	s_mov_b32 s24, 0
	s_branch .LBB122_35
.LBB122_34:                             ;   in Loop: Header=BB122_35 Depth=1
	s_or_b32 exec_lo, exec_lo, s7
	v_add_f64 v[222:223], v[100:101], v[128:129]
	v_add_f64 v[224:225], v[98:99], v[126:127]
	v_add_co_u32 v176, s6, v176, s22
	v_add_co_ci_u32_e64 v177, null, s23, v177, s6
	s_add_i32 s24, s24, 8
	s_cmp_ge_i32 s24, s30
	v_cvt_f32_f64_e32 v222, v[222:223]
	v_cvt_f32_f64_e32 v224, v[224:225]
	v_min3_f32 v221, v224, v222, v221
	v_add_f64 v[222:223], v[96:97], v[128:129]
	v_add_f64 v[224:225], v[94:95], v[126:127]
	v_cvt_f32_f64_e32 v222, v[222:223]
	v_cvt_f32_f64_e32 v224, v[224:225]
	v_min3_f32 v220, v224, v222, v220
	v_add_f64 v[222:223], v[92:93], v[128:129]
	v_add_f64 v[224:225], v[90:91], v[126:127]
	;; [unrolled: 5-line block ×6, first 2 shown]
	v_add_f64 v[128:129], v[68:69], v[128:129]
	v_add_f64 v[126:127], v[66:67], v[126:127]
	v_cvt_f32_f64_e32 v222, v[222:223]
	v_cvt_f32_f64_e32 v224, v[224:225]
	;; [unrolled: 1-line block ×4, first 2 shown]
	v_add_f64 v[128:129], v[98:99], v[122:123]
	v_min3_f32 v215, v224, v222, v215
	v_min3_f32 v214, v126, v127, v214
	v_add_f64 v[126:127], v[100:101], v[124:125]
	v_cvt_f32_f64_e32 v128, v[128:129]
	v_cvt_f32_f64_e32 v126, v[126:127]
	v_min3_f32 v213, v128, v126, v213
	v_add_f64 v[126:127], v[96:97], v[124:125]
	v_add_f64 v[128:129], v[94:95], v[122:123]
	v_cvt_f32_f64_e32 v126, v[126:127]
	v_cvt_f32_f64_e32 v128, v[128:129]
	v_min3_f32 v212, v128, v126, v212
	v_add_f64 v[126:127], v[92:93], v[124:125]
	;; [unrolled: 5-line block ×6, first 2 shown]
	v_add_f64 v[128:129], v[70:71], v[122:123]
	v_add_f64 v[124:125], v[68:69], v[124:125]
	;; [unrolled: 1-line block ×3, first 2 shown]
	v_cvt_f32_f64_e32 v126, v[126:127]
	v_cvt_f32_f64_e32 v128, v[128:129]
	;; [unrolled: 1-line block ×4, first 2 shown]
	v_add_f64 v[124:125], v[98:99], v[118:119]
	v_min3_f32 v207, v128, v126, v207
	v_min3_f32 v206, v122, v123, v206
	v_add_f64 v[122:123], v[100:101], v[120:121]
	v_cvt_f32_f64_e32 v124, v[124:125]
	v_add_f64 v[125:126], v[94:95], v[118:119]
	v_cvt_f32_f64_e32 v122, v[122:123]
	v_cvt_f32_f64_e32 v125, v[125:126]
	v_min3_f32 v122, v124, v122, v205
	v_add_f64 v[123:124], v[96:97], v[120:121]
	v_cvt_f32_f64_e32 v123, v[123:124]
	v_min3_f32 v204, v125, v123, v204
	v_add_f64 v[123:124], v[92:93], v[120:121]
	v_add_f64 v[125:126], v[90:91], v[118:119]
	v_cvt_f32_f64_e32 v123, v[123:124]
	v_cvt_f32_f64_e32 v125, v[125:126]
	v_min3_f32 v203, v125, v123, v203
	v_add_f64 v[123:124], v[88:89], v[120:121]
	v_add_f64 v[125:126], v[86:87], v[118:119]
	v_cvt_f32_f64_e32 v123, v[123:124]
	;; [unrolled: 5-line block ×4, first 2 shown]
	v_cvt_f32_f64_e32 v125, v[125:126]
	v_min3_f32 v200, v125, v123, v200
	v_add_f64 v[123:124], v[72:73], v[120:121]
	v_add_f64 v[125:126], v[70:71], v[118:119]
	;; [unrolled: 1-line block ×4, first 2 shown]
	v_cvt_f32_f64_e32 v123, v[123:124]
	v_cvt_f32_f64_e32 v125, v[125:126]
	;; [unrolled: 1-line block ×4, first 2 shown]
	v_add_f64 v[120:121], v[98:99], v[114:115]
	v_min3_f32 v199, v125, v123, v199
	v_add_f64 v[123:124], v[82:83], v[114:115]
	v_add_f64 v[125:126], v[70:71], v[114:115]
	v_min3_f32 v198, v118, v119, v198
	v_add_f64 v[118:119], v[100:101], v[116:117]
	v_cvt_f32_f64_e32 v120, v[120:121]
	v_cvt_f32_f64_e32 v118, v[118:119]
	v_min3_f32 v197, v120, v118, v197
	v_add_f64 v[118:119], v[96:97], v[116:117]
	v_add_f64 v[120:121], v[94:95], v[114:115]
	v_cvt_f32_f64_e32 v118, v[118:119]
	v_cvt_f32_f64_e32 v120, v[120:121]
	v_min3_f32 v196, v120, v118, v196
	v_add_f64 v[118:119], v[92:93], v[116:117]
	;; [unrolled: 5-line block ×3, first 2 shown]
	v_add_f64 v[120:121], v[86:87], v[114:115]
	v_cvt_f32_f64_e32 v118, v[118:119]
	v_cvt_f32_f64_e32 v120, v[120:121]
	;; [unrolled: 1-line block ×3, first 2 shown]
	v_add_f64 v[123:124], v[78:79], v[114:115]
	v_add_f64 v[114:115], v[66:67], v[114:115]
	v_min3_f32 v118, v120, v118, v194
	v_add_f64 v[119:120], v[84:85], v[116:117]
	v_cvt_f32_f64_e32 v123, v[123:124]
	v_cvt_f32_f64_e32 v114, v[114:115]
	;; [unrolled: 1-line block ×3, first 2 shown]
	v_min3_f32 v119, v121, v119, v193
	v_add_f64 v[120:121], v[80:81], v[116:117]
	v_cvt_f32_f64_e32 v120, v[120:121]
	v_cvt_f32_f64_e32 v121, v[125:126]
	v_add_f64 v[125:126], v[90:91], v[110:111]
	v_min3_f32 v120, v123, v120, v192
	v_add_f64 v[123:124], v[72:73], v[116:117]
	v_add_f64 v[116:117], v[68:69], v[116:117]
	v_cvt_f32_f64_e32 v123, v[123:124]
	v_cvt_f32_f64_e32 v115, v[116:117]
	v_min3_f32 v121, v121, v123, v191
	v_min3_f32 v114, v114, v115, v190
	v_add_f64 v[115:116], v[100:101], v[112:113]
	v_add_f64 v[123:124], v[98:99], v[110:111]
	v_cvt_f32_f64_e32 v115, v[115:116]
	v_cvt_f32_f64_e32 v117, v[123:124]
	v_add_f64 v[123:124], v[94:95], v[110:111]
	v_min3_f32 v115, v117, v115, v189
	v_add_f64 v[116:117], v[96:97], v[112:113]
	v_cvt_f32_f64_e32 v123, v[123:124]
	v_cvt_f32_f64_e32 v116, v[116:117]
	;; [unrolled: 1-line block ×3, first 2 shown]
	v_add_f64 v[125:126], v[86:87], v[110:111]
	v_min3_f32 v116, v123, v116, v188
	v_add_f64 v[123:124], v[92:93], v[112:113]
	v_cvt_f32_f64_e32 v125, v[125:126]
	v_add_f64 v[126:127], v[82:83], v[110:111]
	v_cvt_f32_f64_e32 v123, v[123:124]
	v_cvt_f32_f64_e32 v126, v[126:127]
	v_add_f64 v[127:128], v[78:79], v[110:111]
	v_min3_f32 v117, v117, v123, v187
	v_add_f64 v[123:124], v[88:89], v[112:113]
	v_cvt_f32_f64_e32 v127, v[127:128]
	v_cvt_f32_f64_e32 v123, v[123:124]
	v_min3_f32 v123, v125, v123, v186
	v_add_f64 v[124:125], v[84:85], v[112:113]
	v_cvt_f32_f64_e32 v124, v[124:125]
	v_min3_f32 v124, v126, v124, v185
	v_add_f64 v[125:126], v[80:81], v[112:113]
	;; [unrolled: 3-line block ×3, first 2 shown]
	v_add_f64 v[127:128], v[70:71], v[110:111]
	v_add_f64 v[112:113], v[68:69], v[112:113]
	;; [unrolled: 1-line block ×3, first 2 shown]
	v_cvt_f32_f64_e32 v125, v[125:126]
	v_cvt_f32_f64_e32 v127, v[127:128]
	;; [unrolled: 1-line block ×4, first 2 shown]
	v_min3_f32 v125, v127, v125, v183
	v_add_f64 v[126:127], v[98:99], v[106:107]
	v_min3_f32 v112, v110, v111, v182
	v_add_f64 v[110:111], v[100:101], v[108:109]
	v_cvt_f32_f64_e32 v113, v[126:127]
	v_add_f64 v[126:127], v[94:95], v[106:107]
	v_cvt_f32_f64_e32 v110, v[110:111]
	v_cvt_f32_f64_e32 v126, v[126:127]
	v_add_f64 v[127:128], v[90:91], v[106:107]
	v_min3_f32 v113, v113, v110, v181
	v_add_f64 v[110:111], v[96:97], v[108:109]
	v_cvt_f32_f64_e32 v127, v[127:128]
	v_add_f64 v[128:129], v[86:87], v[106:107]
	v_cvt_f32_f64_e32 v110, v[110:111]
	v_cvt_f32_f64_e32 v128, v[128:129]
	v_min3_f32 v126, v126, v110, v180
	v_add_f64 v[110:111], v[92:93], v[108:109]
	v_add_f64 v[180:181], v[82:83], v[106:107]
	v_cvt_f32_f64_e32 v110, v[110:111]
	v_cvt_f32_f64_e32 v129, v[180:181]
	v_min3_f32 v127, v127, v110, v175
	v_add_f64 v[110:111], v[88:89], v[108:109]
	v_cvt_f32_f64_e32 v110, v[110:111]
	v_min3_f32 v128, v128, v110, v170
	v_add_f64 v[110:111], v[84:85], v[108:109]
	;; [unrolled: 3-line block ×3, first 2 shown]
	v_add_f64 v[169:170], v[78:79], v[106:107]
	v_cvt_f32_f64_e32 v110, v[110:111]
	v_cvt_f32_f64_e32 v169, v[169:170]
	v_min3_f32 v168, v169, v110, v168
	v_add_f64 v[110:111], v[72:73], v[108:109]
	v_add_f64 v[169:170], v[70:71], v[106:107]
	;; [unrolled: 1-line block ×4, first 2 shown]
	v_cvt_f32_f64_e32 v110, v[110:111]
	v_cvt_f32_f64_e32 v169, v[169:170]
	;; [unrolled: 1-line block ×4, first 2 shown]
	v_add_f64 v[108:109], v[98:99], v[102:103]
	v_add_f64 v[98:99], v[98:99], v[74:75]
	v_min3_f32 v167, v169, v110, v167
	v_min3_f32 v166, v106, v107, v166
	v_add_f64 v[106:107], v[100:101], v[104:105]
	v_cvt_f32_f64_e32 v108, v[108:109]
	v_add_f64 v[100:101], v[100:101], v[76:77]
	v_cvt_f32_f64_e32 v98, v[98:99]
	v_cvt_f32_f64_e32 v106, v[106:107]
	;; [unrolled: 1-line block ×3, first 2 shown]
	v_min3_f32 v165, v108, v106, v165
	v_add_f64 v[106:107], v[96:97], v[104:105]
	v_add_f64 v[108:109], v[94:95], v[102:103]
	;; [unrolled: 1-line block ×4, first 2 shown]
	v_min3_f32 v98, v98, v99, v157
	v_add_f64 v[99:100], v[10:11], v[46:47]
	v_cvt_f32_f64_e32 v106, v[106:107]
	v_cvt_f32_f64_e32 v108, v[108:109]
	v_add_f64 v[109:110], v[90:91], v[102:103]
	v_add_f64 v[90:91], v[90:91], v[74:75]
	v_cvt_f32_f64_e32 v94, v[94:95]
	v_cvt_f32_f64_e32 v95, v[96:97]
	v_min3_f32 v106, v108, v106, v164
	v_add_f64 v[107:108], v[92:93], v[104:105]
	v_cvt_f32_f64_e32 v109, v[109:110]
	v_add_f64 v[110:111], v[86:87], v[102:103]
	v_add_f64 v[86:87], v[86:87], v[74:75]
	;; [unrolled: 1-line block ×3, first 2 shown]
	v_cvt_f32_f64_e32 v90, v[90:91]
	v_min3_f32 v94, v94, v95, v156
	v_add_f64 v[95:96], v[6:7], v[50:51]
	v_cvt_f32_f64_e32 v107, v[107:108]
	v_cvt_f32_f64_e32 v110, v[110:111]
	;; [unrolled: 1-line block ×4, first 2 shown]
	v_min3_f32 v107, v109, v107, v163
	v_add_f64 v[108:109], v[88:89], v[104:105]
	v_add_f64 v[88:89], v[88:89], v[76:77]
	v_min3_f32 v90, v90, v91, v155
	v_add_f64 v[91:92], v[26:27], v[50:51]
	v_cvt_f32_f64_e32 v108, v[108:109]
	v_cvt_f32_f64_e32 v87, v[88:89]
	v_min3_f32 v108, v110, v108, v162
	v_add_f64 v[109:110], v[84:85], v[104:105]
	v_add_f64 v[162:163], v[82:83], v[102:103]
	;; [unrolled: 1-line block ×4, first 2 shown]
	v_min3_f32 v86, v86, v87, v154
	v_add_f64 v[87:88], v[14:15], v[54:55]
	v_cvt_f32_f64_e32 v109, v[109:110]
	v_cvt_f32_f64_e32 v111, v[162:163]
	;; [unrolled: 1-line block ×4, first 2 shown]
	v_min3_f32 v109, v111, v109, v161
	v_add_f64 v[110:111], v[80:81], v[104:105]
	v_add_f64 v[161:162], v[78:79], v[102:103]
	;; [unrolled: 1-line block ×4, first 2 shown]
	v_min3_f32 v82, v82, v83, v153
	v_add_f64 v[83:84], v[10:11], v[58:59]
	v_cvt_f32_f64_e32 v110, v[110:111]
	v_cvt_f32_f64_e32 v161, v[161:162]
	v_add_f64 v[162:163], v[70:71], v[102:103]
	v_add_f64 v[102:103], v[66:67], v[102:103]
	;; [unrolled: 1-line block ×5, first 2 shown]
	v_cvt_f32_f64_e32 v78, v[78:79]
	v_cvt_f32_f64_e32 v79, v[80:81]
	v_min3_f32 v110, v161, v110, v160
	v_add_f64 v[160:161], v[72:73], v[104:105]
	v_add_f64 v[104:105], v[68:69], v[104:105]
	;; [unrolled: 1-line block ×4, first 2 shown]
	v_cvt_f32_f64_e32 v66, v[66:67]
	v_cvt_f32_f64_e32 v70, v[70:71]
	v_add_f64 v[76:77], v[14:15], v[62:63]
	v_min3_f32 v78, v78, v79, v152
	v_add_f64 v[79:80], v[26:27], v[58:59]
	v_cvt_f32_f64_e32 v102, v[102:103]
	v_cvt_f32_f64_e32 v111, v[162:163]
	;; [unrolled: 1-line block ×6, first 2 shown]
	v_add_f64 v[68:69], v[34:35], v[62:63]
	v_min3_f32 v111, v111, v160, v159
	v_min3_f32 v102, v102, v103, v158
	;; [unrolled: 1-line block ×3, first 2 shown]
	v_add_f64 v[66:67], v[36:37], v[64:65]
	v_cvt_f32_f64_e32 v68, v[68:69]
	v_min3_f32 v71, v70, v71, v151
	v_add_f64 v[69:70], v[30:31], v[62:63]
	v_cvt_f32_f64_e32 v66, v[66:67]
	v_cvt_f32_f64_e32 v69, v[69:70]
	;; [unrolled: 1-line block ×3, first 2 shown]
	v_add_f64 v[74:75], v[18:19], v[62:63]
	v_min3_f32 v66, v68, v66, v221
	v_add_f64 v[67:68], v[32:33], v[64:65]
	v_cvt_f32_f64_e32 v72, v[74:75]
	v_add_f64 v[74:75], v[16:17], v[64:65]
	v_cvt_f32_f64_e32 v67, v[67:68]
	v_min3_f32 v67, v69, v67, v220
	v_add_f64 v[68:69], v[28:29], v[64:65]
	v_cvt_f32_f64_e32 v68, v[68:69]
	v_min3_f32 v68, v70, v68, v219
	v_add_f64 v[69:70], v[20:21], v[64:65]
	v_cvt_f32_f64_e32 v69, v[69:70]
	v_cvt_f32_f64_e32 v70, v[76:77]
	v_add_f64 v[76:77], v[10:11], v[62:63]
	v_min3_f32 v69, v72, v69, v218
	v_cvt_f32_f64_e32 v72, v[74:75]
	v_add_f64 v[74:75], v[12:13], v[64:65]
	v_min3_f32 v70, v70, v72, v217
	v_cvt_f32_f64_e32 v72, v[76:77]
	v_cvt_f32_f64_e32 v74, v[74:75]
	v_add_f64 v[76:77], v[6:7], v[62:63]
	v_add_f64 v[62:63], v[2:3], v[62:63]
	v_min3_f32 v72, v72, v74, v216
	v_add_f64 v[74:75], v[8:9], v[64:65]
	v_add_f64 v[64:65], v[4:5], v[64:65]
	v_cvt_f32_f64_e32 v76, v[76:77]
	v_cvt_f32_f64_e32 v62, v[62:63]
	;; [unrolled: 1-line block ×4, first 2 shown]
	v_min3_f32 v74, v76, v74, v215
	v_min3_f32 v62, v62, v63, v214
	v_add_f64 v[63:64], v[36:37], v[60:61]
	v_add_f64 v[75:76], v[34:35], v[58:59]
	v_cvt_f32_f64_e32 v63, v[63:64]
	v_cvt_f32_f64_e32 v65, v[75:76]
	v_add_f64 v[75:76], v[30:31], v[58:59]
	v_min3_f32 v63, v65, v63, v213
	v_add_f64 v[64:65], v[32:33], v[60:61]
	v_cvt_f32_f64_e32 v75, v[75:76]
	v_cvt_f32_f64_e32 v64, v[64:65]
	;; [unrolled: 1-line block ×3, first 2 shown]
	v_add_f64 v[79:80], v[18:19], v[58:59]
	v_min3_f32 v64, v75, v64, v212
	v_add_f64 v[75:76], v[28:29], v[60:61]
	v_cvt_f32_f64_e32 v77, v[79:80]
	v_add_f64 v[79:80], v[14:15], v[58:59]
	v_cvt_f32_f64_e32 v75, v[75:76]
	v_cvt_f32_f64_e32 v79, v[79:80]
	v_min3_f32 v65, v65, v75, v211
	v_add_f64 v[75:76], v[20:21], v[60:61]
	v_cvt_f32_f64_e32 v75, v[75:76]
	v_min3_f32 v75, v77, v75, v210
	v_add_f64 v[76:77], v[16:17], v[60:61]
	v_cvt_f32_f64_e32 v76, v[76:77]
	v_cvt_f32_f64_e32 v77, v[83:84]
	v_add_f64 v[83:84], v[6:7], v[58:59]
	v_add_f64 v[58:59], v[2:3], v[58:59]
	v_min3_f32 v76, v79, v76, v209
	v_add_f64 v[79:80], v[12:13], v[60:61]
	v_cvt_f32_f64_e32 v81, v[83:84]
	v_cvt_f32_f64_e32 v58, v[58:59]
	v_add_f64 v[83:84], v[26:27], v[54:55]
	v_cvt_f32_f64_e32 v79, v[79:80]
	v_min3_f32 v77, v77, v79, v208
	v_add_f64 v[79:80], v[8:9], v[60:61]
	v_add_f64 v[60:61], v[4:5], v[60:61]
	v_cvt_f32_f64_e32 v79, v[79:80]
	v_cvt_f32_f64_e32 v59, v[60:61]
	v_min3_f32 v79, v81, v79, v207
	v_min3_f32 v58, v58, v59, v206
	v_add_f64 v[59:60], v[36:37], v[56:57]
	v_add_f64 v[80:81], v[34:35], v[54:55]
	v_cvt_f32_f64_e32 v59, v[59:60]
	v_cvt_f32_f64_e32 v61, v[80:81]
	v_add_f64 v[80:81], v[30:31], v[54:55]
	v_min3_f32 v59, v61, v59, v122
	v_add_f64 v[60:61], v[32:33], v[56:57]
	v_cvt_f32_f64_e32 v80, v[80:81]
	v_cvt_f32_f64_e32 v60, v[60:61]
	;; [unrolled: 1-line block ×3, first 2 shown]
	v_add_f64 v[83:84], v[18:19], v[54:55]
	v_min3_f32 v60, v80, v60, v204
	v_add_f64 v[80:81], v[28:29], v[56:57]
	v_cvt_f32_f64_e32 v83, v[83:84]
	v_cvt_f32_f64_e32 v80, v[80:81]
	v_min3_f32 v61, v61, v80, v203
	v_add_f64 v[80:81], v[20:21], v[56:57]
	v_cvt_f32_f64_e32 v80, v[80:81]
	v_cvt_f32_f64_e32 v81, v[87:88]
	v_add_f64 v[87:88], v[10:11], v[54:55]
	v_min3_f32 v80, v83, v80, v202
	v_add_f64 v[83:84], v[16:17], v[56:57]
	v_cvt_f32_f64_e32 v85, v[87:88]
	v_add_f64 v[87:88], v[6:7], v[54:55]
	v_add_f64 v[54:55], v[2:3], v[54:55]
	v_cvt_f32_f64_e32 v83, v[83:84]
	v_cvt_f32_f64_e32 v87, v[87:88]
	;; [unrolled: 1-line block ×3, first 2 shown]
	v_min3_f32 v81, v81, v83, v201
	v_add_f64 v[83:84], v[12:13], v[56:57]
	v_cvt_f32_f64_e32 v83, v[83:84]
	v_min3_f32 v83, v85, v83, v200
	v_add_f64 v[84:85], v[8:9], v[56:57]
	v_add_f64 v[56:57], v[4:5], v[56:57]
	v_cvt_f32_f64_e32 v84, v[84:85]
	v_cvt_f32_f64_e32 v55, v[56:57]
	v_min3_f32 v84, v87, v84, v199
	v_min3_f32 v54, v54, v55, v198
	v_add_f64 v[55:56], v[36:37], v[52:53]
	v_add_f64 v[87:88], v[34:35], v[50:51]
	v_cvt_f32_f64_e32 v55, v[55:56]
	v_cvt_f32_f64_e32 v57, v[87:88]
	v_add_f64 v[87:88], v[30:31], v[50:51]
	v_min3_f32 v55, v57, v55, v197
	v_add_f64 v[56:57], v[32:33], v[52:53]
	v_cvt_f32_f64_e32 v85, v[87:88]
	v_add_f64 v[87:88], v[28:29], v[52:53]
	v_cvt_f32_f64_e32 v56, v[56:57]
	v_cvt_f32_f64_e32 v57, v[91:92]
	v_add_f64 v[91:92], v[18:19], v[50:51]
	v_min3_f32 v56, v85, v56, v196
	v_cvt_f32_f64_e32 v85, v[87:88]
	v_add_f64 v[87:88], v[20:21], v[52:53]
	v_min3_f32 v57, v57, v85, v195
	v_cvt_f32_f64_e32 v85, v[91:92]
	v_cvt_f32_f64_e32 v87, v[87:88]
	v_add_f64 v[91:92], v[14:15], v[50:51]
	v_min3_f32 v85, v85, v87, v118
	v_add_f64 v[87:88], v[16:17], v[52:53]
	v_cvt_f32_f64_e32 v89, v[91:92]
	v_add_f64 v[91:92], v[10:11], v[50:51]
	v_add_f64 v[50:51], v[2:3], v[50:51]
	v_cvt_f32_f64_e32 v87, v[87:88]
	v_cvt_f32_f64_e32 v91, v[91:92]
	;; [unrolled: 1-line block ×3, first 2 shown]
	v_min3_f32 v87, v89, v87, v119
	v_add_f64 v[88:89], v[12:13], v[52:53]
	v_cvt_f32_f64_e32 v88, v[88:89]
	v_cvt_f32_f64_e32 v89, v[95:96]
	v_add_f64 v[95:96], v[26:27], v[46:47]
	v_min3_f32 v88, v91, v88, v120
	v_add_f64 v[91:92], v[8:9], v[52:53]
	v_add_f64 v[52:53], v[4:5], v[52:53]
	v_cvt_f32_f64_e32 v91, v[91:92]
	v_cvt_f32_f64_e32 v51, v[52:53]
	v_min3_f32 v89, v89, v91, v121
	v_min3_f32 v50, v50, v51, v114
	v_add_f64 v[51:52], v[36:37], v[48:49]
	v_add_f64 v[91:92], v[34:35], v[46:47]
	v_cvt_f32_f64_e32 v51, v[51:52]
	v_cvt_f32_f64_e32 v53, v[91:92]
	v_add_f64 v[91:92], v[30:31], v[46:47]
	v_min3_f32 v51, v53, v51, v115
	v_add_f64 v[52:53], v[32:33], v[48:49]
	v_cvt_f32_f64_e32 v91, v[91:92]
	v_cvt_f32_f64_e32 v52, v[52:53]
	;; [unrolled: 1-line block ×3, first 2 shown]
	v_add_f64 v[95:96], v[18:19], v[46:47]
	v_min3_f32 v52, v91, v52, v116
	v_add_f64 v[91:92], v[28:29], v[48:49]
	v_cvt_f32_f64_e32 v93, v[95:96]
	v_add_f64 v[95:96], v[14:15], v[46:47]
	v_cvt_f32_f64_e32 v91, v[91:92]
	v_cvt_f32_f64_e32 v95, v[95:96]
	v_min3_f32 v53, v53, v91, v117
	v_add_f64 v[91:92], v[20:21], v[48:49]
	v_cvt_f32_f64_e32 v91, v[91:92]
	v_min3_f32 v91, v93, v91, v123
	v_add_f64 v[92:93], v[16:17], v[48:49]
	v_cvt_f32_f64_e32 v92, v[92:93]
	v_cvt_f32_f64_e32 v93, v[99:100]
	v_add_f64 v[99:100], v[6:7], v[46:47]
	v_add_f64 v[46:47], v[2:3], v[46:47]
	v_min3_f32 v92, v95, v92, v124
	v_add_f64 v[95:96], v[12:13], v[48:49]
	v_cvt_f32_f64_e32 v46, v[46:47]
	v_cvt_f32_f64_e32 v95, v[95:96]
	v_min3_f32 v150, v93, v95, v184
	v_add_f64 v[95:96], v[8:9], v[48:49]
	v_add_f64 v[48:49], v[4:5], v[48:49]
	v_cvt_f32_f64_e32 v93, v[99:100]
	v_add_f64 v[99:100], v[26:27], v[42:43]
	v_cvt_f32_f64_e32 v95, v[95:96]
	v_cvt_f32_f64_e32 v47, v[48:49]
	v_min3_f32 v151, v93, v95, v125
	v_min3_f32 v46, v46, v47, v112
	v_add_f64 v[47:48], v[36:37], v[44:45]
	v_add_f64 v[95:96], v[34:35], v[42:43]
	v_cvt_f32_f64_e32 v47, v[47:48]
	v_cvt_f32_f64_e32 v49, v[95:96]
	v_add_f64 v[95:96], v[30:31], v[42:43]
	v_min3_f32 v47, v49, v47, v113
	v_add_f64 v[48:49], v[32:33], v[44:45]
	v_cvt_f32_f64_e32 v93, v[95:96]
	v_add_f64 v[95:96], v[28:29], v[44:45]
	v_cvt_f32_f64_e32 v48, v[48:49]
	v_cvt_f32_f64_e32 v49, v[99:100]
	v_add_f64 v[99:100], v[18:19], v[42:43]
	v_min3_f32 v48, v93, v48, v126
	v_cvt_f32_f64_e32 v93, v[95:96]
	v_add_f64 v[95:96], v[20:21], v[44:45]
	v_min3_f32 v49, v49, v93, v127
	v_cvt_f32_f64_e32 v93, v[99:100]
	v_cvt_f32_f64_e32 v95, v[95:96]
	v_add_f64 v[99:100], v[14:15], v[42:43]
	v_min3_f32 v152, v93, v95, v128
	v_add_f64 v[95:96], v[16:17], v[44:45]
	v_cvt_f32_f64_e32 v93, v[99:100]
	v_add_f64 v[99:100], v[10:11], v[42:43]
	v_cvt_f32_f64_e32 v95, v[95:96]
	v_min3_f32 v153, v93, v95, v129
	v_add_f64 v[95:96], v[12:13], v[44:45]
	v_cvt_f32_f64_e32 v93, v[99:100]
	v_add_f64 v[99:100], v[6:7], v[42:43]
	v_add_f64 v[42:43], v[2:3], v[42:43]
	v_cvt_f32_f64_e32 v95, v[95:96]
	v_cvt_f32_f64_e32 v42, v[42:43]
	v_min3_f32 v154, v93, v95, v168
	v_add_f64 v[95:96], v[8:9], v[44:45]
	v_add_f64 v[44:45], v[4:5], v[44:45]
	v_cvt_f32_f64_e32 v93, v[99:100]
	v_add_f64 v[99:100], v[26:27], v[38:39]
	v_add_f64 v[26:27], v[26:27], v[22:23]
	v_cvt_f32_f64_e32 v95, v[95:96]
	v_cvt_f32_f64_e32 v43, v[44:45]
	;; [unrolled: 1-line block ×3, first 2 shown]
	v_min3_f32 v155, v93, v95, v167
	v_min3_f32 v42, v42, v43, v166
	v_add_f64 v[43:44], v[36:37], v[40:41]
	v_add_f64 v[95:96], v[34:35], v[38:39]
	;; [unrolled: 1-line block ×4, first 2 shown]
	v_cvt_f32_f64_e32 v43, v[43:44]
	v_cvt_f32_f64_e32 v45, v[95:96]
	v_add_f64 v[95:96], v[30:31], v[38:39]
	v_add_f64 v[30:31], v[30:31], v[22:23]
	v_cvt_f32_f64_e32 v34, v[34:35]
	v_cvt_f32_f64_e32 v35, v[36:37]
	v_min3_f32 v43, v45, v43, v165
	v_add_f64 v[44:45], v[32:33], v[40:41]
	v_cvt_f32_f64_e32 v93, v[95:96]
	v_add_f64 v[95:96], v[28:29], v[40:41]
	v_add_f64 v[32:33], v[32:33], v[24:25]
	;; [unrolled: 1-line block ×3, first 2 shown]
	v_cvt_f32_f64_e32 v30, v[30:31]
	v_min3_f32 v193, v34, v35, v98
	v_cvt_f32_f64_e32 v44, v[44:45]
	v_cvt_f32_f64_e32 v45, v[99:100]
	v_add_f64 v[99:100], v[18:19], v[38:39]
	v_add_f64 v[18:19], v[18:19], v[22:23]
	v_cvt_f32_f64_e32 v31, v[32:33]
	v_cvt_f32_f64_e32 v27, v[28:29]
	v_min3_f32 v44, v93, v44, v106
	v_cvt_f32_f64_e32 v93, v[95:96]
	v_add_f64 v[95:96], v[20:21], v[40:41]
	v_add_f64 v[20:21], v[20:21], v[24:25]
	v_cvt_f32_f64_e32 v18, v[18:19]
	v_min3_f32 v194, v30, v31, v94
	v_min3_f32 v195, v26, v27, v90
	v_min3_f32 v45, v45, v93, v107
	v_cvt_f32_f64_e32 v93, v[99:100]
	v_cvt_f32_f64_e32 v95, v[95:96]
	v_add_f64 v[99:100], v[14:15], v[38:39]
	v_add_f64 v[14:15], v[14:15], v[22:23]
	v_cvt_f32_f64_e32 v19, v[20:21]
	v_min3_f32 v156, v93, v95, v108
	v_add_f64 v[95:96], v[16:17], v[40:41]
	v_cvt_f32_f64_e32 v93, v[99:100]
	v_add_f64 v[99:100], v[10:11], v[38:39]
	v_add_f64 v[16:17], v[16:17], v[24:25]
	v_add_f64 v[10:11], v[10:11], v[22:23]
	v_cvt_f32_f64_e32 v14, v[14:15]
	v_min3_f32 v196, v18, v19, v86
	v_cvt_f32_f64_e32 v95, v[95:96]
	v_cvt_f32_f64_e32 v15, v[16:17]
	v_cvt_f32_f64_e32 v10, v[10:11]
	v_min3_f32 v157, v93, v95, v109
	v_add_f64 v[95:96], v[12:13], v[40:41]
	v_cvt_f32_f64_e32 v93, v[99:100]
	v_add_f64 v[99:100], v[6:7], v[38:39]
	v_add_f64 v[38:39], v[2:3], v[38:39]
	;; [unrolled: 1-line block ×5, first 2 shown]
	v_min3_f32 v197, v14, v15, v82
	v_cvt_f32_f64_e32 v95, v[95:96]
	v_cvt_f32_f64_e32 v38, v[38:39]
	v_cvt_f32_f64_e32 v11, v[12:13]
	v_cvt_f32_f64_e32 v6, v[6:7]
	v_cvt_f32_f64_e32 v2, v[2:3]
	v_min3_f32 v158, v93, v95, v110
	v_add_f64 v[95:96], v[8:9], v[40:41]
	v_add_f64 v[40:41], v[4:5], v[40:41]
	;; [unrolled: 1-line block ×4, first 2 shown]
	v_cvt_f32_f64_e32 v93, v[99:100]
	v_min3_f32 v198, v10, v11, v78
	v_cvt_f32_f64_e32 v95, v[95:96]
	v_cvt_f32_f64_e32 v39, v[40:41]
	;; [unrolled: 1-line block ×4, first 2 shown]
	v_min3_f32 v175, v93, v95, v111
	v_min3_f32 v192, v38, v39, v102
	;; [unrolled: 1-line block ×4, first 2 shown]
	ds_read_b128 v[6:9], v172 offset:256
	ds_read_b128 v[10:13], v172 offset:512
	;; [unrolled: 1-line block ×14, first 2 shown]
	ds_read_b128 v[97:100], v147
	ds_read_b128 v[34:37], v147 offset:16
	ds_read_b128 v[188:191], v172
	ds_read_b128 v[2:5], v172 offset:16
	s_waitcnt lgkmcnt(1)
	v_add_f64 v[101:102], v[190:191], v[99:100]
	v_add_f64 v[103:104], v[188:189], v[97:98]
	v_cvt_f32_f64_e32 v73, v[101:102]
	v_cvt_f32_f64_e32 v71, v[103:104]
	v_add_f64 v[101:102], v[8:9], v[99:100]
	v_add_f64 v[103:104], v[6:7], v[97:98]
	v_min3_f32 v129, v71, v73, v66
	v_cvt_f32_f64_e32 v71, v[101:102]
	v_cvt_f32_f64_e32 v66, v[103:104]
	v_add_f64 v[101:102], v[10:11], v[97:98]
	v_min3_f32 v128, v66, v71, v67
	v_add_f64 v[66:67], v[12:13], v[99:100]
	v_cvt_f32_f64_e32 v71, v[101:102]
	v_add_f64 v[101:102], v[14:15], v[97:98]
	v_cvt_f32_f64_e32 v66, v[66:67]
	v_min3_f32 v127, v71, v66, v68
	v_add_f64 v[66:67], v[16:17], v[99:100]
	v_cvt_f32_f64_e32 v68, v[101:102]
	v_cvt_f32_f64_e32 v66, v[66:67]
	v_min3_f32 v126, v68, v66, v69
	v_add_f64 v[66:67], v[20:21], v[99:100]
	v_add_f64 v[68:69], v[18:19], v[97:98]
	v_cvt_f32_f64_e32 v66, v[66:67]
	v_cvt_f32_f64_e32 v68, v[68:69]
	v_min3_f32 v125, v68, v66, v70
	v_add_f64 v[66:67], v[24:25], v[99:100]
	;; [unrolled: 5-line block ×11, first 2 shown]
	v_add_f64 v[64:65], v[26:27], v[38:39]
	v_add_f64 v[40:41], v[32:33], v[40:41]
	v_add_f64 v[38:39], v[30:31], v[38:39]
	v_cvt_f32_f64_e32 v62, v[62:63]
	v_cvt_f32_f64_e32 v64, v[64:65]
	;; [unrolled: 1-line block ×4, first 2 shown]
	v_add_f64 v[40:41], v[188:189], v[93:94]
	v_min3_f32 v115, v64, v62, v79
	v_min3_f32 v114, v38, v39, v58
	v_add_f64 v[38:39], v[190:191], v[95:96]
	v_cvt_f32_f64_e32 v40, v[40:41]
	v_cvt_f32_f64_e32 v38, v[38:39]
	v_min3_f32 v113, v40, v38, v59
	v_add_f64 v[38:39], v[8:9], v[95:96]
	v_add_f64 v[40:41], v[6:7], v[93:94]
	v_cvt_f32_f64_e32 v38, v[38:39]
	v_cvt_f32_f64_e32 v40, v[40:41]
	v_min3_f32 v112, v40, v38, v60
	v_add_f64 v[38:39], v[12:13], v[95:96]
	;; [unrolled: 5-line block ×23, first 2 shown]
	v_add_f64 v[40:41], v[30:31], v[163:164]
	s_waitcnt lgkmcnt(0)
	v_add_f64 v[150:151], v[4:5], v[36:37]
	v_cvt_f32_f64_e32 v38, v[38:39]
	v_cvt_f32_f64_e32 v40, v[40:41]
	;; [unrolled: 1-line block ×3, first 2 shown]
	v_min3_f32 v90, v40, v38, v46
	v_add_f64 v[38:39], v[190:191], v[169:170]
	v_add_f64 v[40:41], v[188:189], v[167:168]
	v_cvt_f32_f64_e32 v38, v[38:39]
	v_cvt_f32_f64_e32 v40, v[40:41]
	v_min3_f32 v89, v40, v38, v47
	v_add_f64 v[38:39], v[8:9], v[169:170]
	v_add_f64 v[40:41], v[6:7], v[167:168]
	v_cvt_f32_f64_e32 v38, v[38:39]
	v_cvt_f32_f64_e32 v40, v[40:41]
	;; [unrolled: 5-line block ×5, first 2 shown]
	v_min3_f32 v85, v40, v38, v153
	v_add_f64 v[38:39], v[24:25], v[169:170]
	v_add_f64 v[40:41], v[22:23], v[167:168]
	v_add_f64 v[152:153], v[2:3], v[34:35]
	v_cvt_f32_f64_e32 v38, v[38:39]
	v_cvt_f32_f64_e32 v40, v[40:41]
	;; [unrolled: 1-line block ×3, first 2 shown]
	v_min3_f32 v84, v40, v38, v154
	v_add_f64 v[38:39], v[28:29], v[169:170]
	v_add_f64 v[40:41], v[26:27], v[167:168]
	v_min3_f32 v221, v152, v150, v129
	v_cvt_f32_f64_e32 v38, v[38:39]
	v_cvt_f32_f64_e32 v40, v[40:41]
	v_min3_f32 v83, v40, v38, v155
	v_add_f64 v[38:39], v[32:33], v[169:170]
	v_add_f64 v[40:41], v[30:31], v[167:168]
	v_cvt_f32_f64_e32 v38, v[38:39]
	v_cvt_f32_f64_e32 v40, v[40:41]
	v_min3_f32 v82, v40, v38, v42
	v_add_f64 v[38:39], v[190:191], v[182:183]
	v_add_f64 v[40:41], v[188:189], v[180:181]
	;; [unrolled: 5-line block ×3, first 2 shown]
	v_add_f64 v[8:9], v[8:9], v[186:187]
	v_add_f64 v[6:7], v[6:7], v[184:185]
	v_cvt_f32_f64_e32 v38, v[38:39]
	v_cvt_f32_f64_e32 v40, v[40:41]
	;; [unrolled: 1-line block ×4, first 2 shown]
	v_add_f64 v[8:9], v[10:11], v[184:185]
	v_min3_f32 v80, v40, v38, v44
	v_add_f64 v[38:39], v[12:13], v[182:183]
	v_add_f64 v[40:41], v[10:11], v[180:181]
	v_min3_f32 v72, v6, v7, v194
	v_add_f64 v[6:7], v[12:13], v[186:187]
	v_cvt_f32_f64_e32 v8, v[8:9]
	v_cvt_f32_f64_e32 v38, v[38:39]
	v_cvt_f32_f64_e32 v40, v[40:41]
	v_cvt_f32_f64_e32 v6, v[6:7]
	v_min3_f32 v79, v40, v38, v45
	v_add_f64 v[38:39], v[16:17], v[182:183]
	v_add_f64 v[40:41], v[14:15], v[180:181]
	v_min3_f32 v71, v8, v6, v195
	v_add_f64 v[6:7], v[16:17], v[186:187]
	v_add_f64 v[8:9], v[14:15], v[184:185]
	v_cvt_f32_f64_e32 v38, v[38:39]
	v_cvt_f32_f64_e32 v40, v[40:41]
	v_cvt_f32_f64_e32 v6, v[6:7]
	v_cvt_f32_f64_e32 v8, v[8:9]
	v_min3_f32 v78, v40, v38, v156
	v_add_f64 v[38:39], v[20:21], v[182:183]
	v_add_f64 v[40:41], v[18:19], v[180:181]
	v_min3_f32 v70, v8, v6, v196
	v_add_f64 v[6:7], v[20:21], v[186:187]
	;; [unrolled: 10-line block ×5, first 2 shown]
	v_add_f64 v[8:9], v[30:31], v[184:185]
	v_cvt_f32_f64_e32 v38, v[38:39]
	v_cvt_f32_f64_e32 v40, v[40:41]
	;; [unrolled: 1-line block ×4, first 2 shown]
	v_min3_f32 v74, v40, v38, v192
	v_add_f64 v[38:39], v[190:191], v[186:187]
	v_add_f64 v[40:41], v[188:189], v[184:185]
	v_min3_f32 v66, v8, v6, v200
	v_cvt_f32_f64_e32 v38, v[38:39]
	v_cvt_f32_f64_e32 v40, v[40:41]
	v_min3_f32 v73, v40, v38, v193
	ds_read_b128 v[22:25], v172 offset:272
	ds_read_b128 v[18:21], v172 offset:528
	;; [unrolled: 1-line block ×14, first 2 shown]
	ds_write_b64 v173, v[138:139]
	ds_write2st64_b64 v174, v[136:137], v[140:141] offset1:4
	ds_write2st64_b64 v174, v[142:143], v[144:145] offset0:8 offset1:12
	s_waitcnt lgkmcnt(0)
	s_barrier
	buffer_gl0_inv
	v_add_f64 v[150:151], v[24:25], v[36:37]
	v_add_f64 v[152:153], v[22:23], v[34:35]
	v_cvt_f32_f64_e32 v150, v[150:151]
	v_cvt_f32_f64_e32 v129, v[152:153]
	v_min3_f32 v220, v129, v150, v128
	v_add_f64 v[128:129], v[20:21], v[36:37]
	v_add_f64 v[150:151], v[18:19], v[34:35]
	v_cvt_f32_f64_e32 v128, v[128:129]
	v_cvt_f32_f64_e32 v150, v[150:151]
	v_min3_f32 v219, v150, v128, v127
	;; [unrolled: 5-line block ×5, first 2 shown]
	v_add_f64 v[124:125], v[32:33], v[36:37]
	v_add_f64 v[126:127], v[30:31], v[34:35]
	;; [unrolled: 1-line block ×4, first 2 shown]
	v_cvt_f32_f64_e32 v124, v[124:125]
	v_cvt_f32_f64_e32 v126, v[126:127]
	;; [unrolled: 1-line block ×4, first 2 shown]
	v_add_f64 v[36:37], v[2:3], v[62:63]
	v_min3_f32 v215, v126, v124, v123
	v_min3_f32 v214, v34, v35, v122
	v_add_f64 v[34:35], v[4:5], v[64:65]
	v_cvt_f32_f64_e32 v36, v[36:37]
	v_cvt_f32_f64_e32 v34, v[34:35]
	v_min3_f32 v213, v36, v34, v121
	v_add_f64 v[34:35], v[24:25], v[64:65]
	v_add_f64 v[36:37], v[22:23], v[62:63]
	v_cvt_f32_f64_e32 v34, v[34:35]
	v_cvt_f32_f64_e32 v36, v[36:37]
	v_min3_f32 v212, v36, v34, v120
	v_add_f64 v[34:35], v[20:21], v[64:65]
	;; [unrolled: 5-line block ×40, first 2 shown]
	v_add_f64 v[36:37], v[2:3], v[42:43]
	v_add_f64 v[4:5], v[4:5], v[40:41]
	;; [unrolled: 1-line block ×3, first 2 shown]
	v_cvt_f32_f64_e32 v34, v[34:35]
	v_cvt_f32_f64_e32 v36, v[36:37]
	v_cvt_f32_f64_e32 v2, v[2:3]
	v_cvt_f32_f64_e32 v3, v[4:5]
	v_add_f64 v[4:5], v[22:23], v[38:39]
	v_min3_f32 v165, v36, v34, v81
	v_add_f64 v[34:35], v[24:25], v[44:45]
	v_add_f64 v[36:37], v[22:23], v[42:43]
	v_min3_f32 v157, v2, v3, v73
	v_add_f64 v[2:3], v[24:25], v[40:41]
	v_cvt_f32_f64_e32 v4, v[4:5]
	v_cvt_f32_f64_e32 v34, v[34:35]
	v_cvt_f32_f64_e32 v36, v[36:37]
	v_cvt_f32_f64_e32 v2, v[2:3]
	v_min3_f32 v164, v36, v34, v80
	v_add_f64 v[34:35], v[20:21], v[44:45]
	v_add_f64 v[36:37], v[18:19], v[42:43]
	v_min3_f32 v156, v4, v2, v72
	v_add_f64 v[2:3], v[20:21], v[40:41]
	v_add_f64 v[4:5], v[18:19], v[38:39]
	v_cvt_f32_f64_e32 v34, v[34:35]
	v_cvt_f32_f64_e32 v36, v[36:37]
	v_cvt_f32_f64_e32 v2, v[2:3]
	v_cvt_f32_f64_e32 v4, v[4:5]
	v_min3_f32 v163, v36, v34, v79
	v_add_f64 v[34:35], v[16:17], v[44:45]
	v_add_f64 v[36:37], v[14:15], v[42:43]
	v_min3_f32 v155, v4, v2, v71
	v_add_f64 v[2:3], v[16:17], v[40:41]
	;; [unrolled: 10-line block ×6, first 2 shown]
	v_add_f64 v[4:5], v[26:27], v[38:39]
	v_cvt_f32_f64_e32 v34, v[34:35]
	v_cvt_f32_f64_e32 v36, v[36:37]
	;; [unrolled: 1-line block ×4, first 2 shown]
	v_min3_f32 v158, v36, v34, v74
	v_min3_f32 v150, v4, v2, v66
	s_cbranch_scc1 .LBB122_59
.LBB122_35:                             ; =>This Inner Loop Header: Depth=1
	v_add_nc_u32_e32 v222, s24, v146
                                        ; implicit-def: $vgpr136_vgpr137
	v_add_nc_u32_e32 v2, 8, v222
	v_cmp_le_i32_e64 s6, s14, v2
	s_or_b32 s25, vcc_lo, s6
	s_nor_b32 s7, s27, s25
	s_and_saveexec_b32 s33, s7
	s_xor_b32 s33, exec_lo, s33
	s_cbranch_execz .LBB122_37
; %bb.36:                               ;   in Loop: Header=BB122_35 Depth=1
	v_add_co_u32 v3, s7, v176, v132
	v_add_co_ci_u32_e64 v4, null, v177, v133, s7
	flat_load_dwordx2 v[3:4], v[3:4]
	s_waitcnt vmcnt(0) lgkmcnt(0)
	v_mul_f64 v[136:137], s[16:17], v[3:4]
.LBB122_37:                             ;   in Loop: Header=BB122_35 Depth=1
	s_andn2_saveexec_b32 s7, s33
; %bb.38:                               ;   in Loop: Header=BB122_35 Depth=1
	v_cndmask_b32_e64 v137, 0, 0x7fefffff, s25
	v_cndmask_b32_e64 v136, 0, -1, s25
; %bb.39:                               ;   in Loop: Header=BB122_35 Depth=1
	s_or_b32 exec_lo, exec_lo, s7
	v_min_i32_e32 v2, s31, v2
	s_or_b32 s25, s0, s6
	v_cndmask_b32_e64 v139, 0, 0x7fefffff, s25
	v_cndmask_b32_e64 v138, 0, -1, s25
	v_mad_i64_i32 v[2:3], null, v2, s29, 0
	v_lshlrev_b64 v[2:3], 3, v[2:3]
	v_add_co_u32 v2, s7, s20, v2
	v_add_co_ci_u32_e64 v3, null, s21, v3, s7
	s_nor_b32 s7, s27, s25
	s_and_saveexec_b32 s25, s7
	s_cbranch_execz .LBB122_41
; %bb.40:                               ;   in Loop: Header=BB122_35 Depth=1
	v_add_co_u32 v4, s7, v2, v134
	v_add_co_ci_u32_e64 v5, null, v3, v135, s7
	flat_load_dwordx2 v[4:5], v[4:5]
	s_waitcnt vmcnt(0) lgkmcnt(0)
	v_mul_f64 v[138:139], s[16:17], v[4:5]
.LBB122_41:                             ;   in Loop: Header=BB122_35 Depth=1
	s_or_b32 exec_lo, exec_lo, s25
	s_or_b32 s7, s1, s6
	v_cndmask_b32_e64 v141, 0, 0x7fefffff, s7
	v_cndmask_b32_e64 v140, 0, -1, s7
	s_nor_b32 s7, s27, s7
	s_and_saveexec_b32 s25, s7
	s_cbranch_execz .LBB122_43
; %bb.42:                               ;   in Loop: Header=BB122_35 Depth=1
	v_add_co_u32 v4, s7, v2, v134
	v_add_co_ci_u32_e64 v5, null, v3, v135, s7
	flat_load_dwordx2 v[4:5], v[4:5] offset:512
	s_waitcnt vmcnt(0) lgkmcnt(0)
	v_mul_f64 v[140:141], s[16:17], v[4:5]
.LBB122_43:                             ;   in Loop: Header=BB122_35 Depth=1
	s_or_b32 exec_lo, exec_lo, s25
	s_or_b32 s7, s2, s6
	v_cndmask_b32_e64 v143, 0, 0x7fefffff, s7
	v_cndmask_b32_e64 v142, 0, -1, s7
	s_nor_b32 s7, s27, s7
	s_and_saveexec_b32 s25, s7
	s_cbranch_execz .LBB122_45
; %bb.44:                               ;   in Loop: Header=BB122_35 Depth=1
	v_add_co_u32 v4, s7, v2, v134
	v_add_co_ci_u32_e64 v5, null, v3, v135, s7
	flat_load_dwordx2 v[4:5], v[4:5] offset:1024
	s_waitcnt vmcnt(0) lgkmcnt(0)
	v_mul_f64 v[142:143], s[16:17], v[4:5]
.LBB122_45:                             ;   in Loop: Header=BB122_35 Depth=1
	;; [unrolled: 14-line block ×3, first 2 shown]
	s_or_b32 exec_lo, exec_lo, s7
	ds_read_b128 v[126:129], v179
	ds_read_b128 v[62:65], v179 offset:16
	ds_read_b128 v[98:101], v178
	ds_read_b128 v[34:37], v178 offset:16
	ds_read_b128 v[94:97], v178 offset:256
	;; [unrolled: 1-line block ×29, first 2 shown]
	v_add_nc_u32_e32 v222, 12, v222
	ds_write_b64 v171, v[136:137]
	ds_write2st64_b64 v149, v[138:139], v[140:141] offset1:4
	ds_write2st64_b64 v149, v[142:143], v[144:145] offset0:8 offset1:12
	s_waitcnt lgkmcnt(0)
	s_barrier
	buffer_gl0_inv
	v_cmp_le_i32_e64 s6, s14, v222
                                        ; implicit-def: $vgpr138_vgpr139
	s_or_b32 s25, vcc_lo, s6
	s_nor_b32 s7, s27, s25
	s_and_saveexec_b32 s33, s7
	s_xor_b32 s33, exec_lo, s33
	s_cbranch_execz .LBB122_49
; %bb.48:                               ;   in Loop: Header=BB122_35 Depth=1
	v_add_co_u32 v136, s7, v176, v130
	v_add_co_ci_u32_e64 v137, null, v177, v131, s7
	flat_load_dwordx2 v[136:137], v[136:137]
	s_waitcnt vmcnt(0) lgkmcnt(0)
	v_mul_f64 v[138:139], s[16:17], v[136:137]
.LBB122_49:                             ;   in Loop: Header=BB122_35 Depth=1
	s_andn2_saveexec_b32 s7, s33
; %bb.50:                               ;   in Loop: Header=BB122_35 Depth=1
	v_cndmask_b32_e64 v139, 0, 0x7fefffff, s25
	v_cndmask_b32_e64 v138, 0, -1, s25
; %bb.51:                               ;   in Loop: Header=BB122_35 Depth=1
	s_or_b32 exec_lo, exec_lo, s7
	v_min_i32_e32 v136, s31, v222
	s_or_b32 s25, s0, s6
	v_mad_i64_i32 v[136:137], null, v136, s29, 0
	v_lshlrev_b64 v[140:141], 3, v[136:137]
	v_cndmask_b32_e64 v137, 0, 0x7fefffff, s25
	v_cndmask_b32_e64 v136, 0, -1, s25
	v_add_co_u32 v222, s7, s20, v140
	v_add_co_ci_u32_e64 v223, null, s21, v141, s7
	s_nor_b32 s7, s27, s25
	s_and_saveexec_b32 s25, s7
	s_cbranch_execz .LBB122_53
; %bb.52:                               ;   in Loop: Header=BB122_35 Depth=1
	v_add_co_u32 v136, s7, v222, v134
	v_add_co_ci_u32_e64 v137, null, v223, v135, s7
	flat_load_dwordx2 v[136:137], v[136:137]
	s_waitcnt vmcnt(0) lgkmcnt(0)
	v_mul_f64 v[136:137], s[16:17], v[136:137]
.LBB122_53:                             ;   in Loop: Header=BB122_35 Depth=1
	s_or_b32 exec_lo, exec_lo, s25
	s_or_b32 s7, s1, s6
	v_cndmask_b32_e64 v141, 0, 0x7fefffff, s7
	v_cndmask_b32_e64 v140, 0, -1, s7
	s_nor_b32 s7, s27, s7
	s_and_saveexec_b32 s25, s7
	s_cbranch_execz .LBB122_55
; %bb.54:                               ;   in Loop: Header=BB122_35 Depth=1
	v_add_co_u32 v140, s7, v222, v134
	v_add_co_ci_u32_e64 v141, null, v223, v135, s7
	flat_load_dwordx2 v[140:141], v[140:141] offset:512
	s_waitcnt vmcnt(0) lgkmcnt(0)
	v_mul_f64 v[140:141], s[16:17], v[140:141]
.LBB122_55:                             ;   in Loop: Header=BB122_35 Depth=1
	s_or_b32 exec_lo, exec_lo, s25
	s_or_b32 s7, s2, s6
	v_cndmask_b32_e64 v143, 0, 0x7fefffff, s7
	v_cndmask_b32_e64 v142, 0, -1, s7
	s_nor_b32 s7, s27, s7
	s_and_saveexec_b32 s25, s7
	s_cbranch_execz .LBB122_57
; %bb.56:                               ;   in Loop: Header=BB122_35 Depth=1
	v_add_co_u32 v142, s7, v222, v134
	v_add_co_ci_u32_e64 v143, null, v223, v135, s7
	flat_load_dwordx2 v[142:143], v[142:143] offset:1024
	s_waitcnt vmcnt(0) lgkmcnt(0)
	v_mul_f64 v[142:143], s[16:17], v[142:143]
.LBB122_57:                             ;   in Loop: Header=BB122_35 Depth=1
	s_or_b32 exec_lo, exec_lo, s25
	s_or_b32 s6, s3, s6
	v_cndmask_b32_e64 v145, 0, 0x7fefffff, s6
	v_cndmask_b32_e64 v144, 0, -1, s6
	s_nor_b32 s6, s27, s6
	s_and_saveexec_b32 s7, s6
	s_cbranch_execz .LBB122_34
; %bb.58:                               ;   in Loop: Header=BB122_35 Depth=1
	v_add_co_u32 v144, s6, v222, v134
	v_add_co_ci_u32_e64 v145, null, v223, v135, s6
	flat_load_dwordx2 v[144:145], v[144:145] offset:1536
	s_waitcnt vmcnt(0) lgkmcnt(0)
	v_mul_f64 v[144:145], s[16:17], v[144:145]
	s_branch .LBB122_34
.LBB122_59:
	s_clause 0x2
	s_load_dwordx2 s[0:1], s[4:5], 0x78
	s_load_dword s16, s[4:5], 0x58
	s_load_dword s14, s[4:5], 0x70
	ds_read_b128 v[70:73], v148 offset:18432
	ds_read_b128 v[66:69], v148 offset:18448
	;; [unrolled: 1-line block ×17, first 2 shown]
	v_add_nc_u32_e32 v145, s26, v1
	ds_read_b128 v[2:5], v148 offset:20240
	ds_read_b128 v[118:121], v147 offset:9216
	;; [unrolled: 1-line block ×15, first 2 shown]
	v_add_nc_u32_e32 v0, s15, v0
	v_cndmask_b32_e64 v144, 0, 1, s28
	v_ashrrev_i32_e32 v1, 31, v0
	s_waitcnt lgkmcnt(0)
	s_lshl_b64 s[0:1], s[0:1], 3
	v_mad_i64_i32 v[130:131], null, v145, s16, 0
	v_mad_i64_i32 v[132:133], null, v145, s14, 0
	s_add_u32 s17, s8, s0
	s_addc_u32 s9, s9, s1
	v_cmp_gt_i32_e64 s0, s12, v0
	v_cmp_gt_i32_e64 s8, s13, v145
	v_lshlrev_b64 v[130:131], 3, v[130:131]
	v_lshlrev_b64 v[132:133], 3, v[132:133]
	s_and_b32 s2, s0, s8
	v_add_co_u32 v148, vcc_lo, s18, v130
	v_add_co_ci_u32_e64 v149, null, s19, v131, vcc_lo
	v_add_co_u32 v146, vcc_lo, s17, v132
	v_add_co_ci_u32_e64 v147, null, s9, v133, vcc_lo
	s_and_saveexec_b32 s1, s2
	s_cbranch_execz .LBB122_64
; %bb.60:
	s_andn2_b32 vcc_lo, exec_lo, s28
	s_cbranch_vccnz .LBB122_62
; %bb.61:
	v_lshlrev_b64 v[130:131], 3, v[0:1]
	v_add_co_u32 v130, vcc_lo, v148, v130
	v_add_co_ci_u32_e64 v131, null, v149, v131, vcc_lo
	flat_load_dwordx2 v[130:131], v[130:131]
	s_waitcnt vmcnt(0) lgkmcnt(0)
	v_mul_f64 v[130:131], s[10:11], v[130:131]
	v_cvt_f32_f64_e32 v130, v[130:131]
	s_branch .LBB122_63
.LBB122_62:
	v_mov_b32_e32 v130, 0
.LBB122_63:
	v_add_f64 v[131:132], v[70:71], v[126:127]
	v_add_f64 v[133:134], v[72:73], v[128:129]
	;; [unrolled: 1-line block ×4, first 2 shown]
	v_cvt_f32_f64_e32 v131, v[131:132]
	v_cvt_f32_f64_e32 v132, v[133:134]
	;; [unrolled: 1-line block ×4, first 2 shown]
	v_min3_f32 v131, v131, v132, v221
	v_min_f32_e32 v132, v133, v134
	v_min3_f32 v130, v130, v132, v131
	v_lshlrev_b64 v[132:133], 3, v[0:1]
	v_cvt_f64_f32_e32 v[130:131], v130
	v_add_co_u32 v132, vcc_lo, v146, v132
	v_add_co_ci_u32_e64 v133, null, v147, v133, vcc_lo
	flat_store_dwordx2 v[132:133], v[130:131]
.LBB122_64:
	s_or_b32 exec_lo, exec_lo, s1
	v_add_nc_u32_e32 v130, 8, v0
	v_cmp_gt_i32_e64 s1, s12, v130
	v_ashrrev_i32_e32 v131, 31, v130
	s_and_b32 s3, s1, s8
	s_and_saveexec_b32 s2, s3
	s_cbranch_execz .LBB122_69
; %bb.65:
	v_cmp_ne_u32_e32 vcc_lo, 1, v144
	s_cbranch_vccnz .LBB122_67
; %bb.66:
	v_lshlrev_b64 v[132:133], 3, v[130:131]
	v_add_co_u32 v132, vcc_lo, v148, v132
	v_add_co_ci_u32_e64 v133, null, v149, v133, vcc_lo
	flat_load_dwordx2 v[132:133], v[132:133]
	s_waitcnt vmcnt(0) lgkmcnt(0)
	v_mul_f64 v[132:133], s[10:11], v[132:133]
	v_cvt_f32_f64_e32 v132, v[132:133]
	s_branch .LBB122_68
.LBB122_67:
	v_mov_b32_e32 v132, 0
.LBB122_68:
	v_add_f64 v[133:134], v[62:63], v[126:127]
	v_add_f64 v[135:136], v[64:65], v[128:129]
	v_add_f64 v[137:138], v[58:59], v[122:123]
	v_add_f64 v[139:140], v[60:61], v[124:125]
	v_cvt_f32_f64_e32 v133, v[133:134]
	v_cvt_f32_f64_e32 v134, v[135:136]
	v_cvt_f32_f64_e32 v135, v[137:138]
	v_cvt_f32_f64_e32 v136, v[139:140]
	v_min3_f32 v133, v133, v134, v220
	v_min_f32_e32 v134, v135, v136
	v_min3_f32 v132, v132, v134, v133
	v_lshlrev_b64 v[134:135], 3, v[130:131]
	v_cvt_f64_f32_e32 v[132:133], v132
	v_add_co_u32 v134, vcc_lo, v146, v134
	v_add_co_ci_u32_e64 v135, null, v147, v135, vcc_lo
	flat_store_dwordx2 v[134:135], v[132:133]
.LBB122_69:
	s_or_b32 exec_lo, exec_lo, s2
	v_add_nc_u32_e32 v132, 16, v0
	v_cmp_gt_i32_e64 s2, s12, v132
	v_ashrrev_i32_e32 v133, 31, v132
	s_and_b32 s4, s2, s8
	s_and_saveexec_b32 s3, s4
	s_cbranch_execz .LBB122_74
; %bb.70:
	v_cmp_ne_u32_e32 vcc_lo, 1, v144
	s_cbranch_vccnz .LBB122_72
; %bb.71:
	v_lshlrev_b64 v[134:135], 3, v[132:133]
	v_add_co_u32 v134, vcc_lo, v148, v134
	v_add_co_ci_u32_e64 v135, null, v149, v135, vcc_lo
	flat_load_dwordx2 v[134:135], v[134:135]
	s_waitcnt vmcnt(0) lgkmcnt(0)
	v_mul_f64 v[134:135], s[10:11], v[134:135]
	v_cvt_f32_f64_e32 v134, v[134:135]
	s_branch .LBB122_73
.LBB122_72:
	v_mov_b32_e32 v134, 0
.LBB122_73:
	v_add_f64 v[135:136], v[54:55], v[126:127]
	v_add_f64 v[137:138], v[56:57], v[128:129]
	v_add_f64 v[139:140], v[50:51], v[122:123]
	v_add_f64 v[141:142], v[52:53], v[124:125]
	v_cvt_f32_f64_e32 v135, v[135:136]
	v_cvt_f32_f64_e32 v136, v[137:138]
	v_cvt_f32_f64_e32 v137, v[139:140]
	v_cvt_f32_f64_e32 v138, v[141:142]
	v_min3_f32 v135, v135, v136, v219
	v_min_f32_e32 v136, v137, v138
	v_min3_f32 v134, v134, v136, v135
	v_lshlrev_b64 v[136:137], 3, v[132:133]
	v_cvt_f64_f32_e32 v[134:135], v134
	v_add_co_u32 v136, vcc_lo, v146, v136
	v_add_co_ci_u32_e64 v137, null, v147, v137, vcc_lo
	flat_store_dwordx2 v[136:137], v[134:135]
.LBB122_74:
	;; [unrolled: 39-line block ×7, first 2 shown]
	s_or_b32 exec_lo, exec_lo, s8
	v_add_nc_u32_e32 v126, 32, v145
	v_mad_i64_i32 v[122:123], null, v126, s16, 0
	v_mad_i64_i32 v[124:125], null, v126, s14, 0
	v_cmp_gt_i32_e64 s8, s13, v126
	v_lshlrev_b64 v[122:123], 3, v[122:123]
	s_and_b32 s15, s0, s8
	v_lshlrev_b64 v[126:127], 3, v[124:125]
	v_add_co_u32 v124, vcc_lo, s18, v122
	v_add_co_ci_u32_e64 v125, null, s19, v123, vcc_lo
	v_add_co_u32 v122, vcc_lo, s17, v126
	v_add_co_ci_u32_e64 v123, null, s9, v127, vcc_lo
	s_and_saveexec_b32 s12, s15
	s_cbranch_execnz .LBB122_107
; %bb.100:
	s_or_b32 exec_lo, exec_lo, s12
	s_and_b32 s15, s1, s8
	s_and_saveexec_b32 s12, s15
	s_cbranch_execnz .LBB122_111
.LBB122_101:
	s_or_b32 exec_lo, exec_lo, s12
	s_and_b32 s15, s2, s8
	s_and_saveexec_b32 s12, s15
	s_cbranch_execnz .LBB122_115
.LBB122_102:
	s_or_b32 exec_lo, exec_lo, s12
	s_and_b32 s15, s3, s8
	s_and_saveexec_b32 s12, s15
	s_cbranch_execnz .LBB122_119
.LBB122_103:
	s_or_b32 exec_lo, exec_lo, s12
	s_and_b32 s15, s4, s8
	s_and_saveexec_b32 s12, s15
	s_cbranch_execnz .LBB122_123
.LBB122_104:
	s_or_b32 exec_lo, exec_lo, s12
	s_and_b32 s15, s5, s8
	s_and_saveexec_b32 s12, s15
	s_cbranch_execnz .LBB122_127
.LBB122_105:
	s_or_b32 exec_lo, exec_lo, s12
	s_and_b32 s15, s6, s8
	s_and_saveexec_b32 s12, s15
	s_cbranch_execnz .LBB122_131
.LBB122_106:
	s_or_b32 exec_lo, exec_lo, s12
	s_and_b32 s12, s7, s8
	s_and_saveexec_b32 s8, s12
	s_cbranch_execnz .LBB122_135
	s_branch .LBB122_139
.LBB122_107:
	v_cmp_ne_u32_e32 vcc_lo, 1, v144
	s_cbranch_vccnz .LBB122_109
; %bb.108:
	v_lshlrev_b64 v[126:127], 3, v[0:1]
	v_add_co_u32 v126, vcc_lo, v124, v126
	v_add_co_ci_u32_e64 v127, null, v125, v127, vcc_lo
	flat_load_dwordx2 v[126:127], v[126:127]
	s_waitcnt vmcnt(0) lgkmcnt(0)
	v_mul_f64 v[126:127], s[10:11], v[126:127]
	v_cvt_f32_f64_e32 v126, v[126:127]
	s_branch .LBB122_110
.LBB122_109:
	v_mov_b32_e32 v126, 0
.LBB122_110:
	v_add_f64 v[127:128], v[70:71], v[118:119]
	v_add_f64 v[146:147], v[72:73], v[120:121]
	;; [unrolled: 1-line block ×4, first 2 shown]
	v_cvt_f32_f64_e32 v127, v[127:128]
	v_cvt_f32_f64_e32 v128, v[146:147]
	;; [unrolled: 1-line block ×4, first 2 shown]
	v_min3_f32 v127, v127, v128, v213
	v_min_f32_e32 v128, v129, v146
	v_min3_f32 v126, v126, v128, v127
	v_lshlrev_b64 v[128:129], 3, v[0:1]
	v_cvt_f64_f32_e32 v[126:127], v126
	v_add_co_u32 v128, vcc_lo, v122, v128
	v_add_co_ci_u32_e64 v129, null, v123, v129, vcc_lo
	flat_store_dwordx2 v[128:129], v[126:127]
	s_or_b32 exec_lo, exec_lo, s12
	s_and_b32 s15, s1, s8
	s_and_saveexec_b32 s12, s15
	s_cbranch_execz .LBB122_101
.LBB122_111:
	v_cmp_ne_u32_e32 vcc_lo, 1, v144
	s_cbranch_vccnz .LBB122_113
; %bb.112:
	v_lshlrev_b64 v[126:127], 3, v[130:131]
	v_add_co_u32 v126, vcc_lo, v124, v126
	v_add_co_ci_u32_e64 v127, null, v125, v127, vcc_lo
	flat_load_dwordx2 v[126:127], v[126:127]
	s_waitcnt vmcnt(0) lgkmcnt(0)
	v_mul_f64 v[126:127], s[10:11], v[126:127]
	v_cvt_f32_f64_e32 v126, v[126:127]
	s_branch .LBB122_114
.LBB122_113:
	v_mov_b32_e32 v126, 0
.LBB122_114:
	v_add_f64 v[127:128], v[62:63], v[118:119]
	v_add_f64 v[146:147], v[64:65], v[120:121]
	;; [unrolled: 1-line block ×4, first 2 shown]
	v_cvt_f32_f64_e32 v127, v[127:128]
	v_cvt_f32_f64_e32 v128, v[146:147]
	;; [unrolled: 1-line block ×4, first 2 shown]
	v_min3_f32 v127, v127, v128, v212
	v_min_f32_e32 v128, v129, v146
	v_min3_f32 v126, v126, v128, v127
	v_lshlrev_b64 v[128:129], 3, v[130:131]
	v_cvt_f64_f32_e32 v[126:127], v126
	v_add_co_u32 v128, vcc_lo, v122, v128
	v_add_co_ci_u32_e64 v129, null, v123, v129, vcc_lo
	flat_store_dwordx2 v[128:129], v[126:127]
	s_or_b32 exec_lo, exec_lo, s12
	s_and_b32 s15, s2, s8
	s_and_saveexec_b32 s12, s15
	s_cbranch_execz .LBB122_102
.LBB122_115:
	v_cmp_ne_u32_e32 vcc_lo, 1, v144
	s_cbranch_vccnz .LBB122_117
; %bb.116:
	v_lshlrev_b64 v[126:127], 3, v[132:133]
	v_add_co_u32 v126, vcc_lo, v124, v126
	v_add_co_ci_u32_e64 v127, null, v125, v127, vcc_lo
	flat_load_dwordx2 v[126:127], v[126:127]
	s_waitcnt vmcnt(0) lgkmcnt(0)
	v_mul_f64 v[126:127], s[10:11], v[126:127]
	v_cvt_f32_f64_e32 v126, v[126:127]
	s_branch .LBB122_118
.LBB122_117:
	v_mov_b32_e32 v126, 0
.LBB122_118:
	v_add_f64 v[127:128], v[54:55], v[118:119]
	v_add_f64 v[146:147], v[56:57], v[120:121]
	;; [unrolled: 1-line block ×4, first 2 shown]
	v_cvt_f32_f64_e32 v127, v[127:128]
	v_cvt_f32_f64_e32 v128, v[146:147]
	;; [unrolled: 1-line block ×4, first 2 shown]
	v_min3_f32 v127, v127, v128, v211
	v_min_f32_e32 v128, v129, v146
	v_min3_f32 v126, v126, v128, v127
	v_lshlrev_b64 v[128:129], 3, v[132:133]
	v_cvt_f64_f32_e32 v[126:127], v126
	v_add_co_u32 v128, vcc_lo, v122, v128
	v_add_co_ci_u32_e64 v129, null, v123, v129, vcc_lo
	flat_store_dwordx2 v[128:129], v[126:127]
	s_or_b32 exec_lo, exec_lo, s12
	s_and_b32 s15, s3, s8
	s_and_saveexec_b32 s12, s15
	s_cbranch_execz .LBB122_103
.LBB122_119:
	v_cmp_ne_u32_e32 vcc_lo, 1, v144
	s_cbranch_vccnz .LBB122_121
; %bb.120:
	v_lshlrev_b64 v[126:127], 3, v[134:135]
	v_add_co_u32 v126, vcc_lo, v124, v126
	v_add_co_ci_u32_e64 v127, null, v125, v127, vcc_lo
	flat_load_dwordx2 v[126:127], v[126:127]
	s_waitcnt vmcnt(0) lgkmcnt(0)
	v_mul_f64 v[126:127], s[10:11], v[126:127]
	v_cvt_f32_f64_e32 v126, v[126:127]
	s_branch .LBB122_122
.LBB122_121:
	v_mov_b32_e32 v126, 0
.LBB122_122:
	v_add_f64 v[127:128], v[46:47], v[118:119]
	v_add_f64 v[146:147], v[48:49], v[120:121]
	;; [unrolled: 1-line block ×4, first 2 shown]
	v_cvt_f32_f64_e32 v127, v[127:128]
	v_cvt_f32_f64_e32 v128, v[146:147]
	;; [unrolled: 1-line block ×4, first 2 shown]
	v_min3_f32 v127, v127, v128, v210
	v_min_f32_e32 v128, v129, v146
	v_min3_f32 v126, v126, v128, v127
	v_lshlrev_b64 v[128:129], 3, v[134:135]
	v_cvt_f64_f32_e32 v[126:127], v126
	v_add_co_u32 v128, vcc_lo, v122, v128
	v_add_co_ci_u32_e64 v129, null, v123, v129, vcc_lo
	flat_store_dwordx2 v[128:129], v[126:127]
	s_or_b32 exec_lo, exec_lo, s12
	s_and_b32 s15, s4, s8
	s_and_saveexec_b32 s12, s15
	s_cbranch_execz .LBB122_104
.LBB122_123:
	v_cmp_ne_u32_e32 vcc_lo, 1, v144
	s_cbranch_vccnz .LBB122_125
; %bb.124:
	v_lshlrev_b64 v[126:127], 3, v[136:137]
	v_add_co_u32 v126, vcc_lo, v124, v126
	v_add_co_ci_u32_e64 v127, null, v125, v127, vcc_lo
	flat_load_dwordx2 v[126:127], v[126:127]
	s_waitcnt vmcnt(0) lgkmcnt(0)
	v_mul_f64 v[126:127], s[10:11], v[126:127]
	v_cvt_f32_f64_e32 v126, v[126:127]
	s_branch .LBB122_126
.LBB122_125:
	v_mov_b32_e32 v126, 0
.LBB122_126:
	v_add_f64 v[127:128], v[38:39], v[118:119]
	v_add_f64 v[146:147], v[40:41], v[120:121]
	;; [unrolled: 1-line block ×4, first 2 shown]
	v_cvt_f32_f64_e32 v127, v[127:128]
	v_cvt_f32_f64_e32 v128, v[146:147]
	v_cvt_f32_f64_e32 v129, v[148:149]
	v_cvt_f32_f64_e32 v146, v[171:172]
	v_min3_f32 v127, v127, v128, v209
	v_min_f32_e32 v128, v129, v146
	v_min3_f32 v126, v126, v128, v127
	v_lshlrev_b64 v[128:129], 3, v[136:137]
	v_cvt_f64_f32_e32 v[126:127], v126
	v_add_co_u32 v128, vcc_lo, v122, v128
	v_add_co_ci_u32_e64 v129, null, v123, v129, vcc_lo
	flat_store_dwordx2 v[128:129], v[126:127]
	s_or_b32 exec_lo, exec_lo, s12
	s_and_b32 s15, s5, s8
	s_and_saveexec_b32 s12, s15
	s_cbranch_execz .LBB122_105
.LBB122_127:
	v_cmp_ne_u32_e32 vcc_lo, 1, v144
	s_cbranch_vccnz .LBB122_129
; %bb.128:
	v_lshlrev_b64 v[126:127], 3, v[138:139]
	v_add_co_u32 v126, vcc_lo, v124, v126
	v_add_co_ci_u32_e64 v127, null, v125, v127, vcc_lo
	flat_load_dwordx2 v[126:127], v[126:127]
	s_waitcnt vmcnt(0) lgkmcnt(0)
	v_mul_f64 v[126:127], s[10:11], v[126:127]
	v_cvt_f32_f64_e32 v126, v[126:127]
	s_branch .LBB122_130
.LBB122_129:
	v_mov_b32_e32 v126, 0
.LBB122_130:
	v_add_f64 v[127:128], v[30:31], v[118:119]
	v_add_f64 v[146:147], v[32:33], v[120:121]
	;; [unrolled: 1-line block ×4, first 2 shown]
	v_cvt_f32_f64_e32 v127, v[127:128]
	v_cvt_f32_f64_e32 v128, v[146:147]
	;; [unrolled: 1-line block ×4, first 2 shown]
	v_min3_f32 v127, v127, v128, v208
	v_min_f32_e32 v128, v129, v146
	v_min3_f32 v126, v126, v128, v127
	v_lshlrev_b64 v[128:129], 3, v[138:139]
	v_cvt_f64_f32_e32 v[126:127], v126
	v_add_co_u32 v128, vcc_lo, v122, v128
	v_add_co_ci_u32_e64 v129, null, v123, v129, vcc_lo
	flat_store_dwordx2 v[128:129], v[126:127]
	s_or_b32 exec_lo, exec_lo, s12
	s_and_b32 s15, s6, s8
	s_and_saveexec_b32 s12, s15
	s_cbranch_execz .LBB122_106
.LBB122_131:
	v_cmp_ne_u32_e32 vcc_lo, 1, v144
	s_cbranch_vccnz .LBB122_133
; %bb.132:
	v_lshlrev_b64 v[126:127], 3, v[140:141]
	v_add_co_u32 v126, vcc_lo, v124, v126
	v_add_co_ci_u32_e64 v127, null, v125, v127, vcc_lo
	flat_load_dwordx2 v[126:127], v[126:127]
	s_waitcnt vmcnt(0) lgkmcnt(0)
	v_mul_f64 v[126:127], s[10:11], v[126:127]
	v_cvt_f32_f64_e32 v126, v[126:127]
	s_branch .LBB122_134
.LBB122_133:
	v_mov_b32_e32 v126, 0
.LBB122_134:
	v_add_f64 v[127:128], v[22:23], v[118:119]
	v_add_f64 v[146:147], v[24:25], v[120:121]
	;; [unrolled: 1-line block ×4, first 2 shown]
	v_cvt_f32_f64_e32 v127, v[127:128]
	v_cvt_f32_f64_e32 v128, v[146:147]
	;; [unrolled: 1-line block ×4, first 2 shown]
	v_min3_f32 v127, v127, v128, v207
	v_min_f32_e32 v128, v129, v146
	v_min3_f32 v126, v126, v128, v127
	v_lshlrev_b64 v[128:129], 3, v[140:141]
	v_cvt_f64_f32_e32 v[126:127], v126
	v_add_co_u32 v128, vcc_lo, v122, v128
	v_add_co_ci_u32_e64 v129, null, v123, v129, vcc_lo
	flat_store_dwordx2 v[128:129], v[126:127]
	s_or_b32 exec_lo, exec_lo, s12
	s_and_b32 s12, s7, s8
	s_and_saveexec_b32 s8, s12
	s_cbranch_execz .LBB122_139
.LBB122_135:
	v_cmp_ne_u32_e32 vcc_lo, 1, v144
	s_cbranch_vccnz .LBB122_137
; %bb.136:
	v_lshlrev_b64 v[126:127], 3, v[142:143]
	v_add_co_u32 v124, vcc_lo, v124, v126
	v_add_co_ci_u32_e64 v125, null, v125, v127, vcc_lo
	flat_load_dwordx2 v[124:125], v[124:125]
	s_waitcnt vmcnt(0) lgkmcnt(0)
	v_mul_f64 v[124:125], s[10:11], v[124:125]
	v_cvt_f32_f64_e32 v124, v[124:125]
	s_branch .LBB122_138
.LBB122_137:
	v_mov_b32_e32 v124, 0
.LBB122_138:
	v_add_f64 v[118:119], v[6:7], v[118:119]
	v_add_f64 v[120:121], v[8:9], v[120:121]
	;; [unrolled: 1-line block ×4, first 2 shown]
	v_cvt_f32_f64_e32 v118, v[118:119]
	v_cvt_f32_f64_e32 v119, v[120:121]
	;; [unrolled: 1-line block ×4, first 2 shown]
	v_min3_f32 v116, v118, v119, v206
	v_min_f32_e32 v114, v114, v115
	v_min3_f32 v114, v124, v114, v116
	v_lshlrev_b64 v[116:117], 3, v[142:143]
	v_cvt_f64_f32_e32 v[114:115], v114
	v_add_co_u32 v116, vcc_lo, v122, v116
	v_add_co_ci_u32_e64 v117, null, v123, v117, vcc_lo
	flat_store_dwordx2 v[116:117], v[114:115]
.LBB122_139:
	s_or_b32 exec_lo, exec_lo, s8
	v_add_nc_u32_e32 v118, 64, v145
	v_mad_i64_i32 v[114:115], null, v118, s16, 0
	v_mad_i64_i32 v[116:117], null, v118, s14, 0
	v_cmp_gt_i32_e64 s8, s13, v118
	v_lshlrev_b64 v[114:115], 3, v[114:115]
	s_and_b32 s15, s0, s8
	v_lshlrev_b64 v[118:119], 3, v[116:117]
	v_add_co_u32 v116, vcc_lo, s18, v114
	v_add_co_ci_u32_e64 v117, null, s19, v115, vcc_lo
	v_add_co_u32 v114, vcc_lo, s17, v118
	v_add_co_ci_u32_e64 v115, null, s9, v119, vcc_lo
	s_and_saveexec_b32 s12, s15
	s_cbranch_execnz .LBB122_147
; %bb.140:
	s_or_b32 exec_lo, exec_lo, s12
	s_and_b32 s15, s1, s8
	s_and_saveexec_b32 s12, s15
	s_cbranch_execnz .LBB122_151
.LBB122_141:
	s_or_b32 exec_lo, exec_lo, s12
	s_and_b32 s15, s2, s8
	s_and_saveexec_b32 s12, s15
	s_cbranch_execnz .LBB122_155
.LBB122_142:
	s_or_b32 exec_lo, exec_lo, s12
	s_and_b32 s15, s3, s8
	s_and_saveexec_b32 s12, s15
	s_cbranch_execnz .LBB122_159
.LBB122_143:
	s_or_b32 exec_lo, exec_lo, s12
	s_and_b32 s15, s4, s8
	s_and_saveexec_b32 s12, s15
	s_cbranch_execnz .LBB122_163
.LBB122_144:
	s_or_b32 exec_lo, exec_lo, s12
	s_and_b32 s15, s5, s8
	s_and_saveexec_b32 s12, s15
	s_cbranch_execnz .LBB122_167
.LBB122_145:
	s_or_b32 exec_lo, exec_lo, s12
	s_and_b32 s15, s6, s8
	s_and_saveexec_b32 s12, s15
	s_cbranch_execnz .LBB122_171
.LBB122_146:
	s_or_b32 exec_lo, exec_lo, s12
	s_and_b32 s12, s7, s8
	s_and_saveexec_b32 s8, s12
	s_cbranch_execnz .LBB122_175
	s_branch .LBB122_179
.LBB122_147:
	v_cmp_ne_u32_e32 vcc_lo, 1, v144
	s_cbranch_vccnz .LBB122_149
; %bb.148:
	v_lshlrev_b64 v[118:119], 3, v[0:1]
	v_add_co_u32 v118, vcc_lo, v116, v118
	v_add_co_ci_u32_e64 v119, null, v117, v119, vcc_lo
	flat_load_dwordx2 v[118:119], v[118:119]
	s_waitcnt vmcnt(0) lgkmcnt(0)
	v_mul_f64 v[118:119], s[10:11], v[118:119]
	v_cvt_f32_f64_e32 v118, v[118:119]
	s_branch .LBB122_150
.LBB122_149:
	v_mov_b32_e32 v118, 0
.LBB122_150:
	v_add_f64 v[119:120], v[70:71], v[110:111]
	v_add_f64 v[121:122], v[72:73], v[112:113]
	;; [unrolled: 1-line block ×4, first 2 shown]
	v_cvt_f32_f64_e32 v119, v[119:120]
	v_cvt_f32_f64_e32 v120, v[121:122]
	;; [unrolled: 1-line block ×4, first 2 shown]
	v_min3_f32 v119, v119, v120, v205
	v_min_f32_e32 v120, v121, v122
	v_min3_f32 v118, v118, v120, v119
	v_lshlrev_b64 v[120:121], 3, v[0:1]
	v_cvt_f64_f32_e32 v[118:119], v118
	v_add_co_u32 v120, vcc_lo, v114, v120
	v_add_co_ci_u32_e64 v121, null, v115, v121, vcc_lo
	flat_store_dwordx2 v[120:121], v[118:119]
	s_or_b32 exec_lo, exec_lo, s12
	s_and_b32 s15, s1, s8
	s_and_saveexec_b32 s12, s15
	s_cbranch_execz .LBB122_141
.LBB122_151:
	v_cmp_ne_u32_e32 vcc_lo, 1, v144
	s_cbranch_vccnz .LBB122_153
; %bb.152:
	v_lshlrev_b64 v[118:119], 3, v[130:131]
	v_add_co_u32 v118, vcc_lo, v116, v118
	v_add_co_ci_u32_e64 v119, null, v117, v119, vcc_lo
	flat_load_dwordx2 v[118:119], v[118:119]
	s_waitcnt vmcnt(0) lgkmcnt(0)
	v_mul_f64 v[118:119], s[10:11], v[118:119]
	v_cvt_f32_f64_e32 v118, v[118:119]
	s_branch .LBB122_154
.LBB122_153:
	v_mov_b32_e32 v118, 0
.LBB122_154:
	v_add_f64 v[119:120], v[62:63], v[110:111]
	v_add_f64 v[121:122], v[64:65], v[112:113]
	;; [unrolled: 1-line block ×4, first 2 shown]
	v_cvt_f32_f64_e32 v119, v[119:120]
	v_cvt_f32_f64_e32 v120, v[121:122]
	;; [unrolled: 1-line block ×4, first 2 shown]
	v_min3_f32 v119, v119, v120, v204
	v_min_f32_e32 v120, v121, v122
	v_min3_f32 v118, v118, v120, v119
	v_lshlrev_b64 v[120:121], 3, v[130:131]
	v_cvt_f64_f32_e32 v[118:119], v118
	v_add_co_u32 v120, vcc_lo, v114, v120
	v_add_co_ci_u32_e64 v121, null, v115, v121, vcc_lo
	flat_store_dwordx2 v[120:121], v[118:119]
	s_or_b32 exec_lo, exec_lo, s12
	s_and_b32 s15, s2, s8
	s_and_saveexec_b32 s12, s15
	s_cbranch_execz .LBB122_142
.LBB122_155:
	v_cmp_ne_u32_e32 vcc_lo, 1, v144
	s_cbranch_vccnz .LBB122_157
; %bb.156:
	v_lshlrev_b64 v[118:119], 3, v[132:133]
	v_add_co_u32 v118, vcc_lo, v116, v118
	v_add_co_ci_u32_e64 v119, null, v117, v119, vcc_lo
	flat_load_dwordx2 v[118:119], v[118:119]
	s_waitcnt vmcnt(0) lgkmcnt(0)
	v_mul_f64 v[118:119], s[10:11], v[118:119]
	v_cvt_f32_f64_e32 v118, v[118:119]
	s_branch .LBB122_158
.LBB122_157:
	v_mov_b32_e32 v118, 0
.LBB122_158:
	v_add_f64 v[119:120], v[54:55], v[110:111]
	v_add_f64 v[121:122], v[56:57], v[112:113]
	;; [unrolled: 1-line block ×4, first 2 shown]
	v_cvt_f32_f64_e32 v119, v[119:120]
	v_cvt_f32_f64_e32 v120, v[121:122]
	;; [unrolled: 1-line block ×4, first 2 shown]
	v_min3_f32 v119, v119, v120, v203
	v_min_f32_e32 v120, v121, v122
	v_min3_f32 v118, v118, v120, v119
	v_lshlrev_b64 v[120:121], 3, v[132:133]
	v_cvt_f64_f32_e32 v[118:119], v118
	v_add_co_u32 v120, vcc_lo, v114, v120
	v_add_co_ci_u32_e64 v121, null, v115, v121, vcc_lo
	flat_store_dwordx2 v[120:121], v[118:119]
	s_or_b32 exec_lo, exec_lo, s12
	s_and_b32 s15, s3, s8
	s_and_saveexec_b32 s12, s15
	s_cbranch_execz .LBB122_143
.LBB122_159:
	v_cmp_ne_u32_e32 vcc_lo, 1, v144
	s_cbranch_vccnz .LBB122_161
; %bb.160:
	v_lshlrev_b64 v[118:119], 3, v[134:135]
	v_add_co_u32 v118, vcc_lo, v116, v118
	v_add_co_ci_u32_e64 v119, null, v117, v119, vcc_lo
	flat_load_dwordx2 v[118:119], v[118:119]
	s_waitcnt vmcnt(0) lgkmcnt(0)
	v_mul_f64 v[118:119], s[10:11], v[118:119]
	v_cvt_f32_f64_e32 v118, v[118:119]
	s_branch .LBB122_162
.LBB122_161:
	v_mov_b32_e32 v118, 0
.LBB122_162:
	v_add_f64 v[119:120], v[46:47], v[110:111]
	v_add_f64 v[121:122], v[48:49], v[112:113]
	;; [unrolled: 1-line block ×4, first 2 shown]
	v_cvt_f32_f64_e32 v119, v[119:120]
	v_cvt_f32_f64_e32 v120, v[121:122]
	;; [unrolled: 1-line block ×4, first 2 shown]
	v_min3_f32 v119, v119, v120, v202
	v_min_f32_e32 v120, v121, v122
	v_min3_f32 v118, v118, v120, v119
	v_lshlrev_b64 v[120:121], 3, v[134:135]
	v_cvt_f64_f32_e32 v[118:119], v118
	v_add_co_u32 v120, vcc_lo, v114, v120
	v_add_co_ci_u32_e64 v121, null, v115, v121, vcc_lo
	flat_store_dwordx2 v[120:121], v[118:119]
	s_or_b32 exec_lo, exec_lo, s12
	s_and_b32 s15, s4, s8
	s_and_saveexec_b32 s12, s15
	s_cbranch_execz .LBB122_144
.LBB122_163:
	v_cmp_ne_u32_e32 vcc_lo, 1, v144
	s_cbranch_vccnz .LBB122_165
; %bb.164:
	v_lshlrev_b64 v[118:119], 3, v[136:137]
	v_add_co_u32 v118, vcc_lo, v116, v118
	v_add_co_ci_u32_e64 v119, null, v117, v119, vcc_lo
	flat_load_dwordx2 v[118:119], v[118:119]
	s_waitcnt vmcnt(0) lgkmcnt(0)
	v_mul_f64 v[118:119], s[10:11], v[118:119]
	v_cvt_f32_f64_e32 v118, v[118:119]
	s_branch .LBB122_166
.LBB122_165:
	v_mov_b32_e32 v118, 0
.LBB122_166:
	v_add_f64 v[119:120], v[38:39], v[110:111]
	v_add_f64 v[121:122], v[40:41], v[112:113]
	v_add_f64 v[123:124], v[34:35], v[106:107]
	v_add_f64 v[125:126], v[36:37], v[108:109]
	v_cvt_f32_f64_e32 v119, v[119:120]
	v_cvt_f32_f64_e32 v120, v[121:122]
	;; [unrolled: 1-line block ×4, first 2 shown]
	v_min3_f32 v119, v119, v120, v201
	v_min_f32_e32 v120, v121, v122
	v_min3_f32 v118, v118, v120, v119
	v_lshlrev_b64 v[120:121], 3, v[136:137]
	v_cvt_f64_f32_e32 v[118:119], v118
	v_add_co_u32 v120, vcc_lo, v114, v120
	v_add_co_ci_u32_e64 v121, null, v115, v121, vcc_lo
	flat_store_dwordx2 v[120:121], v[118:119]
	s_or_b32 exec_lo, exec_lo, s12
	s_and_b32 s15, s5, s8
	s_and_saveexec_b32 s12, s15
	s_cbranch_execz .LBB122_145
.LBB122_167:
	v_cmp_ne_u32_e32 vcc_lo, 1, v144
	s_cbranch_vccnz .LBB122_169
; %bb.168:
	v_lshlrev_b64 v[118:119], 3, v[138:139]
	v_add_co_u32 v118, vcc_lo, v116, v118
	v_add_co_ci_u32_e64 v119, null, v117, v119, vcc_lo
	flat_load_dwordx2 v[118:119], v[118:119]
	s_waitcnt vmcnt(0) lgkmcnt(0)
	v_mul_f64 v[118:119], s[10:11], v[118:119]
	v_cvt_f32_f64_e32 v118, v[118:119]
	s_branch .LBB122_170
.LBB122_169:
	v_mov_b32_e32 v118, 0
.LBB122_170:
	v_add_f64 v[119:120], v[30:31], v[110:111]
	v_add_f64 v[121:122], v[32:33], v[112:113]
	;; [unrolled: 1-line block ×4, first 2 shown]
	v_cvt_f32_f64_e32 v119, v[119:120]
	v_cvt_f32_f64_e32 v120, v[121:122]
	;; [unrolled: 1-line block ×4, first 2 shown]
	v_min3_f32 v119, v119, v120, v200
	v_min_f32_e32 v120, v121, v122
	v_min3_f32 v118, v118, v120, v119
	v_lshlrev_b64 v[120:121], 3, v[138:139]
	v_cvt_f64_f32_e32 v[118:119], v118
	v_add_co_u32 v120, vcc_lo, v114, v120
	v_add_co_ci_u32_e64 v121, null, v115, v121, vcc_lo
	flat_store_dwordx2 v[120:121], v[118:119]
	s_or_b32 exec_lo, exec_lo, s12
	s_and_b32 s15, s6, s8
	s_and_saveexec_b32 s12, s15
	s_cbranch_execz .LBB122_146
.LBB122_171:
	v_cmp_ne_u32_e32 vcc_lo, 1, v144
	s_cbranch_vccnz .LBB122_173
; %bb.172:
	v_lshlrev_b64 v[118:119], 3, v[140:141]
	v_add_co_u32 v118, vcc_lo, v116, v118
	v_add_co_ci_u32_e64 v119, null, v117, v119, vcc_lo
	flat_load_dwordx2 v[118:119], v[118:119]
	s_waitcnt vmcnt(0) lgkmcnt(0)
	v_mul_f64 v[118:119], s[10:11], v[118:119]
	v_cvt_f32_f64_e32 v118, v[118:119]
	s_branch .LBB122_174
.LBB122_173:
	v_mov_b32_e32 v118, 0
.LBB122_174:
	v_add_f64 v[119:120], v[22:23], v[110:111]
	v_add_f64 v[121:122], v[24:25], v[112:113]
	v_add_f64 v[123:124], v[18:19], v[106:107]
	v_add_f64 v[125:126], v[20:21], v[108:109]
	v_cvt_f32_f64_e32 v119, v[119:120]
	v_cvt_f32_f64_e32 v120, v[121:122]
	;; [unrolled: 1-line block ×4, first 2 shown]
	v_min3_f32 v119, v119, v120, v199
	v_min_f32_e32 v120, v121, v122
	v_min3_f32 v118, v118, v120, v119
	v_lshlrev_b64 v[120:121], 3, v[140:141]
	v_cvt_f64_f32_e32 v[118:119], v118
	v_add_co_u32 v120, vcc_lo, v114, v120
	v_add_co_ci_u32_e64 v121, null, v115, v121, vcc_lo
	flat_store_dwordx2 v[120:121], v[118:119]
	s_or_b32 exec_lo, exec_lo, s12
	s_and_b32 s12, s7, s8
	s_and_saveexec_b32 s8, s12
	s_cbranch_execz .LBB122_179
.LBB122_175:
	v_cmp_ne_u32_e32 vcc_lo, 1, v144
	s_cbranch_vccnz .LBB122_177
; %bb.176:
	v_lshlrev_b64 v[118:119], 3, v[142:143]
	v_add_co_u32 v116, vcc_lo, v116, v118
	v_add_co_ci_u32_e64 v117, null, v117, v119, vcc_lo
	flat_load_dwordx2 v[116:117], v[116:117]
	s_waitcnt vmcnt(0) lgkmcnt(0)
	v_mul_f64 v[116:117], s[10:11], v[116:117]
	v_cvt_f32_f64_e32 v116, v[116:117]
	s_branch .LBB122_178
.LBB122_177:
	v_mov_b32_e32 v116, 0
.LBB122_178:
	v_add_f64 v[110:111], v[6:7], v[110:111]
	v_add_f64 v[112:113], v[8:9], v[112:113]
	;; [unrolled: 1-line block ×4, first 2 shown]
	v_cvt_f32_f64_e32 v110, v[110:111]
	v_cvt_f32_f64_e32 v111, v[112:113]
	;; [unrolled: 1-line block ×4, first 2 shown]
	v_min3_f32 v108, v110, v111, v198
	v_min_f32_e32 v106, v106, v107
	v_min3_f32 v106, v116, v106, v108
	v_lshlrev_b64 v[108:109], 3, v[142:143]
	v_cvt_f64_f32_e32 v[106:107], v106
	v_add_co_u32 v108, vcc_lo, v114, v108
	v_add_co_ci_u32_e64 v109, null, v115, v109, vcc_lo
	flat_store_dwordx2 v[108:109], v[106:107]
.LBB122_179:
	s_or_b32 exec_lo, exec_lo, s8
	v_add_nc_u32_e32 v110, 0x60, v145
	v_mad_i64_i32 v[106:107], null, v110, s16, 0
	v_mad_i64_i32 v[108:109], null, v110, s14, 0
	v_cmp_gt_i32_e64 s8, s13, v110
	v_lshlrev_b64 v[106:107], 3, v[106:107]
	s_and_b32 s15, s0, s8
	v_lshlrev_b64 v[110:111], 3, v[108:109]
	v_add_co_u32 v108, vcc_lo, s18, v106
	v_add_co_ci_u32_e64 v109, null, s19, v107, vcc_lo
	v_add_co_u32 v106, vcc_lo, s17, v110
	v_add_co_ci_u32_e64 v107, null, s9, v111, vcc_lo
	s_and_saveexec_b32 s12, s15
	s_cbranch_execnz .LBB122_187
; %bb.180:
	s_or_b32 exec_lo, exec_lo, s12
	s_and_b32 s15, s1, s8
	s_and_saveexec_b32 s12, s15
	s_cbranch_execnz .LBB122_191
.LBB122_181:
	s_or_b32 exec_lo, exec_lo, s12
	s_and_b32 s15, s2, s8
	s_and_saveexec_b32 s12, s15
	s_cbranch_execnz .LBB122_195
.LBB122_182:
	s_or_b32 exec_lo, exec_lo, s12
	s_and_b32 s15, s3, s8
	s_and_saveexec_b32 s12, s15
	s_cbranch_execnz .LBB122_199
.LBB122_183:
	s_or_b32 exec_lo, exec_lo, s12
	s_and_b32 s15, s4, s8
	s_and_saveexec_b32 s12, s15
	s_cbranch_execnz .LBB122_203
.LBB122_184:
	s_or_b32 exec_lo, exec_lo, s12
	s_and_b32 s15, s5, s8
	s_and_saveexec_b32 s12, s15
	s_cbranch_execnz .LBB122_207
.LBB122_185:
	s_or_b32 exec_lo, exec_lo, s12
	s_and_b32 s15, s6, s8
	s_and_saveexec_b32 s12, s15
	s_cbranch_execnz .LBB122_211
.LBB122_186:
	s_or_b32 exec_lo, exec_lo, s12
	s_and_b32 s12, s7, s8
	s_and_saveexec_b32 s8, s12
	s_cbranch_execnz .LBB122_215
	s_branch .LBB122_219
.LBB122_187:
	v_cmp_ne_u32_e32 vcc_lo, 1, v144
	s_cbranch_vccnz .LBB122_189
; %bb.188:
	v_lshlrev_b64 v[110:111], 3, v[0:1]
	v_add_co_u32 v110, vcc_lo, v108, v110
	v_add_co_ci_u32_e64 v111, null, v109, v111, vcc_lo
	flat_load_dwordx2 v[110:111], v[110:111]
	s_waitcnt vmcnt(0) lgkmcnt(0)
	v_mul_f64 v[110:111], s[10:11], v[110:111]
	v_cvt_f32_f64_e32 v110, v[110:111]
	s_branch .LBB122_190
.LBB122_189:
	v_mov_b32_e32 v110, 0
.LBB122_190:
	v_add_f64 v[111:112], v[70:71], v[102:103]
	v_add_f64 v[113:114], v[72:73], v[104:105]
	;; [unrolled: 1-line block ×4, first 2 shown]
	v_cvt_f32_f64_e32 v111, v[111:112]
	v_cvt_f32_f64_e32 v112, v[113:114]
	;; [unrolled: 1-line block ×4, first 2 shown]
	v_min3_f32 v111, v111, v112, v197
	v_min_f32_e32 v112, v113, v114
	v_min3_f32 v110, v110, v112, v111
	v_lshlrev_b64 v[112:113], 3, v[0:1]
	v_cvt_f64_f32_e32 v[110:111], v110
	v_add_co_u32 v112, vcc_lo, v106, v112
	v_add_co_ci_u32_e64 v113, null, v107, v113, vcc_lo
	flat_store_dwordx2 v[112:113], v[110:111]
	s_or_b32 exec_lo, exec_lo, s12
	s_and_b32 s15, s1, s8
	s_and_saveexec_b32 s12, s15
	s_cbranch_execz .LBB122_181
.LBB122_191:
	v_cmp_ne_u32_e32 vcc_lo, 1, v144
	s_cbranch_vccnz .LBB122_193
; %bb.192:
	v_lshlrev_b64 v[110:111], 3, v[130:131]
	v_add_co_u32 v110, vcc_lo, v108, v110
	v_add_co_ci_u32_e64 v111, null, v109, v111, vcc_lo
	flat_load_dwordx2 v[110:111], v[110:111]
	s_waitcnt vmcnt(0) lgkmcnt(0)
	v_mul_f64 v[110:111], s[10:11], v[110:111]
	v_cvt_f32_f64_e32 v110, v[110:111]
	s_branch .LBB122_194
.LBB122_193:
	v_mov_b32_e32 v110, 0
.LBB122_194:
	v_add_f64 v[111:112], v[62:63], v[102:103]
	v_add_f64 v[113:114], v[64:65], v[104:105]
	;; [unrolled: 1-line block ×4, first 2 shown]
	v_cvt_f32_f64_e32 v111, v[111:112]
	v_cvt_f32_f64_e32 v112, v[113:114]
	;; [unrolled: 1-line block ×4, first 2 shown]
	v_min3_f32 v111, v111, v112, v196
	v_min_f32_e32 v112, v113, v114
	v_min3_f32 v110, v110, v112, v111
	v_lshlrev_b64 v[112:113], 3, v[130:131]
	v_cvt_f64_f32_e32 v[110:111], v110
	v_add_co_u32 v112, vcc_lo, v106, v112
	v_add_co_ci_u32_e64 v113, null, v107, v113, vcc_lo
	flat_store_dwordx2 v[112:113], v[110:111]
	s_or_b32 exec_lo, exec_lo, s12
	s_and_b32 s15, s2, s8
	s_and_saveexec_b32 s12, s15
	s_cbranch_execz .LBB122_182
.LBB122_195:
	v_cmp_ne_u32_e32 vcc_lo, 1, v144
	s_cbranch_vccnz .LBB122_197
; %bb.196:
	v_lshlrev_b64 v[110:111], 3, v[132:133]
	v_add_co_u32 v110, vcc_lo, v108, v110
	v_add_co_ci_u32_e64 v111, null, v109, v111, vcc_lo
	flat_load_dwordx2 v[110:111], v[110:111]
	s_waitcnt vmcnt(0) lgkmcnt(0)
	v_mul_f64 v[110:111], s[10:11], v[110:111]
	v_cvt_f32_f64_e32 v110, v[110:111]
	s_branch .LBB122_198
.LBB122_197:
	v_mov_b32_e32 v110, 0
.LBB122_198:
	v_add_f64 v[111:112], v[54:55], v[102:103]
	v_add_f64 v[113:114], v[56:57], v[104:105]
	;; [unrolled: 1-line block ×4, first 2 shown]
	v_cvt_f32_f64_e32 v111, v[111:112]
	v_cvt_f32_f64_e32 v112, v[113:114]
	;; [unrolled: 1-line block ×4, first 2 shown]
	v_min3_f32 v111, v111, v112, v195
	v_min_f32_e32 v112, v113, v114
	v_min3_f32 v110, v110, v112, v111
	v_lshlrev_b64 v[112:113], 3, v[132:133]
	v_cvt_f64_f32_e32 v[110:111], v110
	v_add_co_u32 v112, vcc_lo, v106, v112
	v_add_co_ci_u32_e64 v113, null, v107, v113, vcc_lo
	flat_store_dwordx2 v[112:113], v[110:111]
	s_or_b32 exec_lo, exec_lo, s12
	s_and_b32 s15, s3, s8
	s_and_saveexec_b32 s12, s15
	s_cbranch_execz .LBB122_183
.LBB122_199:
	v_cmp_ne_u32_e32 vcc_lo, 1, v144
	s_cbranch_vccnz .LBB122_201
; %bb.200:
	v_lshlrev_b64 v[110:111], 3, v[134:135]
	v_add_co_u32 v110, vcc_lo, v108, v110
	v_add_co_ci_u32_e64 v111, null, v109, v111, vcc_lo
	flat_load_dwordx2 v[110:111], v[110:111]
	s_waitcnt vmcnt(0) lgkmcnt(0)
	v_mul_f64 v[110:111], s[10:11], v[110:111]
	v_cvt_f32_f64_e32 v110, v[110:111]
	s_branch .LBB122_202
.LBB122_201:
	v_mov_b32_e32 v110, 0
.LBB122_202:
	v_add_f64 v[111:112], v[46:47], v[102:103]
	v_add_f64 v[113:114], v[48:49], v[104:105]
	;; [unrolled: 1-line block ×4, first 2 shown]
	v_cvt_f32_f64_e32 v111, v[111:112]
	v_cvt_f32_f64_e32 v112, v[113:114]
	;; [unrolled: 1-line block ×4, first 2 shown]
	v_min3_f32 v111, v111, v112, v194
	v_min_f32_e32 v112, v113, v114
	v_min3_f32 v110, v110, v112, v111
	v_lshlrev_b64 v[112:113], 3, v[134:135]
	v_cvt_f64_f32_e32 v[110:111], v110
	v_add_co_u32 v112, vcc_lo, v106, v112
	v_add_co_ci_u32_e64 v113, null, v107, v113, vcc_lo
	flat_store_dwordx2 v[112:113], v[110:111]
	s_or_b32 exec_lo, exec_lo, s12
	s_and_b32 s15, s4, s8
	s_and_saveexec_b32 s12, s15
	s_cbranch_execz .LBB122_184
.LBB122_203:
	v_cmp_ne_u32_e32 vcc_lo, 1, v144
	s_cbranch_vccnz .LBB122_205
; %bb.204:
	v_lshlrev_b64 v[110:111], 3, v[136:137]
	v_add_co_u32 v110, vcc_lo, v108, v110
	v_add_co_ci_u32_e64 v111, null, v109, v111, vcc_lo
	flat_load_dwordx2 v[110:111], v[110:111]
	s_waitcnt vmcnt(0) lgkmcnt(0)
	v_mul_f64 v[110:111], s[10:11], v[110:111]
	v_cvt_f32_f64_e32 v110, v[110:111]
	s_branch .LBB122_206
.LBB122_205:
	v_mov_b32_e32 v110, 0
.LBB122_206:
	v_add_f64 v[111:112], v[38:39], v[102:103]
	v_add_f64 v[113:114], v[40:41], v[104:105]
	v_add_f64 v[115:116], v[34:35], v[98:99]
	v_add_f64 v[117:118], v[36:37], v[100:101]
	v_cvt_f32_f64_e32 v111, v[111:112]
	v_cvt_f32_f64_e32 v112, v[113:114]
	v_cvt_f32_f64_e32 v113, v[115:116]
	v_cvt_f32_f64_e32 v114, v[117:118]
	v_min3_f32 v111, v111, v112, v193
	v_min_f32_e32 v112, v113, v114
	v_min3_f32 v110, v110, v112, v111
	v_lshlrev_b64 v[112:113], 3, v[136:137]
	v_cvt_f64_f32_e32 v[110:111], v110
	v_add_co_u32 v112, vcc_lo, v106, v112
	v_add_co_ci_u32_e64 v113, null, v107, v113, vcc_lo
	flat_store_dwordx2 v[112:113], v[110:111]
	s_or_b32 exec_lo, exec_lo, s12
	s_and_b32 s15, s5, s8
	s_and_saveexec_b32 s12, s15
	s_cbranch_execz .LBB122_185
.LBB122_207:
	v_cmp_ne_u32_e32 vcc_lo, 1, v144
	s_cbranch_vccnz .LBB122_209
; %bb.208:
	v_lshlrev_b64 v[110:111], 3, v[138:139]
	v_add_co_u32 v110, vcc_lo, v108, v110
	v_add_co_ci_u32_e64 v111, null, v109, v111, vcc_lo
	flat_load_dwordx2 v[110:111], v[110:111]
	s_waitcnt vmcnt(0) lgkmcnt(0)
	v_mul_f64 v[110:111], s[10:11], v[110:111]
	v_cvt_f32_f64_e32 v110, v[110:111]
	s_branch .LBB122_210
.LBB122_209:
	v_mov_b32_e32 v110, 0
.LBB122_210:
	v_add_f64 v[111:112], v[30:31], v[102:103]
	v_add_f64 v[113:114], v[32:33], v[104:105]
	;; [unrolled: 1-line block ×4, first 2 shown]
	v_cvt_f32_f64_e32 v111, v[111:112]
	v_cvt_f32_f64_e32 v112, v[113:114]
	;; [unrolled: 1-line block ×4, first 2 shown]
	v_min3_f32 v111, v111, v112, v192
	v_min_f32_e32 v112, v113, v114
	v_min3_f32 v110, v110, v112, v111
	v_lshlrev_b64 v[112:113], 3, v[138:139]
	v_cvt_f64_f32_e32 v[110:111], v110
	v_add_co_u32 v112, vcc_lo, v106, v112
	v_add_co_ci_u32_e64 v113, null, v107, v113, vcc_lo
	flat_store_dwordx2 v[112:113], v[110:111]
	s_or_b32 exec_lo, exec_lo, s12
	s_and_b32 s15, s6, s8
	s_and_saveexec_b32 s12, s15
	s_cbranch_execz .LBB122_186
.LBB122_211:
	v_cmp_ne_u32_e32 vcc_lo, 1, v144
	s_cbranch_vccnz .LBB122_213
; %bb.212:
	v_lshlrev_b64 v[110:111], 3, v[140:141]
	v_add_co_u32 v110, vcc_lo, v108, v110
	v_add_co_ci_u32_e64 v111, null, v109, v111, vcc_lo
	flat_load_dwordx2 v[110:111], v[110:111]
	s_waitcnt vmcnt(0) lgkmcnt(0)
	v_mul_f64 v[110:111], s[10:11], v[110:111]
	v_cvt_f32_f64_e32 v110, v[110:111]
	s_branch .LBB122_214
.LBB122_213:
	v_mov_b32_e32 v110, 0
.LBB122_214:
	v_add_f64 v[111:112], v[22:23], v[102:103]
	v_add_f64 v[113:114], v[24:25], v[104:105]
	v_add_f64 v[115:116], v[18:19], v[98:99]
	v_add_f64 v[117:118], v[20:21], v[100:101]
	v_cvt_f32_f64_e32 v111, v[111:112]
	v_cvt_f32_f64_e32 v112, v[113:114]
	;; [unrolled: 1-line block ×4, first 2 shown]
	v_min3_f32 v111, v111, v112, v191
	v_min_f32_e32 v112, v113, v114
	v_min3_f32 v110, v110, v112, v111
	v_lshlrev_b64 v[112:113], 3, v[140:141]
	v_cvt_f64_f32_e32 v[110:111], v110
	v_add_co_u32 v112, vcc_lo, v106, v112
	v_add_co_ci_u32_e64 v113, null, v107, v113, vcc_lo
	flat_store_dwordx2 v[112:113], v[110:111]
	s_or_b32 exec_lo, exec_lo, s12
	s_and_b32 s12, s7, s8
	s_and_saveexec_b32 s8, s12
	s_cbranch_execz .LBB122_219
.LBB122_215:
	v_cmp_ne_u32_e32 vcc_lo, 1, v144
	s_cbranch_vccnz .LBB122_217
; %bb.216:
	v_lshlrev_b64 v[110:111], 3, v[142:143]
	v_add_co_u32 v108, vcc_lo, v108, v110
	v_add_co_ci_u32_e64 v109, null, v109, v111, vcc_lo
	flat_load_dwordx2 v[108:109], v[108:109]
	s_waitcnt vmcnt(0) lgkmcnt(0)
	v_mul_f64 v[108:109], s[10:11], v[108:109]
	v_cvt_f32_f64_e32 v108, v[108:109]
	s_branch .LBB122_218
.LBB122_217:
	v_mov_b32_e32 v108, 0
.LBB122_218:
	v_add_f64 v[102:103], v[6:7], v[102:103]
	v_add_f64 v[104:105], v[8:9], v[104:105]
	;; [unrolled: 1-line block ×4, first 2 shown]
	v_cvt_f32_f64_e32 v102, v[102:103]
	v_cvt_f32_f64_e32 v103, v[104:105]
	;; [unrolled: 1-line block ×4, first 2 shown]
	v_min3_f32 v100, v102, v103, v190
	v_min_f32_e32 v98, v98, v99
	v_min3_f32 v98, v108, v98, v100
	v_lshlrev_b64 v[100:101], 3, v[142:143]
	v_cvt_f64_f32_e32 v[98:99], v98
	v_add_co_u32 v100, vcc_lo, v106, v100
	v_add_co_ci_u32_e64 v101, null, v107, v101, vcc_lo
	flat_store_dwordx2 v[100:101], v[98:99]
.LBB122_219:
	s_or_b32 exec_lo, exec_lo, s8
	v_add_nc_u32_e32 v102, 0x80, v145
	v_mad_i64_i32 v[98:99], null, v102, s16, 0
	v_mad_i64_i32 v[100:101], null, v102, s14, 0
	v_cmp_gt_i32_e64 s8, s13, v102
	v_lshlrev_b64 v[98:99], 3, v[98:99]
	s_and_b32 s15, s0, s8
	v_lshlrev_b64 v[102:103], 3, v[100:101]
	v_add_co_u32 v100, vcc_lo, s18, v98
	v_add_co_ci_u32_e64 v101, null, s19, v99, vcc_lo
	v_add_co_u32 v98, vcc_lo, s17, v102
	v_add_co_ci_u32_e64 v99, null, s9, v103, vcc_lo
	s_and_saveexec_b32 s12, s15
	s_cbranch_execnz .LBB122_227
; %bb.220:
	s_or_b32 exec_lo, exec_lo, s12
	s_and_b32 s15, s1, s8
	s_and_saveexec_b32 s12, s15
	s_cbranch_execnz .LBB122_231
.LBB122_221:
	s_or_b32 exec_lo, exec_lo, s12
	s_and_b32 s15, s2, s8
	s_and_saveexec_b32 s12, s15
	s_cbranch_execnz .LBB122_235
.LBB122_222:
	s_or_b32 exec_lo, exec_lo, s12
	s_and_b32 s15, s3, s8
	s_and_saveexec_b32 s12, s15
	s_cbranch_execnz .LBB122_239
.LBB122_223:
	s_or_b32 exec_lo, exec_lo, s12
	s_and_b32 s15, s4, s8
	s_and_saveexec_b32 s12, s15
	s_cbranch_execnz .LBB122_243
.LBB122_224:
	s_or_b32 exec_lo, exec_lo, s12
	s_and_b32 s15, s5, s8
	s_and_saveexec_b32 s12, s15
	s_cbranch_execnz .LBB122_247
.LBB122_225:
	s_or_b32 exec_lo, exec_lo, s12
	s_and_b32 s15, s6, s8
	s_and_saveexec_b32 s12, s15
	s_cbranch_execnz .LBB122_251
.LBB122_226:
	s_or_b32 exec_lo, exec_lo, s12
	s_and_b32 s12, s7, s8
	s_and_saveexec_b32 s8, s12
	s_cbranch_execnz .LBB122_255
	s_branch .LBB122_259
.LBB122_227:
	v_cmp_ne_u32_e32 vcc_lo, 1, v144
	s_cbranch_vccnz .LBB122_229
; %bb.228:
	v_lshlrev_b64 v[102:103], 3, v[0:1]
	v_add_co_u32 v102, vcc_lo, v100, v102
	v_add_co_ci_u32_e64 v103, null, v101, v103, vcc_lo
	flat_load_dwordx2 v[102:103], v[102:103]
	s_waitcnt vmcnt(0) lgkmcnt(0)
	v_mul_f64 v[102:103], s[10:11], v[102:103]
	v_cvt_f32_f64_e32 v102, v[102:103]
	s_branch .LBB122_230
.LBB122_229:
	v_mov_b32_e32 v102, 0
.LBB122_230:
	v_add_f64 v[103:104], v[70:71], v[94:95]
	v_add_f64 v[105:106], v[72:73], v[96:97]
	;; [unrolled: 1-line block ×4, first 2 shown]
	v_cvt_f32_f64_e32 v103, v[103:104]
	v_cvt_f32_f64_e32 v104, v[105:106]
	;; [unrolled: 1-line block ×4, first 2 shown]
	v_min3_f32 v103, v103, v104, v189
	v_min_f32_e32 v104, v105, v106
	v_min3_f32 v102, v102, v104, v103
	v_lshlrev_b64 v[104:105], 3, v[0:1]
	v_cvt_f64_f32_e32 v[102:103], v102
	v_add_co_u32 v104, vcc_lo, v98, v104
	v_add_co_ci_u32_e64 v105, null, v99, v105, vcc_lo
	flat_store_dwordx2 v[104:105], v[102:103]
	s_or_b32 exec_lo, exec_lo, s12
	s_and_b32 s15, s1, s8
	s_and_saveexec_b32 s12, s15
	s_cbranch_execz .LBB122_221
.LBB122_231:
	v_cmp_ne_u32_e32 vcc_lo, 1, v144
	s_cbranch_vccnz .LBB122_233
; %bb.232:
	v_lshlrev_b64 v[102:103], 3, v[130:131]
	v_add_co_u32 v102, vcc_lo, v100, v102
	v_add_co_ci_u32_e64 v103, null, v101, v103, vcc_lo
	flat_load_dwordx2 v[102:103], v[102:103]
	s_waitcnt vmcnt(0) lgkmcnt(0)
	v_mul_f64 v[102:103], s[10:11], v[102:103]
	v_cvt_f32_f64_e32 v102, v[102:103]
	s_branch .LBB122_234
.LBB122_233:
	v_mov_b32_e32 v102, 0
.LBB122_234:
	v_add_f64 v[103:104], v[62:63], v[94:95]
	v_add_f64 v[105:106], v[64:65], v[96:97]
	;; [unrolled: 1-line block ×4, first 2 shown]
	v_cvt_f32_f64_e32 v103, v[103:104]
	v_cvt_f32_f64_e32 v104, v[105:106]
	;; [unrolled: 1-line block ×4, first 2 shown]
	v_min3_f32 v103, v103, v104, v188
	v_min_f32_e32 v104, v105, v106
	v_min3_f32 v102, v102, v104, v103
	v_lshlrev_b64 v[104:105], 3, v[130:131]
	v_cvt_f64_f32_e32 v[102:103], v102
	v_add_co_u32 v104, vcc_lo, v98, v104
	v_add_co_ci_u32_e64 v105, null, v99, v105, vcc_lo
	flat_store_dwordx2 v[104:105], v[102:103]
	s_or_b32 exec_lo, exec_lo, s12
	s_and_b32 s15, s2, s8
	s_and_saveexec_b32 s12, s15
	s_cbranch_execz .LBB122_222
.LBB122_235:
	v_cmp_ne_u32_e32 vcc_lo, 1, v144
	s_cbranch_vccnz .LBB122_237
; %bb.236:
	v_lshlrev_b64 v[102:103], 3, v[132:133]
	v_add_co_u32 v102, vcc_lo, v100, v102
	v_add_co_ci_u32_e64 v103, null, v101, v103, vcc_lo
	flat_load_dwordx2 v[102:103], v[102:103]
	s_waitcnt vmcnt(0) lgkmcnt(0)
	v_mul_f64 v[102:103], s[10:11], v[102:103]
	v_cvt_f32_f64_e32 v102, v[102:103]
	s_branch .LBB122_238
.LBB122_237:
	v_mov_b32_e32 v102, 0
.LBB122_238:
	v_add_f64 v[103:104], v[54:55], v[94:95]
	v_add_f64 v[105:106], v[56:57], v[96:97]
	;; [unrolled: 1-line block ×4, first 2 shown]
	v_cvt_f32_f64_e32 v103, v[103:104]
	v_cvt_f32_f64_e32 v104, v[105:106]
	;; [unrolled: 1-line block ×4, first 2 shown]
	v_min3_f32 v103, v103, v104, v187
	v_min_f32_e32 v104, v105, v106
	v_min3_f32 v102, v102, v104, v103
	v_lshlrev_b64 v[104:105], 3, v[132:133]
	v_cvt_f64_f32_e32 v[102:103], v102
	v_add_co_u32 v104, vcc_lo, v98, v104
	v_add_co_ci_u32_e64 v105, null, v99, v105, vcc_lo
	flat_store_dwordx2 v[104:105], v[102:103]
	s_or_b32 exec_lo, exec_lo, s12
	s_and_b32 s15, s3, s8
	s_and_saveexec_b32 s12, s15
	s_cbranch_execz .LBB122_223
.LBB122_239:
	v_cmp_ne_u32_e32 vcc_lo, 1, v144
	s_cbranch_vccnz .LBB122_241
; %bb.240:
	v_lshlrev_b64 v[102:103], 3, v[134:135]
	v_add_co_u32 v102, vcc_lo, v100, v102
	v_add_co_ci_u32_e64 v103, null, v101, v103, vcc_lo
	flat_load_dwordx2 v[102:103], v[102:103]
	s_waitcnt vmcnt(0) lgkmcnt(0)
	v_mul_f64 v[102:103], s[10:11], v[102:103]
	v_cvt_f32_f64_e32 v102, v[102:103]
	s_branch .LBB122_242
.LBB122_241:
	v_mov_b32_e32 v102, 0
.LBB122_242:
	v_add_f64 v[103:104], v[46:47], v[94:95]
	v_add_f64 v[105:106], v[48:49], v[96:97]
	;; [unrolled: 1-line block ×4, first 2 shown]
	v_cvt_f32_f64_e32 v103, v[103:104]
	v_cvt_f32_f64_e32 v104, v[105:106]
	;; [unrolled: 1-line block ×4, first 2 shown]
	v_min3_f32 v103, v103, v104, v186
	v_min_f32_e32 v104, v105, v106
	v_min3_f32 v102, v102, v104, v103
	v_lshlrev_b64 v[104:105], 3, v[134:135]
	v_cvt_f64_f32_e32 v[102:103], v102
	v_add_co_u32 v104, vcc_lo, v98, v104
	v_add_co_ci_u32_e64 v105, null, v99, v105, vcc_lo
	flat_store_dwordx2 v[104:105], v[102:103]
	s_or_b32 exec_lo, exec_lo, s12
	s_and_b32 s15, s4, s8
	s_and_saveexec_b32 s12, s15
	s_cbranch_execz .LBB122_224
.LBB122_243:
	v_cmp_ne_u32_e32 vcc_lo, 1, v144
	s_cbranch_vccnz .LBB122_245
; %bb.244:
	v_lshlrev_b64 v[102:103], 3, v[136:137]
	v_add_co_u32 v102, vcc_lo, v100, v102
	v_add_co_ci_u32_e64 v103, null, v101, v103, vcc_lo
	flat_load_dwordx2 v[102:103], v[102:103]
	s_waitcnt vmcnt(0) lgkmcnt(0)
	v_mul_f64 v[102:103], s[10:11], v[102:103]
	v_cvt_f32_f64_e32 v102, v[102:103]
	s_branch .LBB122_246
.LBB122_245:
	v_mov_b32_e32 v102, 0
.LBB122_246:
	v_add_f64 v[103:104], v[38:39], v[94:95]
	v_add_f64 v[105:106], v[40:41], v[96:97]
	;; [unrolled: 1-line block ×4, first 2 shown]
	v_cvt_f32_f64_e32 v103, v[103:104]
	v_cvt_f32_f64_e32 v104, v[105:106]
	;; [unrolled: 1-line block ×4, first 2 shown]
	v_min3_f32 v103, v103, v104, v185
	v_min_f32_e32 v104, v105, v106
	v_min3_f32 v102, v102, v104, v103
	v_lshlrev_b64 v[104:105], 3, v[136:137]
	v_cvt_f64_f32_e32 v[102:103], v102
	v_add_co_u32 v104, vcc_lo, v98, v104
	v_add_co_ci_u32_e64 v105, null, v99, v105, vcc_lo
	flat_store_dwordx2 v[104:105], v[102:103]
	s_or_b32 exec_lo, exec_lo, s12
	s_and_b32 s15, s5, s8
	s_and_saveexec_b32 s12, s15
	s_cbranch_execz .LBB122_225
.LBB122_247:
	v_cmp_ne_u32_e32 vcc_lo, 1, v144
	s_cbranch_vccnz .LBB122_249
; %bb.248:
	v_lshlrev_b64 v[102:103], 3, v[138:139]
	v_add_co_u32 v102, vcc_lo, v100, v102
	v_add_co_ci_u32_e64 v103, null, v101, v103, vcc_lo
	flat_load_dwordx2 v[102:103], v[102:103]
	s_waitcnt vmcnt(0) lgkmcnt(0)
	v_mul_f64 v[102:103], s[10:11], v[102:103]
	v_cvt_f32_f64_e32 v102, v[102:103]
	s_branch .LBB122_250
.LBB122_249:
	v_mov_b32_e32 v102, 0
.LBB122_250:
	v_add_f64 v[103:104], v[30:31], v[94:95]
	v_add_f64 v[105:106], v[32:33], v[96:97]
	;; [unrolled: 1-line block ×4, first 2 shown]
	v_cvt_f32_f64_e32 v103, v[103:104]
	v_cvt_f32_f64_e32 v104, v[105:106]
	;; [unrolled: 1-line block ×4, first 2 shown]
	v_min3_f32 v103, v103, v104, v184
	v_min_f32_e32 v104, v105, v106
	v_min3_f32 v102, v102, v104, v103
	v_lshlrev_b64 v[104:105], 3, v[138:139]
	v_cvt_f64_f32_e32 v[102:103], v102
	v_add_co_u32 v104, vcc_lo, v98, v104
	v_add_co_ci_u32_e64 v105, null, v99, v105, vcc_lo
	flat_store_dwordx2 v[104:105], v[102:103]
	s_or_b32 exec_lo, exec_lo, s12
	s_and_b32 s15, s6, s8
	s_and_saveexec_b32 s12, s15
	s_cbranch_execz .LBB122_226
.LBB122_251:
	v_cmp_ne_u32_e32 vcc_lo, 1, v144
	s_cbranch_vccnz .LBB122_253
; %bb.252:
	v_lshlrev_b64 v[102:103], 3, v[140:141]
	v_add_co_u32 v102, vcc_lo, v100, v102
	v_add_co_ci_u32_e64 v103, null, v101, v103, vcc_lo
	flat_load_dwordx2 v[102:103], v[102:103]
	s_waitcnt vmcnt(0) lgkmcnt(0)
	v_mul_f64 v[102:103], s[10:11], v[102:103]
	v_cvt_f32_f64_e32 v102, v[102:103]
	s_branch .LBB122_254
.LBB122_253:
	v_mov_b32_e32 v102, 0
.LBB122_254:
	v_add_f64 v[103:104], v[22:23], v[94:95]
	v_add_f64 v[105:106], v[24:25], v[96:97]
	;; [unrolled: 1-line block ×4, first 2 shown]
	v_cvt_f32_f64_e32 v103, v[103:104]
	v_cvt_f32_f64_e32 v104, v[105:106]
	v_cvt_f32_f64_e32 v105, v[107:108]
	v_cvt_f32_f64_e32 v106, v[109:110]
	v_min3_f32 v103, v103, v104, v183
	v_min_f32_e32 v104, v105, v106
	v_min3_f32 v102, v102, v104, v103
	v_lshlrev_b64 v[104:105], 3, v[140:141]
	v_cvt_f64_f32_e32 v[102:103], v102
	v_add_co_u32 v104, vcc_lo, v98, v104
	v_add_co_ci_u32_e64 v105, null, v99, v105, vcc_lo
	flat_store_dwordx2 v[104:105], v[102:103]
	s_or_b32 exec_lo, exec_lo, s12
	s_and_b32 s12, s7, s8
	s_and_saveexec_b32 s8, s12
	s_cbranch_execz .LBB122_259
.LBB122_255:
	v_cmp_ne_u32_e32 vcc_lo, 1, v144
	s_cbranch_vccnz .LBB122_257
; %bb.256:
	v_lshlrev_b64 v[102:103], 3, v[142:143]
	v_add_co_u32 v100, vcc_lo, v100, v102
	v_add_co_ci_u32_e64 v101, null, v101, v103, vcc_lo
	flat_load_dwordx2 v[100:101], v[100:101]
	s_waitcnt vmcnt(0) lgkmcnt(0)
	v_mul_f64 v[100:101], s[10:11], v[100:101]
	v_cvt_f32_f64_e32 v100, v[100:101]
	s_branch .LBB122_258
.LBB122_257:
	v_mov_b32_e32 v100, 0
.LBB122_258:
	v_add_f64 v[94:95], v[6:7], v[94:95]
	v_add_f64 v[96:97], v[8:9], v[96:97]
	v_add_f64 v[90:91], v[2:3], v[90:91]
	v_add_f64 v[92:93], v[4:5], v[92:93]
	v_cvt_f32_f64_e32 v94, v[94:95]
	v_cvt_f32_f64_e32 v95, v[96:97]
	;; [unrolled: 1-line block ×4, first 2 shown]
	v_min3_f32 v92, v94, v95, v182
	v_min_f32_e32 v90, v90, v91
	v_min3_f32 v90, v100, v90, v92
	v_lshlrev_b64 v[92:93], 3, v[142:143]
	v_cvt_f64_f32_e32 v[90:91], v90
	v_add_co_u32 v92, vcc_lo, v98, v92
	v_add_co_ci_u32_e64 v93, null, v99, v93, vcc_lo
	flat_store_dwordx2 v[92:93], v[90:91]
.LBB122_259:
	s_or_b32 exec_lo, exec_lo, s8
	v_add_nc_u32_e32 v94, 0xa0, v145
	v_mad_i64_i32 v[90:91], null, v94, s16, 0
	v_mad_i64_i32 v[92:93], null, v94, s14, 0
	v_cmp_gt_i32_e64 s8, s13, v94
	v_lshlrev_b64 v[90:91], 3, v[90:91]
	s_and_b32 s15, s0, s8
	v_lshlrev_b64 v[94:95], 3, v[92:93]
	v_add_co_u32 v92, vcc_lo, s18, v90
	v_add_co_ci_u32_e64 v93, null, s19, v91, vcc_lo
	v_add_co_u32 v90, vcc_lo, s17, v94
	v_add_co_ci_u32_e64 v91, null, s9, v95, vcc_lo
	s_and_saveexec_b32 s12, s15
	s_cbranch_execnz .LBB122_267
; %bb.260:
	s_or_b32 exec_lo, exec_lo, s12
	s_and_b32 s15, s1, s8
	s_and_saveexec_b32 s12, s15
	s_cbranch_execnz .LBB122_271
.LBB122_261:
	s_or_b32 exec_lo, exec_lo, s12
	s_and_b32 s15, s2, s8
	s_and_saveexec_b32 s12, s15
	s_cbranch_execnz .LBB122_275
.LBB122_262:
	s_or_b32 exec_lo, exec_lo, s12
	s_and_b32 s15, s3, s8
	s_and_saveexec_b32 s12, s15
	s_cbranch_execnz .LBB122_279
.LBB122_263:
	s_or_b32 exec_lo, exec_lo, s12
	s_and_b32 s15, s4, s8
	s_and_saveexec_b32 s12, s15
	s_cbranch_execnz .LBB122_283
.LBB122_264:
	s_or_b32 exec_lo, exec_lo, s12
	s_and_b32 s15, s5, s8
	s_and_saveexec_b32 s12, s15
	s_cbranch_execnz .LBB122_287
.LBB122_265:
	s_or_b32 exec_lo, exec_lo, s12
	s_and_b32 s15, s6, s8
	s_and_saveexec_b32 s12, s15
	s_cbranch_execnz .LBB122_291
.LBB122_266:
	s_or_b32 exec_lo, exec_lo, s12
	s_and_b32 s12, s7, s8
	s_and_saveexec_b32 s8, s12
	s_cbranch_execnz .LBB122_295
	s_branch .LBB122_299
.LBB122_267:
	v_cmp_ne_u32_e32 vcc_lo, 1, v144
	s_cbranch_vccnz .LBB122_269
; %bb.268:
	v_lshlrev_b64 v[94:95], 3, v[0:1]
	v_add_co_u32 v94, vcc_lo, v92, v94
	v_add_co_ci_u32_e64 v95, null, v93, v95, vcc_lo
	flat_load_dwordx2 v[94:95], v[94:95]
	s_waitcnt vmcnt(0) lgkmcnt(0)
	v_mul_f64 v[94:95], s[10:11], v[94:95]
	v_cvt_f32_f64_e32 v94, v[94:95]
	s_branch .LBB122_270
.LBB122_269:
	v_mov_b32_e32 v94, 0
.LBB122_270:
	v_add_f64 v[95:96], v[70:71], v[86:87]
	v_add_f64 v[97:98], v[72:73], v[88:89]
	;; [unrolled: 1-line block ×4, first 2 shown]
	v_cvt_f32_f64_e32 v95, v[95:96]
	v_cvt_f32_f64_e32 v96, v[97:98]
	v_cvt_f32_f64_e32 v97, v[99:100]
	v_cvt_f32_f64_e32 v98, v[101:102]
	v_min3_f32 v95, v95, v96, v181
	v_min_f32_e32 v96, v97, v98
	v_min3_f32 v94, v94, v96, v95
	v_lshlrev_b64 v[96:97], 3, v[0:1]
	v_cvt_f64_f32_e32 v[94:95], v94
	v_add_co_u32 v96, vcc_lo, v90, v96
	v_add_co_ci_u32_e64 v97, null, v91, v97, vcc_lo
	flat_store_dwordx2 v[96:97], v[94:95]
	s_or_b32 exec_lo, exec_lo, s12
	s_and_b32 s15, s1, s8
	s_and_saveexec_b32 s12, s15
	s_cbranch_execz .LBB122_261
.LBB122_271:
	v_cmp_ne_u32_e32 vcc_lo, 1, v144
	s_cbranch_vccnz .LBB122_273
; %bb.272:
	v_lshlrev_b64 v[94:95], 3, v[130:131]
	v_add_co_u32 v94, vcc_lo, v92, v94
	v_add_co_ci_u32_e64 v95, null, v93, v95, vcc_lo
	flat_load_dwordx2 v[94:95], v[94:95]
	s_waitcnt vmcnt(0) lgkmcnt(0)
	v_mul_f64 v[94:95], s[10:11], v[94:95]
	v_cvt_f32_f64_e32 v94, v[94:95]
	s_branch .LBB122_274
.LBB122_273:
	v_mov_b32_e32 v94, 0
.LBB122_274:
	v_add_f64 v[95:96], v[62:63], v[86:87]
	v_add_f64 v[97:98], v[64:65], v[88:89]
	;; [unrolled: 1-line block ×4, first 2 shown]
	v_cvt_f32_f64_e32 v95, v[95:96]
	v_cvt_f32_f64_e32 v96, v[97:98]
	;; [unrolled: 1-line block ×4, first 2 shown]
	v_min3_f32 v95, v95, v96, v180
	v_min_f32_e32 v96, v97, v98
	v_min3_f32 v94, v94, v96, v95
	v_lshlrev_b64 v[96:97], 3, v[130:131]
	v_cvt_f64_f32_e32 v[94:95], v94
	v_add_co_u32 v96, vcc_lo, v90, v96
	v_add_co_ci_u32_e64 v97, null, v91, v97, vcc_lo
	flat_store_dwordx2 v[96:97], v[94:95]
	s_or_b32 exec_lo, exec_lo, s12
	s_and_b32 s15, s2, s8
	s_and_saveexec_b32 s12, s15
	s_cbranch_execz .LBB122_262
.LBB122_275:
	v_cmp_ne_u32_e32 vcc_lo, 1, v144
	s_cbranch_vccnz .LBB122_277
; %bb.276:
	v_lshlrev_b64 v[94:95], 3, v[132:133]
	v_add_co_u32 v94, vcc_lo, v92, v94
	v_add_co_ci_u32_e64 v95, null, v93, v95, vcc_lo
	flat_load_dwordx2 v[94:95], v[94:95]
	s_waitcnt vmcnt(0) lgkmcnt(0)
	v_mul_f64 v[94:95], s[10:11], v[94:95]
	v_cvt_f32_f64_e32 v94, v[94:95]
	s_branch .LBB122_278
.LBB122_277:
	v_mov_b32_e32 v94, 0
.LBB122_278:
	v_add_f64 v[95:96], v[54:55], v[86:87]
	v_add_f64 v[97:98], v[56:57], v[88:89]
	;; [unrolled: 1-line block ×4, first 2 shown]
	v_cvt_f32_f64_e32 v95, v[95:96]
	v_cvt_f32_f64_e32 v96, v[97:98]
	;; [unrolled: 1-line block ×4, first 2 shown]
	v_min3_f32 v95, v95, v96, v175
	v_min_f32_e32 v96, v97, v98
	v_min3_f32 v94, v94, v96, v95
	v_lshlrev_b64 v[96:97], 3, v[132:133]
	v_cvt_f64_f32_e32 v[94:95], v94
	v_add_co_u32 v96, vcc_lo, v90, v96
	v_add_co_ci_u32_e64 v97, null, v91, v97, vcc_lo
	flat_store_dwordx2 v[96:97], v[94:95]
	s_or_b32 exec_lo, exec_lo, s12
	s_and_b32 s15, s3, s8
	s_and_saveexec_b32 s12, s15
	s_cbranch_execz .LBB122_263
.LBB122_279:
	v_cmp_ne_u32_e32 vcc_lo, 1, v144
	s_cbranch_vccnz .LBB122_281
; %bb.280:
	v_lshlrev_b64 v[94:95], 3, v[134:135]
	v_add_co_u32 v94, vcc_lo, v92, v94
	v_add_co_ci_u32_e64 v95, null, v93, v95, vcc_lo
	flat_load_dwordx2 v[94:95], v[94:95]
	s_waitcnt vmcnt(0) lgkmcnt(0)
	v_mul_f64 v[94:95], s[10:11], v[94:95]
	v_cvt_f32_f64_e32 v94, v[94:95]
	s_branch .LBB122_282
.LBB122_281:
	v_mov_b32_e32 v94, 0
.LBB122_282:
	v_add_f64 v[95:96], v[46:47], v[86:87]
	v_add_f64 v[97:98], v[48:49], v[88:89]
	;; [unrolled: 1-line block ×4, first 2 shown]
	v_cvt_f32_f64_e32 v95, v[95:96]
	v_cvt_f32_f64_e32 v96, v[97:98]
	;; [unrolled: 1-line block ×4, first 2 shown]
	v_min3_f32 v95, v95, v96, v170
	v_min_f32_e32 v96, v97, v98
	v_min3_f32 v94, v94, v96, v95
	v_lshlrev_b64 v[96:97], 3, v[134:135]
	v_cvt_f64_f32_e32 v[94:95], v94
	v_add_co_u32 v96, vcc_lo, v90, v96
	v_add_co_ci_u32_e64 v97, null, v91, v97, vcc_lo
	flat_store_dwordx2 v[96:97], v[94:95]
	s_or_b32 exec_lo, exec_lo, s12
	s_and_b32 s15, s4, s8
	s_and_saveexec_b32 s12, s15
	s_cbranch_execz .LBB122_264
.LBB122_283:
	v_cmp_ne_u32_e32 vcc_lo, 1, v144
	s_cbranch_vccnz .LBB122_285
; %bb.284:
	v_lshlrev_b64 v[94:95], 3, v[136:137]
	v_add_co_u32 v94, vcc_lo, v92, v94
	v_add_co_ci_u32_e64 v95, null, v93, v95, vcc_lo
	flat_load_dwordx2 v[94:95], v[94:95]
	s_waitcnt vmcnt(0) lgkmcnt(0)
	v_mul_f64 v[94:95], s[10:11], v[94:95]
	v_cvt_f32_f64_e32 v94, v[94:95]
	s_branch .LBB122_286
.LBB122_285:
	v_mov_b32_e32 v94, 0
.LBB122_286:
	v_add_f64 v[95:96], v[38:39], v[86:87]
	v_add_f64 v[97:98], v[40:41], v[88:89]
	v_add_f64 v[99:100], v[34:35], v[82:83]
	v_add_f64 v[101:102], v[36:37], v[84:85]
	v_cvt_f32_f64_e32 v95, v[95:96]
	v_cvt_f32_f64_e32 v96, v[97:98]
	;; [unrolled: 1-line block ×4, first 2 shown]
	v_min3_f32 v95, v95, v96, v169
	v_min_f32_e32 v96, v97, v98
	v_min3_f32 v94, v94, v96, v95
	v_lshlrev_b64 v[96:97], 3, v[136:137]
	v_cvt_f64_f32_e32 v[94:95], v94
	v_add_co_u32 v96, vcc_lo, v90, v96
	v_add_co_ci_u32_e64 v97, null, v91, v97, vcc_lo
	flat_store_dwordx2 v[96:97], v[94:95]
	s_or_b32 exec_lo, exec_lo, s12
	s_and_b32 s15, s5, s8
	s_and_saveexec_b32 s12, s15
	s_cbranch_execz .LBB122_265
.LBB122_287:
	v_cmp_ne_u32_e32 vcc_lo, 1, v144
	s_cbranch_vccnz .LBB122_289
; %bb.288:
	v_lshlrev_b64 v[94:95], 3, v[138:139]
	v_add_co_u32 v94, vcc_lo, v92, v94
	v_add_co_ci_u32_e64 v95, null, v93, v95, vcc_lo
	flat_load_dwordx2 v[94:95], v[94:95]
	s_waitcnt vmcnt(0) lgkmcnt(0)
	v_mul_f64 v[94:95], s[10:11], v[94:95]
	v_cvt_f32_f64_e32 v94, v[94:95]
	s_branch .LBB122_290
.LBB122_289:
	v_mov_b32_e32 v94, 0
.LBB122_290:
	v_add_f64 v[95:96], v[30:31], v[86:87]
	v_add_f64 v[97:98], v[32:33], v[88:89]
	;; [unrolled: 1-line block ×4, first 2 shown]
	v_cvt_f32_f64_e32 v95, v[95:96]
	v_cvt_f32_f64_e32 v96, v[97:98]
	;; [unrolled: 1-line block ×4, first 2 shown]
	v_min3_f32 v95, v95, v96, v168
	v_min_f32_e32 v96, v97, v98
	v_min3_f32 v94, v94, v96, v95
	v_lshlrev_b64 v[96:97], 3, v[138:139]
	v_cvt_f64_f32_e32 v[94:95], v94
	v_add_co_u32 v96, vcc_lo, v90, v96
	v_add_co_ci_u32_e64 v97, null, v91, v97, vcc_lo
	flat_store_dwordx2 v[96:97], v[94:95]
	s_or_b32 exec_lo, exec_lo, s12
	s_and_b32 s15, s6, s8
	s_and_saveexec_b32 s12, s15
	s_cbranch_execz .LBB122_266
.LBB122_291:
	v_cmp_ne_u32_e32 vcc_lo, 1, v144
	s_cbranch_vccnz .LBB122_293
; %bb.292:
	v_lshlrev_b64 v[94:95], 3, v[140:141]
	v_add_co_u32 v94, vcc_lo, v92, v94
	v_add_co_ci_u32_e64 v95, null, v93, v95, vcc_lo
	flat_load_dwordx2 v[94:95], v[94:95]
	s_waitcnt vmcnt(0) lgkmcnt(0)
	v_mul_f64 v[94:95], s[10:11], v[94:95]
	v_cvt_f32_f64_e32 v94, v[94:95]
	s_branch .LBB122_294
.LBB122_293:
	v_mov_b32_e32 v94, 0
.LBB122_294:
	v_add_f64 v[95:96], v[22:23], v[86:87]
	v_add_f64 v[97:98], v[24:25], v[88:89]
	;; [unrolled: 1-line block ×4, first 2 shown]
	v_cvt_f32_f64_e32 v95, v[95:96]
	v_cvt_f32_f64_e32 v96, v[97:98]
	;; [unrolled: 1-line block ×4, first 2 shown]
	v_min3_f32 v95, v95, v96, v167
	v_min_f32_e32 v96, v97, v98
	v_min3_f32 v94, v94, v96, v95
	v_lshlrev_b64 v[96:97], 3, v[140:141]
	v_cvt_f64_f32_e32 v[94:95], v94
	v_add_co_u32 v96, vcc_lo, v90, v96
	v_add_co_ci_u32_e64 v97, null, v91, v97, vcc_lo
	flat_store_dwordx2 v[96:97], v[94:95]
	s_or_b32 exec_lo, exec_lo, s12
	s_and_b32 s12, s7, s8
	s_and_saveexec_b32 s8, s12
	s_cbranch_execz .LBB122_299
.LBB122_295:
	v_cmp_ne_u32_e32 vcc_lo, 1, v144
	s_cbranch_vccnz .LBB122_297
; %bb.296:
	v_lshlrev_b64 v[94:95], 3, v[142:143]
	v_add_co_u32 v92, vcc_lo, v92, v94
	v_add_co_ci_u32_e64 v93, null, v93, v95, vcc_lo
	flat_load_dwordx2 v[92:93], v[92:93]
	s_waitcnt vmcnt(0) lgkmcnt(0)
	v_mul_f64 v[92:93], s[10:11], v[92:93]
	v_cvt_f32_f64_e32 v92, v[92:93]
	s_branch .LBB122_298
.LBB122_297:
	v_mov_b32_e32 v92, 0
.LBB122_298:
	v_add_f64 v[86:87], v[6:7], v[86:87]
	v_add_f64 v[88:89], v[8:9], v[88:89]
	;; [unrolled: 1-line block ×4, first 2 shown]
	v_cvt_f32_f64_e32 v86, v[86:87]
	v_cvt_f32_f64_e32 v87, v[88:89]
	;; [unrolled: 1-line block ×4, first 2 shown]
	v_min3_f32 v84, v86, v87, v166
	v_min_f32_e32 v82, v82, v83
	v_min3_f32 v82, v92, v82, v84
	v_lshlrev_b64 v[84:85], 3, v[142:143]
	v_cvt_f64_f32_e32 v[82:83], v82
	v_add_co_u32 v84, vcc_lo, v90, v84
	v_add_co_ci_u32_e64 v85, null, v91, v85, vcc_lo
	flat_store_dwordx2 v[84:85], v[82:83]
.LBB122_299:
	s_or_b32 exec_lo, exec_lo, s8
	v_add_nc_u32_e32 v86, 0xc0, v145
	v_mad_i64_i32 v[82:83], null, v86, s16, 0
	v_mad_i64_i32 v[84:85], null, v86, s14, 0
	v_cmp_gt_i32_e64 s8, s13, v86
	v_lshlrev_b64 v[82:83], 3, v[82:83]
	s_and_b32 s15, s0, s8
	v_lshlrev_b64 v[86:87], 3, v[84:85]
	v_add_co_u32 v84, vcc_lo, s18, v82
	v_add_co_ci_u32_e64 v85, null, s19, v83, vcc_lo
	v_add_co_u32 v82, vcc_lo, s17, v86
	v_add_co_ci_u32_e64 v83, null, s9, v87, vcc_lo
	s_and_saveexec_b32 s12, s15
	s_cbranch_execnz .LBB122_307
; %bb.300:
	s_or_b32 exec_lo, exec_lo, s12
	s_and_b32 s15, s1, s8
	s_and_saveexec_b32 s12, s15
	s_cbranch_execnz .LBB122_311
.LBB122_301:
	s_or_b32 exec_lo, exec_lo, s12
	s_and_b32 s15, s2, s8
	s_and_saveexec_b32 s12, s15
	s_cbranch_execnz .LBB122_315
.LBB122_302:
	s_or_b32 exec_lo, exec_lo, s12
	s_and_b32 s15, s3, s8
	s_and_saveexec_b32 s12, s15
	s_cbranch_execnz .LBB122_319
.LBB122_303:
	s_or_b32 exec_lo, exec_lo, s12
	s_and_b32 s15, s4, s8
	s_and_saveexec_b32 s12, s15
	s_cbranch_execnz .LBB122_323
.LBB122_304:
	s_or_b32 exec_lo, exec_lo, s12
	s_and_b32 s15, s5, s8
	s_and_saveexec_b32 s12, s15
	s_cbranch_execnz .LBB122_327
.LBB122_305:
	s_or_b32 exec_lo, exec_lo, s12
	s_and_b32 s15, s6, s8
	s_and_saveexec_b32 s12, s15
	s_cbranch_execnz .LBB122_331
.LBB122_306:
	s_or_b32 exec_lo, exec_lo, s12
	s_and_b32 s12, s7, s8
	s_and_saveexec_b32 s8, s12
	s_cbranch_execnz .LBB122_335
	s_branch .LBB122_339
.LBB122_307:
	v_cmp_ne_u32_e32 vcc_lo, 1, v144
	s_cbranch_vccnz .LBB122_309
; %bb.308:
	v_lshlrev_b64 v[86:87], 3, v[0:1]
	v_add_co_u32 v86, vcc_lo, v84, v86
	v_add_co_ci_u32_e64 v87, null, v85, v87, vcc_lo
	flat_load_dwordx2 v[86:87], v[86:87]
	s_waitcnt vmcnt(0) lgkmcnt(0)
	v_mul_f64 v[86:87], s[10:11], v[86:87]
	v_cvt_f32_f64_e32 v86, v[86:87]
	s_branch .LBB122_310
.LBB122_309:
	v_mov_b32_e32 v86, 0
.LBB122_310:
	v_add_f64 v[87:88], v[70:71], v[78:79]
	v_add_f64 v[89:90], v[72:73], v[80:81]
	;; [unrolled: 1-line block ×4, first 2 shown]
	v_cvt_f32_f64_e32 v87, v[87:88]
	v_cvt_f32_f64_e32 v88, v[89:90]
	;; [unrolled: 1-line block ×4, first 2 shown]
	v_min3_f32 v87, v87, v88, v165
	v_min_f32_e32 v88, v89, v90
	v_min3_f32 v86, v86, v88, v87
	v_lshlrev_b64 v[88:89], 3, v[0:1]
	v_cvt_f64_f32_e32 v[86:87], v86
	v_add_co_u32 v88, vcc_lo, v82, v88
	v_add_co_ci_u32_e64 v89, null, v83, v89, vcc_lo
	flat_store_dwordx2 v[88:89], v[86:87]
	s_or_b32 exec_lo, exec_lo, s12
	s_and_b32 s15, s1, s8
	s_and_saveexec_b32 s12, s15
	s_cbranch_execz .LBB122_301
.LBB122_311:
	v_cmp_ne_u32_e32 vcc_lo, 1, v144
	s_cbranch_vccnz .LBB122_313
; %bb.312:
	v_lshlrev_b64 v[86:87], 3, v[130:131]
	v_add_co_u32 v86, vcc_lo, v84, v86
	v_add_co_ci_u32_e64 v87, null, v85, v87, vcc_lo
	flat_load_dwordx2 v[86:87], v[86:87]
	s_waitcnt vmcnt(0) lgkmcnt(0)
	v_mul_f64 v[86:87], s[10:11], v[86:87]
	v_cvt_f32_f64_e32 v86, v[86:87]
	s_branch .LBB122_314
.LBB122_313:
	v_mov_b32_e32 v86, 0
.LBB122_314:
	v_add_f64 v[87:88], v[62:63], v[78:79]
	v_add_f64 v[89:90], v[64:65], v[80:81]
	;; [unrolled: 1-line block ×4, first 2 shown]
	v_cvt_f32_f64_e32 v87, v[87:88]
	v_cvt_f32_f64_e32 v88, v[89:90]
	v_cvt_f32_f64_e32 v89, v[91:92]
	v_cvt_f32_f64_e32 v90, v[93:94]
	v_min3_f32 v87, v87, v88, v164
	v_min_f32_e32 v88, v89, v90
	v_min3_f32 v86, v86, v88, v87
	v_lshlrev_b64 v[88:89], 3, v[130:131]
	v_cvt_f64_f32_e32 v[86:87], v86
	v_add_co_u32 v88, vcc_lo, v82, v88
	v_add_co_ci_u32_e64 v89, null, v83, v89, vcc_lo
	flat_store_dwordx2 v[88:89], v[86:87]
	s_or_b32 exec_lo, exec_lo, s12
	s_and_b32 s15, s2, s8
	s_and_saveexec_b32 s12, s15
	s_cbranch_execz .LBB122_302
.LBB122_315:
	v_cmp_ne_u32_e32 vcc_lo, 1, v144
	s_cbranch_vccnz .LBB122_317
; %bb.316:
	v_lshlrev_b64 v[86:87], 3, v[132:133]
	v_add_co_u32 v86, vcc_lo, v84, v86
	v_add_co_ci_u32_e64 v87, null, v85, v87, vcc_lo
	flat_load_dwordx2 v[86:87], v[86:87]
	s_waitcnt vmcnt(0) lgkmcnt(0)
	v_mul_f64 v[86:87], s[10:11], v[86:87]
	v_cvt_f32_f64_e32 v86, v[86:87]
	s_branch .LBB122_318
.LBB122_317:
	v_mov_b32_e32 v86, 0
.LBB122_318:
	v_add_f64 v[87:88], v[54:55], v[78:79]
	v_add_f64 v[89:90], v[56:57], v[80:81]
	;; [unrolled: 1-line block ×4, first 2 shown]
	v_cvt_f32_f64_e32 v87, v[87:88]
	v_cvt_f32_f64_e32 v88, v[89:90]
	;; [unrolled: 1-line block ×4, first 2 shown]
	v_min3_f32 v87, v87, v88, v163
	v_min_f32_e32 v88, v89, v90
	v_min3_f32 v86, v86, v88, v87
	v_lshlrev_b64 v[88:89], 3, v[132:133]
	v_cvt_f64_f32_e32 v[86:87], v86
	v_add_co_u32 v88, vcc_lo, v82, v88
	v_add_co_ci_u32_e64 v89, null, v83, v89, vcc_lo
	flat_store_dwordx2 v[88:89], v[86:87]
	s_or_b32 exec_lo, exec_lo, s12
	s_and_b32 s15, s3, s8
	s_and_saveexec_b32 s12, s15
	s_cbranch_execz .LBB122_303
.LBB122_319:
	v_cmp_ne_u32_e32 vcc_lo, 1, v144
	s_cbranch_vccnz .LBB122_321
; %bb.320:
	v_lshlrev_b64 v[86:87], 3, v[134:135]
	v_add_co_u32 v86, vcc_lo, v84, v86
	v_add_co_ci_u32_e64 v87, null, v85, v87, vcc_lo
	flat_load_dwordx2 v[86:87], v[86:87]
	s_waitcnt vmcnt(0) lgkmcnt(0)
	v_mul_f64 v[86:87], s[10:11], v[86:87]
	v_cvt_f32_f64_e32 v86, v[86:87]
	s_branch .LBB122_322
.LBB122_321:
	v_mov_b32_e32 v86, 0
.LBB122_322:
	v_add_f64 v[87:88], v[46:47], v[78:79]
	v_add_f64 v[89:90], v[48:49], v[80:81]
	;; [unrolled: 1-line block ×4, first 2 shown]
	v_cvt_f32_f64_e32 v87, v[87:88]
	v_cvt_f32_f64_e32 v88, v[89:90]
	v_cvt_f32_f64_e32 v89, v[91:92]
	v_cvt_f32_f64_e32 v90, v[93:94]
	v_min3_f32 v87, v87, v88, v162
	v_min_f32_e32 v88, v89, v90
	v_min3_f32 v86, v86, v88, v87
	v_lshlrev_b64 v[88:89], 3, v[134:135]
	v_cvt_f64_f32_e32 v[86:87], v86
	v_add_co_u32 v88, vcc_lo, v82, v88
	v_add_co_ci_u32_e64 v89, null, v83, v89, vcc_lo
	flat_store_dwordx2 v[88:89], v[86:87]
	s_or_b32 exec_lo, exec_lo, s12
	s_and_b32 s15, s4, s8
	s_and_saveexec_b32 s12, s15
	s_cbranch_execz .LBB122_304
.LBB122_323:
	v_cmp_ne_u32_e32 vcc_lo, 1, v144
	s_cbranch_vccnz .LBB122_325
; %bb.324:
	v_lshlrev_b64 v[86:87], 3, v[136:137]
	v_add_co_u32 v86, vcc_lo, v84, v86
	v_add_co_ci_u32_e64 v87, null, v85, v87, vcc_lo
	flat_load_dwordx2 v[86:87], v[86:87]
	s_waitcnt vmcnt(0) lgkmcnt(0)
	v_mul_f64 v[86:87], s[10:11], v[86:87]
	v_cvt_f32_f64_e32 v86, v[86:87]
	s_branch .LBB122_326
.LBB122_325:
	v_mov_b32_e32 v86, 0
.LBB122_326:
	v_add_f64 v[87:88], v[38:39], v[78:79]
	v_add_f64 v[89:90], v[40:41], v[80:81]
	;; [unrolled: 1-line block ×4, first 2 shown]
	v_cvt_f32_f64_e32 v87, v[87:88]
	v_cvt_f32_f64_e32 v88, v[89:90]
	;; [unrolled: 1-line block ×4, first 2 shown]
	v_min3_f32 v87, v87, v88, v161
	v_min_f32_e32 v88, v89, v90
	v_min3_f32 v86, v86, v88, v87
	v_lshlrev_b64 v[88:89], 3, v[136:137]
	v_cvt_f64_f32_e32 v[86:87], v86
	v_add_co_u32 v88, vcc_lo, v82, v88
	v_add_co_ci_u32_e64 v89, null, v83, v89, vcc_lo
	flat_store_dwordx2 v[88:89], v[86:87]
	s_or_b32 exec_lo, exec_lo, s12
	s_and_b32 s15, s5, s8
	s_and_saveexec_b32 s12, s15
	s_cbranch_execz .LBB122_305
.LBB122_327:
	v_cmp_ne_u32_e32 vcc_lo, 1, v144
	s_cbranch_vccnz .LBB122_329
; %bb.328:
	v_lshlrev_b64 v[86:87], 3, v[138:139]
	v_add_co_u32 v86, vcc_lo, v84, v86
	v_add_co_ci_u32_e64 v87, null, v85, v87, vcc_lo
	flat_load_dwordx2 v[86:87], v[86:87]
	s_waitcnt vmcnt(0) lgkmcnt(0)
	v_mul_f64 v[86:87], s[10:11], v[86:87]
	v_cvt_f32_f64_e32 v86, v[86:87]
	s_branch .LBB122_330
.LBB122_329:
	v_mov_b32_e32 v86, 0
.LBB122_330:
	v_add_f64 v[87:88], v[30:31], v[78:79]
	v_add_f64 v[89:90], v[32:33], v[80:81]
	v_add_f64 v[91:92], v[26:27], v[74:75]
	v_add_f64 v[93:94], v[28:29], v[76:77]
	v_cvt_f32_f64_e32 v87, v[87:88]
	v_cvt_f32_f64_e32 v88, v[89:90]
	;; [unrolled: 1-line block ×4, first 2 shown]
	v_min3_f32 v87, v87, v88, v160
	v_min_f32_e32 v88, v89, v90
	v_min3_f32 v86, v86, v88, v87
	v_lshlrev_b64 v[88:89], 3, v[138:139]
	v_cvt_f64_f32_e32 v[86:87], v86
	v_add_co_u32 v88, vcc_lo, v82, v88
	v_add_co_ci_u32_e64 v89, null, v83, v89, vcc_lo
	flat_store_dwordx2 v[88:89], v[86:87]
	s_or_b32 exec_lo, exec_lo, s12
	s_and_b32 s15, s6, s8
	s_and_saveexec_b32 s12, s15
	s_cbranch_execz .LBB122_306
.LBB122_331:
	v_cmp_ne_u32_e32 vcc_lo, 1, v144
	s_cbranch_vccnz .LBB122_333
; %bb.332:
	v_lshlrev_b64 v[86:87], 3, v[140:141]
	v_add_co_u32 v86, vcc_lo, v84, v86
	v_add_co_ci_u32_e64 v87, null, v85, v87, vcc_lo
	flat_load_dwordx2 v[86:87], v[86:87]
	s_waitcnt vmcnt(0) lgkmcnt(0)
	v_mul_f64 v[86:87], s[10:11], v[86:87]
	v_cvt_f32_f64_e32 v86, v[86:87]
	s_branch .LBB122_334
.LBB122_333:
	v_mov_b32_e32 v86, 0
.LBB122_334:
	v_add_f64 v[87:88], v[22:23], v[78:79]
	v_add_f64 v[89:90], v[24:25], v[80:81]
	;; [unrolled: 1-line block ×4, first 2 shown]
	v_cvt_f32_f64_e32 v87, v[87:88]
	v_cvt_f32_f64_e32 v88, v[89:90]
	;; [unrolled: 1-line block ×4, first 2 shown]
	v_min3_f32 v87, v87, v88, v159
	v_min_f32_e32 v88, v89, v90
	v_min3_f32 v86, v86, v88, v87
	v_lshlrev_b64 v[88:89], 3, v[140:141]
	v_cvt_f64_f32_e32 v[86:87], v86
	v_add_co_u32 v88, vcc_lo, v82, v88
	v_add_co_ci_u32_e64 v89, null, v83, v89, vcc_lo
	flat_store_dwordx2 v[88:89], v[86:87]
	s_or_b32 exec_lo, exec_lo, s12
	s_and_b32 s12, s7, s8
	s_and_saveexec_b32 s8, s12
	s_cbranch_execz .LBB122_339
.LBB122_335:
	v_cmp_ne_u32_e32 vcc_lo, 1, v144
	s_cbranch_vccnz .LBB122_337
; %bb.336:
	v_lshlrev_b64 v[86:87], 3, v[142:143]
	v_add_co_u32 v84, vcc_lo, v84, v86
	v_add_co_ci_u32_e64 v85, null, v85, v87, vcc_lo
	flat_load_dwordx2 v[84:85], v[84:85]
	s_waitcnt vmcnt(0) lgkmcnt(0)
	v_mul_f64 v[84:85], s[10:11], v[84:85]
	v_cvt_f32_f64_e32 v84, v[84:85]
	s_branch .LBB122_338
.LBB122_337:
	v_mov_b32_e32 v84, 0
.LBB122_338:
	v_add_f64 v[78:79], v[6:7], v[78:79]
	v_add_f64 v[80:81], v[8:9], v[80:81]
	;; [unrolled: 1-line block ×4, first 2 shown]
	v_cvt_f32_f64_e32 v78, v[78:79]
	v_cvt_f32_f64_e32 v79, v[80:81]
	v_cvt_f32_f64_e32 v74, v[74:75]
	v_cvt_f32_f64_e32 v75, v[76:77]
	v_min3_f32 v76, v78, v79, v158
	v_min_f32_e32 v74, v74, v75
	v_min3_f32 v74, v84, v74, v76
	v_lshlrev_b64 v[76:77], 3, v[142:143]
	v_cvt_f64_f32_e32 v[74:75], v74
	v_add_co_u32 v76, vcc_lo, v82, v76
	v_add_co_ci_u32_e64 v77, null, v83, v77, vcc_lo
	flat_store_dwordx2 v[76:77], v[74:75]
.LBB122_339:
	s_or_b32 exec_lo, exec_lo, s8
	v_add_nc_u32_e32 v78, 0xe0, v145
	v_mad_i64_i32 v[74:75], null, v78, s16, 0
	v_mad_i64_i32 v[76:77], null, v78, s14, 0
	v_cmp_gt_i32_e64 s8, s13, v78
	v_lshlrev_b64 v[74:75], 3, v[74:75]
	v_lshlrev_b64 v[78:79], 3, v[76:77]
	v_add_co_u32 v76, vcc_lo, s18, v74
	v_add_co_ci_u32_e64 v77, null, s19, v75, vcc_lo
	v_add_co_u32 v74, vcc_lo, s17, v78
	v_add_co_ci_u32_e64 v75, null, s9, v79, vcc_lo
	s_and_b32 s9, s0, s8
	s_and_saveexec_b32 s0, s9
	s_cbranch_execnz .LBB122_348
; %bb.340:
	s_or_b32 exec_lo, exec_lo, s0
	s_and_b32 s1, s1, s8
	s_and_saveexec_b32 s0, s1
	s_cbranch_execnz .LBB122_352
.LBB122_341:
	s_or_b32 exec_lo, exec_lo, s0
	s_and_b32 s1, s2, s8
	s_and_saveexec_b32 s0, s1
	s_cbranch_execnz .LBB122_356
.LBB122_342:
	s_or_b32 exec_lo, exec_lo, s0
	s_and_b32 s1, s3, s8
	s_and_saveexec_b32 s0, s1
	s_cbranch_execnz .LBB122_360
.LBB122_343:
	s_or_b32 exec_lo, exec_lo, s0
	s_and_b32 s1, s4, s8
	s_and_saveexec_b32 s0, s1
	s_cbranch_execnz .LBB122_364
.LBB122_344:
	s_or_b32 exec_lo, exec_lo, s0
	s_and_b32 s1, s5, s8
	s_and_saveexec_b32 s0, s1
	s_cbranch_execnz .LBB122_368
.LBB122_345:
	s_or_b32 exec_lo, exec_lo, s0
	s_and_b32 s1, s6, s8
	s_and_saveexec_b32 s0, s1
	s_cbranch_execnz .LBB122_372
.LBB122_346:
	s_or_b32 exec_lo, exec_lo, s0
	s_and_b32 s0, s7, s8
	s_and_saveexec_b32 s1, s0
	s_cbranch_execnz .LBB122_376
.LBB122_347:
	s_endpgm
.LBB122_348:
	v_cmp_ne_u32_e32 vcc_lo, 1, v144
	v_lshlrev_b64 v[0:1], 3, v[0:1]
	s_cbranch_vccnz .LBB122_350
; %bb.349:
	v_add_co_u32 v78, vcc_lo, v76, v0
	v_add_co_ci_u32_e64 v79, null, v77, v1, vcc_lo
	flat_load_dwordx2 v[78:79], v[78:79]
	s_waitcnt vmcnt(0) lgkmcnt(0)
	v_mul_f64 v[78:79], s[10:11], v[78:79]
	v_cvt_f32_f64_e32 v78, v[78:79]
	s_branch .LBB122_351
.LBB122_350:
	v_mov_b32_e32 v78, 0
.LBB122_351:
	v_add_f64 v[70:71], v[70:71], v[14:15]
	v_add_f64 v[72:73], v[72:73], v[16:17]
	;; [unrolled: 1-line block ×4, first 2 shown]
	v_add_co_u32 v0, vcc_lo, v74, v0
	v_add_co_ci_u32_e64 v1, null, v75, v1, vcc_lo
	v_cvt_f32_f64_e32 v70, v[70:71]
	v_cvt_f32_f64_e32 v71, v[72:73]
	;; [unrolled: 1-line block ×4, first 2 shown]
	v_min3_f32 v68, v70, v71, v157
	v_min_f32_e32 v66, v66, v67
	v_min3_f32 v66, v78, v66, v68
	v_cvt_f64_f32_e32 v[66:67], v66
	flat_store_dwordx2 v[0:1], v[66:67]
	s_or_b32 exec_lo, exec_lo, s0
	s_and_b32 s1, s1, s8
	s_and_saveexec_b32 s0, s1
	s_cbranch_execz .LBB122_341
.LBB122_352:
	v_cmp_ne_u32_e32 vcc_lo, 1, v144
	v_lshlrev_b64 v[0:1], 3, v[130:131]
	s_cbranch_vccnz .LBB122_354
; %bb.353:
	v_add_co_u32 v66, vcc_lo, v76, v0
	v_add_co_ci_u32_e64 v67, null, v77, v1, vcc_lo
	flat_load_dwordx2 v[66:67], v[66:67]
	s_waitcnt vmcnt(0) lgkmcnt(0)
	v_mul_f64 v[66:67], s[10:11], v[66:67]
	v_cvt_f32_f64_e32 v66, v[66:67]
	s_branch .LBB122_355
.LBB122_354:
	v_mov_b32_e32 v66, 0
.LBB122_355:
	v_add_f64 v[62:63], v[62:63], v[14:15]
	v_add_f64 v[64:65], v[64:65], v[16:17]
	;; [unrolled: 1-line block ×4, first 2 shown]
	v_add_co_u32 v0, vcc_lo, v74, v0
	v_add_co_ci_u32_e64 v1, null, v75, v1, vcc_lo
	v_cvt_f32_f64_e32 v62, v[62:63]
	v_cvt_f32_f64_e32 v63, v[64:65]
	;; [unrolled: 1-line block ×4, first 2 shown]
	v_min3_f32 v60, v62, v63, v156
	v_min_f32_e32 v58, v58, v59
	v_min3_f32 v58, v66, v58, v60
	v_cvt_f64_f32_e32 v[58:59], v58
	flat_store_dwordx2 v[0:1], v[58:59]
	s_or_b32 exec_lo, exec_lo, s0
	s_and_b32 s1, s2, s8
	s_and_saveexec_b32 s0, s1
	s_cbranch_execz .LBB122_342
.LBB122_356:
	v_cmp_ne_u32_e32 vcc_lo, 1, v144
	v_lshlrev_b64 v[0:1], 3, v[132:133]
	s_cbranch_vccnz .LBB122_358
; %bb.357:
	v_add_co_u32 v58, vcc_lo, v76, v0
	v_add_co_ci_u32_e64 v59, null, v77, v1, vcc_lo
	flat_load_dwordx2 v[58:59], v[58:59]
	s_waitcnt vmcnt(0) lgkmcnt(0)
	v_mul_f64 v[58:59], s[10:11], v[58:59]
	v_cvt_f32_f64_e32 v58, v[58:59]
	s_branch .LBB122_359
.LBB122_358:
	v_mov_b32_e32 v58, 0
.LBB122_359:
	v_add_f64 v[54:55], v[54:55], v[14:15]
	v_add_f64 v[56:57], v[56:57], v[16:17]
	;; [unrolled: 1-line block ×4, first 2 shown]
	v_add_co_u32 v0, vcc_lo, v74, v0
	v_add_co_ci_u32_e64 v1, null, v75, v1, vcc_lo
	v_cvt_f32_f64_e32 v54, v[54:55]
	v_cvt_f32_f64_e32 v55, v[56:57]
	;; [unrolled: 1-line block ×4, first 2 shown]
	v_min3_f32 v52, v54, v55, v155
	v_min_f32_e32 v50, v50, v51
	v_min3_f32 v50, v58, v50, v52
	v_cvt_f64_f32_e32 v[50:51], v50
	flat_store_dwordx2 v[0:1], v[50:51]
	s_or_b32 exec_lo, exec_lo, s0
	s_and_b32 s1, s3, s8
	s_and_saveexec_b32 s0, s1
	s_cbranch_execz .LBB122_343
.LBB122_360:
	v_cmp_ne_u32_e32 vcc_lo, 1, v144
	v_lshlrev_b64 v[0:1], 3, v[134:135]
	s_cbranch_vccnz .LBB122_362
; %bb.361:
	v_add_co_u32 v50, vcc_lo, v76, v0
	v_add_co_ci_u32_e64 v51, null, v77, v1, vcc_lo
	flat_load_dwordx2 v[50:51], v[50:51]
	s_waitcnt vmcnt(0) lgkmcnt(0)
	v_mul_f64 v[50:51], s[10:11], v[50:51]
	v_cvt_f32_f64_e32 v50, v[50:51]
	s_branch .LBB122_363
.LBB122_362:
	v_mov_b32_e32 v50, 0
.LBB122_363:
	v_add_f64 v[46:47], v[46:47], v[14:15]
	v_add_f64 v[48:49], v[48:49], v[16:17]
	;; [unrolled: 1-line block ×4, first 2 shown]
	v_add_co_u32 v0, vcc_lo, v74, v0
	v_add_co_ci_u32_e64 v1, null, v75, v1, vcc_lo
	v_cvt_f32_f64_e32 v46, v[46:47]
	v_cvt_f32_f64_e32 v47, v[48:49]
	;; [unrolled: 1-line block ×4, first 2 shown]
	v_min3_f32 v44, v46, v47, v154
	v_min_f32_e32 v42, v42, v43
	v_min3_f32 v42, v50, v42, v44
	v_cvt_f64_f32_e32 v[42:43], v42
	flat_store_dwordx2 v[0:1], v[42:43]
	s_or_b32 exec_lo, exec_lo, s0
	s_and_b32 s1, s4, s8
	s_and_saveexec_b32 s0, s1
	s_cbranch_execz .LBB122_344
.LBB122_364:
	v_cmp_ne_u32_e32 vcc_lo, 1, v144
	v_lshlrev_b64 v[0:1], 3, v[136:137]
	s_cbranch_vccnz .LBB122_366
; %bb.365:
	v_add_co_u32 v42, vcc_lo, v76, v0
	v_add_co_ci_u32_e64 v43, null, v77, v1, vcc_lo
	flat_load_dwordx2 v[42:43], v[42:43]
	s_waitcnt vmcnt(0) lgkmcnt(0)
	v_mul_f64 v[42:43], s[10:11], v[42:43]
	v_cvt_f32_f64_e32 v42, v[42:43]
	s_branch .LBB122_367
.LBB122_366:
	v_mov_b32_e32 v42, 0
.LBB122_367:
	v_add_f64 v[38:39], v[38:39], v[14:15]
	v_add_f64 v[40:41], v[40:41], v[16:17]
	;; [unrolled: 1-line block ×4, first 2 shown]
	v_add_co_u32 v0, vcc_lo, v74, v0
	v_add_co_ci_u32_e64 v1, null, v75, v1, vcc_lo
	v_cvt_f32_f64_e32 v38, v[38:39]
	v_cvt_f32_f64_e32 v39, v[40:41]
	;; [unrolled: 1-line block ×4, first 2 shown]
	v_min3_f32 v36, v38, v39, v153
	v_min_f32_e32 v34, v34, v35
	v_min3_f32 v34, v42, v34, v36
	v_cvt_f64_f32_e32 v[34:35], v34
	flat_store_dwordx2 v[0:1], v[34:35]
	s_or_b32 exec_lo, exec_lo, s0
	s_and_b32 s1, s5, s8
	s_and_saveexec_b32 s0, s1
	s_cbranch_execz .LBB122_345
.LBB122_368:
	v_cmp_ne_u32_e32 vcc_lo, 1, v144
	v_lshlrev_b64 v[0:1], 3, v[138:139]
	s_cbranch_vccnz .LBB122_370
; %bb.369:
	v_add_co_u32 v34, vcc_lo, v76, v0
	v_add_co_ci_u32_e64 v35, null, v77, v1, vcc_lo
	flat_load_dwordx2 v[34:35], v[34:35]
	s_waitcnt vmcnt(0) lgkmcnt(0)
	v_mul_f64 v[34:35], s[10:11], v[34:35]
	v_cvt_f32_f64_e32 v34, v[34:35]
	s_branch .LBB122_371
.LBB122_370:
	v_mov_b32_e32 v34, 0
.LBB122_371:
	v_add_f64 v[30:31], v[30:31], v[14:15]
	v_add_f64 v[32:33], v[32:33], v[16:17]
	v_add_f64 v[26:27], v[26:27], v[10:11]
	v_add_f64 v[28:29], v[28:29], v[12:13]
	v_add_co_u32 v0, vcc_lo, v74, v0
	v_add_co_ci_u32_e64 v1, null, v75, v1, vcc_lo
	v_cvt_f32_f64_e32 v30, v[30:31]
	v_cvt_f32_f64_e32 v31, v[32:33]
	;; [unrolled: 1-line block ×4, first 2 shown]
	v_min3_f32 v28, v30, v31, v152
	v_min_f32_e32 v26, v26, v27
	v_min3_f32 v26, v34, v26, v28
	v_cvt_f64_f32_e32 v[26:27], v26
	flat_store_dwordx2 v[0:1], v[26:27]
	s_or_b32 exec_lo, exec_lo, s0
	s_and_b32 s1, s6, s8
	s_and_saveexec_b32 s0, s1
	s_cbranch_execz .LBB122_346
.LBB122_372:
	v_cmp_ne_u32_e32 vcc_lo, 1, v144
	v_lshlrev_b64 v[0:1], 3, v[140:141]
	s_cbranch_vccnz .LBB122_374
; %bb.373:
	v_add_co_u32 v26, vcc_lo, v76, v0
	v_add_co_ci_u32_e64 v27, null, v77, v1, vcc_lo
	flat_load_dwordx2 v[26:27], v[26:27]
	s_waitcnt vmcnt(0) lgkmcnt(0)
	v_mul_f64 v[26:27], s[10:11], v[26:27]
	v_cvt_f32_f64_e32 v26, v[26:27]
	s_branch .LBB122_375
.LBB122_374:
	v_mov_b32_e32 v26, 0
.LBB122_375:
	v_add_f64 v[22:23], v[22:23], v[14:15]
	v_add_f64 v[24:25], v[24:25], v[16:17]
	;; [unrolled: 1-line block ×4, first 2 shown]
	v_add_co_u32 v0, vcc_lo, v74, v0
	v_add_co_ci_u32_e64 v1, null, v75, v1, vcc_lo
	v_cvt_f32_f64_e32 v22, v[22:23]
	v_cvt_f32_f64_e32 v23, v[24:25]
	;; [unrolled: 1-line block ×4, first 2 shown]
	v_min3_f32 v20, v22, v23, v151
	v_min_f32_e32 v18, v18, v19
	v_min3_f32 v18, v26, v18, v20
	v_cvt_f64_f32_e32 v[18:19], v18
	flat_store_dwordx2 v[0:1], v[18:19]
	s_or_b32 exec_lo, exec_lo, s0
	s_and_b32 s0, s7, s8
	s_and_saveexec_b32 s1, s0
	s_cbranch_execz .LBB122_347
.LBB122_376:
	v_cmp_ne_u32_e32 vcc_lo, 1, v144
	v_lshlrev_b64 v[0:1], 3, v[142:143]
	s_cbranch_vccnz .LBB122_378
; %bb.377:
	v_add_co_u32 v18, vcc_lo, v76, v0
	v_add_co_ci_u32_e64 v19, null, v77, v1, vcc_lo
	flat_load_dwordx2 v[18:19], v[18:19]
	s_waitcnt vmcnt(0) lgkmcnt(0)
	v_mul_f64 v[18:19], s[10:11], v[18:19]
	v_cvt_f32_f64_e32 v18, v[18:19]
	s_branch .LBB122_379
.LBB122_378:
	v_mov_b32_e32 v18, 0
.LBB122_379:
	v_add_f64 v[6:7], v[6:7], v[14:15]
	v_add_f64 v[8:9], v[8:9], v[16:17]
	;; [unrolled: 1-line block ×4, first 2 shown]
	v_add_co_u32 v0, vcc_lo, v74, v0
	v_add_co_ci_u32_e64 v1, null, v75, v1, vcc_lo
	v_cvt_f32_f64_e32 v6, v[6:7]
	v_cvt_f32_f64_e32 v7, v[8:9]
	;; [unrolled: 1-line block ×4, first 2 shown]
	v_min3_f32 v4, v6, v7, v150
	v_min_f32_e32 v2, v2, v3
	v_min3_f32 v2, v18, v2, v4
	v_cvt_f64_f32_e32 v[2:3], v2
	flat_store_dwordx2 v[0:1], v[2:3]
	s_endpgm
	.section	.rodata,"a",@progbits
	.p2align	6, 0x0
	.amdhsa_kernel _ZN12_GLOBAL__N_120geam_min_plus_kernelId15HIP_vector_typeIdLj2EEdLi8ELi32ELi64ELi256ELi4ELi64ELi4ELi64ELi4ELc78ELc84ELb0ELb1ELb1EdKPKdKPdEEviiiT16_PT17_ilSA_ilS8_SA_ilPT18_ili26rocblas_geam_ex_operation_
		.amdhsa_group_segment_fixed_size 20480
		.amdhsa_private_segment_fixed_size 0
		.amdhsa_kernarg_size 136
		.amdhsa_user_sgpr_count 6
		.amdhsa_user_sgpr_private_segment_buffer 1
		.amdhsa_user_sgpr_dispatch_ptr 0
		.amdhsa_user_sgpr_queue_ptr 0
		.amdhsa_user_sgpr_kernarg_segment_ptr 1
		.amdhsa_user_sgpr_dispatch_id 0
		.amdhsa_user_sgpr_flat_scratch_init 0
		.amdhsa_user_sgpr_private_segment_size 0
		.amdhsa_wavefront_size32 1
		.amdhsa_uses_dynamic_stack 0
		.amdhsa_system_sgpr_private_segment_wavefront_offset 0
		.amdhsa_system_sgpr_workgroup_id_x 1
		.amdhsa_system_sgpr_workgroup_id_y 0
		.amdhsa_system_sgpr_workgroup_id_z 1
		.amdhsa_system_sgpr_workgroup_info 0
		.amdhsa_system_vgpr_workitem_id 1
		.amdhsa_next_free_vgpr 226
		.amdhsa_next_free_sgpr 34
		.amdhsa_reserve_vcc 1
		.amdhsa_reserve_flat_scratch 0
		.amdhsa_float_round_mode_32 0
		.amdhsa_float_round_mode_16_64 0
		.amdhsa_float_denorm_mode_32 3
		.amdhsa_float_denorm_mode_16_64 3
		.amdhsa_dx10_clamp 1
		.amdhsa_ieee_mode 1
		.amdhsa_fp16_overflow 0
		.amdhsa_workgroup_processor_mode 1
		.amdhsa_memory_ordered 1
		.amdhsa_forward_progress 1
		.amdhsa_shared_vgpr_count 0
		.amdhsa_exception_fp_ieee_invalid_op 0
		.amdhsa_exception_fp_denorm_src 0
		.amdhsa_exception_fp_ieee_div_zero 0
		.amdhsa_exception_fp_ieee_overflow 0
		.amdhsa_exception_fp_ieee_underflow 0
		.amdhsa_exception_fp_ieee_inexact 0
		.amdhsa_exception_int_div_zero 0
	.end_amdhsa_kernel
	.section	.text._ZN12_GLOBAL__N_120geam_min_plus_kernelId15HIP_vector_typeIdLj2EEdLi8ELi32ELi64ELi256ELi4ELi64ELi4ELi64ELi4ELc78ELc84ELb0ELb1ELb1EdKPKdKPdEEviiiT16_PT17_ilSA_ilS8_SA_ilPT18_ili26rocblas_geam_ex_operation_,"axG",@progbits,_ZN12_GLOBAL__N_120geam_min_plus_kernelId15HIP_vector_typeIdLj2EEdLi8ELi32ELi64ELi256ELi4ELi64ELi4ELi64ELi4ELc78ELc84ELb0ELb1ELb1EdKPKdKPdEEviiiT16_PT17_ilSA_ilS8_SA_ilPT18_ili26rocblas_geam_ex_operation_,comdat
.Lfunc_end122:
	.size	_ZN12_GLOBAL__N_120geam_min_plus_kernelId15HIP_vector_typeIdLj2EEdLi8ELi32ELi64ELi256ELi4ELi64ELi4ELi64ELi4ELc78ELc84ELb0ELb1ELb1EdKPKdKPdEEviiiT16_PT17_ilSA_ilS8_SA_ilPT18_ili26rocblas_geam_ex_operation_, .Lfunc_end122-_ZN12_GLOBAL__N_120geam_min_plus_kernelId15HIP_vector_typeIdLj2EEdLi8ELi32ELi64ELi256ELi4ELi64ELi4ELi64ELi4ELc78ELc84ELb0ELb1ELb1EdKPKdKPdEEviiiT16_PT17_ilSA_ilS8_SA_ilPT18_ili26rocblas_geam_ex_operation_
                                        ; -- End function
	.set _ZN12_GLOBAL__N_120geam_min_plus_kernelId15HIP_vector_typeIdLj2EEdLi8ELi32ELi64ELi256ELi4ELi64ELi4ELi64ELi4ELc78ELc84ELb0ELb1ELb1EdKPKdKPdEEviiiT16_PT17_ilSA_ilS8_SA_ilPT18_ili26rocblas_geam_ex_operation_.num_vgpr, 226
	.set _ZN12_GLOBAL__N_120geam_min_plus_kernelId15HIP_vector_typeIdLj2EEdLi8ELi32ELi64ELi256ELi4ELi64ELi4ELi64ELi4ELc78ELc84ELb0ELb1ELb1EdKPKdKPdEEviiiT16_PT17_ilSA_ilS8_SA_ilPT18_ili26rocblas_geam_ex_operation_.num_agpr, 0
	.set _ZN12_GLOBAL__N_120geam_min_plus_kernelId15HIP_vector_typeIdLj2EEdLi8ELi32ELi64ELi256ELi4ELi64ELi4ELi64ELi4ELc78ELc84ELb0ELb1ELb1EdKPKdKPdEEviiiT16_PT17_ilSA_ilS8_SA_ilPT18_ili26rocblas_geam_ex_operation_.numbered_sgpr, 34
	.set _ZN12_GLOBAL__N_120geam_min_plus_kernelId15HIP_vector_typeIdLj2EEdLi8ELi32ELi64ELi256ELi4ELi64ELi4ELi64ELi4ELc78ELc84ELb0ELb1ELb1EdKPKdKPdEEviiiT16_PT17_ilSA_ilS8_SA_ilPT18_ili26rocblas_geam_ex_operation_.num_named_barrier, 0
	.set _ZN12_GLOBAL__N_120geam_min_plus_kernelId15HIP_vector_typeIdLj2EEdLi8ELi32ELi64ELi256ELi4ELi64ELi4ELi64ELi4ELc78ELc84ELb0ELb1ELb1EdKPKdKPdEEviiiT16_PT17_ilSA_ilS8_SA_ilPT18_ili26rocblas_geam_ex_operation_.private_seg_size, 0
	.set _ZN12_GLOBAL__N_120geam_min_plus_kernelId15HIP_vector_typeIdLj2EEdLi8ELi32ELi64ELi256ELi4ELi64ELi4ELi64ELi4ELc78ELc84ELb0ELb1ELb1EdKPKdKPdEEviiiT16_PT17_ilSA_ilS8_SA_ilPT18_ili26rocblas_geam_ex_operation_.uses_vcc, 1
	.set _ZN12_GLOBAL__N_120geam_min_plus_kernelId15HIP_vector_typeIdLj2EEdLi8ELi32ELi64ELi256ELi4ELi64ELi4ELi64ELi4ELc78ELc84ELb0ELb1ELb1EdKPKdKPdEEviiiT16_PT17_ilSA_ilS8_SA_ilPT18_ili26rocblas_geam_ex_operation_.uses_flat_scratch, 0
	.set _ZN12_GLOBAL__N_120geam_min_plus_kernelId15HIP_vector_typeIdLj2EEdLi8ELi32ELi64ELi256ELi4ELi64ELi4ELi64ELi4ELc78ELc84ELb0ELb1ELb1EdKPKdKPdEEviiiT16_PT17_ilSA_ilS8_SA_ilPT18_ili26rocblas_geam_ex_operation_.has_dyn_sized_stack, 0
	.set _ZN12_GLOBAL__N_120geam_min_plus_kernelId15HIP_vector_typeIdLj2EEdLi8ELi32ELi64ELi256ELi4ELi64ELi4ELi64ELi4ELc78ELc84ELb0ELb1ELb1EdKPKdKPdEEviiiT16_PT17_ilSA_ilS8_SA_ilPT18_ili26rocblas_geam_ex_operation_.has_recursion, 0
	.set _ZN12_GLOBAL__N_120geam_min_plus_kernelId15HIP_vector_typeIdLj2EEdLi8ELi32ELi64ELi256ELi4ELi64ELi4ELi64ELi4ELc78ELc84ELb0ELb1ELb1EdKPKdKPdEEviiiT16_PT17_ilSA_ilS8_SA_ilPT18_ili26rocblas_geam_ex_operation_.has_indirect_call, 0
	.section	.AMDGPU.csdata,"",@progbits
; Kernel info:
; codeLenInByte = 29776
; TotalNumSgprs: 36
; NumVgprs: 226
; ScratchSize: 0
; MemoryBound: 0
; FloatMode: 240
; IeeeMode: 1
; LDSByteSize: 20480 bytes/workgroup (compile time only)
; SGPRBlocks: 0
; VGPRBlocks: 28
; NumSGPRsForWavesPerEU: 36
; NumVGPRsForWavesPerEU: 226
; Occupancy: 4
; WaveLimiterHint : 1
; COMPUTE_PGM_RSRC2:SCRATCH_EN: 0
; COMPUTE_PGM_RSRC2:USER_SGPR: 6
; COMPUTE_PGM_RSRC2:TRAP_HANDLER: 0
; COMPUTE_PGM_RSRC2:TGID_X_EN: 1
; COMPUTE_PGM_RSRC2:TGID_Y_EN: 0
; COMPUTE_PGM_RSRC2:TGID_Z_EN: 1
; COMPUTE_PGM_RSRC2:TIDIG_COMP_CNT: 1
	.section	.text._ZN12_GLOBAL__N_120geam_min_plus_kernelId15HIP_vector_typeIdLj2EEdLi8ELi32ELi64ELi256ELi4ELi4ELi64ELi64ELi4ELc84ELc84ELb0ELb0ELb1EPKdKS4_KPdEEviiiT16_PT17_ilSA_ilS8_SA_ilPT18_ili26rocblas_geam_ex_operation_,"axG",@progbits,_ZN12_GLOBAL__N_120geam_min_plus_kernelId15HIP_vector_typeIdLj2EEdLi8ELi32ELi64ELi256ELi4ELi4ELi64ELi64ELi4ELc84ELc84ELb0ELb0ELb1EPKdKS4_KPdEEviiiT16_PT17_ilSA_ilS8_SA_ilPT18_ili26rocblas_geam_ex_operation_,comdat
	.globl	_ZN12_GLOBAL__N_120geam_min_plus_kernelId15HIP_vector_typeIdLj2EEdLi8ELi32ELi64ELi256ELi4ELi4ELi64ELi64ELi4ELc84ELc84ELb0ELb0ELb1EPKdKS4_KPdEEviiiT16_PT17_ilSA_ilS8_SA_ilPT18_ili26rocblas_geam_ex_operation_ ; -- Begin function _ZN12_GLOBAL__N_120geam_min_plus_kernelId15HIP_vector_typeIdLj2EEdLi8ELi32ELi64ELi256ELi4ELi4ELi64ELi64ELi4ELc84ELc84ELb0ELb0ELb1EPKdKS4_KPdEEviiiT16_PT17_ilSA_ilS8_SA_ilPT18_ili26rocblas_geam_ex_operation_
	.p2align	8
	.type	_ZN12_GLOBAL__N_120geam_min_plus_kernelId15HIP_vector_typeIdLj2EEdLi8ELi32ELi64ELi256ELi4ELi4ELi64ELi64ELi4ELc84ELc84ELb0ELb0ELb1EPKdKS4_KPdEEviiiT16_PT17_ilSA_ilS8_SA_ilPT18_ili26rocblas_geam_ex_operation_,@function
_ZN12_GLOBAL__N_120geam_min_plus_kernelId15HIP_vector_typeIdLj2EEdLi8ELi32ELi64ELi256ELi4ELi4ELi64ELi64ELi4ELc84ELc84ELb0ELb0ELb1EPKdKS4_KPdEEviiiT16_PT17_ilSA_ilS8_SA_ilPT18_ili26rocblas_geam_ex_operation_: ; @_ZN12_GLOBAL__N_120geam_min_plus_kernelId15HIP_vector_typeIdLj2EEdLi8ELi32ELi64ELi256ELi4ELi4ELi64ELi64ELi4ELc84ELc84ELb0ELb0ELb1EPKdKS4_KPdEEviiiT16_PT17_ilSA_ilS8_SA_ilPT18_ili26rocblas_geam_ex_operation_
; %bb.0:
	s_load_dwordx4 s[12:15], s[4:5], 0x10
	s_mov_b32 s0, s7
	s_mov_b32 s1, 0
	s_load_dwordx2 s[24:25], s[4:5], 0x50
	s_lshl_b64 s[22:23], s[0:1], 3
	s_load_dwordx4 s[0:3], s[4:5], 0x28
	s_mov_b64 s[18:19], 0
	s_mov_b64 s[20:21], 0
	s_waitcnt lgkmcnt(0)
	s_add_u32 s8, s12, s22
	s_addc_u32 s9, s13, s23
	s_load_dwordx2 s[16:17], s[8:9], 0x0
	s_load_dwordx4 s[8:11], s[4:5], 0x40
	s_waitcnt lgkmcnt(0)
	v_cmp_eq_f64_e64 s12, s[16:17], 0
	v_cmp_neq_f64_e64 s7, s[16:17], 0
	s_add_u32 s10, s10, s22
	s_addc_u32 s11, s11, s23
	s_and_b32 vcc_lo, exec_lo, s12
	s_cbranch_vccnz .LBB123_2
; %bb.1:
	s_add_u32 s12, s14, s22
	s_addc_u32 s13, s15, s23
	s_lshl_b64 s[0:1], s[0:1], 3
	s_load_dwordx2 s[12:13], s[12:13], 0x0
	s_waitcnt lgkmcnt(0)
	s_add_u32 s20, s12, s0
	s_addc_u32 s21, s13, s1
.LBB123_2:
	s_load_dwordx2 s[12:13], s[10:11], 0x0
	v_cndmask_b32_e64 v2, 0, 1, s7
	s_andn2_b32 vcc_lo, exec_lo, s7
	v_cmp_ne_u32_e64 s1, 1, v2
	s_cbranch_vccnz .LBB123_4
; %bb.3:
	s_add_u32 s2, s2, s22
	s_addc_u32 s3, s3, s23
	s_lshl_b64 s[8:9], s[8:9], 3
	s_load_dwordx2 s[2:3], s[2:3], 0x0
	s_waitcnt lgkmcnt(0)
	s_add_u32 s18, s2, s8
	s_addc_u32 s19, s3, s9
.LBB123_4:
	s_waitcnt lgkmcnt(0)
	v_cmp_eq_f64_e64 s0, s[12:13], 0
	s_load_dwordx4 s[8:11], s[4:5], 0x60
	s_mov_b64 s[2:3], 0
	s_and_b32 s0, exec_lo, s0
	s_mov_b32 vcc_lo, s0
	s_cbranch_vccnz .LBB123_6
; %bb.5:
	s_add_u32 s2, s24, s22
	s_addc_u32 s3, s25, s23
	s_waitcnt lgkmcnt(0)
	s_lshl_b64 s[8:9], s[8:9], 3
	s_load_dwordx2 s[2:3], s[2:3], 0x0
	s_waitcnt lgkmcnt(0)
	s_add_u32 s2, s2, s8
	s_addc_u32 s3, s3, s9
.LBB123_6:
	s_clause 0x1
	s_load_dword s14, s[4:5], 0x0
	s_load_dword s7, s[4:5], 0x20
	s_waitcnt lgkmcnt(0)
	s_add_u32 s8, s10, s22
	s_addc_u32 s9, s11, s23
	v_lshl_add_u32 v6, v1, 3, v0
	v_and_b32_e32 v7, 3, v0
	v_mov_b32_e32 v4, 0
	v_mov_b32_e32 v5, 0
	v_lshrrev_b32_e32 v78, 2, v6
	v_lshlrev_b32_e32 v76, 3, v7
	s_add_i32 s10, s14, -1
	s_ashr_i32 s11, s10, 31
	s_lshr_b32 s11, s11, 26
	s_add_i32 s10, s10, s11
	s_ashr_i32 s10, s10, 6
	s_add_i32 s14, s10, 1
	s_not_b32 s10, s10
	v_cvt_f32_u32_e32 v2, s14
	v_rcp_iflag_f32_e32 v2, v2
	v_mul_f32_e32 v2, 0x4f7ffffe, v2
	v_cvt_u32_f32_e32 v2, v2
	v_readfirstlane_b32 s11, v2
	v_mov_b32_e32 v2, 0
	v_mov_b32_e32 v3, 0
	s_mul_i32 s10, s10, s11
	s_mul_hi_u32 s10, s11, s10
	s_add_i32 s11, s11, s10
	s_mul_hi_u32 s10, s6, s11
	s_mul_i32 s11, s10, s14
	s_add_i32 s15, s10, 1
	s_sub_i32 s11, s6, s11
	s_sub_i32 s22, s11, s14
	s_cmp_ge_u32 s11, s14
	s_cselect_b32 s10, s15, s10
	s_cselect_b32 s11, s22, s11
	s_add_i32 s15, s10, 1
	s_cmp_ge_u32 s11, s14
	s_cselect_b32 s11, s15, s10
	s_and_b32 vcc_lo, exec_lo, s1
	s_mul_i32 s22, s11, s14
	s_sub_i32 s10, s6, s22
	s_lshl_b32 s14, s10, 6
	v_add_nc_u32_e32 v14, s14, v78
	s_cbranch_vccnz .LBB123_8
; %bb.7:
	v_mad_i64_i32 v[4:5], null, v14, s7, 0
	v_lshlrev_b64 v[4:5], 3, v[4:5]
	v_add_co_u32 v4, vcc_lo, s20, v4
	v_add_co_ci_u32_e64 v5, null, s21, v5, vcc_lo
	v_add_co_u32 v4, vcc_lo, v4, v76
	v_add_co_ci_u32_e64 v5, null, 0, v5, vcc_lo
	flat_load_dwordx2 v[4:5], v[4:5]
	s_waitcnt vmcnt(0) lgkmcnt(0)
	v_mul_f64 v[4:5], s[16:17], v[4:5]
.LBB123_8:
	s_load_dword s10, s[4:5], 0x38
	v_lshrrev_b32_e32 v77, 6, v6
	v_and_b32_e32 v79, 63, v6
	s_lshl_b32 s15, s11, 8
	s_waitcnt lgkmcnt(0)
	v_mad_i64_i32 v[7:8], null, s10, v77, 0
	s_ashr_i32 s11, s10, 31
	v_lshlrev_b64 v[9:10], 3, v[7:8]
	v_or_b32_e32 v8, s15, v79
	v_mov_b32_e32 v6, 0
	v_mov_b32_e32 v7, 0
	v_add_co_u32 v15, vcc_lo, s18, v9
	v_add_co_ci_u32_e64 v16, null, s19, v10, vcc_lo
	v_ashrrev_i32_e32 v9, 31, v8
	s_and_b32 vcc_lo, exec_lo, s1
	s_cbranch_vccnz .LBB123_10
; %bb.9:
	v_lshlrev_b64 v[2:3], 3, v[8:9]
	v_add_co_u32 v2, vcc_lo, v15, v2
	v_add_co_ci_u32_e64 v3, null, v16, v3, vcc_lo
	s_clause 0x1
	flat_load_dwordx2 v[6:7], v[2:3]
	flat_load_dwordx2 v[10:11], v[2:3] offset:512
	s_waitcnt vmcnt(1) lgkmcnt(1)
	v_mul_f64 v[2:3], s[16:17], v[6:7]
	s_waitcnt vmcnt(0) lgkmcnt(0)
	v_mul_f64 v[6:7], s[16:17], v[10:11]
.LBB123_10:
	v_mov_b32_e32 v66, 0
	v_mov_b32_e32 v10, 0
	;; [unrolled: 1-line block ×6, first 2 shown]
	s_and_b32 vcc_lo, exec_lo, s1
	s_cbranch_vccnz .LBB123_12
; %bb.11:
	v_lshlrev_b64 v[10:11], 3, v[8:9]
	v_add_co_u32 v10, vcc_lo, v15, v10
	v_add_co_ci_u32_e64 v11, null, v16, v11, vcc_lo
	s_clause 0x1
	flat_load_dwordx2 v[12:13], v[10:11] offset:1024
	flat_load_dwordx2 v[15:16], v[10:11] offset:1536
	s_waitcnt vmcnt(1) lgkmcnt(1)
	v_mul_f64 v[10:11], s[16:17], v[12:13]
	s_waitcnt vmcnt(0) lgkmcnt(0)
	v_mul_f64 v[12:13], s[16:17], v[15:16]
.LBB123_12:
	s_and_b32 vcc_lo, exec_lo, s1
	s_cbranch_vccnz .LBB123_14
; %bb.13:
	v_mad_i64_i32 v[14:15], null, v14, s7, 0
	v_lshlrev_b64 v[14:15], 3, v[14:15]
	v_add_co_u32 v14, vcc_lo, s20, v14
	v_add_co_ci_u32_e64 v15, null, s21, v15, vcc_lo
	v_add_co_u32 v14, vcc_lo, v14, v76
	v_add_co_ci_u32_e64 v15, null, 0, v15, vcc_lo
	flat_load_dwordx2 v[14:15], v[14:15] offset:32
	s_waitcnt vmcnt(0) lgkmcnt(0)
	v_mul_f64 v[66:67], s[16:17], v[14:15]
.LBB123_14:
	v_add_nc_u32_e32 v14, 4, v77
	v_mov_b32_e32 v68, 0
	v_mov_b32_e32 v70, 0
	;; [unrolled: 1-line block ×4, first 2 shown]
	v_mad_i64_i32 v[14:15], null, s10, v14, 0
	v_mov_b32_e32 v71, 0
	v_mov_b32_e32 v73, 0
	v_lshlrev_b64 v[14:15], 3, v[14:15]
	v_add_co_u32 v14, vcc_lo, s18, v14
	v_add_co_ci_u32_e64 v15, null, s19, v15, vcc_lo
	s_and_b32 vcc_lo, exec_lo, s1
	s_cbranch_vccnz .LBB123_16
; %bb.15:
	v_lshlrev_b64 v[16:17], 3, v[8:9]
	v_add_co_u32 v16, vcc_lo, v14, v16
	v_add_co_ci_u32_e64 v17, null, v15, v17, vcc_lo
	s_clause 0x1
	flat_load_dwordx2 v[18:19], v[16:17]
	flat_load_dwordx2 v[16:17], v[16:17] offset:512
	s_waitcnt vmcnt(1) lgkmcnt(1)
	v_mul_f64 v[70:71], s[16:17], v[18:19]
	s_waitcnt vmcnt(0) lgkmcnt(0)
	v_mul_f64 v[72:73], s[16:17], v[16:17]
.LBB123_16:
	v_mov_b32_e32 v74, 0
	v_mov_b32_e32 v75, 0
	s_and_b32 vcc_lo, exec_lo, s1
	s_cbranch_vccnz .LBB123_18
; %bb.17:
	v_lshlrev_b64 v[8:9], 3, v[8:9]
	v_add_co_u32 v8, vcc_lo, v14, v8
	v_add_co_ci_u32_e64 v9, null, v15, v9, vcc_lo
	s_clause 0x1
	flat_load_dwordx2 v[14:15], v[8:9] offset:1024
	flat_load_dwordx2 v[8:9], v[8:9] offset:1536
	s_waitcnt vmcnt(1) lgkmcnt(1)
	v_mul_f64 v[68:69], s[16:17], v[14:15]
	s_waitcnt vmcnt(0) lgkmcnt(0)
	v_mul_f64 v[74:75], s[16:17], v[8:9]
.LBB123_18:
	v_lshl_or_b32 v80, v78, 5, v76
	s_load_dwordx2 s[8:9], s[8:9], 0x0
	s_load_dword s23, s[4:5], 0x8
	v_lshlrev_b32_e32 v149, 5, v0
	v_lshlrev_b32_e32 v148, 5, v1
	ds_write_b64 v80, v[4:5] offset:16384
	v_lshlrev_b32_e32 v4, 5, v79
	v_lshl_add_u32 v150, v77, 3, v4
	ds_write2st64_b64 v150, v[2:3], v[6:7] offset1:4
	ds_write2st64_b64 v150, v[10:11], v[12:13] offset0:8 offset1:12
	s_waitcnt lgkmcnt(0)
	s_barrier
	buffer_gl0_inv
	ds_read_b128 v[10:13], v149 offset:16640
	ds_read_b128 v[14:17], v149 offset:16896
	;; [unrolled: 1-line block ×16, first 2 shown]
	ds_read_b128 v[85:88], v148
	ds_read_b128 v[6:9], v148 offset:16
	s_cmp_lt_i32 s23, 9
	s_waitcnt lgkmcnt(1)
	v_add_f64 v[89:90], v[83:84], v[87:88]
	v_add_f64 v[91:92], v[81:82], v[85:86]
	s_waitcnt lgkmcnt(0)
	v_add_f64 v[145:146], v[4:5], v[8:9]
	v_add_f64 v[151:152], v[2:3], v[6:7]
	v_cvt_f32_f64_e32 v89, v[89:90]
	v_cvt_f32_f64_e32 v91, v[91:92]
	;; [unrolled: 1-line block ×4, first 2 shown]
	v_min3_f32 v144, v91, v89, 0x7f800000
	v_add_f64 v[89:90], v[12:13], v[87:88]
	v_add_f64 v[91:92], v[10:11], v[85:86]
	v_min3_f32 v222, v147, v145, v144
	v_cvt_f32_f64_e32 v89, v[89:90]
	v_cvt_f32_f64_e32 v91, v[91:92]
	v_min3_f32 v143, v91, v89, 0x7f800000
	v_add_f64 v[89:90], v[16:17], v[87:88]
	v_add_f64 v[91:92], v[14:15], v[85:86]
	v_cvt_f32_f64_e32 v89, v[89:90]
	v_cvt_f32_f64_e32 v91, v[91:92]
	v_min3_f32 v142, v91, v89, 0x7f800000
	v_add_f64 v[89:90], v[20:21], v[87:88]
	v_add_f64 v[91:92], v[18:19], v[85:86]
	v_cvt_f32_f64_e32 v89, v[89:90]
	v_cvt_f32_f64_e32 v91, v[91:92]
	v_min3_f32 v141, v91, v89, 0x7f800000
	v_add_f64 v[89:90], v[24:25], v[87:88]
	v_add_f64 v[91:92], v[22:23], v[85:86]
	v_cvt_f32_f64_e32 v89, v[89:90]
	v_cvt_f32_f64_e32 v91, v[91:92]
	v_min3_f32 v140, v91, v89, 0x7f800000
	v_add_f64 v[89:90], v[28:29], v[87:88]
	v_add_f64 v[91:92], v[26:27], v[85:86]
	v_cvt_f32_f64_e32 v89, v[89:90]
	v_cvt_f32_f64_e32 v91, v[91:92]
	v_min3_f32 v139, v91, v89, 0x7f800000
	v_add_f64 v[89:90], v[32:33], v[87:88]
	v_add_f64 v[91:92], v[30:31], v[85:86]
	v_add_f64 v[87:88], v[36:37], v[87:88]
	v_add_f64 v[85:86], v[34:35], v[85:86]
	v_cvt_f32_f64_e32 v89, v[89:90]
	v_cvt_f32_f64_e32 v91, v[91:92]
	;; [unrolled: 1-line block ×4, first 2 shown]
	v_add_f64 v[87:88], v[81:82], v[38:39]
	v_min3_f32 v138, v91, v89, 0x7f800000
	v_min3_f32 v137, v85, v86, 0x7f800000
	v_add_f64 v[85:86], v[83:84], v[40:41]
	v_cvt_f32_f64_e32 v87, v[87:88]
	v_cvt_f32_f64_e32 v85, v[85:86]
	v_min3_f32 v136, v87, v85, 0x7f800000
	v_add_f64 v[85:86], v[12:13], v[40:41]
	v_add_f64 v[87:88], v[10:11], v[38:39]
	v_cvt_f32_f64_e32 v85, v[85:86]
	v_cvt_f32_f64_e32 v87, v[87:88]
	v_min3_f32 v135, v87, v85, 0x7f800000
	v_add_f64 v[85:86], v[16:17], v[40:41]
	;; [unrolled: 5-line block ×6, first 2 shown]
	v_add_f64 v[87:88], v[30:31], v[38:39]
	v_add_f64 v[40:41], v[36:37], v[40:41]
	;; [unrolled: 1-line block ×3, first 2 shown]
	v_cvt_f32_f64_e32 v85, v[85:86]
	v_cvt_f32_f64_e32 v87, v[87:88]
	;; [unrolled: 1-line block ×4, first 2 shown]
	v_add_f64 v[40:41], v[81:82], v[42:43]
	v_min3_f32 v130, v87, v85, 0x7f800000
	v_min3_f32 v129, v38, v39, 0x7f800000
	v_add_f64 v[38:39], v[83:84], v[44:45]
	v_cvt_f32_f64_e32 v40, v[40:41]
	v_cvt_f32_f64_e32 v38, v[38:39]
	v_min3_f32 v128, v40, v38, 0x7f800000
	v_add_f64 v[38:39], v[12:13], v[44:45]
	v_add_f64 v[40:41], v[10:11], v[42:43]
	v_cvt_f32_f64_e32 v38, v[38:39]
	v_cvt_f32_f64_e32 v40, v[40:41]
	v_min3_f32 v127, v40, v38, 0x7f800000
	v_add_f64 v[38:39], v[16:17], v[44:45]
	;; [unrolled: 5-line block ×33, first 2 shown]
	v_add_f64 v[40:41], v[10:11], v[58:59]
	v_add_f64 v[12:13], v[12:13], v[64:65]
	;; [unrolled: 1-line block ×3, first 2 shown]
	v_cvt_f32_f64_e32 v38, v[38:39]
	v_cvt_f32_f64_e32 v40, v[40:41]
	;; [unrolled: 1-line block ×4, first 2 shown]
	v_add_f64 v[12:13], v[14:15], v[62:63]
	v_min3_f32 v95, v40, v38, 0x7f800000
	v_add_f64 v[38:39], v[16:17], v[60:61]
	v_add_f64 v[40:41], v[14:15], v[58:59]
	v_min3_f32 v87, v10, v11, 0x7f800000
	v_add_f64 v[10:11], v[16:17], v[64:65]
	v_cvt_f32_f64_e32 v12, v[12:13]
	v_cvt_f32_f64_e32 v38, v[38:39]
	v_cvt_f32_f64_e32 v40, v[40:41]
	v_cvt_f32_f64_e32 v10, v[10:11]
	v_min3_f32 v94, v40, v38, 0x7f800000
	v_add_f64 v[38:39], v[20:21], v[60:61]
	v_add_f64 v[40:41], v[18:19], v[58:59]
	v_min3_f32 v86, v12, v10, 0x7f800000
	v_add_f64 v[10:11], v[20:21], v[64:65]
	v_add_f64 v[12:13], v[18:19], v[62:63]
	v_cvt_f32_f64_e32 v38, v[38:39]
	v_cvt_f32_f64_e32 v40, v[40:41]
	;; [unrolled: 1-line block ×4, first 2 shown]
	v_min3_f32 v93, v40, v38, 0x7f800000
	v_add_f64 v[38:39], v[24:25], v[60:61]
	v_add_f64 v[40:41], v[22:23], v[58:59]
	v_min3_f32 v85, v12, v10, 0x7f800000
	v_add_f64 v[10:11], v[24:25], v[64:65]
	v_add_f64 v[12:13], v[22:23], v[62:63]
	v_cvt_f32_f64_e32 v38, v[38:39]
	v_cvt_f32_f64_e32 v40, v[40:41]
	;; [unrolled: 1-line block ×4, first 2 shown]
	v_min3_f32 v92, v40, v38, 0x7f800000
	v_add_f64 v[38:39], v[28:29], v[60:61]
	v_add_f64 v[40:41], v[26:27], v[58:59]
	v_cvt_f32_f64_e32 v38, v[38:39]
	v_cvt_f32_f64_e32 v40, v[40:41]
	v_min3_f32 v91, v40, v38, 0x7f800000
	v_add_f64 v[38:39], v[32:33], v[60:61]
	v_add_f64 v[40:41], v[30:31], v[58:59]
	v_cvt_f32_f64_e32 v38, v[38:39]
	v_cvt_f32_f64_e32 v40, v[40:41]
	;; [unrolled: 5-line block ×3, first 2 shown]
	v_min3_f32 v89, v40, v38, 0x7f800000
	v_add_f64 v[38:39], v[83:84], v[64:65]
	v_min3_f32 v84, v12, v10, 0x7f800000
	v_add_f64 v[10:11], v[28:29], v[64:65]
	v_add_f64 v[12:13], v[26:27], v[62:63]
	;; [unrolled: 1-line block ×3, first 2 shown]
	v_cvt_f32_f64_e32 v38, v[38:39]
	v_cvt_f32_f64_e32 v10, v[10:11]
	;; [unrolled: 1-line block ×4, first 2 shown]
	v_min3_f32 v83, v12, v10, 0x7f800000
	v_add_f64 v[10:11], v[32:33], v[64:65]
	v_add_f64 v[12:13], v[30:31], v[62:63]
	v_min3_f32 v88, v40, v38, 0x7f800000
	v_cvt_f32_f64_e32 v10, v[10:11]
	v_cvt_f32_f64_e32 v12, v[12:13]
	v_min3_f32 v82, v12, v10, 0x7f800000
	v_add_f64 v[10:11], v[36:37], v[64:65]
	v_add_f64 v[12:13], v[34:35], v[62:63]
	v_cvt_f32_f64_e32 v10, v[10:11]
	v_cvt_f32_f64_e32 v12, v[12:13]
	v_min3_f32 v81, v12, v10, 0x7f800000
	ds_read_b128 v[34:37], v149 offset:16656
	ds_read_b128 v[30:33], v149 offset:16912
	;; [unrolled: 1-line block ×14, first 2 shown]
	ds_write_b64 v80, v[66:67] offset:18432
	ds_write2st64_b64 v150, v[70:71], v[72:73] offset0:16 offset1:20
	ds_write2st64_b64 v150, v[68:69], v[74:75] offset0:24 offset1:28
	s_waitcnt lgkmcnt(0)
	s_barrier
	buffer_gl0_inv
	v_add_f64 v[144:145], v[36:37], v[8:9]
	v_add_f64 v[146:147], v[34:35], v[6:7]
	v_cvt_f32_f64_e32 v144, v[144:145]
	v_cvt_f32_f64_e32 v146, v[146:147]
	v_min3_f32 v220, v146, v144, v143
	v_add_f64 v[143:144], v[32:33], v[8:9]
	v_add_f64 v[145:146], v[30:31], v[6:7]
	v_cvt_f32_f64_e32 v143, v[143:144]
	v_cvt_f32_f64_e32 v145, v[145:146]
	v_min3_f32 v221, v145, v143, v142
	;; [unrolled: 5-line block ×5, first 2 shown]
	v_add_f64 v[139:140], v[16:17], v[8:9]
	v_add_f64 v[141:142], v[14:15], v[6:7]
	;; [unrolled: 1-line block ×4, first 2 shown]
	v_cvt_f32_f64_e32 v139, v[139:140]
	v_cvt_f32_f64_e32 v141, v[141:142]
	;; [unrolled: 1-line block ×4, first 2 shown]
	v_add_f64 v[8:9], v[2:3], v[62:63]
	v_min3_f32 v217, v141, v139, v138
	v_min3_f32 v214, v6, v7, v137
	v_add_f64 v[6:7], v[4:5], v[64:65]
	v_cvt_f32_f64_e32 v8, v[8:9]
	v_cvt_f32_f64_e32 v6, v[6:7]
	v_min3_f32 v215, v8, v6, v136
	v_add_f64 v[6:7], v[36:37], v[64:65]
	v_add_f64 v[8:9], v[34:35], v[62:63]
	v_cvt_f32_f64_e32 v6, v[6:7]
	v_cvt_f32_f64_e32 v8, v[8:9]
	v_min3_f32 v212, v8, v6, v135
	v_add_f64 v[6:7], v[32:33], v[64:65]
	;; [unrolled: 5-line block ×40, first 2 shown]
	v_add_f64 v[8:9], v[2:3], v[42:43]
	v_add_f64 v[4:5], v[4:5], v[40:41]
	;; [unrolled: 1-line block ×3, first 2 shown]
	v_cvt_f32_f64_e32 v6, v[6:7]
	v_cvt_f32_f64_e32 v8, v[8:9]
	;; [unrolled: 1-line block ×4, first 2 shown]
	v_add_f64 v[4:5], v[34:35], v[38:39]
	v_min3_f32 v173, v8, v6, v96
	v_add_f64 v[6:7], v[36:37], v[44:45]
	v_add_f64 v[8:9], v[34:35], v[42:43]
	v_min3_f32 v158, v2, v3, v88
	v_add_f64 v[2:3], v[36:37], v[40:41]
	v_cvt_f32_f64_e32 v4, v[4:5]
	v_cvt_f32_f64_e32 v6, v[6:7]
	v_cvt_f32_f64_e32 v8, v[8:9]
	v_cvt_f32_f64_e32 v2, v[2:3]
	v_min3_f32 v164, v8, v6, v95
	v_add_f64 v[6:7], v[32:33], v[44:45]
	v_add_f64 v[8:9], v[30:31], v[42:43]
	v_min3_f32 v157, v4, v2, v87
	v_add_f64 v[2:3], v[32:33], v[40:41]
	v_add_f64 v[4:5], v[30:31], v[38:39]
	v_cvt_f32_f64_e32 v6, v[6:7]
	v_cvt_f32_f64_e32 v8, v[8:9]
	v_cvt_f32_f64_e32 v2, v[2:3]
	v_cvt_f32_f64_e32 v4, v[4:5]
	v_min3_f32 v165, v8, v6, v94
	v_add_f64 v[6:7], v[28:29], v[44:45]
	v_add_f64 v[8:9], v[26:27], v[42:43]
	v_min3_f32 v156, v4, v2, v86
	v_add_f64 v[2:3], v[28:29], v[40:41]
	;; [unrolled: 10-line block ×6, first 2 shown]
	v_add_f64 v[4:5], v[10:11], v[38:39]
	v_cvt_f32_f64_e32 v6, v[6:7]
	v_cvt_f32_f64_e32 v8, v[8:9]
	;; [unrolled: 1-line block ×4, first 2 shown]
	v_min3_f32 v159, v8, v6, v89
	v_min3_f32 v151, v4, v2, v81
	s_cbranch_scc1 .LBB123_33
; %bb.19:
	v_lshl_add_u32 v2, s6, 6, v78
	s_lshl_b32 s6, s22, 6
	v_add_nc_u32_e32 v4, s15, v79
	v_add_nc_u32_e32 v6, 12, v77
	v_add_nc_u32_e32 v8, 8, v77
	v_subrev_nc_u32_e32 v2, s6, v2
	v_add_nc_u32_e32 v166, 0x4000, v80
	v_ashrrev_i32_e32 v5, 31, v4
	v_mad_i64_i32 v[6:7], null, v6, s10, 0
	v_mad_i64_i32 v[2:3], null, s7, v2, 0
	v_mad_i64_i32 v[8:9], null, v8, s10, 0
	v_lshlrev_b64 v[4:5], 3, v[4:5]
	v_or_b32_e32 v167, 0x4000, v149
	v_lshlrev_b64 v[130:131], 3, v[6:7]
	v_add_nc_u32_e32 v168, 0x4800, v80
	v_lshlrev_b64 v[2:3], 3, v[2:3]
	v_or_b32_e32 v169, 0x2000, v150
	v_lshlrev_b64 v[132:133], 3, v[8:9]
	v_lshl_add_u32 v171, v0, 5, 0x4800
	v_lshl_or_b32 v172, v1, 5, 0x2000
	s_lshl_b64 s[6:7], s[10:11], 6
	v_add_co_u32 v2, vcc_lo, v2, v76
	v_add_co_ci_u32_e64 v3, null, 0, v3, vcc_lo
	s_mov_b32 s10, 0
	v_add_co_u32 v2, vcc_lo, s20, v2
	v_add_co_ci_u32_e64 v3, null, s21, v3, vcc_lo
	v_add_co_u32 v134, vcc_lo, v2, 64
	v_add_co_ci_u32_e64 v135, null, 0, v3, vcc_lo
	;; [unrolled: 2-line block ×3, first 2 shown]
	s_add_i32 s18, s23, -8
	s_branch .LBB123_21
.LBB123_20:                             ;   in Loop: Header=BB123_21 Depth=1
	v_add_f64 v[146:147], v[100:101], v[128:129]
	v_add_f64 v[223:224], v[98:99], v[126:127]
	v_add_co_u32 v134, vcc_lo, v134, 64
	v_add_co_ci_u32_e64 v135, null, 0, v135, vcc_lo
	v_add_co_u32 v174, vcc_lo, v174, s6
	v_add_co_ci_u32_e64 v175, null, s7, v175, vcc_lo
	s_add_i32 s10, s10, 8
	s_cmp_ge_i32 s10, s18
	v_cvt_f32_f64_e32 v146, v[146:147]
	v_cvt_f32_f64_e32 v223, v[223:224]
	v_min3_f32 v222, v223, v146, v222
	v_add_f64 v[146:147], v[96:97], v[128:129]
	v_add_f64 v[223:224], v[94:95], v[126:127]
	v_cvt_f32_f64_e32 v146, v[146:147]
	v_cvt_f32_f64_e32 v223, v[223:224]
	v_min3_f32 v220, v223, v146, v220
	v_add_f64 v[146:147], v[92:93], v[128:129]
	v_add_f64 v[223:224], v[90:91], v[126:127]
	;; [unrolled: 5-line block ×3, first 2 shown]
	v_cvt_f32_f64_e32 v146, v[146:147]
	v_cvt_f32_f64_e32 v223, v[223:224]
	v_add_f64 v[224:225], v[82:83], v[126:127]
	v_min3_f32 v223, v223, v146, v218
	v_add_f64 v[146:147], v[84:85], v[128:129]
	v_cvt_f32_f64_e32 v218, v[224:225]
	v_add_f64 v[224:225], v[78:79], v[126:127]
	v_cvt_f32_f64_e32 v146, v[146:147]
	v_min3_f32 v219, v218, v146, v219
	v_add_f64 v[146:147], v[80:81], v[128:129]
	v_cvt_f32_f64_e32 v218, v[224:225]
	v_add_f64 v[224:225], v[70:71], v[126:127]
	v_add_f64 v[126:127], v[66:67], v[126:127]
	v_cvt_f32_f64_e32 v146, v[146:147]
	v_cvt_f32_f64_e32 v126, v[126:127]
	v_min3_f32 v216, v218, v146, v216
	v_add_f64 v[146:147], v[72:73], v[128:129]
	v_add_f64 v[128:129], v[68:69], v[128:129]
	v_cvt_f32_f64_e32 v218, v[224:225]
	v_cvt_f32_f64_e32 v146, v[146:147]
	;; [unrolled: 1-line block ×3, first 2 shown]
	v_add_f64 v[128:129], v[98:99], v[122:123]
	v_min3_f32 v217, v218, v146, v217
	v_min3_f32 v214, v126, v127, v214
	v_add_f64 v[126:127], v[100:101], v[124:125]
	v_cvt_f32_f64_e32 v128, v[128:129]
	v_add_f64 v[146:147], v[82:83], v[106:107]
	v_cvt_f32_f64_e32 v126, v[126:127]
	v_min3_f32 v218, v128, v126, v215
	v_add_f64 v[126:127], v[96:97], v[124:125]
	v_add_f64 v[128:129], v[94:95], v[122:123]
	v_cvt_f32_f64_e32 v126, v[126:127]
	v_cvt_f32_f64_e32 v128, v[128:129]
	v_min3_f32 v215, v128, v126, v212
	v_add_f64 v[126:127], v[92:93], v[124:125]
	v_add_f64 v[128:129], v[90:91], v[122:123]
	v_cvt_f32_f64_e32 v126, v[126:127]
	;; [unrolled: 5-line block ×5, first 2 shown]
	v_cvt_f32_f64_e32 v128, v[128:129]
	v_min3_f32 v208, v128, v126, v208
	v_add_f64 v[126:127], v[72:73], v[124:125]
	v_add_f64 v[128:129], v[70:71], v[122:123]
	;; [unrolled: 1-line block ×4, first 2 shown]
	v_cvt_f32_f64_e32 v126, v[126:127]
	v_cvt_f32_f64_e32 v128, v[128:129]
	;; [unrolled: 1-line block ×4, first 2 shown]
	v_add_f64 v[124:125], v[98:99], v[118:119]
	v_min3_f32 v209, v128, v126, v209
	v_min3_f32 v207, v122, v123, v207
	v_add_f64 v[122:123], v[100:101], v[120:121]
	v_cvt_f32_f64_e32 v124, v[124:125]
	v_cvt_f32_f64_e32 v122, v[122:123]
	v_min3_f32 v206, v124, v122, v206
	v_add_f64 v[122:123], v[96:97], v[120:121]
	v_add_f64 v[124:125], v[94:95], v[118:119]
	v_cvt_f32_f64_e32 v122, v[122:123]
	v_cvt_f32_f64_e32 v124, v[124:125]
	v_min3_f32 v204, v124, v122, v204
	v_add_f64 v[122:123], v[92:93], v[120:121]
	;; [unrolled: 5-line block ×6, first 2 shown]
	v_add_f64 v[124:125], v[70:71], v[118:119]
	v_add_f64 v[120:121], v[68:69], v[120:121]
	;; [unrolled: 1-line block ×3, first 2 shown]
	v_cvt_f32_f64_e32 v122, v[122:123]
	v_cvt_f32_f64_e32 v124, v[124:125]
	;; [unrolled: 1-line block ×4, first 2 shown]
	v_add_f64 v[120:121], v[98:99], v[114:115]
	v_min3_f32 v201, v124, v122, v201
	v_min3_f32 v198, v118, v119, v198
	v_add_f64 v[118:119], v[100:101], v[116:117]
	v_cvt_f32_f64_e32 v120, v[120:121]
	v_cvt_f32_f64_e32 v118, v[118:119]
	v_min3_f32 v199, v120, v118, v199
	v_add_f64 v[118:119], v[96:97], v[116:117]
	v_add_f64 v[120:121], v[94:95], v[114:115]
	v_cvt_f32_f64_e32 v118, v[118:119]
	v_cvt_f32_f64_e32 v120, v[120:121]
	v_min3_f32 v196, v120, v118, v196
	v_add_f64 v[118:119], v[92:93], v[116:117]
	;; [unrolled: 5-line block ×3, first 2 shown]
	v_add_f64 v[120:121], v[86:87], v[114:115]
	v_cvt_f32_f64_e32 v118, v[118:119]
	v_cvt_f32_f64_e32 v120, v[120:121]
	v_add_f64 v[121:122], v[82:83], v[114:115]
	v_min3_f32 v118, v120, v118, v194
	v_add_f64 v[119:120], v[84:85], v[116:117]
	v_cvt_f32_f64_e32 v121, v[121:122]
	v_add_f64 v[122:123], v[78:79], v[114:115]
	v_cvt_f32_f64_e32 v119, v[119:120]
	v_cvt_f32_f64_e32 v122, v[122:123]
	v_add_f64 v[123:124], v[70:71], v[114:115]
	v_add_f64 v[114:115], v[66:67], v[114:115]
	v_min3_f32 v119, v121, v119, v195
	v_add_f64 v[120:121], v[80:81], v[116:117]
	v_cvt_f32_f64_e32 v123, v[123:124]
	v_cvt_f32_f64_e32 v114, v[114:115]
	v_add_f64 v[124:125], v[90:91], v[110:111]
	v_cvt_f32_f64_e32 v120, v[120:121]
	v_min3_f32 v120, v122, v120, v192
	v_add_f64 v[121:122], v[72:73], v[116:117]
	v_add_f64 v[116:117], v[68:69], v[116:117]
	v_cvt_f32_f64_e32 v121, v[121:122]
	v_cvt_f32_f64_e32 v115, v[116:117]
	v_min3_f32 v121, v123, v121, v193
	v_min3_f32 v114, v114, v115, v190
	v_add_f64 v[115:116], v[100:101], v[112:113]
	v_add_f64 v[122:123], v[98:99], v[110:111]
	v_cvt_f32_f64_e32 v115, v[115:116]
	v_cvt_f32_f64_e32 v117, v[122:123]
	v_add_f64 v[122:123], v[94:95], v[110:111]
	v_min3_f32 v115, v117, v115, v191
	v_add_f64 v[116:117], v[96:97], v[112:113]
	v_cvt_f32_f64_e32 v122, v[122:123]
	v_cvt_f32_f64_e32 v116, v[116:117]
	;; [unrolled: 1-line block ×3, first 2 shown]
	v_add_f64 v[124:125], v[86:87], v[110:111]
	v_min3_f32 v116, v122, v116, v188
	v_add_f64 v[122:123], v[92:93], v[112:113]
	v_cvt_f32_f64_e32 v124, v[124:125]
	v_add_f64 v[125:126], v[82:83], v[110:111]
	v_cvt_f32_f64_e32 v122, v[122:123]
	v_cvt_f32_f64_e32 v125, v[125:126]
	v_add_f64 v[126:127], v[78:79], v[110:111]
	v_min3_f32 v117, v117, v122, v189
	v_add_f64 v[122:123], v[88:89], v[112:113]
	v_cvt_f32_f64_e32 v126, v[126:127]
	v_add_f64 v[127:128], v[70:71], v[110:111]
	v_add_f64 v[110:111], v[66:67], v[110:111]
	v_cvt_f32_f64_e32 v122, v[122:123]
	v_cvt_f32_f64_e32 v127, v[127:128]
	;; [unrolled: 1-line block ×3, first 2 shown]
	v_min3_f32 v122, v124, v122, v186
	v_add_f64 v[123:124], v[84:85], v[112:113]
	v_cvt_f32_f64_e32 v123, v[123:124]
	v_min3_f32 v123, v125, v123, v187
	v_add_f64 v[124:125], v[80:81], v[112:113]
	v_cvt_f32_f64_e32 v124, v[124:125]
	v_min3_f32 v124, v126, v124, v185
	v_add_f64 v[125:126], v[72:73], v[112:113]
	v_add_f64 v[112:113], v[68:69], v[112:113]
	v_cvt_f32_f64_e32 v125, v[125:126]
	v_cvt_f32_f64_e32 v111, v[112:113]
	v_min3_f32 v125, v127, v125, v184
	v_min3_f32 v112, v110, v111, v182
	v_add_f64 v[110:111], v[100:101], v[108:109]
	v_add_f64 v[126:127], v[98:99], v[106:107]
	v_cvt_f32_f64_e32 v110, v[110:111]
	v_cvt_f32_f64_e32 v113, v[126:127]
	v_add_f64 v[126:127], v[94:95], v[106:107]
	v_min3_f32 v113, v113, v110, v183
	v_add_f64 v[110:111], v[96:97], v[108:109]
	v_cvt_f32_f64_e32 v126, v[126:127]
	v_add_f64 v[127:128], v[90:91], v[106:107]
	v_cvt_f32_f64_e32 v110, v[110:111]
	v_cvt_f32_f64_e32 v127, v[127:128]
	v_add_f64 v[128:129], v[86:87], v[106:107]
	v_min3_f32 v126, v126, v110, v180
	v_add_f64 v[110:111], v[92:93], v[108:109]
	v_cvt_f32_f64_e32 v128, v[128:129]
	v_cvt_f32_f64_e32 v129, v[146:147]
	v_add_f64 v[146:147], v[78:79], v[106:107]
	v_cvt_f32_f64_e32 v110, v[110:111]
	v_cvt_f32_f64_e32 v146, v[146:147]
	v_min3_f32 v127, v127, v110, v181
	v_add_f64 v[110:111], v[88:89], v[108:109]
	v_cvt_f32_f64_e32 v110, v[110:111]
	v_min3_f32 v128, v128, v110, v178
	v_add_f64 v[110:111], v[84:85], v[108:109]
	;; [unrolled: 3-line block ×3, first 2 shown]
	v_add_f64 v[178:179], v[70:71], v[106:107]
	v_add_f64 v[106:107], v[66:67], v[106:107]
	v_cvt_f32_f64_e32 v110, v[110:111]
	v_cvt_f32_f64_e32 v147, v[178:179]
	;; [unrolled: 1-line block ×3, first 2 shown]
	v_min3_f32 v146, v146, v110, v176
	v_add_f64 v[110:111], v[72:73], v[108:109]
	v_add_f64 v[108:109], v[68:69], v[108:109]
	v_cvt_f32_f64_e32 v110, v[110:111]
	v_cvt_f32_f64_e32 v107, v[108:109]
	v_add_f64 v[108:109], v[98:99], v[102:103]
	v_add_f64 v[98:99], v[98:99], v[74:75]
	v_min3_f32 v147, v147, v110, v177
	v_min3_f32 v170, v106, v107, v170
	v_add_f64 v[106:107], v[100:101], v[104:105]
	v_cvt_f32_f64_e32 v108, v[108:109]
	v_add_f64 v[100:101], v[100:101], v[76:77]
	v_cvt_f32_f64_e32 v98, v[98:99]
	v_cvt_f32_f64_e32 v106, v[106:107]
	v_cvt_f32_f64_e32 v99, v[100:101]
	v_min3_f32 v173, v108, v106, v173
	v_add_f64 v[106:107], v[96:97], v[104:105]
	v_add_f64 v[108:109], v[94:95], v[102:103]
	;; [unrolled: 1-line block ×4, first 2 shown]
	v_min3_f32 v98, v98, v99, v158
	v_add_f64 v[99:100], v[10:11], v[46:47]
	v_cvt_f32_f64_e32 v106, v[106:107]
	v_cvt_f32_f64_e32 v108, v[108:109]
	v_add_f64 v[109:110], v[90:91], v[102:103]
	v_add_f64 v[90:91], v[90:91], v[74:75]
	v_cvt_f32_f64_e32 v94, v[94:95]
	v_cvt_f32_f64_e32 v95, v[96:97]
	v_min3_f32 v106, v108, v106, v164
	v_add_f64 v[107:108], v[92:93], v[104:105]
	v_cvt_f32_f64_e32 v109, v[109:110]
	v_add_f64 v[110:111], v[86:87], v[102:103]
	v_add_f64 v[86:87], v[86:87], v[74:75]
	;; [unrolled: 1-line block ×3, first 2 shown]
	v_cvt_f32_f64_e32 v90, v[90:91]
	v_min3_f32 v94, v94, v95, v157
	v_add_f64 v[95:96], v[6:7], v[50:51]
	v_cvt_f32_f64_e32 v107, v[107:108]
	v_cvt_f32_f64_e32 v110, v[110:111]
	;; [unrolled: 1-line block ×4, first 2 shown]
	v_min3_f32 v107, v109, v107, v165
	v_add_f64 v[108:109], v[88:89], v[104:105]
	v_add_f64 v[164:165], v[82:83], v[102:103]
	;; [unrolled: 1-line block ×4, first 2 shown]
	v_min3_f32 v90, v90, v91, v156
	v_add_f64 v[91:92], v[26:27], v[50:51]
	v_cvt_f32_f64_e32 v108, v[108:109]
	v_cvt_f32_f64_e32 v111, v[164:165]
	v_add_f64 v[164:165], v[70:71], v[102:103]
	v_add_f64 v[70:71], v[70:71], v[74:75]
	v_cvt_f32_f64_e32 v82, v[82:83]
	v_cvt_f32_f64_e32 v87, v[88:89]
	v_min3_f32 v108, v110, v108, v162
	v_add_f64 v[109:110], v[84:85], v[104:105]
	v_add_f64 v[84:85], v[84:85], v[76:77]
	v_cvt_f32_f64_e32 v70, v[70:71]
	v_min3_f32 v86, v86, v87, v154
	v_add_f64 v[87:88], v[14:15], v[54:55]
	v_cvt_f32_f64_e32 v109, v[109:110]
	v_cvt_f32_f64_e32 v83, v[84:85]
	v_min3_f32 v109, v111, v109, v163
	v_add_f64 v[110:111], v[80:81], v[104:105]
	v_add_f64 v[162:163], v[78:79], v[102:103]
	v_add_f64 v[102:103], v[66:67], v[102:103]
	v_add_f64 v[66:67], v[66:67], v[74:75]
	v_add_f64 v[78:79], v[78:79], v[74:75]
	v_add_f64 v[74:75], v[26:27], v[62:63]
	v_add_f64 v[80:81], v[80:81], v[76:77]
	v_min3_f32 v82, v82, v83, v155
	v_add_f64 v[83:84], v[10:11], v[58:59]
	v_cvt_f32_f64_e32 v110, v[110:111]
	v_cvt_f32_f64_e32 v162, v[162:163]
	;; [unrolled: 1-line block ×7, first 2 shown]
	v_min3_f32 v110, v162, v110, v160
	v_add_f64 v[162:163], v[72:73], v[104:105]
	v_add_f64 v[104:105], v[68:69], v[104:105]
	;; [unrolled: 1-line block ×5, first 2 shown]
	v_min3_f32 v78, v78, v79, v152
	v_add_f64 v[79:80], v[26:27], v[58:59]
	v_cvt_f32_f64_e32 v160, v[162:163]
	v_cvt_f32_f64_e32 v103, v[104:105]
	;; [unrolled: 1-line block ×4, first 2 shown]
	v_add_f64 v[68:69], v[34:35], v[62:63]
	v_min3_f32 v111, v111, v160, v161
	v_min3_f32 v102, v102, v103, v159
	;; [unrolled: 1-line block ×3, first 2 shown]
	v_add_f64 v[66:67], v[36:37], v[64:65]
	v_cvt_f32_f64_e32 v68, v[68:69]
	v_min3_f32 v71, v70, v71, v153
	v_add_f64 v[69:70], v[30:31], v[62:63]
	v_cvt_f32_f64_e32 v66, v[66:67]
	v_cvt_f32_f64_e32 v69, v[69:70]
	;; [unrolled: 1-line block ×3, first 2 shown]
	v_add_f64 v[74:75], v[18:19], v[62:63]
	v_min3_f32 v66, v68, v66, v222
	v_add_f64 v[67:68], v[32:33], v[64:65]
	v_cvt_f32_f64_e32 v72, v[74:75]
	v_add_f64 v[74:75], v[16:17], v[64:65]
	v_cvt_f32_f64_e32 v67, v[67:68]
	v_min3_f32 v67, v69, v67, v220
	v_add_f64 v[68:69], v[28:29], v[64:65]
	v_cvt_f32_f64_e32 v68, v[68:69]
	v_min3_f32 v68, v70, v68, v221
	v_add_f64 v[69:70], v[20:21], v[64:65]
	v_cvt_f32_f64_e32 v69, v[69:70]
	v_cvt_f32_f64_e32 v70, v[76:77]
	v_add_f64 v[76:77], v[10:11], v[62:63]
	v_min3_f32 v69, v72, v69, v223
	v_cvt_f32_f64_e32 v72, v[74:75]
	v_add_f64 v[74:75], v[12:13], v[64:65]
	v_min3_f32 v70, v70, v72, v219
	v_cvt_f32_f64_e32 v72, v[76:77]
	v_cvt_f32_f64_e32 v74, v[74:75]
	v_add_f64 v[76:77], v[6:7], v[62:63]
	v_add_f64 v[62:63], v[2:3], v[62:63]
	v_min3_f32 v72, v72, v74, v216
	v_add_f64 v[74:75], v[8:9], v[64:65]
	v_add_f64 v[64:65], v[4:5], v[64:65]
	v_cvt_f32_f64_e32 v76, v[76:77]
	v_cvt_f32_f64_e32 v62, v[62:63]
	;; [unrolled: 1-line block ×4, first 2 shown]
	v_min3_f32 v74, v76, v74, v217
	v_min3_f32 v62, v62, v63, v214
	v_add_f64 v[63:64], v[36:37], v[60:61]
	v_add_f64 v[75:76], v[34:35], v[58:59]
	v_cvt_f32_f64_e32 v63, v[63:64]
	v_cvt_f32_f64_e32 v65, v[75:76]
	v_add_f64 v[75:76], v[30:31], v[58:59]
	v_min3_f32 v63, v65, v63, v218
	v_add_f64 v[64:65], v[32:33], v[60:61]
	v_cvt_f32_f64_e32 v75, v[75:76]
	v_cvt_f32_f64_e32 v64, v[64:65]
	;; [unrolled: 1-line block ×3, first 2 shown]
	v_add_f64 v[79:80], v[18:19], v[58:59]
	v_min3_f32 v64, v75, v64, v215
	v_add_f64 v[75:76], v[28:29], v[60:61]
	v_cvt_f32_f64_e32 v77, v[79:80]
	v_add_f64 v[79:80], v[14:15], v[58:59]
	v_cvt_f32_f64_e32 v75, v[75:76]
	v_cvt_f32_f64_e32 v79, v[79:80]
	v_min3_f32 v65, v65, v75, v213
	v_add_f64 v[75:76], v[20:21], v[60:61]
	v_cvt_f32_f64_e32 v75, v[75:76]
	v_min3_f32 v75, v77, v75, v212
	v_add_f64 v[76:77], v[16:17], v[60:61]
	v_cvt_f32_f64_e32 v76, v[76:77]
	v_cvt_f32_f64_e32 v77, v[83:84]
	v_add_f64 v[83:84], v[6:7], v[58:59]
	v_add_f64 v[58:59], v[2:3], v[58:59]
	v_min3_f32 v76, v79, v76, v210
	v_add_f64 v[79:80], v[12:13], v[60:61]
	v_cvt_f32_f64_e32 v81, v[83:84]
	v_cvt_f32_f64_e32 v58, v[58:59]
	v_add_f64 v[83:84], v[26:27], v[54:55]
	v_cvt_f32_f64_e32 v79, v[79:80]
	v_min3_f32 v77, v77, v79, v208
	v_add_f64 v[79:80], v[8:9], v[60:61]
	v_add_f64 v[60:61], v[4:5], v[60:61]
	v_cvt_f32_f64_e32 v79, v[79:80]
	v_cvt_f32_f64_e32 v59, v[60:61]
	v_min3_f32 v79, v81, v79, v209
	v_min3_f32 v58, v58, v59, v207
	v_add_f64 v[59:60], v[36:37], v[56:57]
	v_add_f64 v[80:81], v[34:35], v[54:55]
	v_cvt_f32_f64_e32 v59, v[59:60]
	v_cvt_f32_f64_e32 v61, v[80:81]
	v_add_f64 v[80:81], v[30:31], v[54:55]
	v_min3_f32 v59, v61, v59, v206
	v_add_f64 v[60:61], v[32:33], v[56:57]
	v_cvt_f32_f64_e32 v80, v[80:81]
	v_cvt_f32_f64_e32 v60, v[60:61]
	;; [unrolled: 1-line block ×3, first 2 shown]
	v_add_f64 v[83:84], v[18:19], v[54:55]
	v_min3_f32 v60, v80, v60, v204
	v_add_f64 v[80:81], v[28:29], v[56:57]
	v_cvt_f32_f64_e32 v83, v[83:84]
	v_cvt_f32_f64_e32 v80, v[80:81]
	v_min3_f32 v61, v61, v80, v205
	v_add_f64 v[80:81], v[20:21], v[56:57]
	v_cvt_f32_f64_e32 v80, v[80:81]
	v_cvt_f32_f64_e32 v81, v[87:88]
	v_add_f64 v[87:88], v[10:11], v[54:55]
	v_min3_f32 v80, v83, v80, v202
	v_add_f64 v[83:84], v[16:17], v[56:57]
	v_cvt_f32_f64_e32 v85, v[87:88]
	v_add_f64 v[87:88], v[6:7], v[54:55]
	v_add_f64 v[54:55], v[2:3], v[54:55]
	v_cvt_f32_f64_e32 v83, v[83:84]
	v_cvt_f32_f64_e32 v87, v[87:88]
	;; [unrolled: 1-line block ×3, first 2 shown]
	v_min3_f32 v81, v81, v83, v203
	v_add_f64 v[83:84], v[12:13], v[56:57]
	v_cvt_f32_f64_e32 v83, v[83:84]
	v_min3_f32 v83, v85, v83, v200
	v_add_f64 v[84:85], v[8:9], v[56:57]
	v_add_f64 v[56:57], v[4:5], v[56:57]
	v_cvt_f32_f64_e32 v84, v[84:85]
	v_cvt_f32_f64_e32 v55, v[56:57]
	v_min3_f32 v84, v87, v84, v201
	v_min3_f32 v54, v54, v55, v198
	v_add_f64 v[55:56], v[36:37], v[52:53]
	v_add_f64 v[87:88], v[34:35], v[50:51]
	v_cvt_f32_f64_e32 v55, v[55:56]
	v_cvt_f32_f64_e32 v57, v[87:88]
	v_add_f64 v[87:88], v[30:31], v[50:51]
	v_min3_f32 v55, v57, v55, v199
	v_add_f64 v[56:57], v[32:33], v[52:53]
	v_cvt_f32_f64_e32 v85, v[87:88]
	v_add_f64 v[87:88], v[28:29], v[52:53]
	v_cvt_f32_f64_e32 v56, v[56:57]
	v_cvt_f32_f64_e32 v57, v[91:92]
	v_add_f64 v[91:92], v[18:19], v[50:51]
	v_min3_f32 v56, v85, v56, v196
	v_cvt_f32_f64_e32 v85, v[87:88]
	v_add_f64 v[87:88], v[20:21], v[52:53]
	v_min3_f32 v57, v57, v85, v197
	v_cvt_f32_f64_e32 v85, v[91:92]
	v_cvt_f32_f64_e32 v87, v[87:88]
	v_add_f64 v[91:92], v[14:15], v[50:51]
	v_min3_f32 v85, v85, v87, v118
	v_add_f64 v[87:88], v[16:17], v[52:53]
	v_cvt_f32_f64_e32 v89, v[91:92]
	v_add_f64 v[91:92], v[10:11], v[50:51]
	v_add_f64 v[50:51], v[2:3], v[50:51]
	v_cvt_f32_f64_e32 v87, v[87:88]
	v_cvt_f32_f64_e32 v91, v[91:92]
	;; [unrolled: 1-line block ×3, first 2 shown]
	v_min3_f32 v87, v89, v87, v119
	v_add_f64 v[88:89], v[12:13], v[52:53]
	v_cvt_f32_f64_e32 v88, v[88:89]
	v_cvt_f32_f64_e32 v89, v[95:96]
	v_add_f64 v[95:96], v[26:27], v[46:47]
	v_min3_f32 v88, v91, v88, v120
	v_add_f64 v[91:92], v[8:9], v[52:53]
	v_add_f64 v[52:53], v[4:5], v[52:53]
	v_cvt_f32_f64_e32 v91, v[91:92]
	v_cvt_f32_f64_e32 v51, v[52:53]
	v_min3_f32 v89, v89, v91, v121
	v_min3_f32 v50, v50, v51, v114
	v_add_f64 v[51:52], v[36:37], v[48:49]
	v_add_f64 v[91:92], v[34:35], v[46:47]
	v_cvt_f32_f64_e32 v51, v[51:52]
	v_cvt_f32_f64_e32 v53, v[91:92]
	v_add_f64 v[91:92], v[30:31], v[46:47]
	v_min3_f32 v51, v53, v51, v115
	v_add_f64 v[52:53], v[32:33], v[48:49]
	v_cvt_f32_f64_e32 v91, v[91:92]
	v_cvt_f32_f64_e32 v52, v[52:53]
	;; [unrolled: 1-line block ×3, first 2 shown]
	v_add_f64 v[95:96], v[18:19], v[46:47]
	v_min3_f32 v52, v91, v52, v116
	v_add_f64 v[91:92], v[28:29], v[48:49]
	v_cvt_f32_f64_e32 v93, v[95:96]
	v_add_f64 v[95:96], v[14:15], v[46:47]
	v_cvt_f32_f64_e32 v91, v[91:92]
	v_cvt_f32_f64_e32 v95, v[95:96]
	v_min3_f32 v53, v53, v91, v117
	v_add_f64 v[91:92], v[20:21], v[48:49]
	v_cvt_f32_f64_e32 v91, v[91:92]
	v_min3_f32 v91, v93, v91, v122
	v_add_f64 v[92:93], v[16:17], v[48:49]
	v_cvt_f32_f64_e32 v92, v[92:93]
	v_cvt_f32_f64_e32 v93, v[99:100]
	v_add_f64 v[99:100], v[6:7], v[46:47]
	v_add_f64 v[46:47], v[2:3], v[46:47]
	v_min3_f32 v92, v95, v92, v123
	v_add_f64 v[95:96], v[12:13], v[48:49]
	v_cvt_f32_f64_e32 v46, v[46:47]
	v_cvt_f32_f64_e32 v95, v[95:96]
	v_min3_f32 v151, v93, v95, v124
	v_add_f64 v[95:96], v[8:9], v[48:49]
	v_add_f64 v[48:49], v[4:5], v[48:49]
	v_cvt_f32_f64_e32 v93, v[99:100]
	v_add_f64 v[99:100], v[26:27], v[42:43]
	v_cvt_f32_f64_e32 v95, v[95:96]
	v_cvt_f32_f64_e32 v47, v[48:49]
	v_min3_f32 v152, v93, v95, v125
	v_min3_f32 v46, v46, v47, v112
	v_add_f64 v[47:48], v[36:37], v[44:45]
	v_add_f64 v[95:96], v[34:35], v[42:43]
	v_cvt_f32_f64_e32 v47, v[47:48]
	v_cvt_f32_f64_e32 v49, v[95:96]
	v_add_f64 v[95:96], v[30:31], v[42:43]
	v_min3_f32 v47, v49, v47, v113
	v_add_f64 v[48:49], v[32:33], v[44:45]
	v_cvt_f32_f64_e32 v93, v[95:96]
	v_add_f64 v[95:96], v[28:29], v[44:45]
	v_cvt_f32_f64_e32 v48, v[48:49]
	v_cvt_f32_f64_e32 v49, v[99:100]
	v_add_f64 v[99:100], v[18:19], v[42:43]
	v_min3_f32 v48, v93, v48, v126
	v_cvt_f32_f64_e32 v93, v[95:96]
	v_add_f64 v[95:96], v[20:21], v[44:45]
	v_min3_f32 v49, v49, v93, v127
	v_cvt_f32_f64_e32 v93, v[99:100]
	v_cvt_f32_f64_e32 v95, v[95:96]
	v_add_f64 v[99:100], v[14:15], v[42:43]
	v_min3_f32 v153, v93, v95, v128
	v_add_f64 v[95:96], v[16:17], v[44:45]
	v_cvt_f32_f64_e32 v93, v[99:100]
	v_add_f64 v[99:100], v[10:11], v[42:43]
	v_cvt_f32_f64_e32 v95, v[95:96]
	v_min3_f32 v154, v93, v95, v129
	v_add_f64 v[95:96], v[12:13], v[44:45]
	v_cvt_f32_f64_e32 v93, v[99:100]
	v_add_f64 v[99:100], v[6:7], v[42:43]
	v_add_f64 v[42:43], v[2:3], v[42:43]
	v_cvt_f32_f64_e32 v95, v[95:96]
	v_cvt_f32_f64_e32 v42, v[42:43]
	v_min3_f32 v146, v93, v95, v146
	v_add_f64 v[95:96], v[8:9], v[44:45]
	v_add_f64 v[44:45], v[4:5], v[44:45]
	v_cvt_f32_f64_e32 v93, v[99:100]
	v_add_f64 v[99:100], v[26:27], v[38:39]
	v_add_f64 v[26:27], v[26:27], v[22:23]
	v_cvt_f32_f64_e32 v95, v[95:96]
	v_cvt_f32_f64_e32 v43, v[44:45]
	;; [unrolled: 1-line block ×3, first 2 shown]
	v_min3_f32 v147, v93, v95, v147
	v_min3_f32 v42, v42, v43, v170
	v_add_f64 v[43:44], v[36:37], v[40:41]
	v_add_f64 v[95:96], v[34:35], v[38:39]
	;; [unrolled: 1-line block ×4, first 2 shown]
	v_cvt_f32_f64_e32 v43, v[43:44]
	v_cvt_f32_f64_e32 v45, v[95:96]
	v_add_f64 v[95:96], v[30:31], v[38:39]
	v_add_f64 v[30:31], v[30:31], v[22:23]
	v_cvt_f32_f64_e32 v34, v[34:35]
	v_cvt_f32_f64_e32 v35, v[36:37]
	v_min3_f32 v43, v45, v43, v173
	v_add_f64 v[44:45], v[32:33], v[40:41]
	v_cvt_f32_f64_e32 v93, v[95:96]
	v_add_f64 v[95:96], v[28:29], v[40:41]
	v_add_f64 v[32:33], v[32:33], v[24:25]
	;; [unrolled: 1-line block ×3, first 2 shown]
	v_cvt_f32_f64_e32 v30, v[30:31]
	v_min3_f32 v192, v34, v35, v98
	v_cvt_f32_f64_e32 v44, v[44:45]
	v_cvt_f32_f64_e32 v45, v[99:100]
	v_add_f64 v[99:100], v[18:19], v[38:39]
	v_add_f64 v[18:19], v[18:19], v[22:23]
	v_cvt_f32_f64_e32 v31, v[32:33]
	v_cvt_f32_f64_e32 v27, v[28:29]
	v_min3_f32 v44, v93, v44, v106
	v_cvt_f32_f64_e32 v93, v[95:96]
	v_add_f64 v[95:96], v[20:21], v[40:41]
	v_add_f64 v[20:21], v[20:21], v[24:25]
	v_cvt_f32_f64_e32 v18, v[18:19]
	v_min3_f32 v193, v30, v31, v94
	v_min3_f32 v194, v26, v27, v90
	v_min3_f32 v45, v45, v93, v107
	v_cvt_f32_f64_e32 v93, v[99:100]
	v_cvt_f32_f64_e32 v95, v[95:96]
	v_add_f64 v[99:100], v[14:15], v[38:39]
	v_add_f64 v[14:15], v[14:15], v[22:23]
	v_cvt_f32_f64_e32 v19, v[20:21]
	v_min3_f32 v155, v93, v95, v108
	v_add_f64 v[95:96], v[16:17], v[40:41]
	v_cvt_f32_f64_e32 v93, v[99:100]
	v_add_f64 v[99:100], v[10:11], v[38:39]
	v_add_f64 v[16:17], v[16:17], v[24:25]
	;; [unrolled: 1-line block ×3, first 2 shown]
	v_cvt_f32_f64_e32 v14, v[14:15]
	v_min3_f32 v195, v18, v19, v86
	v_cvt_f32_f64_e32 v95, v[95:96]
	v_cvt_f32_f64_e32 v15, v[16:17]
	;; [unrolled: 1-line block ×3, first 2 shown]
	v_min3_f32 v156, v93, v95, v109
	v_add_f64 v[95:96], v[12:13], v[40:41]
	v_cvt_f32_f64_e32 v93, v[99:100]
	v_add_f64 v[99:100], v[6:7], v[38:39]
	v_add_f64 v[38:39], v[2:3], v[38:39]
	;; [unrolled: 1-line block ×5, first 2 shown]
	v_min3_f32 v196, v14, v15, v82
	v_cvt_f32_f64_e32 v95, v[95:96]
	v_cvt_f32_f64_e32 v38, v[38:39]
	;; [unrolled: 1-line block ×5, first 2 shown]
	v_min3_f32 v157, v93, v95, v110
	v_add_f64 v[95:96], v[8:9], v[40:41]
	v_add_f64 v[40:41], v[4:5], v[40:41]
	;; [unrolled: 1-line block ×4, first 2 shown]
	v_cvt_f32_f64_e32 v93, v[99:100]
	v_min3_f32 v197, v10, v11, v78
	v_cvt_f32_f64_e32 v95, v[95:96]
	v_cvt_f32_f64_e32 v39, v[40:41]
	;; [unrolled: 1-line block ×4, first 2 shown]
	v_min3_f32 v170, v93, v95, v111
	v_min3_f32 v173, v38, v39, v102
	;; [unrolled: 1-line block ×4, first 2 shown]
	ds_read_b128 v[6:9], v167 offset:256
	ds_read_b128 v[10:13], v167 offset:512
	;; [unrolled: 1-line block ×14, first 2 shown]
	ds_read_b128 v[97:100], v148
	ds_read_b128 v[34:37], v148 offset:16
	ds_read_b128 v[188:191], v167
	ds_read_b128 v[2:5], v167 offset:16
	s_waitcnt lgkmcnt(1)
	v_add_f64 v[101:102], v[190:191], v[99:100]
	v_add_f64 v[103:104], v[188:189], v[97:98]
	v_cvt_f32_f64_e32 v73, v[101:102]
	v_cvt_f32_f64_e32 v71, v[103:104]
	v_add_f64 v[101:102], v[8:9], v[99:100]
	v_add_f64 v[103:104], v[6:7], v[97:98]
	v_min3_f32 v129, v71, v73, v66
	v_cvt_f32_f64_e32 v71, v[101:102]
	v_cvt_f32_f64_e32 v66, v[103:104]
	v_add_f64 v[101:102], v[10:11], v[97:98]
	v_min3_f32 v128, v66, v71, v67
	v_add_f64 v[66:67], v[12:13], v[99:100]
	v_cvt_f32_f64_e32 v71, v[101:102]
	v_add_f64 v[101:102], v[14:15], v[97:98]
	v_cvt_f32_f64_e32 v66, v[66:67]
	v_min3_f32 v127, v71, v66, v68
	v_add_f64 v[66:67], v[16:17], v[99:100]
	v_cvt_f32_f64_e32 v68, v[101:102]
	v_cvt_f32_f64_e32 v66, v[66:67]
	v_min3_f32 v126, v68, v66, v69
	v_add_f64 v[66:67], v[20:21], v[99:100]
	v_add_f64 v[68:69], v[18:19], v[97:98]
	v_cvt_f32_f64_e32 v66, v[66:67]
	v_cvt_f32_f64_e32 v68, v[68:69]
	v_min3_f32 v125, v68, v66, v70
	v_add_f64 v[66:67], v[24:25], v[99:100]
	;; [unrolled: 5-line block ×11, first 2 shown]
	v_add_f64 v[64:65], v[26:27], v[38:39]
	v_add_f64 v[40:41], v[32:33], v[40:41]
	;; [unrolled: 1-line block ×3, first 2 shown]
	v_cvt_f32_f64_e32 v62, v[62:63]
	v_cvt_f32_f64_e32 v64, v[64:65]
	;; [unrolled: 1-line block ×4, first 2 shown]
	v_add_f64 v[40:41], v[188:189], v[93:94]
	v_min3_f32 v115, v64, v62, v79
	v_min3_f32 v114, v38, v39, v58
	v_add_f64 v[38:39], v[190:191], v[95:96]
	v_cvt_f32_f64_e32 v40, v[40:41]
	v_cvt_f32_f64_e32 v38, v[38:39]
	v_min3_f32 v113, v40, v38, v59
	v_add_f64 v[38:39], v[8:9], v[95:96]
	v_add_f64 v[40:41], v[6:7], v[93:94]
	v_cvt_f32_f64_e32 v38, v[38:39]
	v_cvt_f32_f64_e32 v40, v[40:41]
	v_min3_f32 v112, v40, v38, v60
	v_add_f64 v[38:39], v[12:13], v[95:96]
	;; [unrolled: 5-line block ×23, first 2 shown]
	v_add_f64 v[40:41], v[30:31], v[162:163]
	s_waitcnt lgkmcnt(0)
	v_add_f64 v[151:152], v[2:3], v[34:35]
	v_cvt_f32_f64_e32 v38, v[38:39]
	v_cvt_f32_f64_e32 v40, v[40:41]
	;; [unrolled: 1-line block ×3, first 2 shown]
	v_min3_f32 v90, v40, v38, v46
	v_add_f64 v[38:39], v[190:191], v[178:179]
	v_add_f64 v[40:41], v[188:189], v[176:177]
	v_cvt_f32_f64_e32 v38, v[38:39]
	v_cvt_f32_f64_e32 v40, v[40:41]
	v_min3_f32 v89, v40, v38, v47
	v_add_f64 v[38:39], v[8:9], v[178:179]
	v_add_f64 v[40:41], v[6:7], v[176:177]
	v_cvt_f32_f64_e32 v38, v[38:39]
	v_cvt_f32_f64_e32 v40, v[40:41]
	;; [unrolled: 5-line block ×7, first 2 shown]
	v_min3_f32 v83, v40, v38, v147
	v_add_f64 v[38:39], v[32:33], v[178:179]
	v_add_f64 v[40:41], v[30:31], v[176:177]
	;; [unrolled: 1-line block ×3, first 2 shown]
	v_cvt_f32_f64_e32 v38, v[38:39]
	v_cvt_f32_f64_e32 v40, v[40:41]
	;; [unrolled: 1-line block ×3, first 2 shown]
	v_min3_f32 v82, v40, v38, v42
	v_add_f64 v[38:39], v[190:191], v[182:183]
	v_add_f64 v[40:41], v[188:189], v[180:181]
	v_min3_f32 v222, v151, v146, v129
	v_cvt_f32_f64_e32 v38, v[38:39]
	v_cvt_f32_f64_e32 v40, v[40:41]
	v_min3_f32 v81, v40, v38, v43
	v_add_f64 v[38:39], v[8:9], v[182:183]
	v_add_f64 v[40:41], v[6:7], v[180:181]
	;; [unrolled: 1-line block ×4, first 2 shown]
	v_cvt_f32_f64_e32 v38, v[38:39]
	v_cvt_f32_f64_e32 v40, v[40:41]
	;; [unrolled: 1-line block ×4, first 2 shown]
	v_add_f64 v[8:9], v[10:11], v[184:185]
	v_min3_f32 v80, v40, v38, v44
	v_add_f64 v[38:39], v[12:13], v[182:183]
	v_add_f64 v[40:41], v[10:11], v[180:181]
	v_min3_f32 v72, v6, v7, v193
	v_add_f64 v[6:7], v[12:13], v[186:187]
	v_cvt_f32_f64_e32 v8, v[8:9]
	v_cvt_f32_f64_e32 v38, v[38:39]
	v_cvt_f32_f64_e32 v40, v[40:41]
	v_cvt_f32_f64_e32 v6, v[6:7]
	v_min3_f32 v79, v40, v38, v45
	v_add_f64 v[38:39], v[16:17], v[182:183]
	v_add_f64 v[40:41], v[14:15], v[180:181]
	v_min3_f32 v71, v8, v6, v194
	v_add_f64 v[6:7], v[16:17], v[186:187]
	v_add_f64 v[8:9], v[14:15], v[184:185]
	v_cvt_f32_f64_e32 v38, v[38:39]
	v_cvt_f32_f64_e32 v40, v[40:41]
	v_cvt_f32_f64_e32 v6, v[6:7]
	v_cvt_f32_f64_e32 v8, v[8:9]
	v_min3_f32 v78, v40, v38, v155
	v_add_f64 v[38:39], v[20:21], v[182:183]
	v_add_f64 v[40:41], v[18:19], v[180:181]
	v_min3_f32 v70, v8, v6, v195
	v_add_f64 v[6:7], v[20:21], v[186:187]
	;; [unrolled: 10-line block ×5, first 2 shown]
	v_add_f64 v[8:9], v[30:31], v[184:185]
	v_cvt_f32_f64_e32 v38, v[38:39]
	v_cvt_f32_f64_e32 v40, v[40:41]
	;; [unrolled: 1-line block ×4, first 2 shown]
	v_min3_f32 v74, v40, v38, v173
	v_add_f64 v[38:39], v[190:191], v[186:187]
	v_add_f64 v[40:41], v[188:189], v[184:185]
	v_min3_f32 v66, v8, v6, v199
	v_cvt_f32_f64_e32 v38, v[38:39]
	v_cvt_f32_f64_e32 v40, v[40:41]
	v_min3_f32 v73, v40, v38, v192
	ds_read_b128 v[22:25], v167 offset:272
	ds_read_b128 v[18:21], v167 offset:528
	;; [unrolled: 1-line block ×14, first 2 shown]
	ds_write_b64 v168, v[136:137]
	ds_write2st64_b64 v169, v[140:141], v[142:143] offset1:4
	ds_write2st64_b64 v169, v[138:139], v[144:145] offset0:8 offset1:12
	s_waitcnt lgkmcnt(0)
	s_barrier
	buffer_gl0_inv
	v_add_f64 v[146:147], v[24:25], v[36:37]
	v_add_f64 v[151:152], v[22:23], v[34:35]
	v_cvt_f32_f64_e32 v146, v[146:147]
	v_cvt_f32_f64_e32 v129, v[151:152]
	v_min3_f32 v220, v129, v146, v128
	v_add_f64 v[128:129], v[20:21], v[36:37]
	v_add_f64 v[146:147], v[18:19], v[34:35]
	v_cvt_f32_f64_e32 v128, v[128:129]
	v_cvt_f32_f64_e32 v146, v[146:147]
	v_min3_f32 v221, v146, v128, v127
	;; [unrolled: 5-line block ×5, first 2 shown]
	v_add_f64 v[124:125], v[32:33], v[36:37]
	v_add_f64 v[126:127], v[30:31], v[34:35]
	;; [unrolled: 1-line block ×4, first 2 shown]
	v_cvt_f32_f64_e32 v124, v[124:125]
	v_cvt_f32_f64_e32 v126, v[126:127]
	;; [unrolled: 1-line block ×4, first 2 shown]
	v_add_f64 v[36:37], v[2:3], v[62:63]
	v_min3_f32 v217, v126, v124, v123
	v_min3_f32 v214, v34, v35, v122
	v_add_f64 v[34:35], v[4:5], v[64:65]
	v_cvt_f32_f64_e32 v36, v[36:37]
	v_cvt_f32_f64_e32 v34, v[34:35]
	v_min3_f32 v215, v36, v34, v121
	v_add_f64 v[34:35], v[24:25], v[64:65]
	v_add_f64 v[36:37], v[22:23], v[62:63]
	v_cvt_f32_f64_e32 v34, v[34:35]
	v_cvt_f32_f64_e32 v36, v[36:37]
	v_min3_f32 v212, v36, v34, v120
	v_add_f64 v[34:35], v[20:21], v[64:65]
	;; [unrolled: 5-line block ×40, first 2 shown]
	v_add_f64 v[36:37], v[2:3], v[42:43]
	v_add_f64 v[4:5], v[4:5], v[40:41]
	v_add_f64 v[2:3], v[2:3], v[38:39]
	v_cvt_f32_f64_e32 v34, v[34:35]
	v_cvt_f32_f64_e32 v36, v[36:37]
	;; [unrolled: 1-line block ×4, first 2 shown]
	v_add_f64 v[4:5], v[22:23], v[38:39]
	v_min3_f32 v173, v36, v34, v81
	v_add_f64 v[34:35], v[24:25], v[44:45]
	v_add_f64 v[36:37], v[22:23], v[42:43]
	v_min3_f32 v158, v2, v3, v73
	v_add_f64 v[2:3], v[24:25], v[40:41]
	v_cvt_f32_f64_e32 v4, v[4:5]
	v_cvt_f32_f64_e32 v34, v[34:35]
	v_cvt_f32_f64_e32 v36, v[36:37]
	v_cvt_f32_f64_e32 v2, v[2:3]
	v_min3_f32 v164, v36, v34, v80
	v_add_f64 v[34:35], v[20:21], v[44:45]
	v_add_f64 v[36:37], v[18:19], v[42:43]
	v_min3_f32 v157, v4, v2, v72
	v_add_f64 v[2:3], v[20:21], v[40:41]
	v_add_f64 v[4:5], v[18:19], v[38:39]
	v_cvt_f32_f64_e32 v34, v[34:35]
	v_cvt_f32_f64_e32 v36, v[36:37]
	v_cvt_f32_f64_e32 v2, v[2:3]
	v_cvt_f32_f64_e32 v4, v[4:5]
	v_min3_f32 v165, v36, v34, v79
	v_add_f64 v[34:35], v[16:17], v[44:45]
	v_add_f64 v[36:37], v[14:15], v[42:43]
	v_min3_f32 v156, v4, v2, v71
	v_add_f64 v[2:3], v[16:17], v[40:41]
	;; [unrolled: 10-line block ×6, first 2 shown]
	v_add_f64 v[4:5], v[26:27], v[38:39]
	v_cvt_f32_f64_e32 v34, v[34:35]
	v_cvt_f32_f64_e32 v36, v[36:37]
	;; [unrolled: 1-line block ×4, first 2 shown]
	v_min3_f32 v159, v36, v34, v74
	v_min3_f32 v151, v4, v2, v66
	s_cbranch_scc1 .LBB123_33
.LBB123_21:                             ; =>This Inner Loop Header: Depth=1
	v_mov_b32_e32 v140, 0
	v_mov_b32_e32 v138, 0
	;; [unrolled: 1-line block ×4, first 2 shown]
	s_and_b32 vcc_lo, exec_lo, s1
	s_cbranch_vccnz .LBB123_23
; %bb.22:                               ;   in Loop: Header=BB123_21 Depth=1
	flat_load_dwordx2 v[2:3], v[134:135]
	s_waitcnt vmcnt(0) lgkmcnt(0)
	v_mul_f64 v[138:139], s[16:17], v[2:3]
.LBB123_23:                             ;   in Loop: Header=BB123_21 Depth=1
	v_mov_b32_e32 v142, 0
	v_mov_b32_e32 v143, 0
	s_and_b32 vcc_lo, exec_lo, s1
	s_cbranch_vccnz .LBB123_25
; %bb.24:                               ;   in Loop: Header=BB123_21 Depth=1
	v_add_co_u32 v2, vcc_lo, v174, v132
	v_add_co_ci_u32_e64 v3, null, v175, v133, vcc_lo
	s_clause 0x1
	flat_load_dwordx2 v[4:5], v[2:3]
	flat_load_dwordx2 v[2:3], v[2:3] offset:512
	s_waitcnt vmcnt(1) lgkmcnt(1)
	v_mul_f64 v[140:141], s[16:17], v[4:5]
	s_waitcnt vmcnt(0) lgkmcnt(0)
	v_mul_f64 v[142:143], s[16:17], v[2:3]
.LBB123_25:                             ;   in Loop: Header=BB123_21 Depth=1
	v_mov_b32_e32 v136, 0
	v_mov_b32_e32 v144, 0
	v_mov_b32_e32 v146, 0
	v_mov_b32_e32 v137, 0
	v_mov_b32_e32 v145, 0
	v_mov_b32_e32 v147, 0
	s_and_b32 vcc_lo, exec_lo, s1
	s_cbranch_vccnz .LBB123_27
; %bb.26:                               ;   in Loop: Header=BB123_21 Depth=1
	v_add_co_u32 v2, vcc_lo, v174, v132
	v_add_co_ci_u32_e64 v3, null, v175, v133, vcc_lo
	s_clause 0x1
	flat_load_dwordx2 v[4:5], v[2:3] offset:1024
	flat_load_dwordx2 v[2:3], v[2:3] offset:1536
	s_waitcnt vmcnt(1) lgkmcnt(1)
	v_mul_f64 v[144:145], s[16:17], v[4:5]
	s_waitcnt vmcnt(0) lgkmcnt(0)
	v_mul_f64 v[146:147], s[16:17], v[2:3]
.LBB123_27:                             ;   in Loop: Header=BB123_21 Depth=1
	ds_read_b128 v[126:129], v172
	ds_read_b128 v[62:65], v172 offset:16
	ds_read_b128 v[98:101], v171
	ds_read_b128 v[34:37], v171 offset:16
	ds_read_b128 v[94:97], v171 offset:256
	;; [unrolled: 1-line block ×29, first 2 shown]
	s_and_b32 vcc_lo, exec_lo, s1
	ds_write_b64 v166, v[138:139]
	ds_write2st64_b64 v150, v[140:141], v[142:143] offset1:4
	ds_write2st64_b64 v150, v[144:145], v[146:147] offset0:8 offset1:12
	s_waitcnt lgkmcnt(0)
	s_barrier
	buffer_gl0_inv
	s_cbranch_vccnz .LBB123_29
; %bb.28:                               ;   in Loop: Header=BB123_21 Depth=1
	flat_load_dwordx2 v[136:137], v[134:135] offset:32
	s_waitcnt vmcnt(0) lgkmcnt(0)
	v_mul_f64 v[136:137], s[16:17], v[136:137]
.LBB123_29:                             ;   in Loop: Header=BB123_21 Depth=1
	v_mov_b32_e32 v138, 0
	v_mov_b32_e32 v140, 0
	;; [unrolled: 1-line block ×6, first 2 shown]
	s_and_b32 vcc_lo, exec_lo, s1
	s_cbranch_vccnz .LBB123_31
; %bb.30:                               ;   in Loop: Header=BB123_21 Depth=1
	v_add_co_u32 v140, vcc_lo, v174, v130
	v_add_co_ci_u32_e64 v141, null, v175, v131, vcc_lo
	s_clause 0x1
	flat_load_dwordx2 v[142:143], v[140:141]
	flat_load_dwordx2 v[144:145], v[140:141] offset:512
	s_waitcnt vmcnt(1) lgkmcnt(1)
	v_mul_f64 v[140:141], s[16:17], v[142:143]
	s_waitcnt vmcnt(0) lgkmcnt(0)
	v_mul_f64 v[142:143], s[16:17], v[144:145]
.LBB123_31:                             ;   in Loop: Header=BB123_21 Depth=1
	v_mov_b32_e32 v144, 0
	v_mov_b32_e32 v145, 0
	s_and_b32 vcc_lo, exec_lo, s1
	s_cbranch_vccnz .LBB123_20
; %bb.32:                               ;   in Loop: Header=BB123_21 Depth=1
	v_add_co_u32 v138, vcc_lo, v174, v130
	v_add_co_ci_u32_e64 v139, null, v175, v131, vcc_lo
	s_clause 0x1
	flat_load_dwordx2 v[144:145], v[138:139] offset:1024
	flat_load_dwordx2 v[146:147], v[138:139] offset:1536
	s_waitcnt vmcnt(1) lgkmcnt(1)
	v_mul_f64 v[138:139], s[16:17], v[144:145]
	s_waitcnt vmcnt(0) lgkmcnt(0)
	v_mul_f64 v[144:145], s[16:17], v[146:147]
	s_branch .LBB123_20
.LBB123_33:
	ds_read_b128 v[126:129], v148 offset:8192
	ds_read_b128 v[70:73], v149 offset:18432
	;; [unrolled: 1-line block ×4, first 2 shown]
	s_clause 0x2
	s_load_dword s1, s[4:5], 0x58
	s_load_dword s6, s[4:5], 0x70
	s_load_dwordx2 s[4:5], s[4:5], 0x78
	ds_read_b128 v[62:65], v149 offset:18688
	ds_read_b128 v[58:61], v149 offset:18704
	;; [unrolled: 1-line block ×23, first 2 shown]
	v_add_nc_u32_e32 v144, s15, v1
	ds_read_b128 v[82:85], v148 offset:13328
	v_add_nc_u32_e32 v138, s14, v0
	s_mov_b32 s7, -1
	v_ashrrev_i32_e32 v139, 31, v138
	v_add_nc_u32_e32 v0, 8, v138
	v_ashrrev_i32_e32 v1, 31, v0
	s_waitcnt lgkmcnt(0)
	v_add_f64 v[10:11], v[70:71], v[126:127]
	v_add_f64 v[12:13], v[72:73], v[128:129]
	;; [unrolled: 1-line block ×4, first 2 shown]
	v_mad_i64_i32 v[130:131], null, v144, s6, 0
	v_mad_i64_i32 v[132:133], null, v144, s1, 0
	s_lshl_b64 s[4:5], s[4:5], 3
	s_add_u32 s4, s8, s4
	s_addc_u32 s5, s9, s5
	v_lshlrev_b64 v[130:131], 3, v[130:131]
	v_lshlrev_b64 v[132:133], 3, v[132:133]
	v_add_co_u32 v145, vcc_lo, s4, v130
	v_add_co_ci_u32_e64 v146, null, s5, v131, vcc_lo
	v_cvt_f32_f64_e32 v134, v[10:11]
	v_cvt_f32_f64_e32 v135, v[12:13]
	v_cvt_f32_f64_e32 v136, v[14:15]
	v_cvt_f32_f64_e32 v137, v[16:17]
	ds_read_b128 v[78:81], v148 offset:14336
	ds_read_b128 v[74:77], v148 offset:14352
	;; [unrolled: 1-line block ×4, first 2 shown]
	v_add_co_u32 v147, vcc_lo, s2, v132
	v_add_co_ci_u32_e64 v148, null, s3, v133, vcc_lo
	s_mov_b32 vcc_lo, s0
	v_min3_f32 v134, v134, v135, v222
	v_min3_f32 v130, v136, v137, v134
	v_lshlrev_b64 v[134:135], 3, v[138:139]
	v_max_f32_e32 v131, v130, v130
	s_cbranch_vccz .LBB123_35
; %bb.34:
	v_min_f32_e32 v130, 0, v131
	v_add_co_u32 v136, vcc_lo, v145, v134
	v_add_co_ci_u32_e64 v137, null, v146, v135, vcc_lo
	v_cvt_f64_f32_e32 v[132:133], v130
	s_mov_b32 s7, 0
	flat_store_dwordx2 v[136:137], v[132:133]
.LBB123_35:
	v_lshlrev_b64 v[0:1], 3, v[0:1]
	v_mov_b32_e32 v130, 0
	s_andn2_b32 vcc_lo, exec_lo, s7
	s_cbranch_vccnz .LBB123_37
; %bb.36:
	v_add_co_u32 v132, vcc_lo, v147, v134
	v_add_co_ci_u32_e64 v133, null, v148, v135, vcc_lo
	flat_load_dwordx2 v[132:133], v[132:133]
	s_waitcnt vmcnt(0) lgkmcnt(0)
	v_mul_f64 v[132:133], s[12:13], v[132:133]
	v_cvt_f32_f64_e32 v130, v[132:133]
	v_add_co_u32 v132, vcc_lo, v145, v134
	v_add_co_ci_u32_e64 v133, null, v146, v135, vcc_lo
	v_add_co_u32 v136, vcc_lo, v147, v0
	v_add_co_ci_u32_e64 v137, null, v148, v1, vcc_lo
	v_min_f32_e32 v130, v130, v131
	v_cvt_f64_f32_e32 v[130:131], v130
	flat_store_dwordx2 v[132:133], v[130:131]
	flat_load_dwordx2 v[130:131], v[136:137]
	s_waitcnt vmcnt(0) lgkmcnt(0)
	v_mul_f64 v[130:131], s[12:13], v[130:131]
	v_cvt_f32_f64_e32 v130, v[130:131]
.LBB123_37:
	v_add_f64 v[131:132], v[62:63], v[126:127]
	v_add_f64 v[136:137], v[64:65], v[128:129]
	;; [unrolled: 1-line block ×7, first 2 shown]
	s_mov_b32 s7, -1
	v_cvt_f32_f64_e32 v133, v[131:132]
	v_cvt_f32_f64_e32 v136, v[136:137]
	;; [unrolled: 1-line block ×4, first 2 shown]
	v_add_f64 v[131:132], v[52:53], v[124:125]
	v_cvt_f32_f64_e32 v141, v[166:167]
	v_cvt_f32_f64_e32 v142, v[149:150]
	;; [unrolled: 1-line block ×3, first 2 shown]
	v_min3_f32 v133, v133, v136, v220
	v_min_f32_e32 v136, v137, v139
	v_cvt_f32_f64_e32 v131, v[131:132]
	v_add_nc_u32_e32 v132, 16, v138
	v_min3_f32 v130, v130, v136, v133
	v_min3_f32 v136, v141, v142, v221
	v_ashrrev_i32_e32 v133, 31, v132
	v_add_co_u32 v141, vcc_lo, v145, v0
	v_cvt_f64_f32_e32 v[139:140], v130
	v_add_nc_u32_e32 v130, 24, v138
	v_add_co_ci_u32_e64 v142, null, v146, v1, vcc_lo
	s_mov_b32 vcc_lo, s0
	v_min3_f32 v143, v143, v131, v136
	v_lshlrev_b64 v[136:137], 3, v[132:133]
	v_ashrrev_i32_e32 v131, 31, v130
	v_max_f32_e32 v133, v143, v143
	flat_store_dwordx2 v[141:142], v[139:140]
	s_cbranch_vccz .LBB123_39
; %bb.38:
	v_min_f32_e32 v132, 0, v133
	v_add_co_u32 v141, vcc_lo, v145, v136
	v_add_co_ci_u32_e64 v142, null, v146, v137, vcc_lo
	v_cvt_f64_f32_e32 v[139:140], v132
	s_mov_b32 s7, 0
	flat_store_dwordx2 v[141:142], v[139:140]
.LBB123_39:
	v_lshlrev_b64 v[130:131], 3, v[130:131]
	v_mov_b32_e32 v132, 0
	s_andn2_b32 vcc_lo, exec_lo, s7
	s_cbranch_vccnz .LBB123_41
; %bb.40:
	v_add_co_u32 v139, vcc_lo, v147, v136
	v_add_co_ci_u32_e64 v140, null, v148, v137, vcc_lo
	flat_load_dwordx2 v[139:140], v[139:140]
	s_waitcnt vmcnt(0) lgkmcnt(0)
	v_mul_f64 v[139:140], s[12:13], v[139:140]
	v_cvt_f32_f64_e32 v132, v[139:140]
	v_add_co_u32 v139, vcc_lo, v145, v136
	v_add_co_ci_u32_e64 v140, null, v146, v137, vcc_lo
	v_add_co_u32 v141, vcc_lo, v147, v130
	v_add_co_ci_u32_e64 v142, null, v148, v131, vcc_lo
	v_min_f32_e32 v132, v132, v133
	v_cvt_f64_f32_e32 v[132:133], v132
	flat_store_dwordx2 v[139:140], v[132:133]
	flat_load_dwordx2 v[132:133], v[141:142]
	s_waitcnt vmcnt(0) lgkmcnt(0)
	v_mul_f64 v[132:133], s[12:13], v[132:133]
	v_cvt_f32_f64_e32 v132, v[132:133]
.LBB123_41:
	v_add_f64 v[139:140], v[46:47], v[126:127]
	v_add_f64 v[141:142], v[48:49], v[128:129]
	;; [unrolled: 1-line block ×7, first 2 shown]
	s_mov_b32 s7, -1
	v_cvt_f32_f64_e32 v133, v[139:140]
	v_cvt_f32_f64_e32 v141, v[141:142]
	v_cvt_f32_f64_e32 v142, v[149:150]
	v_cvt_f32_f64_e32 v143, v[166:167]
	v_add_f64 v[139:140], v[36:37], v[124:125]
	v_cvt_f32_f64_e32 v166, v[171:172]
	v_cvt_f32_f64_e32 v167, v[168:169]
	;; [unrolled: 1-line block ×3, first 2 shown]
	v_min3_f32 v133, v133, v141, v218
	v_min_f32_e32 v141, v142, v143
	v_cvt_f32_f64_e32 v142, v[139:140]
	v_add_nc_u32_e32 v139, 32, v138
	v_min3_f32 v132, v132, v141, v133
	v_min3_f32 v133, v166, v167, v219
	v_ashrrev_i32_e32 v140, 31, v139
	v_add_co_u32 v166, vcc_lo, v145, v130
	v_cvt_f64_f32_e32 v[149:150], v132
	v_add_nc_u32_e32 v132, 40, v138
	v_lshlrev_b64 v[140:141], 3, v[139:140]
	v_add_co_ci_u32_e64 v167, null, v146, v131, vcc_lo
	s_mov_b32 vcc_lo, s0
	v_min3_f32 v142, v168, v142, v133
	v_ashrrev_i32_e32 v133, 31, v132
	v_max_f32_e32 v142, v142, v142
	flat_store_dwordx2 v[166:167], v[149:150]
	s_cbranch_vccz .LBB123_43
; %bb.42:
	v_min_f32_e32 v139, 0, v142
	v_add_co_u32 v166, vcc_lo, v145, v140
	v_add_co_ci_u32_e64 v167, null, v146, v141, vcc_lo
	v_cvt_f64_f32_e32 v[149:150], v139
	s_mov_b32 s7, 0
	flat_store_dwordx2 v[166:167], v[149:150]
.LBB123_43:
	v_lshlrev_b64 v[132:133], 3, v[132:133]
	v_mov_b32_e32 v139, 0
	s_andn2_b32 vcc_lo, exec_lo, s7
	s_cbranch_vccnz .LBB123_45
; %bb.44:
	v_add_co_u32 v149, vcc_lo, v147, v140
	v_add_co_ci_u32_e64 v150, null, v148, v141, vcc_lo
	flat_load_dwordx2 v[149:150], v[149:150]
	s_waitcnt vmcnt(0) lgkmcnt(0)
	v_mul_f64 v[149:150], s[12:13], v[149:150]
	v_cvt_f32_f64_e32 v139, v[149:150]
	v_add_co_u32 v149, vcc_lo, v145, v140
	v_add_co_ci_u32_e64 v150, null, v146, v141, vcc_lo
	v_add_co_u32 v166, vcc_lo, v147, v132
	v_add_co_ci_u32_e64 v167, null, v148, v133, vcc_lo
	v_min_f32_e32 v139, v139, v142
	v_cvt_f64_f32_e32 v[142:143], v139
	flat_store_dwordx2 v[149:150], v[142:143]
	flat_load_dwordx2 v[142:143], v[166:167]
	s_waitcnt vmcnt(0) lgkmcnt(0)
	v_mul_f64 v[142:143], s[12:13], v[142:143]
	v_cvt_f32_f64_e32 v139, v[142:143]
.LBB123_45:
	v_add_f64 v[142:143], v[30:31], v[126:127]
	v_add_f64 v[149:150], v[32:33], v[128:129]
	;; [unrolled: 1-line block ×7, first 2 shown]
	s_mov_b32 s7, -1
	v_cvt_f32_f64_e32 v220, v[142:143]
	v_cvt_f32_f64_e32 v149, v[149:150]
	;; [unrolled: 1-line block ×4, first 2 shown]
	v_add_f64 v[142:143], v[20:21], v[124:125]
	v_cvt_f32_f64_e32 v168, v[174:175]
	v_cvt_f32_f64_e32 v169, v[171:172]
	;; [unrolled: 1-line block ×3, first 2 shown]
	v_min3_f32 v149, v220, v149, v216
	v_min_f32_e32 v150, v150, v166
	v_cvt_f32_f64_e32 v172, v[142:143]
	v_add_nc_u32_e32 v142, 48, v138
	v_add_nc_u32_e32 v138, 56, v138
	v_min3_f32 v139, v139, v150, v149
	v_ashrrev_i32_e32 v143, 31, v142
	v_cvt_f64_f32_e32 v[166:167], v139
	v_min3_f32 v139, v168, v169, v217
	v_add_co_u32 v168, vcc_lo, v145, v132
	v_lshlrev_b64 v[142:143], 3, v[142:143]
	v_add_co_ci_u32_e64 v169, null, v146, v133, vcc_lo
	s_mov_b32 vcc_lo, s0
	v_min3_f32 v149, v171, v172, v139
	v_ashrrev_i32_e32 v139, 31, v138
	v_max_f32_e32 v150, v149, v149
	flat_store_dwordx2 v[168:169], v[166:167]
	s_cbranch_vccz .LBB123_47
; %bb.46:
	v_min_f32_e32 v149, 0, v150
	v_add_co_u32 v168, vcc_lo, v145, v142
	v_add_co_ci_u32_e64 v169, null, v146, v143, vcc_lo
	v_cvt_f64_f32_e32 v[166:167], v149
	s_mov_b32 s7, 0
	flat_store_dwordx2 v[168:169], v[166:167]
.LBB123_47:
	v_lshlrev_b64 v[138:139], 3, v[138:139]
	v_mov_b32_e32 v149, 0
	s_andn2_b32 vcc_lo, exec_lo, s7
	s_cbranch_vccnz .LBB123_49
; %bb.48:
	v_add_co_u32 v166, vcc_lo, v147, v142
	v_add_co_ci_u32_e64 v167, null, v148, v143, vcc_lo
	flat_load_dwordx2 v[166:167], v[166:167]
	s_waitcnt vmcnt(0) lgkmcnt(0)
	v_mul_f64 v[166:167], s[12:13], v[166:167]
	v_cvt_f32_f64_e32 v149, v[166:167]
	v_add_co_u32 v166, vcc_lo, v145, v142
	v_add_co_ci_u32_e64 v167, null, v146, v143, vcc_lo
	v_add_co_u32 v147, vcc_lo, v147, v138
	v_add_co_ci_u32_e64 v148, null, v148, v139, vcc_lo
	v_min_f32_e32 v149, v149, v150
	v_cvt_f64_f32_e32 v[149:150], v149
	flat_store_dwordx2 v[166:167], v[149:150]
	flat_load_dwordx2 v[147:148], v[147:148]
	s_waitcnt vmcnt(0) lgkmcnt(0)
	v_mul_f64 v[147:148], s[12:13], v[147:148]
	v_cvt_f32_f64_e32 v149, v[147:148]
.LBB123_49:
	v_add_f64 v[126:127], v[2:3], v[126:127]
	v_add_f64 v[128:129], v[4:5], v[128:129]
	;; [unrolled: 1-line block ×6, first 2 shown]
	v_add_co_u32 v145, vcc_lo, v145, v138
	v_add_co_ci_u32_e64 v146, null, v146, v139, vcc_lo
	s_mov_b32 s7, -1
	v_cvt_f32_f64_e32 v126, v[126:127]
	v_cvt_f32_f64_e32 v127, v[128:129]
	;; [unrolled: 1-line block ×4, first 2 shown]
	v_add_f64 v[122:123], v[66:67], v[114:115]
	v_add_f64 v[124:125], v[68:69], v[116:117]
	v_cvt_f32_f64_e32 v150, v[166:167]
	v_cvt_f32_f64_e32 v147, v[147:148]
	v_add_nc_u32_e32 v148, 32, v144
	v_min3_f32 v126, v126, v127, v214
	v_min_f32_e32 v127, v128, v129
	v_cvt_f32_f64_e32 v166, v[122:123]
	v_cvt_f32_f64_e32 v167, v[124:125]
	v_mad_i64_i32 v[122:123], null, v148, s6, 0
	v_min3_f32 v124, v149, v127, v126
	v_min3_f32 v126, v150, v147, v215
	v_cvt_f64_f32_e32 v[128:129], v124
	v_mad_i64_i32 v[124:125], null, v148, s1, 0
	v_lshlrev_b64 v[122:123], 3, v[122:123]
	v_add_co_u32 v122, vcc_lo, s4, v122
	v_lshlrev_b64 v[124:125], 3, v[124:125]
	v_add_co_ci_u32_e64 v123, null, s5, v123, vcc_lo
	v_min3_f32 v126, v166, v167, v126
	v_add_co_u32 v124, vcc_lo, s2, v124
	v_add_co_ci_u32_e64 v125, null, s3, v125, vcc_lo
	v_max_f32_e32 v127, v126, v126
	s_mov_b32 vcc_lo, s0
	flat_store_dwordx2 v[145:146], v[128:129]
	s_cbranch_vccz .LBB123_51
; %bb.50:
	v_min_f32_e32 v126, 0, v127
	v_add_co_u32 v145, vcc_lo, v122, v134
	v_add_co_ci_u32_e64 v146, null, v123, v135, vcc_lo
	v_cvt_f64_f32_e32 v[128:129], v126
	s_mov_b32 s7, 0
	flat_store_dwordx2 v[145:146], v[128:129]
.LBB123_51:
	v_mov_b32_e32 v126, 0
	s_andn2_b32 vcc_lo, exec_lo, s7
	s_cbranch_vccnz .LBB123_53
; %bb.52:
	v_add_co_u32 v128, vcc_lo, v124, v134
	v_add_co_ci_u32_e64 v129, null, v125, v135, vcc_lo
	flat_load_dwordx2 v[128:129], v[128:129]
	s_waitcnt vmcnt(0) lgkmcnt(0)
	v_mul_f64 v[128:129], s[12:13], v[128:129]
	v_cvt_f32_f64_e32 v126, v[128:129]
	v_add_co_u32 v128, vcc_lo, v122, v134
	v_add_co_ci_u32_e64 v129, null, v123, v135, vcc_lo
	v_add_co_u32 v145, vcc_lo, v124, v0
	v_add_co_ci_u32_e64 v146, null, v125, v1, vcc_lo
	v_min_f32_e32 v126, v126, v127
	v_cvt_f64_f32_e32 v[126:127], v126
	flat_store_dwordx2 v[128:129], v[126:127]
	flat_load_dwordx2 v[126:127], v[145:146]
	s_waitcnt vmcnt(0) lgkmcnt(0)
	v_mul_f64 v[126:127], s[12:13], v[126:127]
	v_cvt_f32_f64_e32 v126, v[126:127]
.LBB123_53:
	v_add_f64 v[127:128], v[62:63], v[118:119]
	v_add_f64 v[145:146], v[64:65], v[120:121]
	v_add_f64 v[147:148], v[58:59], v[114:115]
	v_add_f64 v[149:150], v[60:61], v[116:117]
	v_add_f64 v[166:167], v[56:57], v[120:121]
	v_add_f64 v[168:169], v[54:55], v[118:119]
	v_add_f64 v[171:172], v[50:51], v[114:115]
	s_mov_b32 s7, -1
	v_cvt_f32_f64_e32 v129, v[127:128]
	v_cvt_f32_f64_e32 v145, v[145:146]
	v_cvt_f32_f64_e32 v146, v[147:148]
	v_cvt_f32_f64_e32 v147, v[149:150]
	v_add_f64 v[127:128], v[52:53], v[116:117]
	v_cvt_f32_f64_e32 v148, v[168:169]
	v_cvt_f32_f64_e32 v149, v[166:167]
	v_cvt_f32_f64_e32 v150, v[171:172]
	v_min3_f32 v129, v129, v145, v212
	v_min_f32_e32 v145, v146, v147
	v_cvt_f32_f64_e32 v127, v[127:128]
	v_min3_f32 v126, v126, v145, v129
	v_add_co_u32 v145, vcc_lo, v122, v0
	v_add_co_ci_u32_e64 v146, null, v123, v1, vcc_lo
	v_cvt_f64_f32_e32 v[128:129], v126
	v_min3_f32 v126, v148, v149, v213
	s_mov_b32 vcc_lo, s0
	v_min3_f32 v126, v150, v127, v126
	v_max_f32_e32 v127, v126, v126
	flat_store_dwordx2 v[145:146], v[128:129]
	s_cbranch_vccz .LBB123_55
; %bb.54:
	v_min_f32_e32 v126, 0, v127
	v_add_co_u32 v145, vcc_lo, v122, v136
	v_add_co_ci_u32_e64 v146, null, v123, v137, vcc_lo
	v_cvt_f64_f32_e32 v[128:129], v126
	s_mov_b32 s7, 0
	flat_store_dwordx2 v[145:146], v[128:129]
.LBB123_55:
	v_mov_b32_e32 v126, 0
	s_andn2_b32 vcc_lo, exec_lo, s7
	s_cbranch_vccnz .LBB123_57
; %bb.56:
	v_add_co_u32 v128, vcc_lo, v124, v136
	v_add_co_ci_u32_e64 v129, null, v125, v137, vcc_lo
	flat_load_dwordx2 v[128:129], v[128:129]
	s_waitcnt vmcnt(0) lgkmcnt(0)
	v_mul_f64 v[128:129], s[12:13], v[128:129]
	v_cvt_f32_f64_e32 v126, v[128:129]
	v_add_co_u32 v128, vcc_lo, v122, v136
	v_add_co_ci_u32_e64 v129, null, v123, v137, vcc_lo
	v_add_co_u32 v145, vcc_lo, v124, v130
	v_add_co_ci_u32_e64 v146, null, v125, v131, vcc_lo
	v_min_f32_e32 v126, v126, v127
	v_cvt_f64_f32_e32 v[126:127], v126
	flat_store_dwordx2 v[128:129], v[126:127]
	flat_load_dwordx2 v[126:127], v[145:146]
	s_waitcnt vmcnt(0) lgkmcnt(0)
	v_mul_f64 v[126:127], s[12:13], v[126:127]
	v_cvt_f32_f64_e32 v126, v[126:127]
.LBB123_57:
	v_add_f64 v[127:128], v[46:47], v[118:119]
	v_add_f64 v[145:146], v[48:49], v[120:121]
	v_add_f64 v[147:148], v[42:43], v[114:115]
	v_add_f64 v[149:150], v[44:45], v[116:117]
	v_add_f64 v[166:167], v[40:41], v[120:121]
	v_add_f64 v[168:169], v[38:39], v[118:119]
	v_add_f64 v[171:172], v[34:35], v[114:115]
	s_mov_b32 s7, -1
	v_cvt_f32_f64_e32 v129, v[127:128]
	v_cvt_f32_f64_e32 v145, v[145:146]
	v_cvt_f32_f64_e32 v146, v[147:148]
	v_cvt_f32_f64_e32 v147, v[149:150]
	v_add_f64 v[127:128], v[36:37], v[116:117]
	v_cvt_f32_f64_e32 v148, v[168:169]
	v_cvt_f32_f64_e32 v149, v[166:167]
	v_cvt_f32_f64_e32 v150, v[171:172]
	v_min3_f32 v129, v129, v145, v210
	v_min_f32_e32 v145, v146, v147
	v_cvt_f32_f64_e32 v127, v[127:128]
	v_min3_f32 v126, v126, v145, v129
	v_add_co_u32 v145, vcc_lo, v122, v130
	v_add_co_ci_u32_e64 v146, null, v123, v131, vcc_lo
	v_cvt_f64_f32_e32 v[128:129], v126
	v_min3_f32 v126, v148, v149, v211
	s_mov_b32 vcc_lo, s0
	v_min3_f32 v126, v150, v127, v126
	v_max_f32_e32 v127, v126, v126
	flat_store_dwordx2 v[145:146], v[128:129]
	s_cbranch_vccz .LBB123_59
; %bb.58:
	v_min_f32_e32 v126, 0, v127
	v_add_co_u32 v145, vcc_lo, v122, v140
	v_add_co_ci_u32_e64 v146, null, v123, v141, vcc_lo
	v_cvt_f64_f32_e32 v[128:129], v126
	s_mov_b32 s7, 0
	flat_store_dwordx2 v[145:146], v[128:129]
.LBB123_59:
	v_mov_b32_e32 v126, 0
	s_andn2_b32 vcc_lo, exec_lo, s7
	s_cbranch_vccnz .LBB123_61
; %bb.60:
	v_add_co_u32 v128, vcc_lo, v124, v140
	v_add_co_ci_u32_e64 v129, null, v125, v141, vcc_lo
	flat_load_dwordx2 v[128:129], v[128:129]
	s_waitcnt vmcnt(0) lgkmcnt(0)
	v_mul_f64 v[128:129], s[12:13], v[128:129]
	v_cvt_f32_f64_e32 v126, v[128:129]
	v_add_co_u32 v128, vcc_lo, v122, v140
	v_add_co_ci_u32_e64 v129, null, v123, v141, vcc_lo
	v_add_co_u32 v145, vcc_lo, v124, v132
	v_add_co_ci_u32_e64 v146, null, v125, v133, vcc_lo
	v_min_f32_e32 v126, v126, v127
	v_cvt_f64_f32_e32 v[126:127], v126
	flat_store_dwordx2 v[128:129], v[126:127]
	flat_load_dwordx2 v[126:127], v[145:146]
	s_waitcnt vmcnt(0) lgkmcnt(0)
	v_mul_f64 v[126:127], s[12:13], v[126:127]
	v_cvt_f32_f64_e32 v126, v[126:127]
.LBB123_61:
	v_add_f64 v[127:128], v[30:31], v[118:119]
	v_add_f64 v[145:146], v[32:33], v[120:121]
	v_add_f64 v[147:148], v[26:27], v[114:115]
	v_add_f64 v[149:150], v[28:29], v[116:117]
	v_add_f64 v[166:167], v[24:25], v[120:121]
	v_add_f64 v[168:169], v[22:23], v[118:119]
	v_add_f64 v[171:172], v[18:19], v[114:115]
	s_mov_b32 s7, -1
	v_cvt_f32_f64_e32 v129, v[127:128]
	v_cvt_f32_f64_e32 v145, v[145:146]
	v_cvt_f32_f64_e32 v146, v[147:148]
	v_cvt_f32_f64_e32 v147, v[149:150]
	v_add_f64 v[127:128], v[20:21], v[116:117]
	v_cvt_f32_f64_e32 v148, v[168:169]
	v_cvt_f32_f64_e32 v149, v[166:167]
	v_cvt_f32_f64_e32 v150, v[171:172]
	v_min3_f32 v129, v129, v145, v208
	v_min_f32_e32 v145, v146, v147
	v_cvt_f32_f64_e32 v127, v[127:128]
	v_min3_f32 v126, v126, v145, v129
	v_add_co_u32 v145, vcc_lo, v122, v132
	v_add_co_ci_u32_e64 v146, null, v123, v133, vcc_lo
	v_cvt_f64_f32_e32 v[128:129], v126
	v_min3_f32 v126, v148, v149, v209
	s_mov_b32 vcc_lo, s0
	v_min3_f32 v126, v150, v127, v126
	v_max_f32_e32 v127, v126, v126
	flat_store_dwordx2 v[145:146], v[128:129]
	s_cbranch_vccz .LBB123_63
; %bb.62:
	v_min_f32_e32 v126, 0, v127
	v_add_co_u32 v145, vcc_lo, v122, v142
	v_add_co_ci_u32_e64 v146, null, v123, v143, vcc_lo
	v_cvt_f64_f32_e32 v[128:129], v126
	s_mov_b32 s7, 0
	flat_store_dwordx2 v[145:146], v[128:129]
.LBB123_63:
	v_mov_b32_e32 v126, 0
	s_andn2_b32 vcc_lo, exec_lo, s7
	s_cbranch_vccnz .LBB123_65
; %bb.64:
	v_add_co_u32 v128, vcc_lo, v124, v142
	v_add_co_ci_u32_e64 v129, null, v125, v143, vcc_lo
	flat_load_dwordx2 v[128:129], v[128:129]
	s_waitcnt vmcnt(0) lgkmcnt(0)
	v_mul_f64 v[128:129], s[12:13], v[128:129]
	v_cvt_f32_f64_e32 v126, v[128:129]
	v_add_co_u32 v128, vcc_lo, v122, v142
	v_add_co_ci_u32_e64 v129, null, v123, v143, vcc_lo
	v_add_co_u32 v124, vcc_lo, v124, v138
	v_add_co_ci_u32_e64 v125, null, v125, v139, vcc_lo
	v_min_f32_e32 v126, v126, v127
	v_cvt_f64_f32_e32 v[126:127], v126
	flat_store_dwordx2 v[128:129], v[126:127]
	flat_load_dwordx2 v[124:125], v[124:125]
	s_waitcnt vmcnt(0) lgkmcnt(0)
	v_mul_f64 v[124:125], s[12:13], v[124:125]
	v_cvt_f32_f64_e32 v126, v[124:125]
.LBB123_65:
	v_add_f64 v[118:119], v[2:3], v[118:119]
	v_add_f64 v[120:121], v[4:5], v[120:121]
	;; [unrolled: 1-line block ×6, first 2 shown]
	v_add_co_u32 v122, vcc_lo, v122, v138
	v_add_co_ci_u32_e64 v123, null, v123, v139, vcc_lo
	s_mov_b32 s7, -1
	v_cvt_f32_f64_e32 v118, v[118:119]
	v_cvt_f32_f64_e32 v119, v[120:121]
	;; [unrolled: 1-line block ×4, first 2 shown]
	v_add_f64 v[114:115], v[66:67], v[106:107]
	v_add_f64 v[116:117], v[68:69], v[108:109]
	v_cvt_f32_f64_e32 v127, v[127:128]
	v_cvt_f32_f64_e32 v124, v[124:125]
	v_add_nc_u32_e32 v125, 64, v144
	v_min3_f32 v118, v118, v119, v207
	v_min_f32_e32 v119, v120, v121
	v_cvt_f32_f64_e32 v128, v[114:115]
	v_cvt_f32_f64_e32 v129, v[116:117]
	v_mad_i64_i32 v[114:115], null, v125, s6, 0
	v_min3_f32 v116, v126, v119, v118
	v_min3_f32 v118, v127, v124, v206
	v_cvt_f64_f32_e32 v[120:121], v116
	v_mad_i64_i32 v[116:117], null, v125, s1, 0
	v_lshlrev_b64 v[114:115], 3, v[114:115]
	v_add_co_u32 v114, vcc_lo, s4, v114
	v_lshlrev_b64 v[116:117], 3, v[116:117]
	v_add_co_ci_u32_e64 v115, null, s5, v115, vcc_lo
	v_min3_f32 v118, v128, v129, v118
	v_add_co_u32 v116, vcc_lo, s2, v116
	v_add_co_ci_u32_e64 v117, null, s3, v117, vcc_lo
	v_max_f32_e32 v119, v118, v118
	s_mov_b32 vcc_lo, s0
	flat_store_dwordx2 v[122:123], v[120:121]
	s_cbranch_vccz .LBB123_67
; %bb.66:
	v_min_f32_e32 v118, 0, v119
	v_add_co_u32 v122, vcc_lo, v114, v134
	v_add_co_ci_u32_e64 v123, null, v115, v135, vcc_lo
	v_cvt_f64_f32_e32 v[120:121], v118
	s_mov_b32 s7, 0
	flat_store_dwordx2 v[122:123], v[120:121]
.LBB123_67:
	v_mov_b32_e32 v118, 0
	s_andn2_b32 vcc_lo, exec_lo, s7
	s_cbranch_vccnz .LBB123_69
; %bb.68:
	v_add_co_u32 v120, vcc_lo, v116, v134
	v_add_co_ci_u32_e64 v121, null, v117, v135, vcc_lo
	flat_load_dwordx2 v[120:121], v[120:121]
	s_waitcnt vmcnt(0) lgkmcnt(0)
	v_mul_f64 v[120:121], s[12:13], v[120:121]
	v_cvt_f32_f64_e32 v118, v[120:121]
	v_add_co_u32 v120, vcc_lo, v114, v134
	v_add_co_ci_u32_e64 v121, null, v115, v135, vcc_lo
	v_add_co_u32 v122, vcc_lo, v116, v0
	v_add_co_ci_u32_e64 v123, null, v117, v1, vcc_lo
	v_min_f32_e32 v118, v118, v119
	v_cvt_f64_f32_e32 v[118:119], v118
	flat_store_dwordx2 v[120:121], v[118:119]
	flat_load_dwordx2 v[118:119], v[122:123]
	s_waitcnt vmcnt(0) lgkmcnt(0)
	v_mul_f64 v[118:119], s[12:13], v[118:119]
	v_cvt_f32_f64_e32 v118, v[118:119]
.LBB123_69:
	v_add_f64 v[119:120], v[62:63], v[110:111]
	v_add_f64 v[121:122], v[64:65], v[112:113]
	v_add_f64 v[123:124], v[58:59], v[106:107]
	v_add_f64 v[125:126], v[60:61], v[108:109]
	v_add_f64 v[127:128], v[56:57], v[112:113]
	v_add_f64 v[145:146], v[54:55], v[110:111]
	v_add_f64 v[147:148], v[50:51], v[106:107]
	s_mov_b32 s7, -1
	v_cvt_f32_f64_e32 v129, v[119:120]
	v_cvt_f32_f64_e32 v121, v[121:122]
	v_cvt_f32_f64_e32 v122, v[123:124]
	v_cvt_f32_f64_e32 v123, v[125:126]
	v_add_f64 v[119:120], v[52:53], v[108:109]
	v_cvt_f32_f64_e32 v124, v[145:146]
	v_cvt_f32_f64_e32 v125, v[127:128]
	v_cvt_f32_f64_e32 v126, v[147:148]
	v_min3_f32 v121, v129, v121, v204
	v_min_f32_e32 v122, v122, v123
	v_cvt_f32_f64_e32 v119, v[119:120]
	v_min3_f32 v118, v118, v122, v121
	v_add_co_u32 v122, vcc_lo, v114, v0
	v_add_co_ci_u32_e64 v123, null, v115, v1, vcc_lo
	v_cvt_f64_f32_e32 v[120:121], v118
	v_min3_f32 v118, v124, v125, v205
	s_mov_b32 vcc_lo, s0
	v_min3_f32 v118, v126, v119, v118
	v_max_f32_e32 v119, v118, v118
	flat_store_dwordx2 v[122:123], v[120:121]
	s_cbranch_vccz .LBB123_71
; %bb.70:
	v_min_f32_e32 v118, 0, v119
	v_add_co_u32 v122, vcc_lo, v114, v136
	v_add_co_ci_u32_e64 v123, null, v115, v137, vcc_lo
	v_cvt_f64_f32_e32 v[120:121], v118
	s_mov_b32 s7, 0
	flat_store_dwordx2 v[122:123], v[120:121]
.LBB123_71:
	v_mov_b32_e32 v118, 0
	s_andn2_b32 vcc_lo, exec_lo, s7
	s_cbranch_vccnz .LBB123_73
; %bb.72:
	v_add_co_u32 v120, vcc_lo, v116, v136
	v_add_co_ci_u32_e64 v121, null, v117, v137, vcc_lo
	flat_load_dwordx2 v[120:121], v[120:121]
	s_waitcnt vmcnt(0) lgkmcnt(0)
	v_mul_f64 v[120:121], s[12:13], v[120:121]
	v_cvt_f32_f64_e32 v118, v[120:121]
	v_add_co_u32 v120, vcc_lo, v114, v136
	v_add_co_ci_u32_e64 v121, null, v115, v137, vcc_lo
	v_add_co_u32 v122, vcc_lo, v116, v130
	v_add_co_ci_u32_e64 v123, null, v117, v131, vcc_lo
	v_min_f32_e32 v118, v118, v119
	v_cvt_f64_f32_e32 v[118:119], v118
	flat_store_dwordx2 v[120:121], v[118:119]
	flat_load_dwordx2 v[118:119], v[122:123]
	s_waitcnt vmcnt(0) lgkmcnt(0)
	v_mul_f64 v[118:119], s[12:13], v[118:119]
	v_cvt_f32_f64_e32 v118, v[118:119]
.LBB123_73:
	v_add_f64 v[119:120], v[46:47], v[110:111]
	v_add_f64 v[121:122], v[48:49], v[112:113]
	v_add_f64 v[123:124], v[42:43], v[106:107]
	v_add_f64 v[125:126], v[44:45], v[108:109]
	v_add_f64 v[127:128], v[40:41], v[112:113]
	v_add_f64 v[145:146], v[38:39], v[110:111]
	v_add_f64 v[147:148], v[34:35], v[106:107]
	s_mov_b32 s7, -1
	v_cvt_f32_f64_e32 v129, v[119:120]
	v_cvt_f32_f64_e32 v121, v[121:122]
	v_cvt_f32_f64_e32 v122, v[123:124]
	v_cvt_f32_f64_e32 v123, v[125:126]
	v_add_f64 v[119:120], v[36:37], v[108:109]
	v_cvt_f32_f64_e32 v124, v[145:146]
	v_cvt_f32_f64_e32 v125, v[127:128]
	v_cvt_f32_f64_e32 v126, v[147:148]
	v_min3_f32 v121, v129, v121, v202
	v_min_f32_e32 v122, v122, v123
	v_cvt_f32_f64_e32 v119, v[119:120]
	v_min3_f32 v118, v118, v122, v121
	v_add_co_u32 v122, vcc_lo, v114, v130
	v_add_co_ci_u32_e64 v123, null, v115, v131, vcc_lo
	v_cvt_f64_f32_e32 v[120:121], v118
	v_min3_f32 v118, v124, v125, v203
	s_mov_b32 vcc_lo, s0
	v_min3_f32 v118, v126, v119, v118
	v_max_f32_e32 v119, v118, v118
	;; [unrolled: 59-line block ×3, first 2 shown]
	flat_store_dwordx2 v[122:123], v[120:121]
	s_cbranch_vccz .LBB123_79
; %bb.78:
	v_min_f32_e32 v118, 0, v119
	v_add_co_u32 v122, vcc_lo, v114, v142
	v_add_co_ci_u32_e64 v123, null, v115, v143, vcc_lo
	v_cvt_f64_f32_e32 v[120:121], v118
	s_mov_b32 s7, 0
	flat_store_dwordx2 v[122:123], v[120:121]
.LBB123_79:
	v_mov_b32_e32 v118, 0
	s_andn2_b32 vcc_lo, exec_lo, s7
	s_cbranch_vccnz .LBB123_81
; %bb.80:
	v_add_co_u32 v120, vcc_lo, v116, v142
	v_add_co_ci_u32_e64 v121, null, v117, v143, vcc_lo
	flat_load_dwordx2 v[120:121], v[120:121]
	s_waitcnt vmcnt(0) lgkmcnt(0)
	v_mul_f64 v[120:121], s[12:13], v[120:121]
	v_cvt_f32_f64_e32 v118, v[120:121]
	v_add_co_u32 v120, vcc_lo, v114, v142
	v_add_co_ci_u32_e64 v121, null, v115, v143, vcc_lo
	v_add_co_u32 v116, vcc_lo, v116, v138
	v_add_co_ci_u32_e64 v117, null, v117, v139, vcc_lo
	v_min_f32_e32 v118, v118, v119
	v_cvt_f64_f32_e32 v[118:119], v118
	flat_store_dwordx2 v[120:121], v[118:119]
	flat_load_dwordx2 v[116:117], v[116:117]
	s_waitcnt vmcnt(0) lgkmcnt(0)
	v_mul_f64 v[116:117], s[12:13], v[116:117]
	v_cvt_f32_f64_e32 v118, v[116:117]
.LBB123_81:
	v_add_f64 v[110:111], v[2:3], v[110:111]
	v_add_f64 v[112:113], v[4:5], v[112:113]
	v_add_f64 v[106:107], v[6:7], v[106:107]
	v_add_f64 v[108:109], v[8:9], v[108:109]
	v_add_f64 v[116:117], v[72:73], v[104:105]
	v_add_f64 v[119:120], v[70:71], v[102:103]
	v_add_co_u32 v114, vcc_lo, v114, v138
	v_add_co_ci_u32_e64 v115, null, v115, v139, vcc_lo
	s_mov_b32 s7, -1
	v_cvt_f32_f64_e32 v110, v[110:111]
	v_cvt_f32_f64_e32 v111, v[112:113]
	;; [unrolled: 1-line block ×4, first 2 shown]
	v_add_f64 v[106:107], v[66:67], v[98:99]
	v_add_f64 v[108:109], v[68:69], v[100:101]
	v_cvt_f32_f64_e32 v119, v[119:120]
	v_cvt_f32_f64_e32 v116, v[116:117]
	v_add_nc_u32_e32 v117, 0x60, v144
	v_min3_f32 v110, v110, v111, v198
	v_min_f32_e32 v111, v112, v113
	v_cvt_f32_f64_e32 v120, v[106:107]
	v_cvt_f32_f64_e32 v121, v[108:109]
	v_mad_i64_i32 v[106:107], null, v117, s6, 0
	v_min3_f32 v108, v118, v111, v110
	v_min3_f32 v110, v119, v116, v199
	v_cvt_f64_f32_e32 v[112:113], v108
	v_mad_i64_i32 v[108:109], null, v117, s1, 0
	v_lshlrev_b64 v[106:107], 3, v[106:107]
	v_add_co_u32 v106, vcc_lo, s4, v106
	v_lshlrev_b64 v[108:109], 3, v[108:109]
	v_add_co_ci_u32_e64 v107, null, s5, v107, vcc_lo
	v_min3_f32 v110, v120, v121, v110
	v_add_co_u32 v108, vcc_lo, s2, v108
	v_add_co_ci_u32_e64 v109, null, s3, v109, vcc_lo
	v_max_f32_e32 v111, v110, v110
	s_mov_b32 vcc_lo, s0
	flat_store_dwordx2 v[114:115], v[112:113]
	s_cbranch_vccz .LBB123_83
; %bb.82:
	v_min_f32_e32 v110, 0, v111
	v_add_co_u32 v114, vcc_lo, v106, v134
	v_add_co_ci_u32_e64 v115, null, v107, v135, vcc_lo
	v_cvt_f64_f32_e32 v[112:113], v110
	s_mov_b32 s7, 0
	flat_store_dwordx2 v[114:115], v[112:113]
.LBB123_83:
	v_mov_b32_e32 v110, 0
	s_andn2_b32 vcc_lo, exec_lo, s7
	s_cbranch_vccnz .LBB123_85
; %bb.84:
	v_add_co_u32 v112, vcc_lo, v108, v134
	v_add_co_ci_u32_e64 v113, null, v109, v135, vcc_lo
	flat_load_dwordx2 v[112:113], v[112:113]
	s_waitcnt vmcnt(0) lgkmcnt(0)
	v_mul_f64 v[112:113], s[12:13], v[112:113]
	v_cvt_f32_f64_e32 v110, v[112:113]
	v_add_co_u32 v112, vcc_lo, v106, v134
	v_add_co_ci_u32_e64 v113, null, v107, v135, vcc_lo
	v_add_co_u32 v114, vcc_lo, v108, v0
	v_add_co_ci_u32_e64 v115, null, v109, v1, vcc_lo
	v_min_f32_e32 v110, v110, v111
	v_cvt_f64_f32_e32 v[110:111], v110
	flat_store_dwordx2 v[112:113], v[110:111]
	flat_load_dwordx2 v[110:111], v[114:115]
	s_waitcnt vmcnt(0) lgkmcnt(0)
	v_mul_f64 v[110:111], s[12:13], v[110:111]
	v_cvt_f32_f64_e32 v110, v[110:111]
.LBB123_85:
	v_add_f64 v[111:112], v[62:63], v[102:103]
	v_add_f64 v[113:114], v[64:65], v[104:105]
	v_add_f64 v[115:116], v[58:59], v[98:99]
	v_add_f64 v[117:118], v[60:61], v[100:101]
	v_add_f64 v[119:120], v[56:57], v[104:105]
	v_add_f64 v[121:122], v[54:55], v[102:103]
	v_add_f64 v[123:124], v[50:51], v[98:99]
	s_mov_b32 s7, -1
	v_cvt_f32_f64_e32 v125, v[111:112]
	v_cvt_f32_f64_e32 v113, v[113:114]
	v_cvt_f32_f64_e32 v114, v[115:116]
	v_cvt_f32_f64_e32 v115, v[117:118]
	v_add_f64 v[111:112], v[52:53], v[100:101]
	v_cvt_f32_f64_e32 v116, v[121:122]
	v_cvt_f32_f64_e32 v117, v[119:120]
	v_cvt_f32_f64_e32 v118, v[123:124]
	v_min3_f32 v113, v125, v113, v196
	v_min_f32_e32 v114, v114, v115
	v_cvt_f32_f64_e32 v111, v[111:112]
	v_min3_f32 v110, v110, v114, v113
	v_add_co_u32 v114, vcc_lo, v106, v0
	v_add_co_ci_u32_e64 v115, null, v107, v1, vcc_lo
	v_cvt_f64_f32_e32 v[112:113], v110
	v_min3_f32 v110, v116, v117, v197
	s_mov_b32 vcc_lo, s0
	v_min3_f32 v110, v118, v111, v110
	v_max_f32_e32 v111, v110, v110
	flat_store_dwordx2 v[114:115], v[112:113]
	s_cbranch_vccz .LBB123_87
; %bb.86:
	v_min_f32_e32 v110, 0, v111
	v_add_co_u32 v114, vcc_lo, v106, v136
	v_add_co_ci_u32_e64 v115, null, v107, v137, vcc_lo
	v_cvt_f64_f32_e32 v[112:113], v110
	s_mov_b32 s7, 0
	flat_store_dwordx2 v[114:115], v[112:113]
.LBB123_87:
	v_mov_b32_e32 v110, 0
	s_andn2_b32 vcc_lo, exec_lo, s7
	s_cbranch_vccnz .LBB123_89
; %bb.88:
	v_add_co_u32 v112, vcc_lo, v108, v136
	v_add_co_ci_u32_e64 v113, null, v109, v137, vcc_lo
	flat_load_dwordx2 v[112:113], v[112:113]
	s_waitcnt vmcnt(0) lgkmcnt(0)
	v_mul_f64 v[112:113], s[12:13], v[112:113]
	v_cvt_f32_f64_e32 v110, v[112:113]
	v_add_co_u32 v112, vcc_lo, v106, v136
	v_add_co_ci_u32_e64 v113, null, v107, v137, vcc_lo
	v_add_co_u32 v114, vcc_lo, v108, v130
	v_add_co_ci_u32_e64 v115, null, v109, v131, vcc_lo
	v_min_f32_e32 v110, v110, v111
	v_cvt_f64_f32_e32 v[110:111], v110
	flat_store_dwordx2 v[112:113], v[110:111]
	flat_load_dwordx2 v[110:111], v[114:115]
	s_waitcnt vmcnt(0) lgkmcnt(0)
	v_mul_f64 v[110:111], s[12:13], v[110:111]
	v_cvt_f32_f64_e32 v110, v[110:111]
.LBB123_89:
	v_add_f64 v[111:112], v[46:47], v[102:103]
	v_add_f64 v[113:114], v[48:49], v[104:105]
	v_add_f64 v[115:116], v[42:43], v[98:99]
	v_add_f64 v[117:118], v[44:45], v[100:101]
	v_add_f64 v[119:120], v[40:41], v[104:105]
	v_add_f64 v[121:122], v[38:39], v[102:103]
	v_add_f64 v[123:124], v[34:35], v[98:99]
	s_mov_b32 s7, -1
	v_cvt_f32_f64_e32 v125, v[111:112]
	v_cvt_f32_f64_e32 v113, v[113:114]
	v_cvt_f32_f64_e32 v114, v[115:116]
	v_cvt_f32_f64_e32 v115, v[117:118]
	v_add_f64 v[111:112], v[36:37], v[100:101]
	v_cvt_f32_f64_e32 v116, v[121:122]
	v_cvt_f32_f64_e32 v117, v[119:120]
	v_cvt_f32_f64_e32 v118, v[123:124]
	v_min3_f32 v113, v125, v113, v194
	v_min_f32_e32 v114, v114, v115
	v_cvt_f32_f64_e32 v111, v[111:112]
	v_min3_f32 v110, v110, v114, v113
	v_add_co_u32 v114, vcc_lo, v106, v130
	v_add_co_ci_u32_e64 v115, null, v107, v131, vcc_lo
	v_cvt_f64_f32_e32 v[112:113], v110
	v_min3_f32 v110, v116, v117, v195
	s_mov_b32 vcc_lo, s0
	v_min3_f32 v110, v118, v111, v110
	v_max_f32_e32 v111, v110, v110
	;; [unrolled: 59-line block ×3, first 2 shown]
	flat_store_dwordx2 v[114:115], v[112:113]
	s_cbranch_vccz .LBB123_95
; %bb.94:
	v_min_f32_e32 v110, 0, v111
	v_add_co_u32 v114, vcc_lo, v106, v142
	v_add_co_ci_u32_e64 v115, null, v107, v143, vcc_lo
	v_cvt_f64_f32_e32 v[112:113], v110
	s_mov_b32 s7, 0
	flat_store_dwordx2 v[114:115], v[112:113]
.LBB123_95:
	v_mov_b32_e32 v110, 0
	s_andn2_b32 vcc_lo, exec_lo, s7
	s_cbranch_vccnz .LBB123_97
; %bb.96:
	v_add_co_u32 v112, vcc_lo, v108, v142
	v_add_co_ci_u32_e64 v113, null, v109, v143, vcc_lo
	flat_load_dwordx2 v[112:113], v[112:113]
	s_waitcnt vmcnt(0) lgkmcnt(0)
	v_mul_f64 v[112:113], s[12:13], v[112:113]
	v_cvt_f32_f64_e32 v110, v[112:113]
	v_add_co_u32 v112, vcc_lo, v106, v142
	v_add_co_ci_u32_e64 v113, null, v107, v143, vcc_lo
	v_add_co_u32 v108, vcc_lo, v108, v138
	v_add_co_ci_u32_e64 v109, null, v109, v139, vcc_lo
	v_min_f32_e32 v110, v110, v111
	v_cvt_f64_f32_e32 v[110:111], v110
	flat_store_dwordx2 v[112:113], v[110:111]
	flat_load_dwordx2 v[108:109], v[108:109]
	s_waitcnt vmcnt(0) lgkmcnt(0)
	v_mul_f64 v[108:109], s[12:13], v[108:109]
	v_cvt_f32_f64_e32 v110, v[108:109]
.LBB123_97:
	v_add_f64 v[102:103], v[2:3], v[102:103]
	v_add_f64 v[104:105], v[4:5], v[104:105]
	;; [unrolled: 1-line block ×6, first 2 shown]
	v_add_co_u32 v106, vcc_lo, v106, v138
	v_add_co_ci_u32_e64 v107, null, v107, v139, vcc_lo
	s_mov_b32 s7, -1
	v_cvt_f32_f64_e32 v102, v[102:103]
	v_cvt_f32_f64_e32 v103, v[104:105]
	;; [unrolled: 1-line block ×4, first 2 shown]
	v_add_f64 v[98:99], v[66:67], v[90:91]
	v_add_f64 v[100:101], v[68:69], v[92:93]
	v_cvt_f32_f64_e32 v111, v[111:112]
	v_cvt_f32_f64_e32 v108, v[108:109]
	v_add_nc_u32_e32 v109, 0x80, v144
	v_min3_f32 v102, v102, v103, v190
	v_min_f32_e32 v103, v104, v105
	v_cvt_f32_f64_e32 v112, v[98:99]
	v_cvt_f32_f64_e32 v113, v[100:101]
	v_mad_i64_i32 v[98:99], null, v109, s6, 0
	v_min3_f32 v100, v110, v103, v102
	v_min3_f32 v102, v111, v108, v191
	v_cvt_f64_f32_e32 v[104:105], v100
	v_mad_i64_i32 v[100:101], null, v109, s1, 0
	v_lshlrev_b64 v[98:99], 3, v[98:99]
	v_add_co_u32 v98, vcc_lo, s4, v98
	v_lshlrev_b64 v[100:101], 3, v[100:101]
	v_add_co_ci_u32_e64 v99, null, s5, v99, vcc_lo
	v_min3_f32 v102, v112, v113, v102
	v_add_co_u32 v100, vcc_lo, s2, v100
	v_add_co_ci_u32_e64 v101, null, s3, v101, vcc_lo
	v_max_f32_e32 v103, v102, v102
	s_mov_b32 vcc_lo, s0
	flat_store_dwordx2 v[106:107], v[104:105]
	s_cbranch_vccz .LBB123_99
; %bb.98:
	v_min_f32_e32 v102, 0, v103
	v_add_co_u32 v106, vcc_lo, v98, v134
	v_add_co_ci_u32_e64 v107, null, v99, v135, vcc_lo
	v_cvt_f64_f32_e32 v[104:105], v102
	s_mov_b32 s7, 0
	flat_store_dwordx2 v[106:107], v[104:105]
.LBB123_99:
	v_mov_b32_e32 v102, 0
	s_andn2_b32 vcc_lo, exec_lo, s7
	s_cbranch_vccnz .LBB123_101
; %bb.100:
	v_add_co_u32 v104, vcc_lo, v100, v134
	v_add_co_ci_u32_e64 v105, null, v101, v135, vcc_lo
	flat_load_dwordx2 v[104:105], v[104:105]
	s_waitcnt vmcnt(0) lgkmcnt(0)
	v_mul_f64 v[104:105], s[12:13], v[104:105]
	v_cvt_f32_f64_e32 v102, v[104:105]
	v_add_co_u32 v104, vcc_lo, v98, v134
	v_add_co_ci_u32_e64 v105, null, v99, v135, vcc_lo
	v_add_co_u32 v106, vcc_lo, v100, v0
	v_add_co_ci_u32_e64 v107, null, v101, v1, vcc_lo
	v_min_f32_e32 v102, v102, v103
	v_cvt_f64_f32_e32 v[102:103], v102
	flat_store_dwordx2 v[104:105], v[102:103]
	flat_load_dwordx2 v[102:103], v[106:107]
	s_waitcnt vmcnt(0) lgkmcnt(0)
	v_mul_f64 v[102:103], s[12:13], v[102:103]
	v_cvt_f32_f64_e32 v102, v[102:103]
.LBB123_101:
	v_add_f64 v[103:104], v[62:63], v[94:95]
	v_add_f64 v[105:106], v[64:65], v[96:97]
	v_add_f64 v[107:108], v[58:59], v[90:91]
	v_add_f64 v[109:110], v[60:61], v[92:93]
	v_add_f64 v[111:112], v[56:57], v[96:97]
	v_add_f64 v[113:114], v[54:55], v[94:95]
	v_add_f64 v[115:116], v[50:51], v[90:91]
	s_mov_b32 s7, -1
	v_cvt_f32_f64_e32 v117, v[103:104]
	v_cvt_f32_f64_e32 v105, v[105:106]
	v_cvt_f32_f64_e32 v106, v[107:108]
	v_cvt_f32_f64_e32 v107, v[109:110]
	v_add_f64 v[103:104], v[52:53], v[92:93]
	v_cvt_f32_f64_e32 v108, v[113:114]
	v_cvt_f32_f64_e32 v109, v[111:112]
	v_cvt_f32_f64_e32 v110, v[115:116]
	v_min3_f32 v105, v117, v105, v188
	v_min_f32_e32 v106, v106, v107
	v_cvt_f32_f64_e32 v103, v[103:104]
	v_min3_f32 v102, v102, v106, v105
	v_add_co_u32 v106, vcc_lo, v98, v0
	v_add_co_ci_u32_e64 v107, null, v99, v1, vcc_lo
	v_cvt_f64_f32_e32 v[104:105], v102
	v_min3_f32 v102, v108, v109, v189
	s_mov_b32 vcc_lo, s0
	v_min3_f32 v102, v110, v103, v102
	v_max_f32_e32 v103, v102, v102
	flat_store_dwordx2 v[106:107], v[104:105]
	s_cbranch_vccz .LBB123_103
; %bb.102:
	v_min_f32_e32 v102, 0, v103
	v_add_co_u32 v106, vcc_lo, v98, v136
	v_add_co_ci_u32_e64 v107, null, v99, v137, vcc_lo
	v_cvt_f64_f32_e32 v[104:105], v102
	s_mov_b32 s7, 0
	flat_store_dwordx2 v[106:107], v[104:105]
.LBB123_103:
	v_mov_b32_e32 v102, 0
	s_andn2_b32 vcc_lo, exec_lo, s7
	s_cbranch_vccnz .LBB123_105
; %bb.104:
	v_add_co_u32 v104, vcc_lo, v100, v136
	v_add_co_ci_u32_e64 v105, null, v101, v137, vcc_lo
	flat_load_dwordx2 v[104:105], v[104:105]
	s_waitcnt vmcnt(0) lgkmcnt(0)
	v_mul_f64 v[104:105], s[12:13], v[104:105]
	v_cvt_f32_f64_e32 v102, v[104:105]
	v_add_co_u32 v104, vcc_lo, v98, v136
	v_add_co_ci_u32_e64 v105, null, v99, v137, vcc_lo
	v_add_co_u32 v106, vcc_lo, v100, v130
	v_add_co_ci_u32_e64 v107, null, v101, v131, vcc_lo
	v_min_f32_e32 v102, v102, v103
	v_cvt_f64_f32_e32 v[102:103], v102
	flat_store_dwordx2 v[104:105], v[102:103]
	flat_load_dwordx2 v[102:103], v[106:107]
	s_waitcnt vmcnt(0) lgkmcnt(0)
	v_mul_f64 v[102:103], s[12:13], v[102:103]
	v_cvt_f32_f64_e32 v102, v[102:103]
.LBB123_105:
	v_add_f64 v[103:104], v[46:47], v[94:95]
	v_add_f64 v[105:106], v[48:49], v[96:97]
	v_add_f64 v[107:108], v[42:43], v[90:91]
	v_add_f64 v[109:110], v[44:45], v[92:93]
	v_add_f64 v[111:112], v[40:41], v[96:97]
	v_add_f64 v[113:114], v[38:39], v[94:95]
	v_add_f64 v[115:116], v[34:35], v[90:91]
	s_mov_b32 s7, -1
	v_cvt_f32_f64_e32 v117, v[103:104]
	v_cvt_f32_f64_e32 v105, v[105:106]
	v_cvt_f32_f64_e32 v106, v[107:108]
	v_cvt_f32_f64_e32 v107, v[109:110]
	v_add_f64 v[103:104], v[36:37], v[92:93]
	v_cvt_f32_f64_e32 v108, v[113:114]
	v_cvt_f32_f64_e32 v109, v[111:112]
	v_cvt_f32_f64_e32 v110, v[115:116]
	v_min3_f32 v105, v117, v105, v186
	v_min_f32_e32 v106, v106, v107
	v_cvt_f32_f64_e32 v103, v[103:104]
	v_min3_f32 v102, v102, v106, v105
	v_add_co_u32 v106, vcc_lo, v98, v130
	v_add_co_ci_u32_e64 v107, null, v99, v131, vcc_lo
	v_cvt_f64_f32_e32 v[104:105], v102
	v_min3_f32 v102, v108, v109, v187
	s_mov_b32 vcc_lo, s0
	v_min3_f32 v102, v110, v103, v102
	v_max_f32_e32 v103, v102, v102
	;; [unrolled: 59-line block ×3, first 2 shown]
	flat_store_dwordx2 v[106:107], v[104:105]
	s_cbranch_vccz .LBB123_111
; %bb.110:
	v_min_f32_e32 v102, 0, v103
	v_add_co_u32 v106, vcc_lo, v98, v142
	v_add_co_ci_u32_e64 v107, null, v99, v143, vcc_lo
	v_cvt_f64_f32_e32 v[104:105], v102
	s_mov_b32 s7, 0
	flat_store_dwordx2 v[106:107], v[104:105]
.LBB123_111:
	v_mov_b32_e32 v102, 0
	s_andn2_b32 vcc_lo, exec_lo, s7
	s_cbranch_vccnz .LBB123_113
; %bb.112:
	v_add_co_u32 v104, vcc_lo, v100, v142
	v_add_co_ci_u32_e64 v105, null, v101, v143, vcc_lo
	flat_load_dwordx2 v[104:105], v[104:105]
	s_waitcnt vmcnt(0) lgkmcnt(0)
	v_mul_f64 v[104:105], s[12:13], v[104:105]
	v_cvt_f32_f64_e32 v102, v[104:105]
	v_add_co_u32 v104, vcc_lo, v98, v142
	v_add_co_ci_u32_e64 v105, null, v99, v143, vcc_lo
	v_add_co_u32 v100, vcc_lo, v100, v138
	v_add_co_ci_u32_e64 v101, null, v101, v139, vcc_lo
	v_min_f32_e32 v102, v102, v103
	v_cvt_f64_f32_e32 v[102:103], v102
	flat_store_dwordx2 v[104:105], v[102:103]
	flat_load_dwordx2 v[100:101], v[100:101]
	s_waitcnt vmcnt(0) lgkmcnt(0)
	v_mul_f64 v[100:101], s[12:13], v[100:101]
	v_cvt_f32_f64_e32 v102, v[100:101]
.LBB123_113:
	v_add_f64 v[94:95], v[2:3], v[94:95]
	v_add_f64 v[96:97], v[4:5], v[96:97]
	;; [unrolled: 1-line block ×6, first 2 shown]
	v_add_co_u32 v98, vcc_lo, v98, v138
	v_add_co_ci_u32_e64 v99, null, v99, v139, vcc_lo
	s_mov_b32 s7, -1
	v_cvt_f32_f64_e32 v94, v[94:95]
	v_cvt_f32_f64_e32 v95, v[96:97]
	;; [unrolled: 1-line block ×4, first 2 shown]
	v_add_f64 v[90:91], v[66:67], v[82:83]
	v_add_f64 v[92:93], v[68:69], v[84:85]
	v_cvt_f32_f64_e32 v103, v[103:104]
	v_cvt_f32_f64_e32 v100, v[100:101]
	v_add_nc_u32_e32 v101, 0xa0, v144
	v_min3_f32 v94, v94, v95, v182
	v_min_f32_e32 v95, v96, v97
	v_cvt_f32_f64_e32 v104, v[90:91]
	v_cvt_f32_f64_e32 v105, v[92:93]
	v_mad_i64_i32 v[90:91], null, v101, s6, 0
	v_min3_f32 v92, v102, v95, v94
	v_min3_f32 v94, v103, v100, v183
	v_cvt_f64_f32_e32 v[96:97], v92
	v_mad_i64_i32 v[92:93], null, v101, s1, 0
	v_lshlrev_b64 v[90:91], 3, v[90:91]
	v_add_co_u32 v90, vcc_lo, s4, v90
	v_lshlrev_b64 v[92:93], 3, v[92:93]
	v_add_co_ci_u32_e64 v91, null, s5, v91, vcc_lo
	v_min3_f32 v94, v104, v105, v94
	v_add_co_u32 v92, vcc_lo, s2, v92
	v_add_co_ci_u32_e64 v93, null, s3, v93, vcc_lo
	v_max_f32_e32 v95, v94, v94
	s_mov_b32 vcc_lo, s0
	flat_store_dwordx2 v[98:99], v[96:97]
	s_cbranch_vccz .LBB123_115
; %bb.114:
	v_min_f32_e32 v94, 0, v95
	v_add_co_u32 v98, vcc_lo, v90, v134
	v_add_co_ci_u32_e64 v99, null, v91, v135, vcc_lo
	v_cvt_f64_f32_e32 v[96:97], v94
	s_mov_b32 s7, 0
	flat_store_dwordx2 v[98:99], v[96:97]
.LBB123_115:
	v_mov_b32_e32 v94, 0
	s_andn2_b32 vcc_lo, exec_lo, s7
	s_cbranch_vccnz .LBB123_117
; %bb.116:
	v_add_co_u32 v96, vcc_lo, v92, v134
	v_add_co_ci_u32_e64 v97, null, v93, v135, vcc_lo
	flat_load_dwordx2 v[96:97], v[96:97]
	s_waitcnt vmcnt(0) lgkmcnt(0)
	v_mul_f64 v[96:97], s[12:13], v[96:97]
	v_cvt_f32_f64_e32 v94, v[96:97]
	v_add_co_u32 v96, vcc_lo, v90, v134
	v_add_co_ci_u32_e64 v97, null, v91, v135, vcc_lo
	v_add_co_u32 v98, vcc_lo, v92, v0
	v_add_co_ci_u32_e64 v99, null, v93, v1, vcc_lo
	v_min_f32_e32 v94, v94, v95
	v_cvt_f64_f32_e32 v[94:95], v94
	flat_store_dwordx2 v[96:97], v[94:95]
	flat_load_dwordx2 v[94:95], v[98:99]
	s_waitcnt vmcnt(0) lgkmcnt(0)
	v_mul_f64 v[94:95], s[12:13], v[94:95]
	v_cvt_f32_f64_e32 v94, v[94:95]
.LBB123_117:
	v_add_f64 v[95:96], v[62:63], v[86:87]
	v_add_f64 v[97:98], v[64:65], v[88:89]
	v_add_f64 v[99:100], v[58:59], v[82:83]
	v_add_f64 v[101:102], v[60:61], v[84:85]
	v_add_f64 v[103:104], v[56:57], v[88:89]
	v_add_f64 v[105:106], v[54:55], v[86:87]
	v_add_f64 v[107:108], v[50:51], v[82:83]
	s_mov_b32 s7, -1
	v_cvt_f32_f64_e32 v109, v[95:96]
	v_cvt_f32_f64_e32 v97, v[97:98]
	v_cvt_f32_f64_e32 v98, v[99:100]
	v_cvt_f32_f64_e32 v99, v[101:102]
	v_add_f64 v[95:96], v[52:53], v[84:85]
	v_cvt_f32_f64_e32 v100, v[105:106]
	v_cvt_f32_f64_e32 v101, v[103:104]
	v_cvt_f32_f64_e32 v102, v[107:108]
	v_min3_f32 v97, v109, v97, v180
	v_min_f32_e32 v98, v98, v99
	v_cvt_f32_f64_e32 v95, v[95:96]
	v_min3_f32 v94, v94, v98, v97
	v_add_co_u32 v98, vcc_lo, v90, v0
	v_add_co_ci_u32_e64 v99, null, v91, v1, vcc_lo
	v_cvt_f64_f32_e32 v[96:97], v94
	v_min3_f32 v94, v100, v101, v181
	s_mov_b32 vcc_lo, s0
	v_min3_f32 v94, v102, v95, v94
	v_max_f32_e32 v95, v94, v94
	flat_store_dwordx2 v[98:99], v[96:97]
	s_cbranch_vccz .LBB123_119
; %bb.118:
	v_min_f32_e32 v94, 0, v95
	v_add_co_u32 v98, vcc_lo, v90, v136
	v_add_co_ci_u32_e64 v99, null, v91, v137, vcc_lo
	v_cvt_f64_f32_e32 v[96:97], v94
	s_mov_b32 s7, 0
	flat_store_dwordx2 v[98:99], v[96:97]
.LBB123_119:
	v_mov_b32_e32 v94, 0
	s_andn2_b32 vcc_lo, exec_lo, s7
	s_cbranch_vccnz .LBB123_121
; %bb.120:
	v_add_co_u32 v96, vcc_lo, v92, v136
	v_add_co_ci_u32_e64 v97, null, v93, v137, vcc_lo
	flat_load_dwordx2 v[96:97], v[96:97]
	s_waitcnt vmcnt(0) lgkmcnt(0)
	v_mul_f64 v[96:97], s[12:13], v[96:97]
	v_cvt_f32_f64_e32 v94, v[96:97]
	v_add_co_u32 v96, vcc_lo, v90, v136
	v_add_co_ci_u32_e64 v97, null, v91, v137, vcc_lo
	v_add_co_u32 v98, vcc_lo, v92, v130
	v_add_co_ci_u32_e64 v99, null, v93, v131, vcc_lo
	v_min_f32_e32 v94, v94, v95
	v_cvt_f64_f32_e32 v[94:95], v94
	flat_store_dwordx2 v[96:97], v[94:95]
	flat_load_dwordx2 v[94:95], v[98:99]
	s_waitcnt vmcnt(0) lgkmcnt(0)
	v_mul_f64 v[94:95], s[12:13], v[94:95]
	v_cvt_f32_f64_e32 v94, v[94:95]
.LBB123_121:
	v_add_f64 v[95:96], v[46:47], v[86:87]
	v_add_f64 v[97:98], v[48:49], v[88:89]
	v_add_f64 v[99:100], v[42:43], v[82:83]
	v_add_f64 v[101:102], v[44:45], v[84:85]
	v_add_f64 v[103:104], v[40:41], v[88:89]
	v_add_f64 v[105:106], v[38:39], v[86:87]
	v_add_f64 v[107:108], v[34:35], v[82:83]
	s_mov_b32 s7, -1
	v_cvt_f32_f64_e32 v109, v[95:96]
	v_cvt_f32_f64_e32 v97, v[97:98]
	v_cvt_f32_f64_e32 v98, v[99:100]
	v_cvt_f32_f64_e32 v99, v[101:102]
	v_add_f64 v[95:96], v[36:37], v[84:85]
	v_cvt_f32_f64_e32 v100, v[105:106]
	v_cvt_f32_f64_e32 v101, v[103:104]
	v_cvt_f32_f64_e32 v102, v[107:108]
	v_min3_f32 v97, v109, v97, v178
	v_min_f32_e32 v98, v98, v99
	v_cvt_f32_f64_e32 v95, v[95:96]
	v_min3_f32 v94, v94, v98, v97
	v_add_co_u32 v98, vcc_lo, v90, v130
	v_add_co_ci_u32_e64 v99, null, v91, v131, vcc_lo
	v_cvt_f64_f32_e32 v[96:97], v94
	v_min3_f32 v94, v100, v101, v179
	s_mov_b32 vcc_lo, s0
	v_min3_f32 v94, v102, v95, v94
	v_max_f32_e32 v95, v94, v94
	;; [unrolled: 59-line block ×3, first 2 shown]
	flat_store_dwordx2 v[98:99], v[96:97]
	s_cbranch_vccz .LBB123_127
; %bb.126:
	v_min_f32_e32 v94, 0, v95
	v_add_co_u32 v98, vcc_lo, v90, v142
	v_add_co_ci_u32_e64 v99, null, v91, v143, vcc_lo
	v_cvt_f64_f32_e32 v[96:97], v94
	s_mov_b32 s7, 0
	flat_store_dwordx2 v[98:99], v[96:97]
.LBB123_127:
	v_mov_b32_e32 v94, 0
	s_andn2_b32 vcc_lo, exec_lo, s7
	s_cbranch_vccnz .LBB123_129
; %bb.128:
	v_add_co_u32 v96, vcc_lo, v92, v142
	v_add_co_ci_u32_e64 v97, null, v93, v143, vcc_lo
	flat_load_dwordx2 v[96:97], v[96:97]
	s_waitcnt vmcnt(0) lgkmcnt(0)
	v_mul_f64 v[96:97], s[12:13], v[96:97]
	v_cvt_f32_f64_e32 v94, v[96:97]
	v_add_co_u32 v96, vcc_lo, v90, v142
	v_add_co_ci_u32_e64 v97, null, v91, v143, vcc_lo
	v_add_co_u32 v92, vcc_lo, v92, v138
	v_add_co_ci_u32_e64 v93, null, v93, v139, vcc_lo
	v_min_f32_e32 v94, v94, v95
	v_cvt_f64_f32_e32 v[94:95], v94
	flat_store_dwordx2 v[96:97], v[94:95]
	flat_load_dwordx2 v[92:93], v[92:93]
	s_waitcnt vmcnt(0) lgkmcnt(0)
	v_mul_f64 v[92:93], s[12:13], v[92:93]
	v_cvt_f32_f64_e32 v94, v[92:93]
.LBB123_129:
	v_add_f64 v[86:87], v[2:3], v[86:87]
	v_add_f64 v[88:89], v[4:5], v[88:89]
	;; [unrolled: 1-line block ×4, first 2 shown]
	s_waitcnt lgkmcnt(26)
	v_add_f64 v[92:93], v[72:73], v[80:81]
	v_add_f64 v[95:96], v[70:71], v[78:79]
	v_add_co_u32 v90, vcc_lo, v90, v138
	v_add_co_ci_u32_e64 v91, null, v91, v139, vcc_lo
	s_mov_b32 s7, -1
	v_cvt_f32_f64_e32 v86, v[86:87]
	v_cvt_f32_f64_e32 v87, v[88:89]
	v_cvt_f32_f64_e32 v88, v[82:83]
	v_cvt_f32_f64_e32 v89, v[84:85]
	s_waitcnt lgkmcnt(25)
	v_add_f64 v[82:83], v[66:67], v[74:75]
	v_add_f64 v[84:85], v[68:69], v[76:77]
	v_cvt_f32_f64_e32 v95, v[95:96]
	v_cvt_f32_f64_e32 v92, v[92:93]
	v_add_nc_u32_e32 v93, 0xc0, v144
	v_min3_f32 v86, v86, v87, v170
	v_min_f32_e32 v87, v88, v89
	v_cvt_f32_f64_e32 v96, v[82:83]
	v_cvt_f32_f64_e32 v97, v[84:85]
	v_mad_i64_i32 v[82:83], null, v93, s6, 0
	v_min3_f32 v84, v94, v87, v86
	v_min3_f32 v86, v95, v92, v173
	v_cvt_f64_f32_e32 v[88:89], v84
	v_mad_i64_i32 v[84:85], null, v93, s1, 0
	v_lshlrev_b64 v[82:83], 3, v[82:83]
	v_add_co_u32 v82, vcc_lo, s4, v82
	v_lshlrev_b64 v[84:85], 3, v[84:85]
	v_add_co_ci_u32_e64 v83, null, s5, v83, vcc_lo
	v_min3_f32 v86, v96, v97, v86
	v_add_co_u32 v84, vcc_lo, s2, v84
	v_add_co_ci_u32_e64 v85, null, s3, v85, vcc_lo
	v_max_f32_e32 v87, v86, v86
	s_mov_b32 vcc_lo, s0
	flat_store_dwordx2 v[90:91], v[88:89]
	s_cbranch_vccz .LBB123_131
; %bb.130:
	v_min_f32_e32 v86, 0, v87
	v_add_co_u32 v90, vcc_lo, v82, v134
	v_add_co_ci_u32_e64 v91, null, v83, v135, vcc_lo
	v_cvt_f64_f32_e32 v[88:89], v86
	s_mov_b32 s7, 0
	flat_store_dwordx2 v[90:91], v[88:89]
.LBB123_131:
	v_mov_b32_e32 v86, 0
	s_andn2_b32 vcc_lo, exec_lo, s7
	s_cbranch_vccnz .LBB123_133
; %bb.132:
	v_add_co_u32 v88, vcc_lo, v84, v134
	v_add_co_ci_u32_e64 v89, null, v85, v135, vcc_lo
	flat_load_dwordx2 v[88:89], v[88:89]
	s_waitcnt vmcnt(0) lgkmcnt(0)
	v_mul_f64 v[88:89], s[12:13], v[88:89]
	v_cvt_f32_f64_e32 v86, v[88:89]
	v_add_co_u32 v88, vcc_lo, v82, v134
	v_add_co_ci_u32_e64 v89, null, v83, v135, vcc_lo
	v_add_co_u32 v90, vcc_lo, v84, v0
	v_add_co_ci_u32_e64 v91, null, v85, v1, vcc_lo
	v_min_f32_e32 v86, v86, v87
	v_cvt_f64_f32_e32 v[86:87], v86
	flat_store_dwordx2 v[88:89], v[86:87]
	flat_load_dwordx2 v[86:87], v[90:91]
	s_waitcnt vmcnt(0) lgkmcnt(0)
	v_mul_f64 v[86:87], s[12:13], v[86:87]
	v_cvt_f32_f64_e32 v86, v[86:87]
.LBB123_133:
	v_add_f64 v[87:88], v[62:63], v[78:79]
	v_add_f64 v[89:90], v[64:65], v[80:81]
	v_add_f64 v[91:92], v[58:59], v[74:75]
	v_add_f64 v[93:94], v[60:61], v[76:77]
	v_add_f64 v[95:96], v[56:57], v[80:81]
	v_add_f64 v[97:98], v[54:55], v[78:79]
	v_add_f64 v[99:100], v[50:51], v[74:75]
	s_mov_b32 s7, -1
	v_cvt_f32_f64_e32 v101, v[87:88]
	v_cvt_f32_f64_e32 v89, v[89:90]
	v_cvt_f32_f64_e32 v90, v[91:92]
	v_cvt_f32_f64_e32 v91, v[93:94]
	v_add_f64 v[87:88], v[52:53], v[76:77]
	v_cvt_f32_f64_e32 v92, v[97:98]
	v_cvt_f32_f64_e32 v93, v[95:96]
	v_cvt_f32_f64_e32 v94, v[99:100]
	v_min3_f32 v89, v101, v89, v164
	v_min_f32_e32 v90, v90, v91
	v_cvt_f32_f64_e32 v87, v[87:88]
	v_min3_f32 v86, v86, v90, v89
	v_add_co_u32 v90, vcc_lo, v82, v0
	v_add_co_ci_u32_e64 v91, null, v83, v1, vcc_lo
	v_cvt_f64_f32_e32 v[88:89], v86
	v_min3_f32 v86, v92, v93, v165
	s_mov_b32 vcc_lo, s0
	v_min3_f32 v86, v94, v87, v86
	v_max_f32_e32 v87, v86, v86
	flat_store_dwordx2 v[90:91], v[88:89]
	s_cbranch_vccz .LBB123_135
; %bb.134:
	v_min_f32_e32 v86, 0, v87
	v_add_co_u32 v90, vcc_lo, v82, v136
	v_add_co_ci_u32_e64 v91, null, v83, v137, vcc_lo
	v_cvt_f64_f32_e32 v[88:89], v86
	s_mov_b32 s7, 0
	flat_store_dwordx2 v[90:91], v[88:89]
.LBB123_135:
	v_mov_b32_e32 v86, 0
	s_andn2_b32 vcc_lo, exec_lo, s7
	s_cbranch_vccnz .LBB123_137
; %bb.136:
	v_add_co_u32 v88, vcc_lo, v84, v136
	v_add_co_ci_u32_e64 v89, null, v85, v137, vcc_lo
	flat_load_dwordx2 v[88:89], v[88:89]
	s_waitcnt vmcnt(0) lgkmcnt(0)
	v_mul_f64 v[88:89], s[12:13], v[88:89]
	v_cvt_f32_f64_e32 v86, v[88:89]
	v_add_co_u32 v88, vcc_lo, v82, v136
	v_add_co_ci_u32_e64 v89, null, v83, v137, vcc_lo
	v_add_co_u32 v90, vcc_lo, v84, v130
	v_add_co_ci_u32_e64 v91, null, v85, v131, vcc_lo
	v_min_f32_e32 v86, v86, v87
	v_cvt_f64_f32_e32 v[86:87], v86
	flat_store_dwordx2 v[88:89], v[86:87]
	flat_load_dwordx2 v[86:87], v[90:91]
	s_waitcnt vmcnt(0) lgkmcnt(0)
	v_mul_f64 v[86:87], s[12:13], v[86:87]
	v_cvt_f32_f64_e32 v86, v[86:87]
.LBB123_137:
	v_add_f64 v[87:88], v[46:47], v[78:79]
	v_add_f64 v[89:90], v[48:49], v[80:81]
	v_add_f64 v[91:92], v[42:43], v[74:75]
	v_add_f64 v[93:94], v[44:45], v[76:77]
	v_add_f64 v[95:96], v[40:41], v[80:81]
	v_add_f64 v[97:98], v[38:39], v[78:79]
	v_add_f64 v[99:100], v[34:35], v[74:75]
	s_mov_b32 s7, -1
	v_cvt_f32_f64_e32 v101, v[87:88]
	v_cvt_f32_f64_e32 v89, v[89:90]
	v_cvt_f32_f64_e32 v90, v[91:92]
	v_cvt_f32_f64_e32 v91, v[93:94]
	v_add_f64 v[87:88], v[36:37], v[76:77]
	v_cvt_f32_f64_e32 v92, v[97:98]
	v_cvt_f32_f64_e32 v93, v[95:96]
	v_cvt_f32_f64_e32 v94, v[99:100]
	v_min3_f32 v89, v101, v89, v162
	v_min_f32_e32 v90, v90, v91
	v_cvt_f32_f64_e32 v87, v[87:88]
	v_min3_f32 v86, v86, v90, v89
	v_add_co_u32 v90, vcc_lo, v82, v130
	v_add_co_ci_u32_e64 v91, null, v83, v131, vcc_lo
	v_cvt_f64_f32_e32 v[88:89], v86
	v_min3_f32 v86, v92, v93, v163
	s_mov_b32 vcc_lo, s0
	v_min3_f32 v86, v94, v87, v86
	v_max_f32_e32 v87, v86, v86
	;; [unrolled: 59-line block ×3, first 2 shown]
	flat_store_dwordx2 v[90:91], v[88:89]
	s_cbranch_vccz .LBB123_143
; %bb.142:
	v_min_f32_e32 v86, 0, v87
	v_add_co_u32 v90, vcc_lo, v82, v142
	v_add_co_ci_u32_e64 v91, null, v83, v143, vcc_lo
	v_cvt_f64_f32_e32 v[88:89], v86
	s_mov_b32 s7, 0
	flat_store_dwordx2 v[90:91], v[88:89]
.LBB123_143:
	v_mov_b32_e32 v86, 0
	s_andn2_b32 vcc_lo, exec_lo, s7
	s_cbranch_vccnz .LBB123_145
; %bb.144:
	v_add_co_u32 v88, vcc_lo, v84, v142
	v_add_co_ci_u32_e64 v89, null, v85, v143, vcc_lo
	flat_load_dwordx2 v[88:89], v[88:89]
	s_waitcnt vmcnt(0) lgkmcnt(0)
	v_mul_f64 v[88:89], s[12:13], v[88:89]
	v_cvt_f32_f64_e32 v86, v[88:89]
	v_add_co_u32 v88, vcc_lo, v82, v142
	v_add_co_ci_u32_e64 v89, null, v83, v143, vcc_lo
	v_add_co_u32 v84, vcc_lo, v84, v138
	v_add_co_ci_u32_e64 v85, null, v85, v139, vcc_lo
	v_min_f32_e32 v86, v86, v87
	v_cvt_f64_f32_e32 v[86:87], v86
	flat_store_dwordx2 v[88:89], v[86:87]
	flat_load_dwordx2 v[84:85], v[84:85]
	s_waitcnt vmcnt(0) lgkmcnt(0)
	v_mul_f64 v[84:85], s[12:13], v[84:85]
	v_cvt_f32_f64_e32 v86, v[84:85]
.LBB123_145:
	v_add_f64 v[78:79], v[2:3], v[78:79]
	v_add_f64 v[80:81], v[4:5], v[80:81]
	;; [unrolled: 1-line block ×4, first 2 shown]
	s_waitcnt lgkmcnt(28)
	v_add_f64 v[72:73], v[72:73], v[12:13]
	v_add_f64 v[70:71], v[70:71], v[10:11]
	s_waitcnt lgkmcnt(27)
	v_add_f64 v[66:67], v[66:67], v[14:15]
	v_add_f64 v[68:69], v[68:69], v[16:17]
	v_cvt_f32_f64_e32 v78, v[78:79]
	v_cvt_f32_f64_e32 v79, v[80:81]
	;; [unrolled: 1-line block ×8, first 2 shown]
	v_min3_f32 v72, v78, v79, v159
	v_min_f32_e32 v73, v74, v75
	v_add_nc_u32_e32 v74, 0xe0, v144
	v_min3_f32 v70, v70, v71, v158
	v_min3_f32 v68, v86, v73, v72
	v_mad_i64_i32 v[66:67], null, v74, s6, 0
	v_min3_f32 v70, v76, v77, v70
	v_cvt_f64_f32_e32 v[72:73], v68
	v_mad_i64_i32 v[68:69], null, v74, s1, 0
	v_add_co_u32 v74, vcc_lo, v82, v138
	v_lshlrev_b64 v[66:67], 3, v[66:67]
	v_add_co_ci_u32_e64 v75, null, v83, v139, vcc_lo
	v_max_f32_e32 v71, v70, v70
	v_lshlrev_b64 v[68:69], 3, v[68:69]
	s_mov_b32 s1, -1
	v_add_co_u32 v66, vcc_lo, s4, v66
	v_add_co_ci_u32_e64 v67, null, s5, v67, vcc_lo
	v_add_co_u32 v68, vcc_lo, s2, v68
	v_add_co_ci_u32_e64 v69, null, s3, v69, vcc_lo
	s_mov_b32 vcc_lo, s0
	flat_store_dwordx2 v[74:75], v[72:73]
	s_cbranch_vccz .LBB123_147
; %bb.146:
	v_min_f32_e32 v70, 0, v71
	v_add_co_u32 v74, vcc_lo, v66, v134
	v_add_co_ci_u32_e64 v75, null, v67, v135, vcc_lo
	v_cvt_f64_f32_e32 v[72:73], v70
	s_mov_b32 s1, 0
	flat_store_dwordx2 v[74:75], v[72:73]
.LBB123_147:
	v_mov_b32_e32 v70, 0
	s_andn2_b32 vcc_lo, exec_lo, s1
	s_cbranch_vccnz .LBB123_149
; %bb.148:
	v_add_co_u32 v72, vcc_lo, v68, v134
	v_add_co_ci_u32_e64 v73, null, v69, v135, vcc_lo
	flat_load_dwordx2 v[72:73], v[72:73]
	s_waitcnt vmcnt(0) lgkmcnt(0)
	v_mul_f64 v[72:73], s[12:13], v[72:73]
	v_cvt_f32_f64_e32 v70, v[72:73]
	v_add_co_u32 v72, vcc_lo, v66, v134
	v_add_co_ci_u32_e64 v73, null, v67, v135, vcc_lo
	v_add_co_u32 v74, vcc_lo, v68, v0
	v_add_co_ci_u32_e64 v75, null, v69, v1, vcc_lo
	v_min_f32_e32 v70, v70, v71
	v_cvt_f64_f32_e32 v[70:71], v70
	flat_store_dwordx2 v[72:73], v[70:71]
	flat_load_dwordx2 v[70:71], v[74:75]
	s_waitcnt vmcnt(0) lgkmcnt(0)
	v_mul_f64 v[70:71], s[12:13], v[70:71]
	v_cvt_f32_f64_e32 v70, v[70:71]
.LBB123_149:
	v_add_f64 v[62:63], v[62:63], v[10:11]
	v_add_f64 v[64:65], v[64:65], v[12:13]
	v_add_f64 v[58:59], v[58:59], v[14:15]
	v_add_f64 v[60:61], v[60:61], v[16:17]
	v_add_f64 v[56:57], v[56:57], v[12:13]
	v_add_f64 v[54:55], v[54:55], v[10:11]
	v_add_f64 v[50:51], v[50:51], v[14:15]
	v_add_f64 v[52:53], v[52:53], v[16:17]
	s_mov_b32 s1, -1
	v_cvt_f32_f64_e32 v62, v[62:63]
	v_cvt_f32_f64_e32 v63, v[64:65]
	;; [unrolled: 1-line block ×8, first 2 shown]
	v_min3_f32 v50, v62, v63, v157
	v_min_f32_e32 v51, v58, v59
	v_min3_f32 v53, v54, v55, v156
	v_min3_f32 v50, v70, v51, v50
	;; [unrolled: 1-line block ×3, first 2 shown]
	v_add_co_u32 v52, vcc_lo, v66, v0
	v_cvt_f64_f32_e32 v[50:51], v50
	v_add_co_ci_u32_e64 v53, null, v67, v1, vcc_lo
	v_max_f32_e32 v1, v54, v54
	s_mov_b32 vcc_lo, s0
	flat_store_dwordx2 v[52:53], v[50:51]
	s_cbranch_vccz .LBB123_151
; %bb.150:
	v_min_f32_e32 v0, 0, v1
	v_add_co_u32 v52, vcc_lo, v66, v136
	v_add_co_ci_u32_e64 v53, null, v67, v137, vcc_lo
	v_cvt_f64_f32_e32 v[50:51], v0
	s_mov_b32 s1, 0
	flat_store_dwordx2 v[52:53], v[50:51]
.LBB123_151:
	v_mov_b32_e32 v0, 0
	s_andn2_b32 vcc_lo, exec_lo, s1
	s_cbranch_vccnz .LBB123_153
; %bb.152:
	v_add_co_u32 v50, vcc_lo, v68, v136
	v_add_co_ci_u32_e64 v51, null, v69, v137, vcc_lo
	flat_load_dwordx2 v[50:51], v[50:51]
	s_waitcnt vmcnt(0) lgkmcnt(0)
	v_mul_f64 v[50:51], s[12:13], v[50:51]
	v_cvt_f32_f64_e32 v0, v[50:51]
	v_add_co_u32 v50, vcc_lo, v66, v136
	v_add_co_ci_u32_e64 v51, null, v67, v137, vcc_lo
	v_add_co_u32 v52, vcc_lo, v68, v130
	v_add_co_ci_u32_e64 v53, null, v69, v131, vcc_lo
	v_min_f32_e32 v0, v0, v1
	v_cvt_f64_f32_e32 v[0:1], v0
	flat_store_dwordx2 v[50:51], v[0:1]
	flat_load_dwordx2 v[0:1], v[52:53]
	s_waitcnt vmcnt(0) lgkmcnt(0)
	v_mul_f64 v[0:1], s[12:13], v[0:1]
	v_cvt_f32_f64_e32 v0, v[0:1]
.LBB123_153:
	v_add_f64 v[46:47], v[46:47], v[10:11]
	v_add_f64 v[48:49], v[48:49], v[12:13]
	;; [unrolled: 1-line block ×8, first 2 shown]
	s_mov_b32 s1, -1
	v_cvt_f32_f64_e32 v1, v[46:47]
	v_cvt_f32_f64_e32 v46, v[48:49]
	;; [unrolled: 1-line block ×8, first 2 shown]
	v_min3_f32 v1, v1, v46, v154
	v_min_f32_e32 v34, v42, v43
	v_min3_f32 v0, v0, v34, v1
	v_cvt_f64_f32_e32 v[34:35], v0
	v_min3_f32 v0, v38, v39, v155
	v_min3_f32 v0, v40, v36, v0
	v_add_co_u32 v36, vcc_lo, v66, v130
	v_add_co_ci_u32_e64 v37, null, v67, v131, vcc_lo
	v_max_f32_e32 v1, v0, v0
	s_mov_b32 vcc_lo, s0
	flat_store_dwordx2 v[36:37], v[34:35]
	s_cbranch_vccz .LBB123_155
; %bb.154:
	v_min_f32_e32 v0, 0, v1
	v_add_co_u32 v36, vcc_lo, v66, v140
	v_add_co_ci_u32_e64 v37, null, v67, v141, vcc_lo
	v_cvt_f64_f32_e32 v[34:35], v0
	s_mov_b32 s1, 0
	flat_store_dwordx2 v[36:37], v[34:35]
.LBB123_155:
	v_mov_b32_e32 v0, 0
	s_andn2_b32 vcc_lo, exec_lo, s1
	s_cbranch_vccnz .LBB123_157
; %bb.156:
	v_add_co_u32 v34, vcc_lo, v68, v140
	v_add_co_ci_u32_e64 v35, null, v69, v141, vcc_lo
	flat_load_dwordx2 v[34:35], v[34:35]
	s_waitcnt vmcnt(0) lgkmcnt(0)
	v_mul_f64 v[34:35], s[12:13], v[34:35]
	v_cvt_f32_f64_e32 v0, v[34:35]
	v_add_co_u32 v34, vcc_lo, v66, v140
	v_add_co_ci_u32_e64 v35, null, v67, v141, vcc_lo
	v_add_co_u32 v36, vcc_lo, v68, v132
	v_add_co_ci_u32_e64 v37, null, v69, v133, vcc_lo
	v_min_f32_e32 v0, v0, v1
	v_cvt_f64_f32_e32 v[0:1], v0
	flat_store_dwordx2 v[34:35], v[0:1]
	flat_load_dwordx2 v[0:1], v[36:37]
	s_waitcnt vmcnt(0) lgkmcnt(0)
	v_mul_f64 v[0:1], s[12:13], v[0:1]
	v_cvt_f32_f64_e32 v0, v[0:1]
.LBB123_157:
	v_add_f64 v[30:31], v[30:31], v[10:11]
	v_add_f64 v[32:33], v[32:33], v[12:13]
	;; [unrolled: 1-line block ×8, first 2 shown]
	s_mov_b32 s1, -1
	v_cvt_f32_f64_e32 v1, v[30:31]
	v_cvt_f32_f64_e32 v30, v[32:33]
	;; [unrolled: 1-line block ×8, first 2 shown]
	v_min3_f32 v1, v1, v30, v152
	v_min_f32_e32 v18, v26, v27
	v_min3_f32 v0, v0, v18, v1
	v_cvt_f64_f32_e32 v[18:19], v0
	v_min3_f32 v0, v22, v23, v153
	v_min3_f32 v0, v24, v20, v0
	v_add_co_u32 v20, vcc_lo, v66, v132
	v_add_co_ci_u32_e64 v21, null, v67, v133, vcc_lo
	v_max_f32_e32 v1, v0, v0
	s_mov_b32 vcc_lo, s0
	flat_store_dwordx2 v[20:21], v[18:19]
	s_cbranch_vccz .LBB123_159
; %bb.158:
	v_min_f32_e32 v0, 0, v1
	v_add_co_u32 v20, vcc_lo, v66, v142
	v_add_co_ci_u32_e64 v21, null, v67, v143, vcc_lo
	v_cvt_f64_f32_e32 v[18:19], v0
	s_mov_b32 s1, 0
	flat_store_dwordx2 v[20:21], v[18:19]
.LBB123_159:
	v_mov_b32_e32 v0, 0
	s_andn2_b32 vcc_lo, exec_lo, s1
	s_cbranch_vccnz .LBB123_161
; %bb.160:
	v_add_co_u32 v18, vcc_lo, v68, v142
	v_add_co_ci_u32_e64 v19, null, v69, v143, vcc_lo
	flat_load_dwordx2 v[18:19], v[18:19]
	s_waitcnt vmcnt(0) lgkmcnt(0)
	v_mul_f64 v[18:19], s[12:13], v[18:19]
	v_cvt_f32_f64_e32 v0, v[18:19]
	v_add_co_u32 v18, vcc_lo, v66, v142
	v_add_co_ci_u32_e64 v19, null, v67, v143, vcc_lo
	v_add_co_u32 v20, vcc_lo, v68, v138
	v_add_co_ci_u32_e64 v21, null, v69, v139, vcc_lo
	v_min_f32_e32 v0, v0, v1
	v_cvt_f64_f32_e32 v[0:1], v0
	flat_store_dwordx2 v[18:19], v[0:1]
	flat_load_dwordx2 v[0:1], v[20:21]
	s_waitcnt vmcnt(0) lgkmcnt(0)
	v_mul_f64 v[0:1], s[12:13], v[0:1]
	v_cvt_f32_f64_e32 v0, v[0:1]
.LBB123_161:
	v_add_f64 v[6:7], v[6:7], v[14:15]
	v_add_f64 v[8:9], v[8:9], v[16:17]
	;; [unrolled: 1-line block ×4, first 2 shown]
	v_cvt_f32_f64_e32 v5, v[6:7]
	v_cvt_f32_f64_e32 v6, v[8:9]
	;; [unrolled: 1-line block ×4, first 2 shown]
	v_min_f32_e32 v3, v5, v6
	v_min3_f32 v1, v1, v2, v151
	v_add_co_u32 v2, vcc_lo, v66, v138
	v_min3_f32 v0, v0, v3, v1
	v_add_co_ci_u32_e64 v3, null, v67, v139, vcc_lo
	v_cvt_f64_f32_e32 v[0:1], v0
	flat_store_dwordx2 v[2:3], v[0:1]
	s_endpgm
	.section	.rodata,"a",@progbits
	.p2align	6, 0x0
	.amdhsa_kernel _ZN12_GLOBAL__N_120geam_min_plus_kernelId15HIP_vector_typeIdLj2EEdLi8ELi32ELi64ELi256ELi4ELi4ELi64ELi64ELi4ELc84ELc84ELb0ELb0ELb1EPKdKS4_KPdEEviiiT16_PT17_ilSA_ilS8_SA_ilPT18_ili26rocblas_geam_ex_operation_
		.amdhsa_group_segment_fixed_size 20480
		.amdhsa_private_segment_fixed_size 0
		.amdhsa_kernarg_size 136
		.amdhsa_user_sgpr_count 6
		.amdhsa_user_sgpr_private_segment_buffer 1
		.amdhsa_user_sgpr_dispatch_ptr 0
		.amdhsa_user_sgpr_queue_ptr 0
		.amdhsa_user_sgpr_kernarg_segment_ptr 1
		.amdhsa_user_sgpr_dispatch_id 0
		.amdhsa_user_sgpr_flat_scratch_init 0
		.amdhsa_user_sgpr_private_segment_size 0
		.amdhsa_wavefront_size32 1
		.amdhsa_uses_dynamic_stack 0
		.amdhsa_system_sgpr_private_segment_wavefront_offset 0
		.amdhsa_system_sgpr_workgroup_id_x 1
		.amdhsa_system_sgpr_workgroup_id_y 0
		.amdhsa_system_sgpr_workgroup_id_z 1
		.amdhsa_system_sgpr_workgroup_info 0
		.amdhsa_system_vgpr_workitem_id 1
		.amdhsa_next_free_vgpr 226
		.amdhsa_next_free_sgpr 26
		.amdhsa_reserve_vcc 1
		.amdhsa_reserve_flat_scratch 1
		.amdhsa_float_round_mode_32 0
		.amdhsa_float_round_mode_16_64 0
		.amdhsa_float_denorm_mode_32 3
		.amdhsa_float_denorm_mode_16_64 3
		.amdhsa_dx10_clamp 1
		.amdhsa_ieee_mode 1
		.amdhsa_fp16_overflow 0
		.amdhsa_workgroup_processor_mode 1
		.amdhsa_memory_ordered 1
		.amdhsa_forward_progress 1
		.amdhsa_shared_vgpr_count 0
		.amdhsa_exception_fp_ieee_invalid_op 0
		.amdhsa_exception_fp_denorm_src 0
		.amdhsa_exception_fp_ieee_div_zero 0
		.amdhsa_exception_fp_ieee_overflow 0
		.amdhsa_exception_fp_ieee_underflow 0
		.amdhsa_exception_fp_ieee_inexact 0
		.amdhsa_exception_int_div_zero 0
	.end_amdhsa_kernel
	.section	.text._ZN12_GLOBAL__N_120geam_min_plus_kernelId15HIP_vector_typeIdLj2EEdLi8ELi32ELi64ELi256ELi4ELi4ELi64ELi64ELi4ELc84ELc84ELb0ELb0ELb1EPKdKS4_KPdEEviiiT16_PT17_ilSA_ilS8_SA_ilPT18_ili26rocblas_geam_ex_operation_,"axG",@progbits,_ZN12_GLOBAL__N_120geam_min_plus_kernelId15HIP_vector_typeIdLj2EEdLi8ELi32ELi64ELi256ELi4ELi4ELi64ELi64ELi4ELc84ELc84ELb0ELb0ELb1EPKdKS4_KPdEEviiiT16_PT17_ilSA_ilS8_SA_ilPT18_ili26rocblas_geam_ex_operation_,comdat
.Lfunc_end123:
	.size	_ZN12_GLOBAL__N_120geam_min_plus_kernelId15HIP_vector_typeIdLj2EEdLi8ELi32ELi64ELi256ELi4ELi4ELi64ELi64ELi4ELc84ELc84ELb0ELb0ELb1EPKdKS4_KPdEEviiiT16_PT17_ilSA_ilS8_SA_ilPT18_ili26rocblas_geam_ex_operation_, .Lfunc_end123-_ZN12_GLOBAL__N_120geam_min_plus_kernelId15HIP_vector_typeIdLj2EEdLi8ELi32ELi64ELi256ELi4ELi4ELi64ELi64ELi4ELc84ELc84ELb0ELb0ELb1EPKdKS4_KPdEEviiiT16_PT17_ilSA_ilS8_SA_ilPT18_ili26rocblas_geam_ex_operation_
                                        ; -- End function
	.set _ZN12_GLOBAL__N_120geam_min_plus_kernelId15HIP_vector_typeIdLj2EEdLi8ELi32ELi64ELi256ELi4ELi4ELi64ELi64ELi4ELc84ELc84ELb0ELb0ELb1EPKdKS4_KPdEEviiiT16_PT17_ilSA_ilS8_SA_ilPT18_ili26rocblas_geam_ex_operation_.num_vgpr, 226
	.set _ZN12_GLOBAL__N_120geam_min_plus_kernelId15HIP_vector_typeIdLj2EEdLi8ELi32ELi64ELi256ELi4ELi4ELi64ELi64ELi4ELc84ELc84ELb0ELb0ELb1EPKdKS4_KPdEEviiiT16_PT17_ilSA_ilS8_SA_ilPT18_ili26rocblas_geam_ex_operation_.num_agpr, 0
	.set _ZN12_GLOBAL__N_120geam_min_plus_kernelId15HIP_vector_typeIdLj2EEdLi8ELi32ELi64ELi256ELi4ELi4ELi64ELi64ELi4ELc84ELc84ELb0ELb0ELb1EPKdKS4_KPdEEviiiT16_PT17_ilSA_ilS8_SA_ilPT18_ili26rocblas_geam_ex_operation_.numbered_sgpr, 26
	.set _ZN12_GLOBAL__N_120geam_min_plus_kernelId15HIP_vector_typeIdLj2EEdLi8ELi32ELi64ELi256ELi4ELi4ELi64ELi64ELi4ELc84ELc84ELb0ELb0ELb1EPKdKS4_KPdEEviiiT16_PT17_ilSA_ilS8_SA_ilPT18_ili26rocblas_geam_ex_operation_.num_named_barrier, 0
	.set _ZN12_GLOBAL__N_120geam_min_plus_kernelId15HIP_vector_typeIdLj2EEdLi8ELi32ELi64ELi256ELi4ELi4ELi64ELi64ELi4ELc84ELc84ELb0ELb0ELb1EPKdKS4_KPdEEviiiT16_PT17_ilSA_ilS8_SA_ilPT18_ili26rocblas_geam_ex_operation_.private_seg_size, 0
	.set _ZN12_GLOBAL__N_120geam_min_plus_kernelId15HIP_vector_typeIdLj2EEdLi8ELi32ELi64ELi256ELi4ELi4ELi64ELi64ELi4ELc84ELc84ELb0ELb0ELb1EPKdKS4_KPdEEviiiT16_PT17_ilSA_ilS8_SA_ilPT18_ili26rocblas_geam_ex_operation_.uses_vcc, 1
	.set _ZN12_GLOBAL__N_120geam_min_plus_kernelId15HIP_vector_typeIdLj2EEdLi8ELi32ELi64ELi256ELi4ELi4ELi64ELi64ELi4ELc84ELc84ELb0ELb0ELb1EPKdKS4_KPdEEviiiT16_PT17_ilSA_ilS8_SA_ilPT18_ili26rocblas_geam_ex_operation_.uses_flat_scratch, 1
	.set _ZN12_GLOBAL__N_120geam_min_plus_kernelId15HIP_vector_typeIdLj2EEdLi8ELi32ELi64ELi256ELi4ELi4ELi64ELi64ELi4ELc84ELc84ELb0ELb0ELb1EPKdKS4_KPdEEviiiT16_PT17_ilSA_ilS8_SA_ilPT18_ili26rocblas_geam_ex_operation_.has_dyn_sized_stack, 0
	.set _ZN12_GLOBAL__N_120geam_min_plus_kernelId15HIP_vector_typeIdLj2EEdLi8ELi32ELi64ELi256ELi4ELi4ELi64ELi64ELi4ELc84ELc84ELb0ELb0ELb1EPKdKS4_KPdEEviiiT16_PT17_ilSA_ilS8_SA_ilPT18_ili26rocblas_geam_ex_operation_.has_recursion, 0
	.set _ZN12_GLOBAL__N_120geam_min_plus_kernelId15HIP_vector_typeIdLj2EEdLi8ELi32ELi64ELi256ELi4ELi4ELi64ELi64ELi4ELc84ELc84ELb0ELb0ELb1EPKdKS4_KPdEEviiiT16_PT17_ilSA_ilS8_SA_ilPT18_ili26rocblas_geam_ex_operation_.has_indirect_call, 0
	.section	.AMDGPU.csdata,"",@progbits
; Kernel info:
; codeLenInByte = 27076
; TotalNumSgprs: 28
; NumVgprs: 226
; ScratchSize: 0
; MemoryBound: 1
; FloatMode: 240
; IeeeMode: 1
; LDSByteSize: 20480 bytes/workgroup (compile time only)
; SGPRBlocks: 0
; VGPRBlocks: 28
; NumSGPRsForWavesPerEU: 28
; NumVGPRsForWavesPerEU: 226
; Occupancy: 4
; WaveLimiterHint : 1
; COMPUTE_PGM_RSRC2:SCRATCH_EN: 0
; COMPUTE_PGM_RSRC2:USER_SGPR: 6
; COMPUTE_PGM_RSRC2:TRAP_HANDLER: 0
; COMPUTE_PGM_RSRC2:TGID_X_EN: 1
; COMPUTE_PGM_RSRC2:TGID_Y_EN: 0
; COMPUTE_PGM_RSRC2:TGID_Z_EN: 1
; COMPUTE_PGM_RSRC2:TIDIG_COMP_CNT: 1
	.section	.text._ZN12_GLOBAL__N_120geam_min_plus_kernelId15HIP_vector_typeIdLj2EEdLi8ELi32ELi64ELi256ELi4ELi4ELi64ELi64ELi4ELc84ELc84ELb1ELb0ELb1EdKPKdKPdEEviiiT16_PT17_ilSA_ilS8_SA_ilPT18_ili26rocblas_geam_ex_operation_,"axG",@progbits,_ZN12_GLOBAL__N_120geam_min_plus_kernelId15HIP_vector_typeIdLj2EEdLi8ELi32ELi64ELi256ELi4ELi4ELi64ELi64ELi4ELc84ELc84ELb1ELb0ELb1EdKPKdKPdEEviiiT16_PT17_ilSA_ilS8_SA_ilPT18_ili26rocblas_geam_ex_operation_,comdat
	.globl	_ZN12_GLOBAL__N_120geam_min_plus_kernelId15HIP_vector_typeIdLj2EEdLi8ELi32ELi64ELi256ELi4ELi4ELi64ELi64ELi4ELc84ELc84ELb1ELb0ELb1EdKPKdKPdEEviiiT16_PT17_ilSA_ilS8_SA_ilPT18_ili26rocblas_geam_ex_operation_ ; -- Begin function _ZN12_GLOBAL__N_120geam_min_plus_kernelId15HIP_vector_typeIdLj2EEdLi8ELi32ELi64ELi256ELi4ELi4ELi64ELi64ELi4ELc84ELc84ELb1ELb0ELb1EdKPKdKPdEEviiiT16_PT17_ilSA_ilS8_SA_ilPT18_ili26rocblas_geam_ex_operation_
	.p2align	8
	.type	_ZN12_GLOBAL__N_120geam_min_plus_kernelId15HIP_vector_typeIdLj2EEdLi8ELi32ELi64ELi256ELi4ELi4ELi64ELi64ELi4ELc84ELc84ELb1ELb0ELb1EdKPKdKPdEEviiiT16_PT17_ilSA_ilS8_SA_ilPT18_ili26rocblas_geam_ex_operation_,@function
_ZN12_GLOBAL__N_120geam_min_plus_kernelId15HIP_vector_typeIdLj2EEdLi8ELi32ELi64ELi256ELi4ELi4ELi64ELi64ELi4ELc84ELc84ELb1ELb0ELb1EdKPKdKPdEEviiiT16_PT17_ilSA_ilS8_SA_ilPT18_ili26rocblas_geam_ex_operation_: ; @_ZN12_GLOBAL__N_120geam_min_plus_kernelId15HIP_vector_typeIdLj2EEdLi8ELi32ELi64ELi256ELi4ELi4ELi64ELi64ELi4ELc84ELc84ELb1ELb0ELb1EdKPKdKPdEEviiiT16_PT17_ilSA_ilS8_SA_ilPT18_ili26rocblas_geam_ex_operation_
; %bb.0:
	s_clause 0x1
	s_load_dwordx4 s[0:3], s[4:5], 0x10
	s_load_dwordx4 s[8:11], s[4:5], 0x28
	s_mov_b32 s20, s7
	s_mov_b64 s[14:15], 0
	s_waitcnt lgkmcnt(0)
	v_cmp_eq_f64_e64 s7, s[0:1], 0
	s_and_b32 vcc_lo, exec_lo, s7
	s_cbranch_vccnz .LBB124_2
; %bb.1:
	s_mov_b32 s21, 0
	s_lshl_b64 s[0:1], s[20:21], 3
	s_add_u32 s0, s2, s0
	s_addc_u32 s1, s3, s1
	s_lshl_b64 s[2:3], s[8:9], 3
	s_load_dwordx2 s[0:1], s[0:1], 0x0
	s_waitcnt lgkmcnt(0)
	s_add_u32 s14, s0, s2
	s_addc_u32 s15, s1, s3
.LBB124_2:
	s_clause 0x1
	s_load_dwordx4 s[0:3], s[4:5], 0x40
	s_load_dwordx2 s[18:19], s[4:5], 0x50
	s_andn2_b32 vcc_lo, exec_lo, s7
	s_mov_b32 s21, 0
	s_cbranch_vccnz .LBB124_4
; %bb.3:
	s_mov_b32 s7, s21
	s_mov_b64 s[12:13], 0
	s_andn2_b32 vcc_lo, exec_lo, s7
	s_mov_b64 s[16:17], 0
	s_cbranch_vccz .LBB124_5
	s_branch .LBB124_6
.LBB124_4:
	s_mov_b64 s[12:13], 0
	s_mov_b64 s[16:17], 0
.LBB124_5:
	s_lshl_b64 s[8:9], s[20:21], 3
	s_add_u32 s8, s10, s8
	s_addc_u32 s9, s11, s9
	s_waitcnt lgkmcnt(0)
	s_lshl_b64 s[0:1], s[0:1], 3
	s_load_dwordx2 s[8:9], s[8:9], 0x0
	s_waitcnt lgkmcnt(0)
	s_add_u32 s16, s8, s0
	s_addc_u32 s17, s9, s1
.LBB124_6:
	s_waitcnt lgkmcnt(0)
	v_cmp_eq_f64_e64 s0, s[2:3], 0
	s_load_dwordx4 s[8:11], s[4:5], 0x60
	s_and_b32 s0, exec_lo, s0
	s_mov_b32 vcc_lo, s0
	s_cbranch_vccnz .LBB124_8
; %bb.7:
	s_lshl_b64 s[12:13], s[20:21], 3
	s_add_u32 s12, s18, s12
	s_addc_u32 s13, s19, s13
	s_waitcnt lgkmcnt(0)
	s_lshl_b64 s[8:9], s[8:9], 3
	s_load_dwordx2 s[12:13], s[12:13], 0x0
	s_waitcnt lgkmcnt(0)
	s_add_u32 s12, s12, s8
	s_addc_u32 s13, s13, s9
.LBB124_8:
	s_clause 0x3
	s_load_dword s1, s[4:5], 0x0
	s_load_dword s7, s[4:5], 0x8
	;; [unrolled: 1-line block ×4, first 2 shown]
	s_waitcnt lgkmcnt(0)
	s_lshl_b64 s[8:9], s[20:21], 3
	v_and_b32_e32 v4, 3, v0
	s_add_u32 s8, s10, s8
	s_addc_u32 s9, s11, s9
	v_lshlrev_b32_e32 v82, 5, v0
	s_load_dwordx2 s[8:9], s[8:9], 0x0
	v_lshlrev_b32_e32 v81, 3, v4
	v_lshlrev_b32_e32 v130, 5, v1
	s_add_i32 s1, s1, -1
	s_ashr_i32 s10, s1, 31
	s_lshr_b32 s10, s10, 26
	s_add_i32 s1, s1, s10
	s_ashr_i32 s1, s1, 6
	s_add_i32 s10, s1, 1
	s_not_b32 s1, s1
	v_cvt_f32_u32_e32 v2, s10
	v_rcp_iflag_f32_e32 v2, v2
	v_mul_f32_e32 v2, 0x4f7ffffe, v2
	v_cvt_u32_f32_e32 v2, v2
	v_readfirstlane_b32 s11, v2
	v_lshl_add_u32 v2, v1, 3, v0
	s_mul_i32 s1, s1, s11
	v_lshrrev_b32_e32 v14, 2, v2
	s_mul_hi_u32 s1, s11, s1
	v_and_b32_e32 v15, 63, v2
	s_add_i32 s11, s11, s1
	v_lshrrev_b32_e32 v80, 6, v2
	s_mul_hi_u32 s1, s6, s11
	v_lshl_or_b32 v86, v14, 5, v81
	s_mul_i32 s11, s1, s10
	s_add_i32 s20, s1, 1
	s_sub_i32 s11, s6, s11
	v_mad_i64_i32 v[7:8], null, s18, v80, 0
	s_sub_i32 s21, s11, s10
	s_cmp_ge_u32 s11, s10
	s_cselect_b32 s1, s20, s1
	s_cselect_b32 s11, s21, s11
	s_add_i32 s20, s1, 1
	s_cmp_ge_u32 s11, s10
	v_lshlrev_b64 v[7:8], 3, v[7:8]
	s_cselect_b32 s11, s20, s1
	s_mul_i32 s1, s11, s10
	s_lshl_b32 s10, s11, 8
	s_sub_i32 s1, s6, s1
	v_or_b32_e32 v6, s10, v15
	s_lshl_b32 s1, s1, 6
	s_cmp_lt_i32 s7, 9
	v_add_nc_u32_e32 v2, s1, v14
	v_mad_i64_i32 v[2:3], null, v2, s19, 0
	v_lshlrev_b64 v[66:67], 3, v[2:3]
	v_add_co_u32 v2, vcc_lo, s14, v66
	v_add_co_ci_u32_e64 v3, null, s15, v67, vcc_lo
	v_add_co_u32 v2, vcc_lo, v2, v81
	v_add_co_ci_u32_e64 v3, null, 0, v3, vcc_lo
	v_add_co_u32 v9, vcc_lo, s16, v7
	v_ashrrev_i32_e32 v7, 31, v6
	v_add_co_ci_u32_e64 v8, null, s17, v8, vcc_lo
	flat_load_dwordx2 v[4:5], v[2:3]
	v_lshlrev_b64 v[68:69], 3, v[6:7]
	v_add_co_u32 v6, vcc_lo, v9, v68
	v_add_co_ci_u32_e64 v7, null, v8, v69, vcc_lo
	s_clause 0x3
	flat_load_dwordx2 v[8:9], v[6:7]
	flat_load_dwordx2 v[10:11], v[6:7] offset:512
	flat_load_dwordx2 v[12:13], v[6:7] offset:1024
	;; [unrolled: 1-line block ×4, first 2 shown]
	v_add_nc_u32_e32 v2, 4, v80
	v_mad_i64_i32 v[2:3], null, s18, v2, 0
	v_lshlrev_b64 v[2:3], 3, v[2:3]
	v_add_co_u32 v2, vcc_lo, s16, v2
	v_add_co_ci_u32_e64 v3, null, s17, v3, vcc_lo
	v_add_co_u32 v2, vcc_lo, v2, v68
	v_add_co_ci_u32_e64 v3, null, v3, v69, vcc_lo
	s_clause 0x3
	flat_load_dwordx2 v[76:77], v[2:3]
	flat_load_dwordx2 v[78:79], v[2:3] offset:512
	flat_load_dwordx2 v[70:71], v[2:3] offset:1024
	;; [unrolled: 1-line block ×3, first 2 shown]
	v_lshlrev_b32_e32 v2, 5, v15
	v_lshl_add_u32 v83, v80, 3, v2
	s_waitcnt vmcnt(9) lgkmcnt(0)
	ds_write_b64 v86, v[4:5] offset:16384
	s_waitcnt vmcnt(7)
	ds_write2st64_b64 v83, v[8:9], v[10:11] offset1:4
	s_waitcnt vmcnt(5)
	ds_write2st64_b64 v83, v[12:13], v[6:7] offset0:8 offset1:12
	s_waitcnt vmcnt(0) lgkmcnt(0)
	s_barrier
	buffer_gl0_inv
	ds_read_b128 v[10:13], v82 offset:16640
	ds_read_b128 v[14:17], v82 offset:16896
	;; [unrolled: 1-line block ×16, first 2 shown]
	ds_read_b128 v[91:94], v130
	ds_read_b128 v[6:9], v130 offset:16
	s_waitcnt lgkmcnt(1)
	v_add_f64 v[84:85], v[89:90], v[93:94]
	v_add_f64 v[95:96], v[87:88], v[91:92]
	s_waitcnt lgkmcnt(0)
	v_add_f64 v[150:151], v[4:5], v[8:9]
	v_add_f64 v[152:153], v[2:3], v[6:7]
	v_cvt_f32_f64_e32 v84, v[84:85]
	v_cvt_f32_f64_e32 v95, v[95:96]
	;; [unrolled: 1-line block ×4, first 2 shown]
	v_min3_f32 v134, v95, v84, 0x7f800000
	v_add_f64 v[84:85], v[12:13], v[93:94]
	v_add_f64 v[95:96], v[10:11], v[91:92]
	v_min3_f32 v134, v152, v150, v134
	v_cvt_f32_f64_e32 v84, v[84:85]
	v_cvt_f32_f64_e32 v95, v[95:96]
	v_min3_f32 v131, v95, v84, 0x7f800000
	v_add_f64 v[84:85], v[16:17], v[93:94]
	v_add_f64 v[95:96], v[14:15], v[91:92]
	v_cvt_f32_f64_e32 v84, v[84:85]
	v_cvt_f32_f64_e32 v95, v[95:96]
	v_min3_f32 v136, v95, v84, 0x7f800000
	v_add_f64 v[84:85], v[20:21], v[93:94]
	v_add_f64 v[95:96], v[18:19], v[91:92]
	;; [unrolled: 5-line block ×5, first 2 shown]
	v_add_f64 v[91:92], v[34:35], v[91:92]
	v_cvt_f32_f64_e32 v84, v[84:85]
	v_cvt_f32_f64_e32 v95, v[95:96]
	;; [unrolled: 1-line block ×3, first 2 shown]
	v_min3_f32 v143, v95, v84, 0x7f800000
	v_add_f64 v[84:85], v[36:37], v[93:94]
	v_cvt_f32_f64_e32 v84, v[84:85]
	v_min3_f32 v149, v91, v84, 0x7f800000
	v_add_f64 v[84:85], v[89:90], v[40:41]
	v_add_f64 v[91:92], v[87:88], v[38:39]
	v_cvt_f32_f64_e32 v84, v[84:85]
	v_cvt_f32_f64_e32 v91, v[91:92]
	v_min3_f32 v148, v91, v84, 0x7f800000
	v_add_f64 v[84:85], v[12:13], v[40:41]
	v_add_f64 v[91:92], v[10:11], v[38:39]
	v_cvt_f32_f64_e32 v84, v[84:85]
	;; [unrolled: 5-line block ×6, first 2 shown]
	v_cvt_f32_f64_e32 v91, v[91:92]
	v_min3_f32 v141, v91, v84, 0x7f800000
	v_add_f64 v[84:85], v[32:33], v[40:41]
	v_add_f64 v[91:92], v[30:31], v[38:39]
	;; [unrolled: 1-line block ×4, first 2 shown]
	v_cvt_f32_f64_e32 v84, v[84:85]
	v_cvt_f32_f64_e32 v91, v[91:92]
	v_cvt_f32_f64_e32 v38, v[38:39]
	v_cvt_f32_f64_e32 v39, v[40:41]
	v_add_f64 v[40:41], v[87:88], v[42:43]
	v_min3_f32 v140, v91, v84, 0x7f800000
	v_min3_f32 v139, v38, v39, 0x7f800000
	v_add_f64 v[38:39], v[89:90], v[44:45]
	v_cvt_f32_f64_e32 v40, v[40:41]
	v_cvt_f32_f64_e32 v38, v[38:39]
	v_min3_f32 v138, v40, v38, 0x7f800000
	v_add_f64 v[38:39], v[12:13], v[44:45]
	v_add_f64 v[40:41], v[10:11], v[42:43]
	v_cvt_f32_f64_e32 v38, v[38:39]
	v_cvt_f32_f64_e32 v40, v[40:41]
	v_min3_f32 v137, v40, v38, 0x7f800000
	v_add_f64 v[38:39], v[16:17], v[44:45]
	;; [unrolled: 5-line block ×33, first 2 shown]
	v_add_f64 v[40:41], v[10:11], v[58:59]
	v_add_f64 v[12:13], v[12:13], v[64:65]
	;; [unrolled: 1-line block ×3, first 2 shown]
	v_cvt_f32_f64_e32 v38, v[38:39]
	v_cvt_f32_f64_e32 v40, v[40:41]
	;; [unrolled: 1-line block ×4, first 2 shown]
	v_add_f64 v[12:13], v[14:15], v[62:63]
	v_min3_f32 v99, v40, v38, 0x7f800000
	v_add_f64 v[38:39], v[16:17], v[60:61]
	v_add_f64 v[40:41], v[14:15], v[58:59]
	v_min3_f32 v91, v10, v11, 0x7f800000
	v_add_f64 v[10:11], v[16:17], v[64:65]
	v_cvt_f32_f64_e32 v12, v[12:13]
	v_cvt_f32_f64_e32 v38, v[38:39]
	;; [unrolled: 1-line block ×4, first 2 shown]
	v_min3_f32 v98, v40, v38, 0x7f800000
	v_add_f64 v[38:39], v[20:21], v[60:61]
	v_add_f64 v[40:41], v[18:19], v[58:59]
	v_cvt_f32_f64_e32 v38, v[38:39]
	v_cvt_f32_f64_e32 v40, v[40:41]
	v_min3_f32 v97, v40, v38, 0x7f800000
	v_add_f64 v[38:39], v[24:25], v[60:61]
	v_add_f64 v[40:41], v[22:23], v[58:59]
	v_cvt_f32_f64_e32 v38, v[38:39]
	v_cvt_f32_f64_e32 v40, v[40:41]
	v_min3_f32 v96, v40, v38, 0x7f800000
	v_add_f64 v[38:39], v[28:29], v[60:61]
	v_add_f64 v[40:41], v[26:27], v[58:59]
	v_cvt_f32_f64_e32 v38, v[38:39]
	v_cvt_f32_f64_e32 v40, v[40:41]
	v_min3_f32 v95, v40, v38, 0x7f800000
	v_add_f64 v[38:39], v[32:33], v[60:61]
	v_add_f64 v[40:41], v[30:31], v[58:59]
	v_cvt_f32_f64_e32 v38, v[38:39]
	v_cvt_f32_f64_e32 v40, v[40:41]
	v_min3_f32 v94, v40, v38, 0x7f800000
	v_add_f64 v[38:39], v[36:37], v[60:61]
	v_add_f64 v[40:41], v[34:35], v[58:59]
	v_cvt_f32_f64_e32 v38, v[38:39]
	v_cvt_f32_f64_e32 v40, v[40:41]
	v_min3_f32 v93, v40, v38, 0x7f800000
	v_add_f64 v[38:39], v[89:90], v[64:65]
	v_min3_f32 v90, v12, v10, 0x7f800000
	v_add_f64 v[10:11], v[20:21], v[64:65]
	v_add_f64 v[12:13], v[18:19], v[62:63]
	;; [unrolled: 1-line block ×3, first 2 shown]
	v_cvt_f32_f64_e32 v38, v[38:39]
	v_cvt_f32_f64_e32 v10, v[10:11]
	;; [unrolled: 1-line block ×4, first 2 shown]
	v_min3_f32 v89, v12, v10, 0x7f800000
	v_add_f64 v[10:11], v[24:25], v[64:65]
	v_add_f64 v[12:13], v[22:23], v[62:63]
	v_min3_f32 v92, v40, v38, 0x7f800000
	v_cvt_f32_f64_e32 v10, v[10:11]
	v_cvt_f32_f64_e32 v12, v[12:13]
	v_min3_f32 v88, v12, v10, 0x7f800000
	v_add_f64 v[10:11], v[28:29], v[64:65]
	v_add_f64 v[12:13], v[26:27], v[62:63]
	v_cvt_f32_f64_e32 v10, v[10:11]
	v_cvt_f32_f64_e32 v12, v[12:13]
	v_min3_f32 v87, v12, v10, 0x7f800000
	v_add_f64 v[10:11], v[32:33], v[64:65]
	v_add_f64 v[12:13], v[30:31], v[62:63]
	;; [unrolled: 5-line block ×3, first 2 shown]
	v_cvt_f32_f64_e32 v10, v[10:11]
	v_cvt_f32_f64_e32 v12, v[12:13]
	v_min3_f32 v84, v12, v10, 0x7f800000
	ds_read_b128 v[34:37], v82 offset:16656
	ds_read_b128 v[30:33], v82 offset:16912
	;; [unrolled: 1-line block ×14, first 2 shown]
	ds_write_b64 v86, v[74:75] offset:18432
	ds_write2st64_b64 v83, v[76:77], v[78:79] offset0:16 offset1:20
	ds_write2st64_b64 v83, v[70:71], v[72:73] offset0:24 offset1:28
	s_waitcnt lgkmcnt(0)
	s_barrier
	buffer_gl0_inv
	v_add_f64 v[150:151], v[36:37], v[8:9]
	v_add_f64 v[152:153], v[34:35], v[6:7]
	v_cvt_f32_f64_e32 v150, v[150:151]
	v_cvt_f32_f64_e32 v152, v[152:153]
	v_min3_f32 v131, v152, v150, v131
	v_add_f64 v[150:151], v[32:33], v[8:9]
	v_add_f64 v[152:153], v[30:31], v[6:7]
	v_cvt_f32_f64_e32 v150, v[150:151]
	v_cvt_f32_f64_e32 v152, v[152:153]
	v_min3_f32 v136, v152, v150, v136
	;; [unrolled: 5-line block ×5, first 2 shown]
	v_add_f64 v[150:151], v[16:17], v[8:9]
	v_add_f64 v[152:153], v[14:15], v[6:7]
	;; [unrolled: 1-line block ×4, first 2 shown]
	v_cvt_f32_f64_e32 v150, v[150:151]
	v_cvt_f32_f64_e32 v152, v[152:153]
	;; [unrolled: 1-line block ×4, first 2 shown]
	v_add_f64 v[8:9], v[2:3], v[62:63]
	v_min3_f32 v143, v152, v150, v143
	v_min3_f32 v199, v6, v7, v149
	v_add_f64 v[6:7], v[4:5], v[64:65]
	v_cvt_f32_f64_e32 v8, v[8:9]
	v_cvt_f32_f64_e32 v6, v[6:7]
	v_min3_f32 v200, v8, v6, v148
	v_add_f64 v[6:7], v[36:37], v[64:65]
	v_add_f64 v[8:9], v[34:35], v[62:63]
	v_cvt_f32_f64_e32 v6, v[6:7]
	v_cvt_f32_f64_e32 v8, v[8:9]
	v_min3_f32 v197, v8, v6, v147
	v_add_f64 v[6:7], v[32:33], v[64:65]
	;; [unrolled: 5-line block ×40, first 2 shown]
	v_add_f64 v[8:9], v[2:3], v[42:43]
	v_add_f64 v[4:5], v[4:5], v[40:41]
	;; [unrolled: 1-line block ×3, first 2 shown]
	v_cvt_f32_f64_e32 v6, v[6:7]
	v_cvt_f32_f64_e32 v8, v[8:9]
	;; [unrolled: 1-line block ×4, first 2 shown]
	v_add_f64 v[4:5], v[34:35], v[38:39]
	v_min3_f32 v160, v8, v6, v100
	v_add_f64 v[6:7], v[36:37], v[44:45]
	v_add_f64 v[8:9], v[34:35], v[42:43]
	v_min3_f32 v152, v2, v3, v92
	v_add_f64 v[2:3], v[36:37], v[40:41]
	v_cvt_f32_f64_e32 v4, v[4:5]
	v_cvt_f32_f64_e32 v6, v[6:7]
	v_cvt_f32_f64_e32 v8, v[8:9]
	v_cvt_f32_f64_e32 v2, v[2:3]
	v_min3_f32 v157, v8, v6, v99
	v_add_f64 v[6:7], v[32:33], v[44:45]
	v_add_f64 v[8:9], v[30:31], v[42:43]
	v_min3_f32 v149, v4, v2, v91
	v_add_f64 v[2:3], v[32:33], v[40:41]
	v_add_f64 v[4:5], v[30:31], v[38:39]
	v_cvt_f32_f64_e32 v6, v[6:7]
	v_cvt_f32_f64_e32 v8, v[8:9]
	v_cvt_f32_f64_e32 v2, v[2:3]
	v_cvt_f32_f64_e32 v4, v[4:5]
	v_min3_f32 v158, v8, v6, v98
	v_add_f64 v[6:7], v[28:29], v[44:45]
	v_add_f64 v[8:9], v[26:27], v[42:43]
	v_min3_f32 v150, v4, v2, v90
	v_add_f64 v[2:3], v[28:29], v[40:41]
	;; [unrolled: 10-line block ×6, first 2 shown]
	v_add_f64 v[4:5], v[10:11], v[38:39]
	v_cvt_f32_f64_e32 v6, v[6:7]
	v_cvt_f32_f64_e32 v8, v[8:9]
	v_cvt_f32_f64_e32 v2, v[2:3]
	v_cvt_f32_f64_e32 v4, v[4:5]
	v_min3_f32 v151, v8, v6, v93
	v_min3_f32 v144, v4, v2, v84
	s_cbranch_scc1 .LBB124_11
; %bb.9:
	v_add_nc_u32_e32 v2, 12, v80
	v_add_nc_u32_e32 v4, 8, v80
	v_add_co_u32 v90, vcc_lo, s16, v68
	v_add_co_ci_u32_e64 v91, null, s17, v69, vcc_lo
	v_mad_i64_i32 v[2:3], null, v2, s18, 0
	v_add_co_u32 v6, vcc_lo, v66, v81
	v_add_co_ci_u32_e64 v7, null, 0, v67, vcc_lo
	v_mad_i64_i32 v[4:5], null, v4, s18, 0
	v_lshlrev_b64 v[66:67], 3, v[2:3]
	v_add_co_u32 v2, vcc_lo, s14, v6
	v_add_co_ci_u32_e64 v3, null, s15, v7, vcc_lo
	v_add_nc_u32_e32 v84, 0x4000, v86
	v_add_co_u32 v70, vcc_lo, v2, 64
	v_lshlrev_b64 v[68:69], 3, v[4:5]
	v_or_b32_e32 v85, 0x4000, v82
	v_add_nc_u32_e32 v86, 0x4800, v86
	v_or_b32_e32 v87, 0x2000, v83
	v_lshl_add_u32 v88, v0, 5, 0x4800
	v_lshl_or_b32 v89, v1, 5, 0x2000
	v_add_co_ci_u32_e64 v71, null, 0, v3, vcc_lo
	s_ashr_i32 s19, s18, 31
	s_add_i32 s11, s7, -8
	s_lshl_b64 s[6:7], s[18:19], 6
	s_mov_b32 s14, 0
.LBB124_10:                             ; =>This Inner Loop Header: Depth=1
	v_add_co_u32 v2, vcc_lo, v90, v68
	v_add_co_ci_u32_e64 v3, null, v91, v69, vcc_lo
	flat_load_dwordx2 v[80:81], v[70:71]
	s_add_i32 s14, s14, 8
	s_clause 0x3
	flat_load_dwordx2 v[76:77], v[2:3]
	flat_load_dwordx2 v[78:79], v[2:3] offset:512
	flat_load_dwordx2 v[72:73], v[2:3] offset:1024
	;; [unrolled: 1-line block ×3, first 2 shown]
	ds_read_b128 v[10:13], v88 offset:256
	ds_read_b128 v[14:17], v88 offset:512
	;; [unrolled: 1-line block ×14, first 2 shown]
	ds_read_b128 v[92:95], v89
	ds_read_b128 v[6:9], v89 offset:16
	ds_read_b128 v[96:99], v88
	ds_read_b128 v[2:5], v88 offset:16
	s_cmp_ge_i32 s14, s11
	s_waitcnt lgkmcnt(1)
	v_add_f64 v[100:101], v[98:99], v[94:95]
	v_add_f64 v[102:103], v[96:97], v[92:93]
	v_cvt_f32_f64_e32 v100, v[100:101]
	v_cvt_f32_f64_e32 v102, v[102:103]
	v_min3_f32 v208, v102, v100, v134
	v_add_f64 v[100:101], v[12:13], v[94:95]
	v_add_f64 v[102:103], v[10:11], v[92:93]
	v_cvt_f32_f64_e32 v100, v[100:101]
	v_cvt_f32_f64_e32 v102, v[102:103]
	v_min3_f32 v207, v102, v100, v131
	v_add_f64 v[100:101], v[16:17], v[94:95]
	v_add_f64 v[102:103], v[14:15], v[92:93]
	v_cvt_f32_f64_e32 v100, v[100:101]
	v_cvt_f32_f64_e32 v102, v[102:103]
	v_min3_f32 v206, v102, v100, v136
	v_add_f64 v[100:101], v[20:21], v[94:95]
	v_add_f64 v[102:103], v[18:19], v[92:93]
	v_cvt_f32_f64_e32 v100, v[100:101]
	v_cvt_f32_f64_e32 v102, v[102:103]
	v_min3_f32 v205, v102, v100, v132
	v_add_f64 v[100:101], v[24:25], v[94:95]
	v_add_f64 v[102:103], v[22:23], v[92:93]
	v_cvt_f32_f64_e32 v100, v[100:101]
	v_cvt_f32_f64_e32 v102, v[102:103]
	v_min3_f32 v204, v102, v100, v133
	v_add_f64 v[100:101], v[28:29], v[94:95]
	v_add_f64 v[102:103], v[26:27], v[92:93]
	v_cvt_f32_f64_e32 v100, v[100:101]
	v_cvt_f32_f64_e32 v102, v[102:103]
	v_min3_f32 v203, v102, v100, v142
	v_add_f64 v[100:101], v[32:33], v[94:95]
	v_add_f64 v[102:103], v[30:31], v[92:93]
	;; [unrolled: 1-line block ×4, first 2 shown]
	v_cvt_f32_f64_e32 v100, v[100:101]
	v_cvt_f32_f64_e32 v102, v[102:103]
	;; [unrolled: 1-line block ×4, first 2 shown]
	v_add_f64 v[94:95], v[96:97], v[38:39]
	v_min3_f32 v202, v102, v100, v143
	v_min3_f32 v201, v92, v93, v199
	v_add_f64 v[92:93], v[98:99], v[40:41]
	v_cvt_f32_f64_e32 v94, v[94:95]
	v_cvt_f32_f64_e32 v92, v[92:93]
	v_min3_f32 v200, v94, v92, v200
	v_add_f64 v[92:93], v[12:13], v[40:41]
	v_add_f64 v[94:95], v[10:11], v[38:39]
	v_cvt_f32_f64_e32 v92, v[92:93]
	v_cvt_f32_f64_e32 v94, v[94:95]
	v_min3_f32 v199, v94, v92, v197
	v_add_f64 v[92:93], v[16:17], v[40:41]
	;; [unrolled: 5-line block ×6, first 2 shown]
	v_add_f64 v[94:95], v[30:31], v[38:39]
	v_add_f64 v[40:41], v[36:37], v[40:41]
	;; [unrolled: 1-line block ×3, first 2 shown]
	v_cvt_f32_f64_e32 v92, v[92:93]
	v_cvt_f32_f64_e32 v94, v[94:95]
	;; [unrolled: 1-line block ×4, first 2 shown]
	v_add_f64 v[40:41], v[96:97], v[42:43]
	v_min3_f32 v142, v94, v92, v194
	v_min3_f32 v141, v38, v39, v191
	v_add_f64 v[38:39], v[98:99], v[44:45]
	v_cvt_f32_f64_e32 v40, v[40:41]
	v_cvt_f32_f64_e32 v38, v[38:39]
	v_min3_f32 v140, v40, v38, v192
	v_add_f64 v[38:39], v[12:13], v[44:45]
	v_add_f64 v[40:41], v[10:11], v[42:43]
	v_cvt_f32_f64_e32 v38, v[38:39]
	v_cvt_f32_f64_e32 v40, v[40:41]
	v_min3_f32 v139, v40, v38, v189
	v_add_f64 v[38:39], v[16:17], v[44:45]
	;; [unrolled: 5-line block ×33, first 2 shown]
	v_add_f64 v[40:41], v[10:11], v[58:59]
	v_add_f64 v[12:13], v[12:13], v[64:65]
	;; [unrolled: 1-line block ×3, first 2 shown]
	v_cvt_f32_f64_e32 v38, v[38:39]
	v_cvt_f32_f64_e32 v40, v[40:41]
	;; [unrolled: 1-line block ×4, first 2 shown]
	v_add_f64 v[12:13], v[14:15], v[62:63]
	v_min3_f32 v106, v40, v38, v157
	v_add_f64 v[38:39], v[16:17], v[60:61]
	v_add_f64 v[40:41], v[14:15], v[58:59]
	v_cvt_f32_f64_e32 v12, v[12:13]
	v_cvt_f32_f64_e32 v38, v[38:39]
	;; [unrolled: 1-line block ×3, first 2 shown]
	v_min3_f32 v105, v40, v38, v158
	v_add_f64 v[38:39], v[20:21], v[60:61]
	v_add_f64 v[40:41], v[18:19], v[58:59]
	v_cvt_f32_f64_e32 v38, v[38:39]
	v_cvt_f32_f64_e32 v40, v[40:41]
	v_min3_f32 v104, v40, v38, v155
	v_add_f64 v[38:39], v[24:25], v[60:61]
	v_add_f64 v[40:41], v[22:23], v[58:59]
	v_cvt_f32_f64_e32 v38, v[38:39]
	v_cvt_f32_f64_e32 v40, v[40:41]
	v_min3_f32 v103, v40, v38, v156
	v_add_f64 v[38:39], v[28:29], v[60:61]
	v_add_f64 v[40:41], v[26:27], v[58:59]
	v_cvt_f32_f64_e32 v38, v[38:39]
	v_cvt_f32_f64_e32 v40, v[40:41]
	v_min3_f32 v102, v40, v38, v153
	v_add_f64 v[38:39], v[32:33], v[60:61]
	v_add_f64 v[40:41], v[30:31], v[58:59]
	v_cvt_f32_f64_e32 v38, v[38:39]
	v_cvt_f32_f64_e32 v40, v[40:41]
	v_min3_f32 v101, v40, v38, v154
	v_add_f64 v[38:39], v[36:37], v[60:61]
	v_add_f64 v[40:41], v[34:35], v[58:59]
	v_cvt_f32_f64_e32 v38, v[38:39]
	v_cvt_f32_f64_e32 v40, v[40:41]
	v_min3_f32 v100, v40, v38, v151
	v_add_f64 v[38:39], v[98:99], v[64:65]
	v_min3_f32 v98, v10, v11, v149
	v_add_f64 v[10:11], v[16:17], v[64:65]
	v_add_f64 v[40:41], v[96:97], v[62:63]
	v_cvt_f32_f64_e32 v38, v[38:39]
	v_cvt_f32_f64_e32 v10, v[10:11]
	v_cvt_f32_f64_e32 v40, v[40:41]
	v_min3_f32 v97, v12, v10, v150
	v_add_f64 v[10:11], v[20:21], v[64:65]
	v_add_f64 v[12:13], v[18:19], v[62:63]
	v_min3_f32 v99, v40, v38, v152
	v_cvt_f32_f64_e32 v10, v[10:11]
	v_cvt_f32_f64_e32 v12, v[12:13]
	v_min3_f32 v96, v12, v10, v147
	v_add_f64 v[10:11], v[24:25], v[64:65]
	v_add_f64 v[12:13], v[22:23], v[62:63]
	v_cvt_f32_f64_e32 v10, v[10:11]
	v_cvt_f32_f64_e32 v12, v[12:13]
	v_min3_f32 v95, v12, v10, v148
	v_add_f64 v[10:11], v[28:29], v[64:65]
	v_add_f64 v[12:13], v[26:27], v[62:63]
	;; [unrolled: 5-line block ×4, first 2 shown]
	s_waitcnt lgkmcnt(0)
	v_add_f64 v[146:147], v[2:3], v[6:7]
	v_cvt_f32_f64_e32 v10, v[10:11]
	v_cvt_f32_f64_e32 v12, v[12:13]
	;; [unrolled: 1-line block ×3, first 2 shown]
	v_min3_f32 v92, v12, v10, v144
	v_add_f64 v[144:145], v[4:5], v[8:9]
	ds_read_b128 v[34:37], v88 offset:272
	ds_read_b128 v[30:33], v88 offset:528
	;; [unrolled: 1-line block ×14, first 2 shown]
	s_waitcnt vmcnt(4)
	ds_write_b64 v84, v[80:81]
	s_waitcnt vmcnt(2)
	ds_write2st64_b64 v83, v[76:77], v[78:79] offset1:4
	s_waitcnt vmcnt(0)
	ds_write2st64_b64 v83, v[72:73], v[74:75] offset0:8 offset1:12
	s_waitcnt lgkmcnt(0)
	s_barrier
	buffer_gl0_inv
	flat_load_dwordx2 v[80:81], v[70:71] offset:32
	v_add_f64 v[147:148], v[34:35], v[6:7]
	v_cvt_f32_f64_e32 v144, v[144:145]
	v_cvt_f32_f64_e32 v147, v[147:148]
	v_add_f64 v[148:149], v[30:31], v[6:7]
	v_min3_f32 v144, v146, v144, v208
	v_add_f64 v[145:146], v[36:37], v[8:9]
	v_cvt_f32_f64_e32 v148, v[148:149]
	v_add_f64 v[149:150], v[26:27], v[6:7]
	v_cvt_f32_f64_e32 v145, v[145:146]
	v_cvt_f32_f64_e32 v149, v[149:150]
	v_add_f64 v[150:151], v[22:23], v[6:7]
	v_min3_f32 v145, v147, v145, v207
	v_add_f64 v[146:147], v[32:33], v[8:9]
	v_cvt_f32_f64_e32 v150, v[150:151]
	v_add_f64 v[151:152], v[18:19], v[6:7]
	v_cvt_f32_f64_e32 v146, v[146:147]
	v_cvt_f32_f64_e32 v151, v[151:152]
	v_add_f64 v[152:153], v[14:15], v[6:7]
	v_add_f64 v[6:7], v[10:11], v[6:7]
	v_min3_f32 v146, v148, v146, v206
	v_add_f64 v[147:148], v[28:29], v[8:9]
	v_cvt_f32_f64_e32 v152, v[152:153]
	v_cvt_f32_f64_e32 v6, v[6:7]
	v_add_f64 v[153:154], v[30:31], v[62:63]
	v_cvt_f32_f64_e32 v147, v[147:148]
	v_min3_f32 v147, v149, v147, v205
	v_add_f64 v[148:149], v[24:25], v[8:9]
	v_cvt_f32_f64_e32 v148, v[148:149]
	v_min3_f32 v148, v150, v148, v204
	;; [unrolled: 3-line block ×3, first 2 shown]
	v_add_f64 v[150:151], v[16:17], v[8:9]
	v_add_f64 v[8:9], v[12:13], v[8:9]
	v_cvt_f32_f64_e32 v150, v[150:151]
	v_cvt_f32_f64_e32 v7, v[8:9]
	v_min3_f32 v150, v152, v150, v202
	v_min3_f32 v6, v6, v7, v201
	v_add_f64 v[7:8], v[4:5], v[64:65]
	v_add_f64 v[151:152], v[2:3], v[62:63]
	v_cvt_f32_f64_e32 v7, v[7:8]
	v_cvt_f32_f64_e32 v9, v[151:152]
	v_add_f64 v[151:152], v[34:35], v[62:63]
	v_min3_f32 v7, v9, v7, v200
	v_add_f64 v[8:9], v[36:37], v[64:65]
	v_cvt_f32_f64_e32 v151, v[151:152]
	v_cvt_f32_f64_e32 v8, v[8:9]
	;; [unrolled: 1-line block ×3, first 2 shown]
	v_add_f64 v[153:154], v[26:27], v[62:63]
	v_min3_f32 v8, v151, v8, v199
	v_add_f64 v[151:152], v[32:33], v[64:65]
	v_cvt_f32_f64_e32 v153, v[153:154]
	v_add_f64 v[154:155], v[22:23], v[62:63]
	v_cvt_f32_f64_e32 v151, v[151:152]
	v_cvt_f32_f64_e32 v154, v[154:155]
	v_min3_f32 v9, v9, v151, v198
	v_add_f64 v[151:152], v[28:29], v[64:65]
	v_cvt_f32_f64_e32 v151, v[151:152]
	v_min3_f32 v151, v153, v151, v197
	v_add_f64 v[152:153], v[24:25], v[64:65]
	;; [unrolled: 3-line block ×3, first 2 shown]
	v_add_f64 v[154:155], v[18:19], v[62:63]
	v_cvt_f32_f64_e32 v152, v[152:153]
	v_cvt_f32_f64_e32 v154, v[154:155]
	v_min3_f32 v158, v154, v152, v143
	v_add_f64 v[152:153], v[16:17], v[64:65]
	v_add_f64 v[154:155], v[14:15], v[62:63]
	;; [unrolled: 1-line block ×4, first 2 shown]
	v_cvt_f32_f64_e32 v152, v[152:153]
	v_cvt_f32_f64_e32 v143, v[154:155]
	;; [unrolled: 1-line block ×4, first 2 shown]
	v_min3_f32 v159, v143, v152, v142
	v_min3_f32 v62, v62, v63, v141
	v_add_f64 v[63:64], v[4:5], v[60:61]
	v_add_f64 v[141:142], v[2:3], v[58:59]
	v_cvt_f32_f64_e32 v63, v[63:64]
	v_cvt_f32_f64_e32 v65, v[141:142]
	v_min3_f32 v63, v65, v63, v140
	v_add_f64 v[64:65], v[36:37], v[60:61]
	v_add_f64 v[140:141], v[34:35], v[58:59]
	v_cvt_f32_f64_e32 v64, v[64:65]
	v_cvt_f32_f64_e32 v140, v[140:141]
	v_add_f64 v[141:142], v[30:31], v[58:59]
	v_min3_f32 v64, v140, v64, v139
	v_add_f64 v[139:140], v[32:33], v[60:61]
	v_cvt_f32_f64_e32 v65, v[141:142]
	v_cvt_f32_f64_e32 v139, v[139:140]
	v_add_f64 v[140:141], v[26:27], v[58:59]
	v_min3_f32 v65, v65, v139, v138
	v_add_f64 v[138:139], v[28:29], v[60:61]
	v_cvt_f32_f64_e32 v140, v[140:141]
	v_cvt_f32_f64_e32 v138, v[138:139]
	v_min3_f32 v137, v140, v138, v137
	v_add_f64 v[138:139], v[24:25], v[60:61]
	v_add_f64 v[140:141], v[22:23], v[58:59]
	v_cvt_f32_f64_e32 v138, v[138:139]
	v_cvt_f32_f64_e32 v140, v[140:141]
	v_add_f64 v[141:142], v[18:19], v[58:59]
	v_min3_f32 v138, v140, v138, v136
	v_add_f64 v[139:140], v[20:21], v[60:61]
	v_cvt_f32_f64_e32 v136, v[141:142]
	v_add_f64 v[141:142], v[14:15], v[58:59]
	v_add_f64 v[58:59], v[10:11], v[58:59]
	v_cvt_f32_f64_e32 v139, v[139:140]
	v_cvt_f32_f64_e32 v58, v[58:59]
	v_min3_f32 v135, v136, v139, v135
	v_add_f64 v[139:140], v[16:17], v[60:61]
	v_add_f64 v[60:61], v[12:13], v[60:61]
	v_cvt_f32_f64_e32 v136, v[141:142]
	v_cvt_f32_f64_e32 v139, v[139:140]
	;; [unrolled: 1-line block ×3, first 2 shown]
	v_min3_f32 v139, v136, v139, v134
	v_min3_f32 v58, v58, v59, v133
	v_add_f64 v[59:60], v[4:5], v[56:57]
	v_add_f64 v[133:134], v[2:3], v[54:55]
	v_cvt_f32_f64_e32 v59, v[59:60]
	v_cvt_f32_f64_e32 v61, v[133:134]
	v_min3_f32 v59, v61, v59, v132
	v_add_f64 v[60:61], v[36:37], v[56:57]
	v_add_f64 v[132:133], v[34:35], v[54:55]
	v_cvt_f32_f64_e32 v60, v[60:61]
	v_cvt_f32_f64_e32 v132, v[132:133]
	v_add_f64 v[133:134], v[30:31], v[54:55]
	v_min3_f32 v60, v132, v60, v131
	v_add_f64 v[131:132], v[32:33], v[56:57]
	v_cvt_f32_f64_e32 v61, v[133:134]
	v_add_f64 v[133:134], v[26:27], v[54:55]
	v_cvt_f32_f64_e32 v131, v[131:132]
	v_min3_f32 v61, v61, v131, v129
	v_add_f64 v[131:132], v[28:29], v[56:57]
	v_cvt_f32_f64_e32 v129, v[133:134]
	v_add_f64 v[133:134], v[22:23], v[54:55]
	v_cvt_f32_f64_e32 v131, v[131:132]
	;; [unrolled: 5-line block ×3, first 2 shown]
	v_min3_f32 v127, v129, v131, v127
	v_add_f64 v[131:132], v[20:21], v[56:57]
	v_cvt_f32_f64_e32 v129, v[133:134]
	v_add_f64 v[133:134], v[14:15], v[54:55]
	v_add_f64 v[54:55], v[10:11], v[54:55]
	v_cvt_f32_f64_e32 v131, v[131:132]
	v_cvt_f32_f64_e32 v54, v[54:55]
	v_min3_f32 v126, v129, v131, v126
	v_add_f64 v[131:132], v[16:17], v[56:57]
	v_add_f64 v[56:57], v[12:13], v[56:57]
	v_cvt_f32_f64_e32 v129, v[133:134]
	v_cvt_f32_f64_e32 v131, v[131:132]
	;; [unrolled: 1-line block ×3, first 2 shown]
	v_min3_f32 v125, v129, v131, v125
	v_min3_f32 v54, v54, v55, v124
	v_add_f64 v[55:56], v[4:5], v[52:53]
	v_add_f64 v[131:132], v[2:3], v[50:51]
	v_cvt_f32_f64_e32 v55, v[55:56]
	v_cvt_f32_f64_e32 v57, v[131:132]
	v_add_f64 v[131:132], v[30:31], v[50:51]
	v_min3_f32 v55, v57, v55, v123
	v_add_f64 v[56:57], v[36:37], v[52:53]
	v_add_f64 v[123:124], v[34:35], v[50:51]
	v_cvt_f32_f64_e32 v56, v[56:57]
	v_cvt_f32_f64_e32 v123, v[123:124]
	;; [unrolled: 1-line block ×3, first 2 shown]
	v_min3_f32 v56, v123, v56, v122
	v_add_f64 v[122:123], v[32:33], v[52:53]
	v_cvt_f32_f64_e32 v122, v[122:123]
	v_add_f64 v[123:124], v[26:27], v[50:51]
	v_min3_f32 v57, v57, v122, v121
	v_add_f64 v[121:122], v[28:29], v[52:53]
	v_cvt_f32_f64_e32 v123, v[123:124]
	v_cvt_f32_f64_e32 v121, v[121:122]
	v_min3_f32 v120, v123, v121, v120
	v_add_f64 v[121:122], v[24:25], v[52:53]
	v_add_f64 v[123:124], v[22:23], v[50:51]
	v_cvt_f32_f64_e32 v121, v[121:122]
	v_cvt_f32_f64_e32 v123, v[123:124]
	v_min3_f32 v119, v123, v121, v119
	v_add_f64 v[121:122], v[20:21], v[52:53]
	;; [unrolled: 5-line block ×3, first 2 shown]
	v_add_f64 v[123:124], v[14:15], v[50:51]
	v_add_f64 v[52:53], v[12:13], v[52:53]
	;; [unrolled: 1-line block ×3, first 2 shown]
	v_cvt_f32_f64_e32 v121, v[121:122]
	v_cvt_f32_f64_e32 v123, v[123:124]
	;; [unrolled: 1-line block ×4, first 2 shown]
	v_min3_f32 v117, v123, v121, v117
	v_add_f64 v[121:122], v[2:3], v[46:47]
	v_min3_f32 v50, v50, v51, v116
	v_add_f64 v[51:52], v[4:5], v[48:49]
	v_cvt_f32_f64_e32 v53, v[121:122]
	v_add_f64 v[121:122], v[30:31], v[46:47]
	v_cvt_f32_f64_e32 v51, v[51:52]
	v_min3_f32 v51, v53, v51, v115
	v_add_f64 v[52:53], v[36:37], v[48:49]
	v_add_f64 v[115:116], v[34:35], v[46:47]
	v_cvt_f32_f64_e32 v52, v[52:53]
	v_cvt_f32_f64_e32 v115, v[115:116]
	;; [unrolled: 1-line block ×3, first 2 shown]
	v_min3_f32 v52, v115, v52, v114
	v_add_f64 v[114:115], v[32:33], v[48:49]
	v_cvt_f32_f64_e32 v114, v[114:115]
	v_add_f64 v[115:116], v[26:27], v[46:47]
	v_min3_f32 v53, v53, v114, v113
	v_add_f64 v[113:114], v[28:29], v[48:49]
	v_cvt_f32_f64_e32 v115, v[115:116]
	v_cvt_f32_f64_e32 v113, v[113:114]
	v_min3_f32 v112, v115, v113, v112
	v_add_f64 v[113:114], v[24:25], v[48:49]
	v_add_f64 v[115:116], v[22:23], v[46:47]
	v_cvt_f32_f64_e32 v113, v[113:114]
	v_cvt_f32_f64_e32 v115, v[115:116]
	v_min3_f32 v111, v115, v113, v111
	v_add_f64 v[113:114], v[20:21], v[48:49]
	;; [unrolled: 5-line block ×3, first 2 shown]
	v_add_f64 v[115:116], v[14:15], v[46:47]
	v_add_f64 v[48:49], v[12:13], v[48:49]
	;; [unrolled: 1-line block ×3, first 2 shown]
	v_cvt_f32_f64_e32 v113, v[113:114]
	v_cvt_f32_f64_e32 v115, v[115:116]
	v_cvt_f32_f64_e32 v46, v[46:47]
	v_cvt_f32_f64_e32 v47, v[48:49]
	v_min3_f32 v109, v115, v113, v109
	v_add_f64 v[113:114], v[2:3], v[42:43]
	v_add_f64 v[2:3], v[2:3], v[38:39]
	v_min3_f32 v46, v46, v47, v108
	v_add_f64 v[47:48], v[4:5], v[44:45]
	v_add_f64 v[4:5], v[4:5], v[40:41]
	v_cvt_f32_f64_e32 v49, v[113:114]
	v_add_f64 v[113:114], v[30:31], v[42:43]
	v_cvt_f32_f64_e32 v2, v[2:3]
	v_cvt_f32_f64_e32 v47, v[47:48]
	;; [unrolled: 1-line block ×3, first 2 shown]
	v_add_f64 v[4:5], v[34:35], v[38:39]
	v_min3_f32 v47, v49, v47, v107
	v_add_f64 v[48:49], v[36:37], v[44:45]
	v_add_f64 v[107:108], v[34:35], v[42:43]
	v_cvt_f32_f64_e32 v4, v[4:5]
	v_cvt_f32_f64_e32 v48, v[48:49]
	;; [unrolled: 1-line block ×4, first 2 shown]
	v_min3_f32 v48, v107, v48, v106
	v_add_f64 v[106:107], v[32:33], v[44:45]
	v_cvt_f32_f64_e32 v106, v[106:107]
	v_add_f64 v[107:108], v[26:27], v[42:43]
	v_min3_f32 v49, v49, v106, v105
	v_add_f64 v[105:106], v[28:29], v[44:45]
	v_cvt_f32_f64_e32 v107, v[107:108]
	v_cvt_f32_f64_e32 v105, v[105:106]
	v_min3_f32 v104, v107, v105, v104
	v_add_f64 v[105:106], v[24:25], v[44:45]
	v_add_f64 v[107:108], v[22:23], v[42:43]
	v_cvt_f32_f64_e32 v105, v[105:106]
	v_cvt_f32_f64_e32 v107, v[107:108]
	v_min3_f32 v103, v107, v105, v103
	v_add_f64 v[105:106], v[20:21], v[44:45]
	v_add_f64 v[107:108], v[18:19], v[42:43]
	v_cvt_f32_f64_e32 v105, v[105:106]
	v_cvt_f32_f64_e32 v107, v[107:108]
	v_min3_f32 v102, v107, v105, v102
	v_add_f64 v[105:106], v[16:17], v[44:45]
	v_add_f64 v[107:108], v[14:15], v[42:43]
	v_add_f64 v[44:45], v[12:13], v[44:45]
	;; [unrolled: 1-line block ×3, first 2 shown]
	v_cvt_f32_f64_e32 v105, v[105:106]
	v_cvt_f32_f64_e32 v107, v[107:108]
	;; [unrolled: 1-line block ×4, first 2 shown]
	v_min3_f32 v101, v107, v105, v101
	v_min3_f32 v42, v42, v43, v100
	;; [unrolled: 1-line block ×3, first 2 shown]
	v_add_f64 v[2:3], v[36:37], v[40:41]
	v_cvt_f32_f64_e32 v2, v[2:3]
	v_min3_f32 v44, v4, v2, v98
	v_add_f64 v[2:3], v[32:33], v[40:41]
	v_add_f64 v[4:5], v[30:31], v[38:39]
	v_cvt_f32_f64_e32 v2, v[2:3]
	v_cvt_f32_f64_e32 v4, v[4:5]
	v_min3_f32 v30, v4, v2, v97
	v_add_f64 v[2:3], v[28:29], v[40:41]
	v_add_f64 v[4:5], v[26:27], v[38:39]
	v_cvt_f32_f64_e32 v2, v[2:3]
	;; [unrolled: 5-line block ×6, first 2 shown]
	v_cvt_f32_f64_e32 v4, v[4:5]
	v_min3_f32 v10, v4, v2, v92
	v_add_co_u32 v2, vcc_lo, v90, v66
	v_add_co_ci_u32_e64 v3, null, v91, v67, vcc_lo
	s_clause 0x3
	flat_load_dwordx2 v[74:75], v[2:3]
	flat_load_dwordx2 v[78:79], v[2:3] offset:512
	flat_load_dwordx2 v[72:73], v[2:3] offset:1024
	;; [unrolled: 1-line block ×3, first 2 shown]
	ds_read_b128 v[38:41], v85 offset:256
	ds_read_b128 v[92:95], v85 offset:512
	;; [unrolled: 1-line block ×14, first 2 shown]
	ds_read_b128 v[196:199], v85
	ds_read_b128 v[2:5], v85 offset:16
	ds_read_b128 v[121:124], v130
	ds_read_b128 v[34:37], v130 offset:16
	v_add_co_u32 v90, vcc_lo, v90, s6
	v_add_co_ci_u32_e64 v91, null, s7, v91, vcc_lo
	v_add_co_u32 v70, vcc_lo, v70, 64
	v_add_co_ci_u32_e64 v71, null, 0, v71, vcc_lo
	s_waitcnt lgkmcnt(1)
	v_add_f64 v[11:12], v[198:199], v[123:124]
	v_add_f64 v[15:16], v[196:197], v[121:122]
	v_cvt_f32_f64_e32 v11, v[11:12]
	v_cvt_f32_f64_e32 v13, v[15:16]
	v_add_f64 v[15:16], v[38:39], v[121:122]
	v_min3_f32 v134, v13, v11, v144
	v_add_f64 v[11:12], v[40:41], v[123:124]
	v_cvt_f32_f64_e32 v13, v[15:16]
	v_add_f64 v[15:16], v[92:93], v[121:122]
	v_cvt_f32_f64_e32 v11, v[11:12]
	v_min3_f32 v131, v13, v11, v145
	v_add_f64 v[11:12], v[94:95], v[123:124]
	v_cvt_f32_f64_e32 v13, v[15:16]
	v_add_f64 v[15:16], v[160:161], v[121:122]
	v_cvt_f32_f64_e32 v11, v[11:12]
	;; [unrolled: 5-line block ×7, first 2 shown]
	v_min3_f32 v156, v13, v11, v6
	v_add_f64 v[11:12], v[198:199], v[98:99]
	v_cvt_f32_f64_e32 v6, v[15:16]
	v_cvt_f32_f64_e32 v11, v[11:12]
	v_min3_f32 v155, v6, v11, v7
	v_add_f64 v[6:7], v[40:41], v[98:99]
	v_add_f64 v[11:12], v[38:39], v[96:97]
	v_cvt_f32_f64_e32 v6, v[6:7]
	v_cvt_f32_f64_e32 v11, v[11:12]
	v_min3_f32 v154, v11, v6, v8
	v_add_f64 v[6:7], v[94:95], v[98:99]
	;; [unrolled: 5-line block ×6, first 2 shown]
	v_add_f64 v[8:9], v[172:173], v[96:97]
	s_waitcnt lgkmcnt(0)
	v_add_f64 v[157:158], v[4:5], v[36:37]
	v_cvt_f32_f64_e32 v6, v[6:7]
	v_cvt_f32_f64_e32 v8, v[8:9]
	;; [unrolled: 1-line block ×3, first 2 shown]
	v_min3_f32 v149, v8, v6, v159
	v_add_f64 v[6:7], v[178:179], v[98:99]
	v_add_f64 v[8:9], v[176:177], v[96:97]
	v_cvt_f32_f64_e32 v6, v[6:7]
	v_cvt_f32_f64_e32 v8, v[8:9]
	v_min3_f32 v148, v8, v6, v62
	v_add_f64 v[6:7], v[198:199], v[107:108]
	v_add_f64 v[8:9], v[196:197], v[105:106]
	v_cvt_f32_f64_e32 v6, v[6:7]
	v_cvt_f32_f64_e32 v8, v[8:9]
	;; [unrolled: 5-line block ×44, first 2 shown]
	v_min3_f32 v97, v8, v6, v30
	v_add_f64 v[6:7], v[162:163], v[194:195]
	v_add_f64 v[8:9], v[160:161], v[192:193]
	v_add_f64 v[159:160], v[2:3], v[34:35]
	v_cvt_f32_f64_e32 v6, v[6:7]
	v_cvt_f32_f64_e32 v8, v[8:9]
	;; [unrolled: 1-line block ×3, first 2 shown]
	v_min3_f32 v96, v8, v6, v26
	v_add_f64 v[6:7], v[166:167], v[194:195]
	v_add_f64 v[8:9], v[164:165], v[192:193]
	v_min3_f32 v134, v159, v157, v134
	v_cvt_f32_f64_e32 v6, v[6:7]
	v_cvt_f32_f64_e32 v8, v[8:9]
	v_min3_f32 v95, v8, v6, v22
	v_add_f64 v[6:7], v[170:171], v[194:195]
	v_add_f64 v[8:9], v[168:169], v[192:193]
	v_cvt_f32_f64_e32 v6, v[6:7]
	v_cvt_f32_f64_e32 v8, v[8:9]
	v_min3_f32 v94, v8, v6, v18
	v_add_f64 v[6:7], v[174:175], v[194:195]
	v_add_f64 v[8:9], v[172:173], v[192:193]
	;; [unrolled: 5-line block ×3, first 2 shown]
	v_cvt_f32_f64_e32 v6, v[6:7]
	v_cvt_f32_f64_e32 v8, v[8:9]
	v_min3_f32 v92, v8, v6, v10
	ds_read_b128 v[30:33], v85 offset:272
	ds_read_b128 v[26:29], v85 offset:528
	ds_read_b128 v[22:25], v85 offset:784
	ds_read_b128 v[18:21], v85 offset:1040
	ds_read_b128 v[14:17], v85 offset:1296
	ds_read_b128 v[10:13], v85 offset:1552
	ds_read_b128 v[6:9], v85 offset:1808
	ds_read_b128 v[62:65], v130 offset:1040
	ds_read_b128 v[58:61], v130 offset:2064
	ds_read_b128 v[54:57], v130 offset:3088
	ds_read_b128 v[50:53], v130 offset:4112
	ds_read_b128 v[46:49], v130 offset:5136
	ds_read_b128 v[42:45], v130 offset:6160
	ds_read_b128 v[38:41], v130 offset:7184
	s_waitcnt vmcnt(4)
	ds_write_b64 v86, v[80:81]
	s_waitcnt vmcnt(2)
	ds_write2st64_b64 v87, v[74:75], v[78:79] offset1:4
	s_waitcnt vmcnt(0)
	ds_write2st64_b64 v87, v[72:73], v[76:77] offset0:8 offset1:12
	s_waitcnt lgkmcnt(0)
	s_barrier
	buffer_gl0_inv
	v_add_f64 v[157:158], v[32:33], v[36:37]
	v_add_f64 v[159:160], v[30:31], v[34:35]
	v_cvt_f32_f64_e32 v157, v[157:158]
	v_cvt_f32_f64_e32 v159, v[159:160]
	v_min3_f32 v131, v159, v157, v131
	v_add_f64 v[157:158], v[28:29], v[36:37]
	v_add_f64 v[159:160], v[26:27], v[34:35]
	v_cvt_f32_f64_e32 v157, v[157:158]
	v_cvt_f32_f64_e32 v159, v[159:160]
	v_min3_f32 v136, v159, v157, v136
	;; [unrolled: 5-line block ×5, first 2 shown]
	v_add_f64 v[157:158], v[12:13], v[36:37]
	v_add_f64 v[159:160], v[10:11], v[34:35]
	;; [unrolled: 1-line block ×4, first 2 shown]
	v_cvt_f32_f64_e32 v157, v[157:158]
	v_cvt_f32_f64_e32 v159, v[159:160]
	;; [unrolled: 1-line block ×4, first 2 shown]
	v_add_f64 v[36:37], v[2:3], v[62:63]
	v_min3_f32 v143, v159, v157, v143
	v_min3_f32 v199, v34, v35, v156
	v_add_f64 v[34:35], v[4:5], v[64:65]
	v_cvt_f32_f64_e32 v36, v[36:37]
	v_cvt_f32_f64_e32 v34, v[34:35]
	v_min3_f32 v200, v36, v34, v155
	v_add_f64 v[34:35], v[32:33], v[64:65]
	v_add_f64 v[36:37], v[30:31], v[62:63]
	v_cvt_f32_f64_e32 v34, v[34:35]
	v_cvt_f32_f64_e32 v36, v[36:37]
	v_min3_f32 v197, v36, v34, v154
	v_add_f64 v[34:35], v[28:29], v[64:65]
	v_add_f64 v[36:37], v[26:27], v[62:63]
	v_cvt_f32_f64_e32 v34, v[34:35]
	v_cvt_f32_f64_e32 v36, v[36:37]
	v_min3_f32 v198, v36, v34, v153
	v_add_f64 v[34:35], v[24:25], v[64:65]
	v_add_f64 v[36:37], v[22:23], v[62:63]
	v_cvt_f32_f64_e32 v34, v[34:35]
	v_cvt_f32_f64_e32 v36, v[36:37]
	v_min3_f32 v195, v36, v34, v152
	v_add_f64 v[34:35], v[20:21], v[64:65]
	v_add_f64 v[36:37], v[18:19], v[62:63]
	v_cvt_f32_f64_e32 v34, v[34:35]
	v_cvt_f32_f64_e32 v36, v[36:37]
	v_min3_f32 v196, v36, v34, v151
	v_add_f64 v[34:35], v[16:17], v[64:65]
	v_add_f64 v[36:37], v[14:15], v[62:63]
	v_cvt_f32_f64_e32 v34, v[34:35]
	v_cvt_f32_f64_e32 v36, v[36:37]
	v_min3_f32 v193, v36, v34, v150
	v_add_f64 v[34:35], v[12:13], v[64:65]
	v_add_f64 v[36:37], v[10:11], v[62:63]
	v_cvt_f32_f64_e32 v34, v[34:35]
	v_cvt_f32_f64_e32 v36, v[36:37]
	v_min3_f32 v194, v36, v34, v149
	v_add_f64 v[34:35], v[8:9], v[64:65]
	v_add_f64 v[36:37], v[6:7], v[62:63]
	v_cvt_f32_f64_e32 v34, v[34:35]
	v_cvt_f32_f64_e32 v36, v[36:37]
	v_min3_f32 v191, v36, v34, v148
	v_add_f64 v[34:35], v[4:5], v[60:61]
	v_add_f64 v[36:37], v[2:3], v[58:59]
	v_cvt_f32_f64_e32 v34, v[34:35]
	v_cvt_f32_f64_e32 v36, v[36:37]
	v_min3_f32 v192, v36, v34, v147
	v_add_f64 v[34:35], v[32:33], v[60:61]
	v_add_f64 v[36:37], v[30:31], v[58:59]
	v_cvt_f32_f64_e32 v34, v[34:35]
	v_cvt_f32_f64_e32 v36, v[36:37]
	v_min3_f32 v189, v36, v34, v146
	v_add_f64 v[34:35], v[28:29], v[60:61]
	v_add_f64 v[36:37], v[26:27], v[58:59]
	v_cvt_f32_f64_e32 v34, v[34:35]
	v_cvt_f32_f64_e32 v36, v[36:37]
	v_min3_f32 v190, v36, v34, v145
	v_add_f64 v[34:35], v[24:25], v[60:61]
	v_add_f64 v[36:37], v[22:23], v[58:59]
	v_cvt_f32_f64_e32 v34, v[34:35]
	v_cvt_f32_f64_e32 v36, v[36:37]
	v_min3_f32 v187, v36, v34, v144
	v_add_f64 v[34:35], v[20:21], v[60:61]
	v_add_f64 v[36:37], v[18:19], v[58:59]
	v_cvt_f32_f64_e32 v34, v[34:35]
	v_cvt_f32_f64_e32 v36, v[36:37]
	v_min3_f32 v188, v36, v34, v141
	v_add_f64 v[34:35], v[16:17], v[60:61]
	v_add_f64 v[36:37], v[14:15], v[58:59]
	v_cvt_f32_f64_e32 v34, v[34:35]
	v_cvt_f32_f64_e32 v36, v[36:37]
	v_min3_f32 v185, v36, v34, v140
	v_add_f64 v[34:35], v[12:13], v[60:61]
	v_add_f64 v[36:37], v[10:11], v[58:59]
	v_cvt_f32_f64_e32 v34, v[34:35]
	v_cvt_f32_f64_e32 v36, v[36:37]
	v_min3_f32 v186, v36, v34, v139
	v_add_f64 v[34:35], v[8:9], v[60:61]
	v_add_f64 v[36:37], v[6:7], v[58:59]
	v_cvt_f32_f64_e32 v34, v[34:35]
	v_cvt_f32_f64_e32 v36, v[36:37]
	v_min3_f32 v183, v36, v34, v138
	v_add_f64 v[34:35], v[4:5], v[56:57]
	v_add_f64 v[36:37], v[2:3], v[54:55]
	v_cvt_f32_f64_e32 v34, v[34:35]
	v_cvt_f32_f64_e32 v36, v[36:37]
	v_min3_f32 v184, v36, v34, v137
	v_add_f64 v[34:35], v[32:33], v[56:57]
	v_add_f64 v[36:37], v[30:31], v[54:55]
	v_cvt_f32_f64_e32 v34, v[34:35]
	v_cvt_f32_f64_e32 v36, v[36:37]
	v_min3_f32 v181, v36, v34, v135
	v_add_f64 v[34:35], v[28:29], v[56:57]
	v_add_f64 v[36:37], v[26:27], v[54:55]
	v_cvt_f32_f64_e32 v34, v[34:35]
	v_cvt_f32_f64_e32 v36, v[36:37]
	v_min3_f32 v182, v36, v34, v129
	v_add_f64 v[34:35], v[24:25], v[56:57]
	v_add_f64 v[36:37], v[22:23], v[54:55]
	v_cvt_f32_f64_e32 v34, v[34:35]
	v_cvt_f32_f64_e32 v36, v[36:37]
	v_min3_f32 v179, v36, v34, v128
	v_add_f64 v[34:35], v[20:21], v[56:57]
	v_add_f64 v[36:37], v[18:19], v[54:55]
	v_cvt_f32_f64_e32 v34, v[34:35]
	v_cvt_f32_f64_e32 v36, v[36:37]
	v_min3_f32 v180, v36, v34, v127
	v_add_f64 v[34:35], v[16:17], v[56:57]
	v_add_f64 v[36:37], v[14:15], v[54:55]
	v_cvt_f32_f64_e32 v34, v[34:35]
	v_cvt_f32_f64_e32 v36, v[36:37]
	v_min3_f32 v177, v36, v34, v126
	v_add_f64 v[34:35], v[12:13], v[56:57]
	v_add_f64 v[36:37], v[10:11], v[54:55]
	v_cvt_f32_f64_e32 v34, v[34:35]
	v_cvt_f32_f64_e32 v36, v[36:37]
	v_min3_f32 v178, v36, v34, v125
	v_add_f64 v[34:35], v[8:9], v[56:57]
	v_add_f64 v[36:37], v[6:7], v[54:55]
	v_cvt_f32_f64_e32 v34, v[34:35]
	v_cvt_f32_f64_e32 v36, v[36:37]
	v_min3_f32 v175, v36, v34, v124
	v_add_f64 v[34:35], v[4:5], v[52:53]
	v_add_f64 v[36:37], v[2:3], v[50:51]
	v_cvt_f32_f64_e32 v34, v[34:35]
	v_cvt_f32_f64_e32 v36, v[36:37]
	v_min3_f32 v176, v36, v34, v123
	v_add_f64 v[34:35], v[32:33], v[52:53]
	v_add_f64 v[36:37], v[30:31], v[50:51]
	v_cvt_f32_f64_e32 v34, v[34:35]
	v_cvt_f32_f64_e32 v36, v[36:37]
	v_min3_f32 v173, v36, v34, v122
	v_add_f64 v[34:35], v[28:29], v[52:53]
	v_add_f64 v[36:37], v[26:27], v[50:51]
	v_cvt_f32_f64_e32 v34, v[34:35]
	v_cvt_f32_f64_e32 v36, v[36:37]
	v_min3_f32 v174, v36, v34, v121
	v_add_f64 v[34:35], v[24:25], v[52:53]
	v_add_f64 v[36:37], v[22:23], v[50:51]
	v_cvt_f32_f64_e32 v34, v[34:35]
	v_cvt_f32_f64_e32 v36, v[36:37]
	v_min3_f32 v171, v36, v34, v120
	v_add_f64 v[34:35], v[20:21], v[52:53]
	v_add_f64 v[36:37], v[18:19], v[50:51]
	v_cvt_f32_f64_e32 v34, v[34:35]
	v_cvt_f32_f64_e32 v36, v[36:37]
	v_min3_f32 v172, v36, v34, v119
	v_add_f64 v[34:35], v[16:17], v[52:53]
	v_add_f64 v[36:37], v[14:15], v[50:51]
	v_cvt_f32_f64_e32 v34, v[34:35]
	v_cvt_f32_f64_e32 v36, v[36:37]
	v_min3_f32 v169, v36, v34, v118
	v_add_f64 v[34:35], v[12:13], v[52:53]
	v_add_f64 v[36:37], v[10:11], v[50:51]
	v_cvt_f32_f64_e32 v34, v[34:35]
	v_cvt_f32_f64_e32 v36, v[36:37]
	v_min3_f32 v170, v36, v34, v117
	v_add_f64 v[34:35], v[8:9], v[52:53]
	v_add_f64 v[36:37], v[6:7], v[50:51]
	v_cvt_f32_f64_e32 v34, v[34:35]
	v_cvt_f32_f64_e32 v36, v[36:37]
	v_min3_f32 v167, v36, v34, v116
	v_add_f64 v[34:35], v[4:5], v[48:49]
	v_add_f64 v[36:37], v[2:3], v[46:47]
	v_cvt_f32_f64_e32 v34, v[34:35]
	v_cvt_f32_f64_e32 v36, v[36:37]
	v_min3_f32 v168, v36, v34, v115
	v_add_f64 v[34:35], v[32:33], v[48:49]
	v_add_f64 v[36:37], v[30:31], v[46:47]
	v_cvt_f32_f64_e32 v34, v[34:35]
	v_cvt_f32_f64_e32 v36, v[36:37]
	v_min3_f32 v165, v36, v34, v114
	v_add_f64 v[34:35], v[28:29], v[48:49]
	v_add_f64 v[36:37], v[26:27], v[46:47]
	v_cvt_f32_f64_e32 v34, v[34:35]
	v_cvt_f32_f64_e32 v36, v[36:37]
	v_min3_f32 v166, v36, v34, v113
	v_add_f64 v[34:35], v[24:25], v[48:49]
	v_add_f64 v[36:37], v[22:23], v[46:47]
	v_cvt_f32_f64_e32 v34, v[34:35]
	v_cvt_f32_f64_e32 v36, v[36:37]
	v_min3_f32 v163, v36, v34, v112
	v_add_f64 v[34:35], v[20:21], v[48:49]
	v_add_f64 v[36:37], v[18:19], v[46:47]
	v_cvt_f32_f64_e32 v34, v[34:35]
	v_cvt_f32_f64_e32 v36, v[36:37]
	v_min3_f32 v164, v36, v34, v111
	v_add_f64 v[34:35], v[16:17], v[48:49]
	v_add_f64 v[36:37], v[14:15], v[46:47]
	v_cvt_f32_f64_e32 v34, v[34:35]
	v_cvt_f32_f64_e32 v36, v[36:37]
	v_min3_f32 v161, v36, v34, v110
	v_add_f64 v[34:35], v[12:13], v[48:49]
	v_add_f64 v[36:37], v[10:11], v[46:47]
	v_cvt_f32_f64_e32 v34, v[34:35]
	v_cvt_f32_f64_e32 v36, v[36:37]
	v_min3_f32 v162, v36, v34, v109
	v_add_f64 v[34:35], v[8:9], v[48:49]
	v_add_f64 v[36:37], v[6:7], v[46:47]
	v_cvt_f32_f64_e32 v34, v[34:35]
	v_cvt_f32_f64_e32 v36, v[36:37]
	v_min3_f32 v159, v36, v34, v108
	v_add_f64 v[34:35], v[4:5], v[44:45]
	v_add_f64 v[36:37], v[2:3], v[42:43]
	v_add_f64 v[4:5], v[4:5], v[40:41]
	;; [unrolled: 1-line block ×3, first 2 shown]
	v_cvt_f32_f64_e32 v34, v[34:35]
	v_cvt_f32_f64_e32 v36, v[36:37]
	;; [unrolled: 1-line block ×4, first 2 shown]
	v_add_f64 v[4:5], v[30:31], v[38:39]
	v_min3_f32 v160, v36, v34, v107
	v_add_f64 v[34:35], v[32:33], v[44:45]
	v_add_f64 v[36:37], v[30:31], v[42:43]
	v_min3_f32 v152, v2, v3, v99
	v_add_f64 v[2:3], v[32:33], v[40:41]
	v_cvt_f32_f64_e32 v4, v[4:5]
	v_cvt_f32_f64_e32 v34, v[34:35]
	v_cvt_f32_f64_e32 v36, v[36:37]
	v_cvt_f32_f64_e32 v2, v[2:3]
	v_min3_f32 v157, v36, v34, v106
	v_add_f64 v[34:35], v[28:29], v[44:45]
	v_add_f64 v[36:37], v[26:27], v[42:43]
	v_min3_f32 v149, v4, v2, v98
	v_add_f64 v[2:3], v[28:29], v[40:41]
	v_add_f64 v[4:5], v[26:27], v[38:39]
	v_cvt_f32_f64_e32 v34, v[34:35]
	v_cvt_f32_f64_e32 v36, v[36:37]
	v_cvt_f32_f64_e32 v2, v[2:3]
	v_cvt_f32_f64_e32 v4, v[4:5]
	v_min3_f32 v158, v36, v34, v105
	v_add_f64 v[34:35], v[24:25], v[44:45]
	v_add_f64 v[36:37], v[22:23], v[42:43]
	v_min3_f32 v150, v4, v2, v97
	v_add_f64 v[2:3], v[24:25], v[40:41]
	;; [unrolled: 10-line block ×6, first 2 shown]
	v_add_f64 v[4:5], v[6:7], v[38:39]
	v_cvt_f32_f64_e32 v34, v[34:35]
	v_cvt_f32_f64_e32 v36, v[36:37]
	;; [unrolled: 1-line block ×4, first 2 shown]
	v_min3_f32 v151, v36, v34, v100
	v_min3_f32 v144, v4, v2, v92
	s_cbranch_scc0 .LBB124_10
.LBB124_11:
	ds_read_b128 v[126:129], v130 offset:8192
	ds_read_b128 v[70:73], v82 offset:18432
	ds_read_b128 v[66:69], v82 offset:18448
	ds_read_b128 v[122:125], v130 offset:8208
	s_clause 0x2
	s_load_dword s6, s[4:5], 0x58
	s_load_dword s7, s[4:5], 0x70
	s_load_dwordx2 s[4:5], s[4:5], 0x78
	ds_read_b128 v[62:65], v82 offset:18688
	ds_read_b128 v[58:61], v82 offset:18704
	;; [unrolled: 1-line block ×23, first 2 shown]
	v_add_nc_u32_e32 v201, s10, v1
	ds_read_b128 v[82:85], v130 offset:13328
	v_add_nc_u32_e32 v138, s1, v0
	v_ashrrev_i32_e32 v139, 31, v138
	v_add_nc_u32_e32 v0, 8, v138
	v_ashrrev_i32_e32 v1, 31, v0
	s_waitcnt lgkmcnt(0)
	v_add_f64 v[10:11], v[70:71], v[126:127]
	v_add_f64 v[12:13], v[72:73], v[128:129]
	;; [unrolled: 1-line block ×4, first 2 shown]
	v_mad_i64_i32 v[140:141], null, v201, s7, 0
	v_mad_i64_i32 v[202:203], null, v201, s6, 0
	s_lshl_b64 s[4:5], s[4:5], 3
	s_add_u32 s1, s8, s4
	s_addc_u32 s4, s9, s5
	v_lshlrev_b64 v[140:141], 3, v[140:141]
	s_mov_b32 s5, -1
	v_lshlrev_b64 v[204:205], 3, v[202:203]
	v_add_co_u32 v202, vcc_lo, s1, v140
	v_add_co_ci_u32_e64 v203, null, s4, v141, vcc_lo
	v_cvt_f32_f64_e32 v135, v[10:11]
	v_cvt_f32_f64_e32 v137, v[12:13]
	;; [unrolled: 1-line block ×4, first 2 shown]
	ds_read_b128 v[78:81], v130 offset:14336
	ds_read_b128 v[74:77], v130 offset:14352
	;; [unrolled: 1-line block ×4, first 2 shown]
	v_add_co_u32 v204, vcc_lo, s12, v204
	v_add_co_ci_u32_e64 v205, null, s13, v205, vcc_lo
	s_mov_b32 vcc_lo, s0
	v_min3_f32 v130, v135, v137, v134
	v_lshlrev_b64 v[134:135], 3, v[138:139]
	v_min3_f32 v130, v206, v207, v130
	v_max_f32_e32 v137, v130, v130
	s_cbranch_vccz .LBB124_13
; %bb.12:
	v_min_f32_e32 v130, 0, v137
	v_add_co_u32 v206, vcc_lo, v202, v134
	v_add_co_ci_u32_e64 v207, null, v203, v135, vcc_lo
	v_cvt_f64_f32_e32 v[139:140], v130
	s_mov_b32 s5, 0
	flat_store_dwordx2 v[206:207], v[139:140]
.LBB124_13:
	v_lshlrev_b64 v[0:1], 3, v[0:1]
	v_mov_b32_e32 v130, 0
	s_andn2_b32 vcc_lo, exec_lo, s5
	s_cbranch_vccnz .LBB124_15
; %bb.14:
	v_add_co_u32 v139, vcc_lo, v204, v134
	v_add_co_ci_u32_e64 v140, null, v205, v135, vcc_lo
	v_add_co_u32 v206, vcc_lo, v202, v134
	v_add_co_ci_u32_e64 v207, null, v203, v135, vcc_lo
	flat_load_dwordx2 v[139:140], v[139:140]
	v_add_co_u32 v208, vcc_lo, v204, v0
	v_add_co_ci_u32_e64 v209, null, v205, v1, vcc_lo
	s_waitcnt vmcnt(0) lgkmcnt(0)
	v_mul_f64 v[139:140], s[2:3], v[139:140]
	v_cvt_f32_f64_e32 v130, v[139:140]
	v_min_f32_e32 v130, v130, v137
	v_cvt_f64_f32_e32 v[139:140], v130
	flat_store_dwordx2 v[206:207], v[139:140]
	flat_load_dwordx2 v[139:140], v[208:209]
	s_waitcnt vmcnt(0) lgkmcnt(0)
	v_mul_f64 v[139:140], s[2:3], v[139:140]
	v_cvt_f32_f64_e32 v130, v[139:140]
.LBB124_15:
	v_add_f64 v[139:140], v[62:63], v[126:127]
	v_add_f64 v[206:207], v[64:65], v[128:129]
	;; [unrolled: 1-line block ×7, first 2 shown]
	s_mov_b32 s5, -1
	v_cvt_f32_f64_e32 v137, v[139:140]
	v_cvt_f32_f64_e32 v141, v[206:207]
	;; [unrolled: 1-line block ×4, first 2 shown]
	v_add_f64 v[139:140], v[52:53], v[124:125]
	v_cvt_f32_f64_e32 v208, v[214:215]
	v_cvt_f32_f64_e32 v209, v[212:213]
	;; [unrolled: 1-line block ×3, first 2 shown]
	v_min3_f32 v131, v137, v141, v131
	v_min_f32_e32 v137, v206, v207
	v_cvt_f32_f64_e32 v141, v[139:140]
	v_add_nc_u32_e32 v139, 16, v138
	v_min3_f32 v130, v130, v137, v131
	v_min3_f32 v131, v208, v209, v136
	v_ashrrev_i32_e32 v140, 31, v139
	v_add_co_u32 v208, vcc_lo, v202, v0
	v_cvt_f64_f32_e32 v[206:207], v130
	v_add_nc_u32_e32 v130, 24, v138
	v_lshlrev_b64 v[136:137], 3, v[139:140]
	v_add_co_ci_u32_e64 v209, null, v203, v1, vcc_lo
	s_mov_b32 vcc_lo, s0
	v_min3_f32 v141, v210, v141, v131
	v_ashrrev_i32_e32 v131, 31, v130
	v_max_f32_e32 v140, v141, v141
	flat_store_dwordx2 v[208:209], v[206:207]
	s_cbranch_vccz .LBB124_17
; %bb.16:
	v_min_f32_e32 v139, 0, v140
	v_add_co_u32 v208, vcc_lo, v202, v136
	v_add_co_ci_u32_e64 v209, null, v203, v137, vcc_lo
	v_cvt_f64_f32_e32 v[206:207], v139
	s_mov_b32 s5, 0
	flat_store_dwordx2 v[208:209], v[206:207]
.LBB124_17:
	v_lshlrev_b64 v[130:131], 3, v[130:131]
	v_mov_b32_e32 v139, 0
	s_andn2_b32 vcc_lo, exec_lo, s5
	s_cbranch_vccnz .LBB124_19
; %bb.18:
	v_add_co_u32 v206, vcc_lo, v204, v136
	v_add_co_ci_u32_e64 v207, null, v205, v137, vcc_lo
	flat_load_dwordx2 v[206:207], v[206:207]
	s_waitcnt vmcnt(0) lgkmcnt(0)
	v_mul_f64 v[206:207], s[2:3], v[206:207]
	v_cvt_f32_f64_e32 v139, v[206:207]
	v_add_co_u32 v206, vcc_lo, v202, v136
	v_add_co_ci_u32_e64 v207, null, v203, v137, vcc_lo
	v_add_co_u32 v208, vcc_lo, v204, v130
	v_add_co_ci_u32_e64 v209, null, v205, v131, vcc_lo
	v_min_f32_e32 v139, v139, v140
	v_cvt_f64_f32_e32 v[139:140], v139
	flat_store_dwordx2 v[206:207], v[139:140]
	flat_load_dwordx2 v[139:140], v[208:209]
	s_waitcnt vmcnt(0) lgkmcnt(0)
	v_mul_f64 v[139:140], s[2:3], v[139:140]
	v_cvt_f32_f64_e32 v139, v[139:140]
.LBB124_19:
	v_add_f64 v[140:141], v[46:47], v[126:127]
	v_add_f64 v[206:207], v[48:49], v[128:129]
	;; [unrolled: 1-line block ×7, first 2 shown]
	s_mov_b32 s5, -1
	v_cvt_f32_f64_e32 v218, v[140:141]
	v_cvt_f32_f64_e32 v206, v[206:207]
	;; [unrolled: 1-line block ×4, first 2 shown]
	v_add_f64 v[140:141], v[36:37], v[124:125]
	v_cvt_f32_f64_e32 v209, v[214:215]
	v_cvt_f32_f64_e32 v210, v[212:213]
	;; [unrolled: 1-line block ×3, first 2 shown]
	v_min3_f32 v132, v218, v206, v132
	v_min_f32_e32 v206, v207, v208
	v_cvt_f32_f64_e32 v141, v[140:141]
	v_min3_f32 v133, v209, v210, v133
	v_add_co_u32 v209, vcc_lo, v202, v130
	v_min3_f32 v132, v139, v206, v132
	v_add_nc_u32_e32 v139, 32, v138
	v_add_co_ci_u32_e64 v210, null, v203, v131, vcc_lo
	s_mov_b32 vcc_lo, s0
	v_cvt_f64_f32_e32 v[207:208], v132
	v_ashrrev_i32_e32 v140, 31, v139
	v_add_nc_u32_e32 v132, 40, v138
	v_min3_f32 v206, v211, v141, v133
	v_lshlrev_b64 v[140:141], 3, v[139:140]
	v_ashrrev_i32_e32 v133, 31, v132
	v_max_f32_e32 v206, v206, v206
	flat_store_dwordx2 v[209:210], v[207:208]
	s_cbranch_vccz .LBB124_21
; %bb.20:
	v_min_f32_e32 v139, 0, v206
	v_add_co_u32 v209, vcc_lo, v202, v140
	v_add_co_ci_u32_e64 v210, null, v203, v141, vcc_lo
	v_cvt_f64_f32_e32 v[207:208], v139
	s_mov_b32 s5, 0
	flat_store_dwordx2 v[209:210], v[207:208]
.LBB124_21:
	v_lshlrev_b64 v[132:133], 3, v[132:133]
	v_mov_b32_e32 v139, 0
	s_andn2_b32 vcc_lo, exec_lo, s5
	s_cbranch_vccnz .LBB124_23
; %bb.22:
	v_add_co_u32 v207, vcc_lo, v204, v140
	v_add_co_ci_u32_e64 v208, null, v205, v141, vcc_lo
	flat_load_dwordx2 v[207:208], v[207:208]
	s_waitcnt vmcnt(0) lgkmcnt(0)
	v_mul_f64 v[207:208], s[2:3], v[207:208]
	v_cvt_f32_f64_e32 v139, v[207:208]
	v_add_co_u32 v208, vcc_lo, v202, v140
	v_add_co_ci_u32_e64 v209, null, v203, v141, vcc_lo
	v_add_co_u32 v210, vcc_lo, v204, v132
	v_add_co_ci_u32_e64 v211, null, v205, v133, vcc_lo
	v_min_f32_e32 v139, v139, v206
	v_cvt_f64_f32_e32 v[206:207], v139
	flat_store_dwordx2 v[208:209], v[206:207]
	flat_load_dwordx2 v[206:207], v[210:211]
	s_waitcnt vmcnt(0) lgkmcnt(0)
	v_mul_f64 v[206:207], s[2:3], v[206:207]
	v_cvt_f32_f64_e32 v139, v[206:207]
.LBB124_23:
	v_add_f64 v[206:207], v[30:31], v[126:127]
	v_add_f64 v[208:209], v[32:33], v[128:129]
	;; [unrolled: 1-line block ×7, first 2 shown]
	s_mov_b32 s5, -1
	v_cvt_f32_f64_e32 v220, v[206:207]
	v_cvt_f32_f64_e32 v208, v[208:209]
	;; [unrolled: 1-line block ×4, first 2 shown]
	v_add_f64 v[206:207], v[20:21], v[124:125]
	v_cvt_f32_f64_e32 v211, v[216:217]
	v_cvt_f32_f64_e32 v212, v[214:215]
	;; [unrolled: 1-line block ×3, first 2 shown]
	v_min3_f32 v142, v220, v208, v142
	v_min_f32_e32 v208, v209, v210
	v_cvt_f32_f64_e32 v206, v[206:207]
	v_add_co_u32 v210, vcc_lo, v202, v132
	v_min3_f32 v139, v139, v208, v142
	v_add_nc_u32_e32 v142, 48, v138
	v_add_nc_u32_e32 v138, 56, v138
	v_cvt_f64_f32_e32 v[208:209], v139
	v_min3_f32 v139, v211, v212, v143
	v_ashrrev_i32_e32 v143, 31, v142
	v_add_co_ci_u32_e64 v211, null, v203, v133, vcc_lo
	s_mov_b32 vcc_lo, s0
	v_lshlrev_b64 v[142:143], 3, v[142:143]
	v_min3_f32 v206, v213, v206, v139
	v_ashrrev_i32_e32 v139, 31, v138
	v_max_f32_e32 v207, v206, v206
	flat_store_dwordx2 v[210:211], v[208:209]
	s_cbranch_vccz .LBB124_25
; %bb.24:
	v_min_f32_e32 v206, 0, v207
	v_add_co_u32 v210, vcc_lo, v202, v142
	v_add_co_ci_u32_e64 v211, null, v203, v143, vcc_lo
	v_cvt_f64_f32_e32 v[208:209], v206
	s_mov_b32 s5, 0
	flat_store_dwordx2 v[210:211], v[208:209]
.LBB124_25:
	v_lshlrev_b64 v[138:139], 3, v[138:139]
	v_mov_b32_e32 v206, 0
	s_andn2_b32 vcc_lo, exec_lo, s5
	s_cbranch_vccnz .LBB124_27
; %bb.26:
	v_add_co_u32 v208, vcc_lo, v204, v142
	v_add_co_ci_u32_e64 v209, null, v205, v143, vcc_lo
	flat_load_dwordx2 v[208:209], v[208:209]
	s_waitcnt vmcnt(0) lgkmcnt(0)
	v_mul_f64 v[208:209], s[2:3], v[208:209]
	v_cvt_f32_f64_e32 v206, v[208:209]
	v_add_co_u32 v208, vcc_lo, v202, v142
	v_add_co_ci_u32_e64 v209, null, v203, v143, vcc_lo
	v_add_co_u32 v204, vcc_lo, v204, v138
	v_add_co_ci_u32_e64 v205, null, v205, v139, vcc_lo
	v_min_f32_e32 v206, v206, v207
	v_cvt_f64_f32_e32 v[206:207], v206
	flat_store_dwordx2 v[208:209], v[206:207]
	flat_load_dwordx2 v[204:205], v[204:205]
	s_waitcnt vmcnt(0) lgkmcnt(0)
	v_mul_f64 v[204:205], s[2:3], v[204:205]
	v_cvt_f32_f64_e32 v206, v[204:205]
.LBB124_27:
	v_add_f64 v[126:127], v[2:3], v[126:127]
	v_add_f64 v[128:129], v[4:5], v[128:129]
	;; [unrolled: 1-line block ×6, first 2 shown]
	v_add_co_u32 v202, vcc_lo, v202, v138
	v_add_co_ci_u32_e64 v203, null, v203, v139, vcc_lo
	s_mov_b32 s5, -1
	v_cvt_f32_f64_e32 v126, v[126:127]
	v_cvt_f32_f64_e32 v127, v[128:129]
	;; [unrolled: 1-line block ×4, first 2 shown]
	v_add_f64 v[122:123], v[66:67], v[114:115]
	v_add_f64 v[124:125], v[68:69], v[116:117]
	v_cvt_f32_f64_e32 v207, v[207:208]
	v_cvt_f32_f64_e32 v204, v[204:205]
	v_min3_f32 v126, v126, v127, v199
	v_add_nc_u32_e32 v199, 32, v201
	v_min_f32_e32 v127, v128, v129
	v_cvt_f32_f64_e32 v205, v[122:123]
	v_cvt_f32_f64_e32 v208, v[124:125]
	v_mad_i64_i32 v[122:123], null, v199, s7, 0
	v_min3_f32 v124, v206, v127, v126
	v_min3_f32 v126, v207, v204, v200
	v_cvt_f64_f32_e32 v[128:129], v124
	v_mad_i64_i32 v[124:125], null, v199, s6, 0
	v_lshlrev_b64 v[122:123], 3, v[122:123]
	v_lshlrev_b64 v[124:125], 3, v[124:125]
	v_add_co_u32 v122, vcc_lo, s1, v122
	v_add_co_ci_u32_e64 v123, null, s4, v123, vcc_lo
	v_min3_f32 v126, v205, v208, v126
	v_add_co_u32 v124, vcc_lo, s12, v124
	v_add_co_ci_u32_e64 v125, null, s13, v125, vcc_lo
	v_max_f32_e32 v127, v126, v126
	s_mov_b32 vcc_lo, s0
	flat_store_dwordx2 v[202:203], v[128:129]
	s_cbranch_vccz .LBB124_29
; %bb.28:
	v_min_f32_e32 v126, 0, v127
	v_add_co_u32 v199, vcc_lo, v122, v134
	v_add_co_ci_u32_e64 v200, null, v123, v135, vcc_lo
	v_cvt_f64_f32_e32 v[128:129], v126
	s_mov_b32 s5, 0
	flat_store_dwordx2 v[199:200], v[128:129]
.LBB124_29:
	v_mov_b32_e32 v126, 0
	s_andn2_b32 vcc_lo, exec_lo, s5
	s_cbranch_vccnz .LBB124_31
; %bb.30:
	v_add_co_u32 v128, vcc_lo, v124, v134
	v_add_co_ci_u32_e64 v129, null, v125, v135, vcc_lo
	flat_load_dwordx2 v[128:129], v[128:129]
	s_waitcnt vmcnt(0) lgkmcnt(0)
	v_mul_f64 v[128:129], s[2:3], v[128:129]
	v_cvt_f32_f64_e32 v126, v[128:129]
	v_add_co_u32 v128, vcc_lo, v122, v134
	v_add_co_ci_u32_e64 v129, null, v123, v135, vcc_lo
	v_add_co_u32 v199, vcc_lo, v124, v0
	v_add_co_ci_u32_e64 v200, null, v125, v1, vcc_lo
	v_min_f32_e32 v126, v126, v127
	v_cvt_f64_f32_e32 v[126:127], v126
	flat_store_dwordx2 v[128:129], v[126:127]
	flat_load_dwordx2 v[126:127], v[199:200]
	s_waitcnt vmcnt(0) lgkmcnt(0)
	v_mul_f64 v[126:127], s[2:3], v[126:127]
	v_cvt_f32_f64_e32 v126, v[126:127]
.LBB124_31:
	v_add_f64 v[127:128], v[62:63], v[118:119]
	v_add_f64 v[199:200], v[64:65], v[120:121]
	v_add_f64 v[202:203], v[58:59], v[114:115]
	v_add_f64 v[204:205], v[60:61], v[116:117]
	v_add_f64 v[206:207], v[56:57], v[120:121]
	v_add_f64 v[208:209], v[54:55], v[118:119]
	v_add_f64 v[210:211], v[50:51], v[114:115]
	s_mov_b32 s5, -1
	v_cvt_f32_f64_e32 v129, v[127:128]
	v_cvt_f32_f64_e32 v199, v[199:200]
	v_cvt_f32_f64_e32 v200, v[202:203]
	v_cvt_f32_f64_e32 v202, v[204:205]
	v_add_f64 v[127:128], v[52:53], v[116:117]
	v_cvt_f32_f64_e32 v203, v[208:209]
	v_cvt_f32_f64_e32 v204, v[206:207]
	v_cvt_f32_f64_e32 v205, v[210:211]
	v_min3_f32 v129, v129, v199, v197
	v_min_f32_e32 v197, v200, v202
	v_cvt_f32_f64_e32 v127, v[127:128]
	v_min3_f32 v126, v126, v197, v129
	v_add_co_u32 v197, vcc_lo, v122, v0
	v_cvt_f64_f32_e32 v[128:129], v126
	v_min3_f32 v126, v203, v204, v198
	v_add_co_ci_u32_e64 v198, null, v123, v1, vcc_lo
	s_mov_b32 vcc_lo, s0
	v_min3_f32 v126, v205, v127, v126
	v_max_f32_e32 v127, v126, v126
	flat_store_dwordx2 v[197:198], v[128:129]
	s_cbranch_vccz .LBB124_33
; %bb.32:
	v_min_f32_e32 v126, 0, v127
	v_add_co_u32 v197, vcc_lo, v122, v136
	v_add_co_ci_u32_e64 v198, null, v123, v137, vcc_lo
	v_cvt_f64_f32_e32 v[128:129], v126
	s_mov_b32 s5, 0
	flat_store_dwordx2 v[197:198], v[128:129]
.LBB124_33:
	v_mov_b32_e32 v126, 0
	s_andn2_b32 vcc_lo, exec_lo, s5
	s_cbranch_vccnz .LBB124_35
; %bb.34:
	v_add_co_u32 v128, vcc_lo, v124, v136
	v_add_co_ci_u32_e64 v129, null, v125, v137, vcc_lo
	flat_load_dwordx2 v[128:129], v[128:129]
	s_waitcnt vmcnt(0) lgkmcnt(0)
	v_mul_f64 v[128:129], s[2:3], v[128:129]
	v_cvt_f32_f64_e32 v126, v[128:129]
	v_add_co_u32 v128, vcc_lo, v122, v136
	v_add_co_ci_u32_e64 v129, null, v123, v137, vcc_lo
	v_add_co_u32 v197, vcc_lo, v124, v130
	v_add_co_ci_u32_e64 v198, null, v125, v131, vcc_lo
	v_min_f32_e32 v126, v126, v127
	v_cvt_f64_f32_e32 v[126:127], v126
	flat_store_dwordx2 v[128:129], v[126:127]
	flat_load_dwordx2 v[126:127], v[197:198]
	s_waitcnt vmcnt(0) lgkmcnt(0)
	v_mul_f64 v[126:127], s[2:3], v[126:127]
	v_cvt_f32_f64_e32 v126, v[126:127]
.LBB124_35:
	v_add_f64 v[127:128], v[46:47], v[118:119]
	v_add_f64 v[197:198], v[48:49], v[120:121]
	v_add_f64 v[199:200], v[42:43], v[114:115]
	v_add_f64 v[202:203], v[44:45], v[116:117]
	v_add_f64 v[204:205], v[40:41], v[120:121]
	v_add_f64 v[206:207], v[38:39], v[118:119]
	v_add_f64 v[208:209], v[34:35], v[114:115]
	s_mov_b32 s5, -1
	v_cvt_f32_f64_e32 v129, v[127:128]
	v_cvt_f32_f64_e32 v197, v[197:198]
	v_cvt_f32_f64_e32 v198, v[199:200]
	v_cvt_f32_f64_e32 v199, v[202:203]
	v_add_f64 v[127:128], v[36:37], v[116:117]
	v_cvt_f32_f64_e32 v200, v[206:207]
	v_cvt_f32_f64_e32 v202, v[204:205]
	v_cvt_f32_f64_e32 v203, v[208:209]
	v_min3_f32 v129, v129, v197, v195
	v_min_f32_e32 v195, v198, v199
	v_cvt_f32_f64_e32 v127, v[127:128]
	v_min3_f32 v126, v126, v195, v129
	v_add_co_u32 v195, vcc_lo, v122, v130
	v_cvt_f64_f32_e32 v[128:129], v126
	v_min3_f32 v126, v200, v202, v196
	v_add_co_ci_u32_e64 v196, null, v123, v131, vcc_lo
	s_mov_b32 vcc_lo, s0
	v_min3_f32 v126, v203, v127, v126
	v_max_f32_e32 v127, v126, v126
	;; [unrolled: 59-line block ×3, first 2 shown]
	flat_store_dwordx2 v[193:194], v[128:129]
	s_cbranch_vccz .LBB124_41
; %bb.40:
	v_min_f32_e32 v126, 0, v127
	v_add_co_u32 v193, vcc_lo, v122, v142
	v_add_co_ci_u32_e64 v194, null, v123, v143, vcc_lo
	v_cvt_f64_f32_e32 v[128:129], v126
	s_mov_b32 s5, 0
	flat_store_dwordx2 v[193:194], v[128:129]
.LBB124_41:
	v_mov_b32_e32 v126, 0
	s_andn2_b32 vcc_lo, exec_lo, s5
	s_cbranch_vccnz .LBB124_43
; %bb.42:
	v_add_co_u32 v128, vcc_lo, v124, v142
	v_add_co_ci_u32_e64 v129, null, v125, v143, vcc_lo
	flat_load_dwordx2 v[128:129], v[128:129]
	s_waitcnt vmcnt(0) lgkmcnt(0)
	v_mul_f64 v[128:129], s[2:3], v[128:129]
	v_cvt_f32_f64_e32 v126, v[128:129]
	v_add_co_u32 v128, vcc_lo, v122, v142
	v_add_co_ci_u32_e64 v129, null, v123, v143, vcc_lo
	v_add_co_u32 v124, vcc_lo, v124, v138
	v_add_co_ci_u32_e64 v125, null, v125, v139, vcc_lo
	v_min_f32_e32 v126, v126, v127
	v_cvt_f64_f32_e32 v[126:127], v126
	flat_store_dwordx2 v[128:129], v[126:127]
	flat_load_dwordx2 v[124:125], v[124:125]
	s_waitcnt vmcnt(0) lgkmcnt(0)
	v_mul_f64 v[124:125], s[2:3], v[124:125]
	v_cvt_f32_f64_e32 v126, v[124:125]
.LBB124_43:
	v_add_f64 v[118:119], v[2:3], v[118:119]
	v_add_f64 v[120:121], v[4:5], v[120:121]
	v_add_f64 v[114:115], v[6:7], v[114:115]
	v_add_f64 v[116:117], v[8:9], v[116:117]
	v_add_f64 v[124:125], v[72:73], v[112:113]
	v_add_f64 v[127:128], v[70:71], v[110:111]
	v_add_co_u32 v122, vcc_lo, v122, v138
	v_add_co_ci_u32_e64 v123, null, v123, v139, vcc_lo
	s_mov_b32 s5, -1
	v_cvt_f32_f64_e32 v118, v[118:119]
	v_cvt_f32_f64_e32 v119, v[120:121]
	;; [unrolled: 1-line block ×4, first 2 shown]
	v_add_f64 v[114:115], v[66:67], v[106:107]
	v_add_f64 v[116:117], v[68:69], v[108:109]
	v_cvt_f32_f64_e32 v127, v[127:128]
	v_cvt_f32_f64_e32 v124, v[124:125]
	v_add_nc_u32_e32 v125, 64, v201
	v_min3_f32 v118, v118, v119, v191
	v_min_f32_e32 v119, v120, v121
	v_cvt_f32_f64_e32 v128, v[114:115]
	v_cvt_f32_f64_e32 v129, v[116:117]
	v_mad_i64_i32 v[114:115], null, v125, s7, 0
	v_min3_f32 v116, v126, v119, v118
	v_min3_f32 v118, v127, v124, v192
	v_cvt_f64_f32_e32 v[120:121], v116
	v_mad_i64_i32 v[116:117], null, v125, s6, 0
	v_lshlrev_b64 v[114:115], 3, v[114:115]
	v_add_co_u32 v114, vcc_lo, s1, v114
	v_lshlrev_b64 v[116:117], 3, v[116:117]
	v_add_co_ci_u32_e64 v115, null, s4, v115, vcc_lo
	v_min3_f32 v118, v128, v129, v118
	v_add_co_u32 v116, vcc_lo, s12, v116
	v_add_co_ci_u32_e64 v117, null, s13, v117, vcc_lo
	v_max_f32_e32 v119, v118, v118
	s_mov_b32 vcc_lo, s0
	flat_store_dwordx2 v[122:123], v[120:121]
	s_cbranch_vccz .LBB124_45
; %bb.44:
	v_min_f32_e32 v118, 0, v119
	v_add_co_u32 v122, vcc_lo, v114, v134
	v_add_co_ci_u32_e64 v123, null, v115, v135, vcc_lo
	v_cvt_f64_f32_e32 v[120:121], v118
	s_mov_b32 s5, 0
	flat_store_dwordx2 v[122:123], v[120:121]
.LBB124_45:
	v_mov_b32_e32 v118, 0
	s_andn2_b32 vcc_lo, exec_lo, s5
	s_cbranch_vccnz .LBB124_47
; %bb.46:
	v_add_co_u32 v120, vcc_lo, v116, v134
	v_add_co_ci_u32_e64 v121, null, v117, v135, vcc_lo
	flat_load_dwordx2 v[120:121], v[120:121]
	s_waitcnt vmcnt(0) lgkmcnt(0)
	v_mul_f64 v[120:121], s[2:3], v[120:121]
	v_cvt_f32_f64_e32 v118, v[120:121]
	v_add_co_u32 v120, vcc_lo, v114, v134
	v_add_co_ci_u32_e64 v121, null, v115, v135, vcc_lo
	v_add_co_u32 v122, vcc_lo, v116, v0
	v_add_co_ci_u32_e64 v123, null, v117, v1, vcc_lo
	v_min_f32_e32 v118, v118, v119
	v_cvt_f64_f32_e32 v[118:119], v118
	flat_store_dwordx2 v[120:121], v[118:119]
	flat_load_dwordx2 v[118:119], v[122:123]
	s_waitcnt vmcnt(0) lgkmcnt(0)
	v_mul_f64 v[118:119], s[2:3], v[118:119]
	v_cvt_f32_f64_e32 v118, v[118:119]
.LBB124_47:
	v_add_f64 v[119:120], v[62:63], v[110:111]
	v_add_f64 v[121:122], v[64:65], v[112:113]
	v_add_f64 v[123:124], v[58:59], v[106:107]
	v_add_f64 v[125:126], v[60:61], v[108:109]
	v_add_f64 v[127:128], v[56:57], v[112:113]
	v_add_f64 v[191:192], v[54:55], v[110:111]
	v_add_f64 v[193:194], v[50:51], v[106:107]
	s_mov_b32 s5, -1
	v_cvt_f32_f64_e32 v129, v[119:120]
	v_cvt_f32_f64_e32 v121, v[121:122]
	v_cvt_f32_f64_e32 v122, v[123:124]
	v_cvt_f32_f64_e32 v123, v[125:126]
	v_add_f64 v[119:120], v[52:53], v[108:109]
	v_cvt_f32_f64_e32 v124, v[191:192]
	v_cvt_f32_f64_e32 v125, v[127:128]
	v_cvt_f32_f64_e32 v126, v[193:194]
	v_min3_f32 v121, v129, v121, v189
	v_min_f32_e32 v122, v122, v123
	v_cvt_f32_f64_e32 v119, v[119:120]
	v_min3_f32 v118, v118, v122, v121
	v_add_co_u32 v122, vcc_lo, v114, v0
	v_add_co_ci_u32_e64 v123, null, v115, v1, vcc_lo
	v_cvt_f64_f32_e32 v[120:121], v118
	v_min3_f32 v118, v124, v125, v190
	s_mov_b32 vcc_lo, s0
	v_min3_f32 v118, v126, v119, v118
	v_max_f32_e32 v119, v118, v118
	flat_store_dwordx2 v[122:123], v[120:121]
	s_cbranch_vccz .LBB124_49
; %bb.48:
	v_min_f32_e32 v118, 0, v119
	v_add_co_u32 v122, vcc_lo, v114, v136
	v_add_co_ci_u32_e64 v123, null, v115, v137, vcc_lo
	v_cvt_f64_f32_e32 v[120:121], v118
	s_mov_b32 s5, 0
	flat_store_dwordx2 v[122:123], v[120:121]
.LBB124_49:
	v_mov_b32_e32 v118, 0
	s_andn2_b32 vcc_lo, exec_lo, s5
	s_cbranch_vccnz .LBB124_51
; %bb.50:
	v_add_co_u32 v120, vcc_lo, v116, v136
	v_add_co_ci_u32_e64 v121, null, v117, v137, vcc_lo
	flat_load_dwordx2 v[120:121], v[120:121]
	s_waitcnt vmcnt(0) lgkmcnt(0)
	v_mul_f64 v[120:121], s[2:3], v[120:121]
	v_cvt_f32_f64_e32 v118, v[120:121]
	v_add_co_u32 v120, vcc_lo, v114, v136
	v_add_co_ci_u32_e64 v121, null, v115, v137, vcc_lo
	v_add_co_u32 v122, vcc_lo, v116, v130
	v_add_co_ci_u32_e64 v123, null, v117, v131, vcc_lo
	v_min_f32_e32 v118, v118, v119
	v_cvt_f64_f32_e32 v[118:119], v118
	flat_store_dwordx2 v[120:121], v[118:119]
	flat_load_dwordx2 v[118:119], v[122:123]
	s_waitcnt vmcnt(0) lgkmcnt(0)
	v_mul_f64 v[118:119], s[2:3], v[118:119]
	v_cvt_f32_f64_e32 v118, v[118:119]
.LBB124_51:
	v_add_f64 v[119:120], v[46:47], v[110:111]
	v_add_f64 v[121:122], v[48:49], v[112:113]
	v_add_f64 v[123:124], v[42:43], v[106:107]
	v_add_f64 v[125:126], v[44:45], v[108:109]
	v_add_f64 v[127:128], v[40:41], v[112:113]
	v_add_f64 v[189:190], v[38:39], v[110:111]
	v_add_f64 v[191:192], v[34:35], v[106:107]
	s_mov_b32 s5, -1
	v_cvt_f32_f64_e32 v129, v[119:120]
	v_cvt_f32_f64_e32 v121, v[121:122]
	v_cvt_f32_f64_e32 v122, v[123:124]
	v_cvt_f32_f64_e32 v123, v[125:126]
	v_add_f64 v[119:120], v[36:37], v[108:109]
	v_cvt_f32_f64_e32 v124, v[189:190]
	v_cvt_f32_f64_e32 v125, v[127:128]
	v_cvt_f32_f64_e32 v126, v[191:192]
	v_min3_f32 v121, v129, v121, v187
	v_min_f32_e32 v122, v122, v123
	v_cvt_f32_f64_e32 v119, v[119:120]
	v_min3_f32 v118, v118, v122, v121
	v_add_co_u32 v122, vcc_lo, v114, v130
	v_add_co_ci_u32_e64 v123, null, v115, v131, vcc_lo
	v_cvt_f64_f32_e32 v[120:121], v118
	v_min3_f32 v118, v124, v125, v188
	s_mov_b32 vcc_lo, s0
	v_min3_f32 v118, v126, v119, v118
	v_max_f32_e32 v119, v118, v118
	;; [unrolled: 59-line block ×3, first 2 shown]
	flat_store_dwordx2 v[122:123], v[120:121]
	s_cbranch_vccz .LBB124_57
; %bb.56:
	v_min_f32_e32 v118, 0, v119
	v_add_co_u32 v122, vcc_lo, v114, v142
	v_add_co_ci_u32_e64 v123, null, v115, v143, vcc_lo
	v_cvt_f64_f32_e32 v[120:121], v118
	s_mov_b32 s5, 0
	flat_store_dwordx2 v[122:123], v[120:121]
.LBB124_57:
	v_mov_b32_e32 v118, 0
	s_andn2_b32 vcc_lo, exec_lo, s5
	s_cbranch_vccnz .LBB124_59
; %bb.58:
	v_add_co_u32 v120, vcc_lo, v116, v142
	v_add_co_ci_u32_e64 v121, null, v117, v143, vcc_lo
	flat_load_dwordx2 v[120:121], v[120:121]
	s_waitcnt vmcnt(0) lgkmcnt(0)
	v_mul_f64 v[120:121], s[2:3], v[120:121]
	v_cvt_f32_f64_e32 v118, v[120:121]
	v_add_co_u32 v120, vcc_lo, v114, v142
	v_add_co_ci_u32_e64 v121, null, v115, v143, vcc_lo
	v_add_co_u32 v116, vcc_lo, v116, v138
	v_add_co_ci_u32_e64 v117, null, v117, v139, vcc_lo
	v_min_f32_e32 v118, v118, v119
	v_cvt_f64_f32_e32 v[118:119], v118
	flat_store_dwordx2 v[120:121], v[118:119]
	flat_load_dwordx2 v[116:117], v[116:117]
	s_waitcnt vmcnt(0) lgkmcnt(0)
	v_mul_f64 v[116:117], s[2:3], v[116:117]
	v_cvt_f32_f64_e32 v118, v[116:117]
.LBB124_59:
	v_add_f64 v[110:111], v[2:3], v[110:111]
	v_add_f64 v[112:113], v[4:5], v[112:113]
	;; [unrolled: 1-line block ×6, first 2 shown]
	v_add_co_u32 v114, vcc_lo, v114, v138
	v_add_co_ci_u32_e64 v115, null, v115, v139, vcc_lo
	s_mov_b32 s5, -1
	v_cvt_f32_f64_e32 v110, v[110:111]
	v_cvt_f32_f64_e32 v111, v[112:113]
	;; [unrolled: 1-line block ×4, first 2 shown]
	v_add_f64 v[106:107], v[66:67], v[98:99]
	v_add_f64 v[108:109], v[68:69], v[100:101]
	v_cvt_f32_f64_e32 v119, v[119:120]
	v_cvt_f32_f64_e32 v116, v[116:117]
	v_add_nc_u32_e32 v117, 0x60, v201
	v_min3_f32 v110, v110, v111, v183
	v_min_f32_e32 v111, v112, v113
	v_cvt_f32_f64_e32 v120, v[106:107]
	v_cvt_f32_f64_e32 v121, v[108:109]
	v_mad_i64_i32 v[106:107], null, v117, s7, 0
	v_min3_f32 v108, v118, v111, v110
	v_min3_f32 v110, v119, v116, v184
	v_cvt_f64_f32_e32 v[112:113], v108
	v_mad_i64_i32 v[108:109], null, v117, s6, 0
	v_lshlrev_b64 v[106:107], 3, v[106:107]
	v_add_co_u32 v106, vcc_lo, s1, v106
	v_lshlrev_b64 v[108:109], 3, v[108:109]
	v_add_co_ci_u32_e64 v107, null, s4, v107, vcc_lo
	v_min3_f32 v110, v120, v121, v110
	v_add_co_u32 v108, vcc_lo, s12, v108
	v_add_co_ci_u32_e64 v109, null, s13, v109, vcc_lo
	v_max_f32_e32 v111, v110, v110
	s_mov_b32 vcc_lo, s0
	flat_store_dwordx2 v[114:115], v[112:113]
	s_cbranch_vccz .LBB124_61
; %bb.60:
	v_min_f32_e32 v110, 0, v111
	v_add_co_u32 v114, vcc_lo, v106, v134
	v_add_co_ci_u32_e64 v115, null, v107, v135, vcc_lo
	v_cvt_f64_f32_e32 v[112:113], v110
	s_mov_b32 s5, 0
	flat_store_dwordx2 v[114:115], v[112:113]
.LBB124_61:
	v_mov_b32_e32 v110, 0
	s_andn2_b32 vcc_lo, exec_lo, s5
	s_cbranch_vccnz .LBB124_63
; %bb.62:
	v_add_co_u32 v112, vcc_lo, v108, v134
	v_add_co_ci_u32_e64 v113, null, v109, v135, vcc_lo
	flat_load_dwordx2 v[112:113], v[112:113]
	s_waitcnt vmcnt(0) lgkmcnt(0)
	v_mul_f64 v[112:113], s[2:3], v[112:113]
	v_cvt_f32_f64_e32 v110, v[112:113]
	v_add_co_u32 v112, vcc_lo, v106, v134
	v_add_co_ci_u32_e64 v113, null, v107, v135, vcc_lo
	v_add_co_u32 v114, vcc_lo, v108, v0
	v_add_co_ci_u32_e64 v115, null, v109, v1, vcc_lo
	v_min_f32_e32 v110, v110, v111
	v_cvt_f64_f32_e32 v[110:111], v110
	flat_store_dwordx2 v[112:113], v[110:111]
	flat_load_dwordx2 v[110:111], v[114:115]
	s_waitcnt vmcnt(0) lgkmcnt(0)
	v_mul_f64 v[110:111], s[2:3], v[110:111]
	v_cvt_f32_f64_e32 v110, v[110:111]
.LBB124_63:
	v_add_f64 v[111:112], v[62:63], v[102:103]
	v_add_f64 v[113:114], v[64:65], v[104:105]
	v_add_f64 v[115:116], v[58:59], v[98:99]
	v_add_f64 v[117:118], v[60:61], v[100:101]
	v_add_f64 v[119:120], v[56:57], v[104:105]
	v_add_f64 v[121:122], v[54:55], v[102:103]
	v_add_f64 v[123:124], v[50:51], v[98:99]
	s_mov_b32 s5, -1
	v_cvt_f32_f64_e32 v125, v[111:112]
	v_cvt_f32_f64_e32 v113, v[113:114]
	v_cvt_f32_f64_e32 v114, v[115:116]
	v_cvt_f32_f64_e32 v115, v[117:118]
	v_add_f64 v[111:112], v[52:53], v[100:101]
	v_cvt_f32_f64_e32 v116, v[121:122]
	v_cvt_f32_f64_e32 v117, v[119:120]
	v_cvt_f32_f64_e32 v118, v[123:124]
	v_min3_f32 v113, v125, v113, v181
	v_min_f32_e32 v114, v114, v115
	v_cvt_f32_f64_e32 v111, v[111:112]
	v_min3_f32 v110, v110, v114, v113
	v_add_co_u32 v114, vcc_lo, v106, v0
	v_add_co_ci_u32_e64 v115, null, v107, v1, vcc_lo
	v_cvt_f64_f32_e32 v[112:113], v110
	v_min3_f32 v110, v116, v117, v182
	s_mov_b32 vcc_lo, s0
	v_min3_f32 v110, v118, v111, v110
	v_max_f32_e32 v111, v110, v110
	flat_store_dwordx2 v[114:115], v[112:113]
	s_cbranch_vccz .LBB124_65
; %bb.64:
	v_min_f32_e32 v110, 0, v111
	v_add_co_u32 v114, vcc_lo, v106, v136
	v_add_co_ci_u32_e64 v115, null, v107, v137, vcc_lo
	v_cvt_f64_f32_e32 v[112:113], v110
	s_mov_b32 s5, 0
	flat_store_dwordx2 v[114:115], v[112:113]
.LBB124_65:
	v_mov_b32_e32 v110, 0
	s_andn2_b32 vcc_lo, exec_lo, s5
	s_cbranch_vccnz .LBB124_67
; %bb.66:
	v_add_co_u32 v112, vcc_lo, v108, v136
	v_add_co_ci_u32_e64 v113, null, v109, v137, vcc_lo
	flat_load_dwordx2 v[112:113], v[112:113]
	s_waitcnt vmcnt(0) lgkmcnt(0)
	v_mul_f64 v[112:113], s[2:3], v[112:113]
	v_cvt_f32_f64_e32 v110, v[112:113]
	v_add_co_u32 v112, vcc_lo, v106, v136
	v_add_co_ci_u32_e64 v113, null, v107, v137, vcc_lo
	v_add_co_u32 v114, vcc_lo, v108, v130
	v_add_co_ci_u32_e64 v115, null, v109, v131, vcc_lo
	v_min_f32_e32 v110, v110, v111
	v_cvt_f64_f32_e32 v[110:111], v110
	flat_store_dwordx2 v[112:113], v[110:111]
	flat_load_dwordx2 v[110:111], v[114:115]
	s_waitcnt vmcnt(0) lgkmcnt(0)
	v_mul_f64 v[110:111], s[2:3], v[110:111]
	v_cvt_f32_f64_e32 v110, v[110:111]
.LBB124_67:
	v_add_f64 v[111:112], v[46:47], v[102:103]
	v_add_f64 v[113:114], v[48:49], v[104:105]
	v_add_f64 v[115:116], v[42:43], v[98:99]
	v_add_f64 v[117:118], v[44:45], v[100:101]
	v_add_f64 v[119:120], v[40:41], v[104:105]
	v_add_f64 v[121:122], v[38:39], v[102:103]
	v_add_f64 v[123:124], v[34:35], v[98:99]
	s_mov_b32 s5, -1
	v_cvt_f32_f64_e32 v125, v[111:112]
	v_cvt_f32_f64_e32 v113, v[113:114]
	v_cvt_f32_f64_e32 v114, v[115:116]
	v_cvt_f32_f64_e32 v115, v[117:118]
	v_add_f64 v[111:112], v[36:37], v[100:101]
	v_cvt_f32_f64_e32 v116, v[121:122]
	v_cvt_f32_f64_e32 v117, v[119:120]
	v_cvt_f32_f64_e32 v118, v[123:124]
	v_min3_f32 v113, v125, v113, v179
	v_min_f32_e32 v114, v114, v115
	v_cvt_f32_f64_e32 v111, v[111:112]
	v_min3_f32 v110, v110, v114, v113
	v_add_co_u32 v114, vcc_lo, v106, v130
	v_add_co_ci_u32_e64 v115, null, v107, v131, vcc_lo
	v_cvt_f64_f32_e32 v[112:113], v110
	v_min3_f32 v110, v116, v117, v180
	s_mov_b32 vcc_lo, s0
	v_min3_f32 v110, v118, v111, v110
	v_max_f32_e32 v111, v110, v110
	;; [unrolled: 59-line block ×3, first 2 shown]
	flat_store_dwordx2 v[114:115], v[112:113]
	s_cbranch_vccz .LBB124_73
; %bb.72:
	v_min_f32_e32 v110, 0, v111
	v_add_co_u32 v114, vcc_lo, v106, v142
	v_add_co_ci_u32_e64 v115, null, v107, v143, vcc_lo
	v_cvt_f64_f32_e32 v[112:113], v110
	s_mov_b32 s5, 0
	flat_store_dwordx2 v[114:115], v[112:113]
.LBB124_73:
	v_mov_b32_e32 v110, 0
	s_andn2_b32 vcc_lo, exec_lo, s5
	s_cbranch_vccnz .LBB124_75
; %bb.74:
	v_add_co_u32 v112, vcc_lo, v108, v142
	v_add_co_ci_u32_e64 v113, null, v109, v143, vcc_lo
	flat_load_dwordx2 v[112:113], v[112:113]
	s_waitcnt vmcnt(0) lgkmcnt(0)
	v_mul_f64 v[112:113], s[2:3], v[112:113]
	v_cvt_f32_f64_e32 v110, v[112:113]
	v_add_co_u32 v112, vcc_lo, v106, v142
	v_add_co_ci_u32_e64 v113, null, v107, v143, vcc_lo
	v_add_co_u32 v108, vcc_lo, v108, v138
	v_add_co_ci_u32_e64 v109, null, v109, v139, vcc_lo
	v_min_f32_e32 v110, v110, v111
	v_cvt_f64_f32_e32 v[110:111], v110
	flat_store_dwordx2 v[112:113], v[110:111]
	flat_load_dwordx2 v[108:109], v[108:109]
	s_waitcnt vmcnt(0) lgkmcnt(0)
	v_mul_f64 v[108:109], s[2:3], v[108:109]
	v_cvt_f32_f64_e32 v110, v[108:109]
.LBB124_75:
	v_add_f64 v[102:103], v[2:3], v[102:103]
	v_add_f64 v[104:105], v[4:5], v[104:105]
	;; [unrolled: 1-line block ×6, first 2 shown]
	v_add_co_u32 v106, vcc_lo, v106, v138
	v_add_co_ci_u32_e64 v107, null, v107, v139, vcc_lo
	s_mov_b32 s5, -1
	v_cvt_f32_f64_e32 v102, v[102:103]
	v_cvt_f32_f64_e32 v103, v[104:105]
	;; [unrolled: 1-line block ×4, first 2 shown]
	v_add_f64 v[98:99], v[66:67], v[90:91]
	v_add_f64 v[100:101], v[68:69], v[92:93]
	v_cvt_f32_f64_e32 v111, v[111:112]
	v_cvt_f32_f64_e32 v108, v[108:109]
	v_add_nc_u32_e32 v109, 0x80, v201
	v_min3_f32 v102, v102, v103, v175
	v_min_f32_e32 v103, v104, v105
	v_cvt_f32_f64_e32 v112, v[98:99]
	v_cvt_f32_f64_e32 v113, v[100:101]
	v_mad_i64_i32 v[98:99], null, v109, s7, 0
	v_min3_f32 v100, v110, v103, v102
	v_min3_f32 v102, v111, v108, v176
	v_cvt_f64_f32_e32 v[104:105], v100
	v_mad_i64_i32 v[100:101], null, v109, s6, 0
	v_lshlrev_b64 v[98:99], 3, v[98:99]
	v_add_co_u32 v98, vcc_lo, s1, v98
	v_lshlrev_b64 v[100:101], 3, v[100:101]
	v_add_co_ci_u32_e64 v99, null, s4, v99, vcc_lo
	v_min3_f32 v102, v112, v113, v102
	v_add_co_u32 v100, vcc_lo, s12, v100
	v_add_co_ci_u32_e64 v101, null, s13, v101, vcc_lo
	v_max_f32_e32 v103, v102, v102
	s_mov_b32 vcc_lo, s0
	flat_store_dwordx2 v[106:107], v[104:105]
	s_cbranch_vccz .LBB124_77
; %bb.76:
	v_min_f32_e32 v102, 0, v103
	v_add_co_u32 v106, vcc_lo, v98, v134
	v_add_co_ci_u32_e64 v107, null, v99, v135, vcc_lo
	v_cvt_f64_f32_e32 v[104:105], v102
	s_mov_b32 s5, 0
	flat_store_dwordx2 v[106:107], v[104:105]
.LBB124_77:
	v_mov_b32_e32 v102, 0
	s_andn2_b32 vcc_lo, exec_lo, s5
	s_cbranch_vccnz .LBB124_79
; %bb.78:
	v_add_co_u32 v104, vcc_lo, v100, v134
	v_add_co_ci_u32_e64 v105, null, v101, v135, vcc_lo
	flat_load_dwordx2 v[104:105], v[104:105]
	s_waitcnt vmcnt(0) lgkmcnt(0)
	v_mul_f64 v[104:105], s[2:3], v[104:105]
	v_cvt_f32_f64_e32 v102, v[104:105]
	v_add_co_u32 v104, vcc_lo, v98, v134
	v_add_co_ci_u32_e64 v105, null, v99, v135, vcc_lo
	v_add_co_u32 v106, vcc_lo, v100, v0
	v_add_co_ci_u32_e64 v107, null, v101, v1, vcc_lo
	v_min_f32_e32 v102, v102, v103
	v_cvt_f64_f32_e32 v[102:103], v102
	flat_store_dwordx2 v[104:105], v[102:103]
	flat_load_dwordx2 v[102:103], v[106:107]
	s_waitcnt vmcnt(0) lgkmcnt(0)
	v_mul_f64 v[102:103], s[2:3], v[102:103]
	v_cvt_f32_f64_e32 v102, v[102:103]
.LBB124_79:
	v_add_f64 v[103:104], v[62:63], v[94:95]
	v_add_f64 v[105:106], v[64:65], v[96:97]
	v_add_f64 v[107:108], v[58:59], v[90:91]
	v_add_f64 v[109:110], v[60:61], v[92:93]
	v_add_f64 v[111:112], v[56:57], v[96:97]
	v_add_f64 v[113:114], v[54:55], v[94:95]
	v_add_f64 v[115:116], v[50:51], v[90:91]
	s_mov_b32 s5, -1
	v_cvt_f32_f64_e32 v117, v[103:104]
	v_cvt_f32_f64_e32 v105, v[105:106]
	v_cvt_f32_f64_e32 v106, v[107:108]
	v_cvt_f32_f64_e32 v107, v[109:110]
	v_add_f64 v[103:104], v[52:53], v[92:93]
	v_cvt_f32_f64_e32 v108, v[113:114]
	v_cvt_f32_f64_e32 v109, v[111:112]
	v_cvt_f32_f64_e32 v110, v[115:116]
	v_min3_f32 v105, v117, v105, v173
	v_min_f32_e32 v106, v106, v107
	v_cvt_f32_f64_e32 v103, v[103:104]
	v_min3_f32 v102, v102, v106, v105
	v_add_co_u32 v106, vcc_lo, v98, v0
	v_add_co_ci_u32_e64 v107, null, v99, v1, vcc_lo
	v_cvt_f64_f32_e32 v[104:105], v102
	v_min3_f32 v102, v108, v109, v174
	s_mov_b32 vcc_lo, s0
	v_min3_f32 v102, v110, v103, v102
	v_max_f32_e32 v103, v102, v102
	flat_store_dwordx2 v[106:107], v[104:105]
	s_cbranch_vccz .LBB124_81
; %bb.80:
	v_min_f32_e32 v102, 0, v103
	v_add_co_u32 v106, vcc_lo, v98, v136
	v_add_co_ci_u32_e64 v107, null, v99, v137, vcc_lo
	v_cvt_f64_f32_e32 v[104:105], v102
	s_mov_b32 s5, 0
	flat_store_dwordx2 v[106:107], v[104:105]
.LBB124_81:
	v_mov_b32_e32 v102, 0
	s_andn2_b32 vcc_lo, exec_lo, s5
	s_cbranch_vccnz .LBB124_83
; %bb.82:
	v_add_co_u32 v104, vcc_lo, v100, v136
	v_add_co_ci_u32_e64 v105, null, v101, v137, vcc_lo
	flat_load_dwordx2 v[104:105], v[104:105]
	s_waitcnt vmcnt(0) lgkmcnt(0)
	v_mul_f64 v[104:105], s[2:3], v[104:105]
	v_cvt_f32_f64_e32 v102, v[104:105]
	v_add_co_u32 v104, vcc_lo, v98, v136
	v_add_co_ci_u32_e64 v105, null, v99, v137, vcc_lo
	v_add_co_u32 v106, vcc_lo, v100, v130
	v_add_co_ci_u32_e64 v107, null, v101, v131, vcc_lo
	v_min_f32_e32 v102, v102, v103
	v_cvt_f64_f32_e32 v[102:103], v102
	flat_store_dwordx2 v[104:105], v[102:103]
	flat_load_dwordx2 v[102:103], v[106:107]
	s_waitcnt vmcnt(0) lgkmcnt(0)
	v_mul_f64 v[102:103], s[2:3], v[102:103]
	v_cvt_f32_f64_e32 v102, v[102:103]
.LBB124_83:
	v_add_f64 v[103:104], v[46:47], v[94:95]
	v_add_f64 v[105:106], v[48:49], v[96:97]
	v_add_f64 v[107:108], v[42:43], v[90:91]
	v_add_f64 v[109:110], v[44:45], v[92:93]
	v_add_f64 v[111:112], v[40:41], v[96:97]
	v_add_f64 v[113:114], v[38:39], v[94:95]
	v_add_f64 v[115:116], v[34:35], v[90:91]
	s_mov_b32 s5, -1
	v_cvt_f32_f64_e32 v117, v[103:104]
	v_cvt_f32_f64_e32 v105, v[105:106]
	v_cvt_f32_f64_e32 v106, v[107:108]
	v_cvt_f32_f64_e32 v107, v[109:110]
	v_add_f64 v[103:104], v[36:37], v[92:93]
	v_cvt_f32_f64_e32 v108, v[113:114]
	v_cvt_f32_f64_e32 v109, v[111:112]
	v_cvt_f32_f64_e32 v110, v[115:116]
	v_min3_f32 v105, v117, v105, v171
	v_min_f32_e32 v106, v106, v107
	v_cvt_f32_f64_e32 v103, v[103:104]
	v_min3_f32 v102, v102, v106, v105
	v_add_co_u32 v106, vcc_lo, v98, v130
	v_add_co_ci_u32_e64 v107, null, v99, v131, vcc_lo
	v_cvt_f64_f32_e32 v[104:105], v102
	v_min3_f32 v102, v108, v109, v172
	s_mov_b32 vcc_lo, s0
	v_min3_f32 v102, v110, v103, v102
	v_max_f32_e32 v103, v102, v102
	;; [unrolled: 59-line block ×3, first 2 shown]
	flat_store_dwordx2 v[106:107], v[104:105]
	s_cbranch_vccz .LBB124_89
; %bb.88:
	v_min_f32_e32 v102, 0, v103
	v_add_co_u32 v106, vcc_lo, v98, v142
	v_add_co_ci_u32_e64 v107, null, v99, v143, vcc_lo
	v_cvt_f64_f32_e32 v[104:105], v102
	s_mov_b32 s5, 0
	flat_store_dwordx2 v[106:107], v[104:105]
.LBB124_89:
	v_mov_b32_e32 v102, 0
	s_andn2_b32 vcc_lo, exec_lo, s5
	s_cbranch_vccnz .LBB124_91
; %bb.90:
	v_add_co_u32 v104, vcc_lo, v100, v142
	v_add_co_ci_u32_e64 v105, null, v101, v143, vcc_lo
	flat_load_dwordx2 v[104:105], v[104:105]
	s_waitcnt vmcnt(0) lgkmcnt(0)
	v_mul_f64 v[104:105], s[2:3], v[104:105]
	v_cvt_f32_f64_e32 v102, v[104:105]
	v_add_co_u32 v104, vcc_lo, v98, v142
	v_add_co_ci_u32_e64 v105, null, v99, v143, vcc_lo
	v_add_co_u32 v100, vcc_lo, v100, v138
	v_add_co_ci_u32_e64 v101, null, v101, v139, vcc_lo
	v_min_f32_e32 v102, v102, v103
	v_cvt_f64_f32_e32 v[102:103], v102
	flat_store_dwordx2 v[104:105], v[102:103]
	flat_load_dwordx2 v[100:101], v[100:101]
	s_waitcnt vmcnt(0) lgkmcnt(0)
	v_mul_f64 v[100:101], s[2:3], v[100:101]
	v_cvt_f32_f64_e32 v102, v[100:101]
.LBB124_91:
	v_add_f64 v[94:95], v[2:3], v[94:95]
	v_add_f64 v[96:97], v[4:5], v[96:97]
	;; [unrolled: 1-line block ×6, first 2 shown]
	v_add_co_u32 v98, vcc_lo, v98, v138
	v_add_co_ci_u32_e64 v99, null, v99, v139, vcc_lo
	s_mov_b32 s5, -1
	v_cvt_f32_f64_e32 v94, v[94:95]
	v_cvt_f32_f64_e32 v95, v[96:97]
	;; [unrolled: 1-line block ×4, first 2 shown]
	v_add_f64 v[90:91], v[66:67], v[82:83]
	v_add_f64 v[92:93], v[68:69], v[84:85]
	v_cvt_f32_f64_e32 v103, v[103:104]
	v_cvt_f32_f64_e32 v100, v[100:101]
	v_add_nc_u32_e32 v101, 0xa0, v201
	v_min3_f32 v94, v94, v95, v167
	v_min_f32_e32 v95, v96, v97
	v_cvt_f32_f64_e32 v104, v[90:91]
	v_cvt_f32_f64_e32 v105, v[92:93]
	v_mad_i64_i32 v[90:91], null, v101, s7, 0
	v_min3_f32 v92, v102, v95, v94
	v_min3_f32 v94, v103, v100, v168
	v_cvt_f64_f32_e32 v[96:97], v92
	v_mad_i64_i32 v[92:93], null, v101, s6, 0
	v_lshlrev_b64 v[90:91], 3, v[90:91]
	v_add_co_u32 v90, vcc_lo, s1, v90
	v_lshlrev_b64 v[92:93], 3, v[92:93]
	v_add_co_ci_u32_e64 v91, null, s4, v91, vcc_lo
	v_min3_f32 v94, v104, v105, v94
	v_add_co_u32 v92, vcc_lo, s12, v92
	v_add_co_ci_u32_e64 v93, null, s13, v93, vcc_lo
	v_max_f32_e32 v95, v94, v94
	s_mov_b32 vcc_lo, s0
	flat_store_dwordx2 v[98:99], v[96:97]
	s_cbranch_vccz .LBB124_93
; %bb.92:
	v_min_f32_e32 v94, 0, v95
	v_add_co_u32 v98, vcc_lo, v90, v134
	v_add_co_ci_u32_e64 v99, null, v91, v135, vcc_lo
	v_cvt_f64_f32_e32 v[96:97], v94
	s_mov_b32 s5, 0
	flat_store_dwordx2 v[98:99], v[96:97]
.LBB124_93:
	v_mov_b32_e32 v94, 0
	s_andn2_b32 vcc_lo, exec_lo, s5
	s_cbranch_vccnz .LBB124_95
; %bb.94:
	v_add_co_u32 v96, vcc_lo, v92, v134
	v_add_co_ci_u32_e64 v97, null, v93, v135, vcc_lo
	flat_load_dwordx2 v[96:97], v[96:97]
	s_waitcnt vmcnt(0) lgkmcnt(0)
	v_mul_f64 v[96:97], s[2:3], v[96:97]
	v_cvt_f32_f64_e32 v94, v[96:97]
	v_add_co_u32 v96, vcc_lo, v90, v134
	v_add_co_ci_u32_e64 v97, null, v91, v135, vcc_lo
	v_add_co_u32 v98, vcc_lo, v92, v0
	v_add_co_ci_u32_e64 v99, null, v93, v1, vcc_lo
	v_min_f32_e32 v94, v94, v95
	v_cvt_f64_f32_e32 v[94:95], v94
	flat_store_dwordx2 v[96:97], v[94:95]
	flat_load_dwordx2 v[94:95], v[98:99]
	s_waitcnt vmcnt(0) lgkmcnt(0)
	v_mul_f64 v[94:95], s[2:3], v[94:95]
	v_cvt_f32_f64_e32 v94, v[94:95]
.LBB124_95:
	v_add_f64 v[95:96], v[62:63], v[86:87]
	v_add_f64 v[97:98], v[64:65], v[88:89]
	v_add_f64 v[99:100], v[58:59], v[82:83]
	v_add_f64 v[101:102], v[60:61], v[84:85]
	v_add_f64 v[103:104], v[56:57], v[88:89]
	v_add_f64 v[105:106], v[54:55], v[86:87]
	v_add_f64 v[107:108], v[50:51], v[82:83]
	s_mov_b32 s5, -1
	v_cvt_f32_f64_e32 v109, v[95:96]
	v_cvt_f32_f64_e32 v97, v[97:98]
	v_cvt_f32_f64_e32 v98, v[99:100]
	v_cvt_f32_f64_e32 v99, v[101:102]
	v_add_f64 v[95:96], v[52:53], v[84:85]
	v_cvt_f32_f64_e32 v100, v[105:106]
	v_cvt_f32_f64_e32 v101, v[103:104]
	v_cvt_f32_f64_e32 v102, v[107:108]
	v_min3_f32 v97, v109, v97, v165
	v_min_f32_e32 v98, v98, v99
	v_cvt_f32_f64_e32 v95, v[95:96]
	v_min3_f32 v94, v94, v98, v97
	v_add_co_u32 v98, vcc_lo, v90, v0
	v_add_co_ci_u32_e64 v99, null, v91, v1, vcc_lo
	v_cvt_f64_f32_e32 v[96:97], v94
	v_min3_f32 v94, v100, v101, v166
	s_mov_b32 vcc_lo, s0
	v_min3_f32 v94, v102, v95, v94
	v_max_f32_e32 v95, v94, v94
	flat_store_dwordx2 v[98:99], v[96:97]
	s_cbranch_vccz .LBB124_97
; %bb.96:
	v_min_f32_e32 v94, 0, v95
	v_add_co_u32 v98, vcc_lo, v90, v136
	v_add_co_ci_u32_e64 v99, null, v91, v137, vcc_lo
	v_cvt_f64_f32_e32 v[96:97], v94
	s_mov_b32 s5, 0
	flat_store_dwordx2 v[98:99], v[96:97]
.LBB124_97:
	v_mov_b32_e32 v94, 0
	s_andn2_b32 vcc_lo, exec_lo, s5
	s_cbranch_vccnz .LBB124_99
; %bb.98:
	v_add_co_u32 v96, vcc_lo, v92, v136
	v_add_co_ci_u32_e64 v97, null, v93, v137, vcc_lo
	flat_load_dwordx2 v[96:97], v[96:97]
	s_waitcnt vmcnt(0) lgkmcnt(0)
	v_mul_f64 v[96:97], s[2:3], v[96:97]
	v_cvt_f32_f64_e32 v94, v[96:97]
	v_add_co_u32 v96, vcc_lo, v90, v136
	v_add_co_ci_u32_e64 v97, null, v91, v137, vcc_lo
	v_add_co_u32 v98, vcc_lo, v92, v130
	v_add_co_ci_u32_e64 v99, null, v93, v131, vcc_lo
	v_min_f32_e32 v94, v94, v95
	v_cvt_f64_f32_e32 v[94:95], v94
	flat_store_dwordx2 v[96:97], v[94:95]
	flat_load_dwordx2 v[94:95], v[98:99]
	s_waitcnt vmcnt(0) lgkmcnt(0)
	v_mul_f64 v[94:95], s[2:3], v[94:95]
	v_cvt_f32_f64_e32 v94, v[94:95]
.LBB124_99:
	v_add_f64 v[95:96], v[46:47], v[86:87]
	v_add_f64 v[97:98], v[48:49], v[88:89]
	v_add_f64 v[99:100], v[42:43], v[82:83]
	v_add_f64 v[101:102], v[44:45], v[84:85]
	v_add_f64 v[103:104], v[40:41], v[88:89]
	v_add_f64 v[105:106], v[38:39], v[86:87]
	v_add_f64 v[107:108], v[34:35], v[82:83]
	s_mov_b32 s5, -1
	v_cvt_f32_f64_e32 v109, v[95:96]
	v_cvt_f32_f64_e32 v97, v[97:98]
	v_cvt_f32_f64_e32 v98, v[99:100]
	v_cvt_f32_f64_e32 v99, v[101:102]
	v_add_f64 v[95:96], v[36:37], v[84:85]
	v_cvt_f32_f64_e32 v100, v[105:106]
	v_cvt_f32_f64_e32 v101, v[103:104]
	v_cvt_f32_f64_e32 v102, v[107:108]
	v_min3_f32 v97, v109, v97, v163
	v_min_f32_e32 v98, v98, v99
	v_cvt_f32_f64_e32 v95, v[95:96]
	v_min3_f32 v94, v94, v98, v97
	v_add_co_u32 v98, vcc_lo, v90, v130
	v_add_co_ci_u32_e64 v99, null, v91, v131, vcc_lo
	v_cvt_f64_f32_e32 v[96:97], v94
	v_min3_f32 v94, v100, v101, v164
	s_mov_b32 vcc_lo, s0
	v_min3_f32 v94, v102, v95, v94
	v_max_f32_e32 v95, v94, v94
	;; [unrolled: 59-line block ×3, first 2 shown]
	flat_store_dwordx2 v[98:99], v[96:97]
	s_cbranch_vccz .LBB124_105
; %bb.104:
	v_min_f32_e32 v94, 0, v95
	v_add_co_u32 v98, vcc_lo, v90, v142
	v_add_co_ci_u32_e64 v99, null, v91, v143, vcc_lo
	v_cvt_f64_f32_e32 v[96:97], v94
	s_mov_b32 s5, 0
	flat_store_dwordx2 v[98:99], v[96:97]
.LBB124_105:
	v_mov_b32_e32 v94, 0
	s_andn2_b32 vcc_lo, exec_lo, s5
	s_cbranch_vccnz .LBB124_107
; %bb.106:
	v_add_co_u32 v96, vcc_lo, v92, v142
	v_add_co_ci_u32_e64 v97, null, v93, v143, vcc_lo
	flat_load_dwordx2 v[96:97], v[96:97]
	s_waitcnt vmcnt(0) lgkmcnt(0)
	v_mul_f64 v[96:97], s[2:3], v[96:97]
	v_cvt_f32_f64_e32 v94, v[96:97]
	v_add_co_u32 v96, vcc_lo, v90, v142
	v_add_co_ci_u32_e64 v97, null, v91, v143, vcc_lo
	v_add_co_u32 v92, vcc_lo, v92, v138
	v_add_co_ci_u32_e64 v93, null, v93, v139, vcc_lo
	v_min_f32_e32 v94, v94, v95
	v_cvt_f64_f32_e32 v[94:95], v94
	flat_store_dwordx2 v[96:97], v[94:95]
	flat_load_dwordx2 v[92:93], v[92:93]
	s_waitcnt vmcnt(0) lgkmcnt(0)
	v_mul_f64 v[92:93], s[2:3], v[92:93]
	v_cvt_f32_f64_e32 v94, v[92:93]
.LBB124_107:
	v_add_f64 v[86:87], v[2:3], v[86:87]
	v_add_f64 v[88:89], v[4:5], v[88:89]
	;; [unrolled: 1-line block ×4, first 2 shown]
	s_waitcnt lgkmcnt(26)
	v_add_f64 v[92:93], v[72:73], v[80:81]
	v_add_f64 v[95:96], v[70:71], v[78:79]
	v_add_co_u32 v90, vcc_lo, v90, v138
	v_add_co_ci_u32_e64 v91, null, v91, v139, vcc_lo
	s_mov_b32 s5, -1
	v_cvt_f32_f64_e32 v86, v[86:87]
	v_cvt_f32_f64_e32 v87, v[88:89]
	;; [unrolled: 1-line block ×4, first 2 shown]
	s_waitcnt lgkmcnt(25)
	v_add_f64 v[82:83], v[66:67], v[74:75]
	v_add_f64 v[84:85], v[68:69], v[76:77]
	v_cvt_f32_f64_e32 v95, v[95:96]
	v_cvt_f32_f64_e32 v92, v[92:93]
	v_add_nc_u32_e32 v93, 0xc0, v201
	v_min3_f32 v86, v86, v87, v159
	v_min_f32_e32 v87, v88, v89
	v_cvt_f32_f64_e32 v96, v[82:83]
	v_cvt_f32_f64_e32 v97, v[84:85]
	v_mad_i64_i32 v[82:83], null, v93, s7, 0
	v_min3_f32 v84, v94, v87, v86
	v_min3_f32 v86, v95, v92, v160
	v_cvt_f64_f32_e32 v[88:89], v84
	v_mad_i64_i32 v[84:85], null, v93, s6, 0
	v_lshlrev_b64 v[82:83], 3, v[82:83]
	v_add_co_u32 v82, vcc_lo, s1, v82
	v_lshlrev_b64 v[84:85], 3, v[84:85]
	v_add_co_ci_u32_e64 v83, null, s4, v83, vcc_lo
	v_min3_f32 v86, v96, v97, v86
	v_add_co_u32 v84, vcc_lo, s12, v84
	v_add_co_ci_u32_e64 v85, null, s13, v85, vcc_lo
	v_max_f32_e32 v87, v86, v86
	s_mov_b32 vcc_lo, s0
	flat_store_dwordx2 v[90:91], v[88:89]
	s_cbranch_vccz .LBB124_109
; %bb.108:
	v_min_f32_e32 v86, 0, v87
	v_add_co_u32 v90, vcc_lo, v82, v134
	v_add_co_ci_u32_e64 v91, null, v83, v135, vcc_lo
	v_cvt_f64_f32_e32 v[88:89], v86
	s_mov_b32 s5, 0
	flat_store_dwordx2 v[90:91], v[88:89]
.LBB124_109:
	v_mov_b32_e32 v86, 0
	s_andn2_b32 vcc_lo, exec_lo, s5
	s_cbranch_vccnz .LBB124_111
; %bb.110:
	v_add_co_u32 v88, vcc_lo, v84, v134
	v_add_co_ci_u32_e64 v89, null, v85, v135, vcc_lo
	flat_load_dwordx2 v[88:89], v[88:89]
	s_waitcnt vmcnt(0) lgkmcnt(0)
	v_mul_f64 v[88:89], s[2:3], v[88:89]
	v_cvt_f32_f64_e32 v86, v[88:89]
	v_add_co_u32 v88, vcc_lo, v82, v134
	v_add_co_ci_u32_e64 v89, null, v83, v135, vcc_lo
	v_add_co_u32 v90, vcc_lo, v84, v0
	v_add_co_ci_u32_e64 v91, null, v85, v1, vcc_lo
	v_min_f32_e32 v86, v86, v87
	v_cvt_f64_f32_e32 v[86:87], v86
	flat_store_dwordx2 v[88:89], v[86:87]
	flat_load_dwordx2 v[86:87], v[90:91]
	s_waitcnt vmcnt(0) lgkmcnt(0)
	v_mul_f64 v[86:87], s[2:3], v[86:87]
	v_cvt_f32_f64_e32 v86, v[86:87]
.LBB124_111:
	v_add_f64 v[87:88], v[62:63], v[78:79]
	v_add_f64 v[89:90], v[64:65], v[80:81]
	v_add_f64 v[91:92], v[58:59], v[74:75]
	v_add_f64 v[93:94], v[60:61], v[76:77]
	v_add_f64 v[95:96], v[56:57], v[80:81]
	v_add_f64 v[97:98], v[54:55], v[78:79]
	v_add_f64 v[99:100], v[50:51], v[74:75]
	s_mov_b32 s5, -1
	v_cvt_f32_f64_e32 v101, v[87:88]
	v_cvt_f32_f64_e32 v89, v[89:90]
	v_cvt_f32_f64_e32 v90, v[91:92]
	v_cvt_f32_f64_e32 v91, v[93:94]
	v_add_f64 v[87:88], v[52:53], v[76:77]
	v_cvt_f32_f64_e32 v92, v[97:98]
	v_cvt_f32_f64_e32 v93, v[95:96]
	v_cvt_f32_f64_e32 v94, v[99:100]
	v_min3_f32 v89, v101, v89, v157
	v_min_f32_e32 v90, v90, v91
	v_cvt_f32_f64_e32 v87, v[87:88]
	v_min3_f32 v86, v86, v90, v89
	v_add_co_u32 v90, vcc_lo, v82, v0
	v_add_co_ci_u32_e64 v91, null, v83, v1, vcc_lo
	v_cvt_f64_f32_e32 v[88:89], v86
	v_min3_f32 v86, v92, v93, v158
	s_mov_b32 vcc_lo, s0
	v_min3_f32 v86, v94, v87, v86
	v_max_f32_e32 v87, v86, v86
	flat_store_dwordx2 v[90:91], v[88:89]
	s_cbranch_vccz .LBB124_113
; %bb.112:
	v_min_f32_e32 v86, 0, v87
	v_add_co_u32 v90, vcc_lo, v82, v136
	v_add_co_ci_u32_e64 v91, null, v83, v137, vcc_lo
	v_cvt_f64_f32_e32 v[88:89], v86
	s_mov_b32 s5, 0
	flat_store_dwordx2 v[90:91], v[88:89]
.LBB124_113:
	v_mov_b32_e32 v86, 0
	s_andn2_b32 vcc_lo, exec_lo, s5
	s_cbranch_vccnz .LBB124_115
; %bb.114:
	v_add_co_u32 v88, vcc_lo, v84, v136
	v_add_co_ci_u32_e64 v89, null, v85, v137, vcc_lo
	flat_load_dwordx2 v[88:89], v[88:89]
	s_waitcnt vmcnt(0) lgkmcnt(0)
	v_mul_f64 v[88:89], s[2:3], v[88:89]
	v_cvt_f32_f64_e32 v86, v[88:89]
	v_add_co_u32 v88, vcc_lo, v82, v136
	v_add_co_ci_u32_e64 v89, null, v83, v137, vcc_lo
	v_add_co_u32 v90, vcc_lo, v84, v130
	v_add_co_ci_u32_e64 v91, null, v85, v131, vcc_lo
	v_min_f32_e32 v86, v86, v87
	v_cvt_f64_f32_e32 v[86:87], v86
	flat_store_dwordx2 v[88:89], v[86:87]
	flat_load_dwordx2 v[86:87], v[90:91]
	s_waitcnt vmcnt(0) lgkmcnt(0)
	v_mul_f64 v[86:87], s[2:3], v[86:87]
	v_cvt_f32_f64_e32 v86, v[86:87]
.LBB124_115:
	v_add_f64 v[87:88], v[46:47], v[78:79]
	v_add_f64 v[89:90], v[48:49], v[80:81]
	v_add_f64 v[91:92], v[42:43], v[74:75]
	v_add_f64 v[93:94], v[44:45], v[76:77]
	v_add_f64 v[95:96], v[40:41], v[80:81]
	v_add_f64 v[97:98], v[38:39], v[78:79]
	v_add_f64 v[99:100], v[34:35], v[74:75]
	s_mov_b32 s5, -1
	v_cvt_f32_f64_e32 v101, v[87:88]
	v_cvt_f32_f64_e32 v89, v[89:90]
	v_cvt_f32_f64_e32 v90, v[91:92]
	v_cvt_f32_f64_e32 v91, v[93:94]
	v_add_f64 v[87:88], v[36:37], v[76:77]
	v_cvt_f32_f64_e32 v92, v[97:98]
	v_cvt_f32_f64_e32 v93, v[95:96]
	v_cvt_f32_f64_e32 v94, v[99:100]
	v_min3_f32 v89, v101, v89, v155
	v_min_f32_e32 v90, v90, v91
	v_cvt_f32_f64_e32 v87, v[87:88]
	v_min3_f32 v86, v86, v90, v89
	v_add_co_u32 v90, vcc_lo, v82, v130
	v_add_co_ci_u32_e64 v91, null, v83, v131, vcc_lo
	v_cvt_f64_f32_e32 v[88:89], v86
	v_min3_f32 v86, v92, v93, v156
	s_mov_b32 vcc_lo, s0
	v_min3_f32 v86, v94, v87, v86
	v_max_f32_e32 v87, v86, v86
	flat_store_dwordx2 v[90:91], v[88:89]
	s_cbranch_vccz .LBB124_117
; %bb.116:
	v_min_f32_e32 v86, 0, v87
	v_add_co_u32 v90, vcc_lo, v82, v140
	v_add_co_ci_u32_e64 v91, null, v83, v141, vcc_lo
	v_cvt_f64_f32_e32 v[88:89], v86
	s_mov_b32 s5, 0
	flat_store_dwordx2 v[90:91], v[88:89]
.LBB124_117:
	v_mov_b32_e32 v86, 0
	s_andn2_b32 vcc_lo, exec_lo, s5
	s_cbranch_vccnz .LBB124_119
; %bb.118:
	v_add_co_u32 v88, vcc_lo, v84, v140
	v_add_co_ci_u32_e64 v89, null, v85, v141, vcc_lo
	flat_load_dwordx2 v[88:89], v[88:89]
	s_waitcnt vmcnt(0) lgkmcnt(0)
	v_mul_f64 v[88:89], s[2:3], v[88:89]
	v_cvt_f32_f64_e32 v86, v[88:89]
	v_add_co_u32 v88, vcc_lo, v82, v140
	v_add_co_ci_u32_e64 v89, null, v83, v141, vcc_lo
	v_add_co_u32 v90, vcc_lo, v84, v132
	v_add_co_ci_u32_e64 v91, null, v85, v133, vcc_lo
	v_min_f32_e32 v86, v86, v87
	v_cvt_f64_f32_e32 v[86:87], v86
	flat_store_dwordx2 v[88:89], v[86:87]
	flat_load_dwordx2 v[86:87], v[90:91]
	s_waitcnt vmcnt(0) lgkmcnt(0)
	v_mul_f64 v[86:87], s[2:3], v[86:87]
	v_cvt_f32_f64_e32 v86, v[86:87]
.LBB124_119:
	v_add_f64 v[87:88], v[30:31], v[78:79]
	v_add_f64 v[89:90], v[32:33], v[80:81]
	v_add_f64 v[91:92], v[26:27], v[74:75]
	v_add_f64 v[93:94], v[28:29], v[76:77]
	v_add_f64 v[95:96], v[24:25], v[80:81]
	v_add_f64 v[97:98], v[22:23], v[78:79]
	v_add_f64 v[99:100], v[18:19], v[74:75]
	s_mov_b32 s5, -1
	v_cvt_f32_f64_e32 v101, v[87:88]
	v_cvt_f32_f64_e32 v89, v[89:90]
	v_cvt_f32_f64_e32 v90, v[91:92]
	v_cvt_f32_f64_e32 v91, v[93:94]
	v_add_f64 v[87:88], v[20:21], v[76:77]
	v_cvt_f32_f64_e32 v92, v[97:98]
	v_cvt_f32_f64_e32 v93, v[95:96]
	v_cvt_f32_f64_e32 v94, v[99:100]
	v_min3_f32 v89, v101, v89, v153
	v_min_f32_e32 v90, v90, v91
	v_cvt_f32_f64_e32 v87, v[87:88]
	v_min3_f32 v86, v86, v90, v89
	v_add_co_u32 v90, vcc_lo, v82, v132
	v_add_co_ci_u32_e64 v91, null, v83, v133, vcc_lo
	v_cvt_f64_f32_e32 v[88:89], v86
	v_min3_f32 v86, v92, v93, v154
	s_mov_b32 vcc_lo, s0
	v_min3_f32 v86, v94, v87, v86
	v_max_f32_e32 v87, v86, v86
	flat_store_dwordx2 v[90:91], v[88:89]
	s_cbranch_vccz .LBB124_121
; %bb.120:
	v_min_f32_e32 v86, 0, v87
	v_add_co_u32 v90, vcc_lo, v82, v142
	v_add_co_ci_u32_e64 v91, null, v83, v143, vcc_lo
	v_cvt_f64_f32_e32 v[88:89], v86
	s_mov_b32 s5, 0
	flat_store_dwordx2 v[90:91], v[88:89]
.LBB124_121:
	v_mov_b32_e32 v86, 0
	s_andn2_b32 vcc_lo, exec_lo, s5
	s_cbranch_vccnz .LBB124_123
; %bb.122:
	v_add_co_u32 v88, vcc_lo, v84, v142
	v_add_co_ci_u32_e64 v89, null, v85, v143, vcc_lo
	flat_load_dwordx2 v[88:89], v[88:89]
	s_waitcnt vmcnt(0) lgkmcnt(0)
	v_mul_f64 v[88:89], s[2:3], v[88:89]
	v_cvt_f32_f64_e32 v86, v[88:89]
	v_add_co_u32 v88, vcc_lo, v82, v142
	v_add_co_ci_u32_e64 v89, null, v83, v143, vcc_lo
	v_add_co_u32 v84, vcc_lo, v84, v138
	v_add_co_ci_u32_e64 v85, null, v85, v139, vcc_lo
	v_min_f32_e32 v86, v86, v87
	v_cvt_f64_f32_e32 v[86:87], v86
	flat_store_dwordx2 v[88:89], v[86:87]
	flat_load_dwordx2 v[84:85], v[84:85]
	s_waitcnt vmcnt(0) lgkmcnt(0)
	v_mul_f64 v[84:85], s[2:3], v[84:85]
	v_cvt_f32_f64_e32 v86, v[84:85]
.LBB124_123:
	v_add_f64 v[78:79], v[2:3], v[78:79]
	v_add_f64 v[80:81], v[4:5], v[80:81]
	;; [unrolled: 1-line block ×4, first 2 shown]
	s_waitcnt lgkmcnt(28)
	v_add_f64 v[72:73], v[72:73], v[12:13]
	v_add_f64 v[70:71], v[70:71], v[10:11]
	s_waitcnt lgkmcnt(27)
	v_add_f64 v[66:67], v[66:67], v[14:15]
	v_add_f64 v[68:69], v[68:69], v[16:17]
	s_mov_b32 s5, -1
	v_cvt_f32_f64_e32 v78, v[78:79]
	v_cvt_f32_f64_e32 v79, v[80:81]
	;; [unrolled: 1-line block ×8, first 2 shown]
	v_min3_f32 v72, v78, v79, v151
	v_min_f32_e32 v73, v74, v75
	v_add_nc_u32_e32 v74, 0xe0, v201
	v_min3_f32 v70, v70, v71, v152
	v_min3_f32 v68, v86, v73, v72
	v_mad_i64_i32 v[66:67], null, v74, s7, 0
	v_min3_f32 v70, v76, v77, v70
	v_cvt_f64_f32_e32 v[72:73], v68
	v_mad_i64_i32 v[68:69], null, v74, s6, 0
	v_add_co_u32 v74, vcc_lo, v82, v138
	v_lshlrev_b64 v[66:67], 3, v[66:67]
	v_add_co_ci_u32_e64 v75, null, v83, v139, vcc_lo
	v_max_f32_e32 v71, v70, v70
	v_lshlrev_b64 v[68:69], 3, v[68:69]
	v_add_co_u32 v66, vcc_lo, s1, v66
	v_add_co_ci_u32_e64 v67, null, s4, v67, vcc_lo
	v_add_co_u32 v68, vcc_lo, s12, v68
	v_add_co_ci_u32_e64 v69, null, s13, v69, vcc_lo
	s_mov_b32 vcc_lo, s0
	flat_store_dwordx2 v[74:75], v[72:73]
	s_cbranch_vccz .LBB124_125
; %bb.124:
	v_min_f32_e32 v70, 0, v71
	v_add_co_u32 v74, vcc_lo, v66, v134
	v_add_co_ci_u32_e64 v75, null, v67, v135, vcc_lo
	v_cvt_f64_f32_e32 v[72:73], v70
	s_mov_b32 s5, 0
	flat_store_dwordx2 v[74:75], v[72:73]
.LBB124_125:
	v_mov_b32_e32 v70, 0
	s_andn2_b32 vcc_lo, exec_lo, s5
	s_cbranch_vccnz .LBB124_127
; %bb.126:
	v_add_co_u32 v72, vcc_lo, v68, v134
	v_add_co_ci_u32_e64 v73, null, v69, v135, vcc_lo
	flat_load_dwordx2 v[72:73], v[72:73]
	s_waitcnt vmcnt(0) lgkmcnt(0)
	v_mul_f64 v[72:73], s[2:3], v[72:73]
	v_cvt_f32_f64_e32 v70, v[72:73]
	v_add_co_u32 v72, vcc_lo, v66, v134
	v_add_co_ci_u32_e64 v73, null, v67, v135, vcc_lo
	v_add_co_u32 v74, vcc_lo, v68, v0
	v_add_co_ci_u32_e64 v75, null, v69, v1, vcc_lo
	v_min_f32_e32 v70, v70, v71
	v_cvt_f64_f32_e32 v[70:71], v70
	flat_store_dwordx2 v[72:73], v[70:71]
	flat_load_dwordx2 v[70:71], v[74:75]
	s_waitcnt vmcnt(0) lgkmcnt(0)
	v_mul_f64 v[70:71], s[2:3], v[70:71]
	v_cvt_f32_f64_e32 v70, v[70:71]
.LBB124_127:
	v_add_f64 v[62:63], v[62:63], v[10:11]
	v_add_f64 v[64:65], v[64:65], v[12:13]
	;; [unrolled: 1-line block ×8, first 2 shown]
	s_mov_b32 s1, -1
	v_cvt_f32_f64_e32 v62, v[62:63]
	v_cvt_f32_f64_e32 v63, v[64:65]
	;; [unrolled: 1-line block ×8, first 2 shown]
	v_min3_f32 v50, v62, v63, v149
	v_min_f32_e32 v51, v58, v59
	v_min3_f32 v53, v54, v55, v150
	v_min3_f32 v50, v70, v51, v50
	;; [unrolled: 1-line block ×3, first 2 shown]
	v_add_co_u32 v52, vcc_lo, v66, v0
	v_cvt_f64_f32_e32 v[50:51], v50
	v_add_co_ci_u32_e64 v53, null, v67, v1, vcc_lo
	v_max_f32_e32 v1, v54, v54
	s_mov_b32 vcc_lo, s0
	flat_store_dwordx2 v[52:53], v[50:51]
	s_cbranch_vccz .LBB124_129
; %bb.128:
	v_min_f32_e32 v0, 0, v1
	v_add_co_u32 v52, vcc_lo, v66, v136
	v_add_co_ci_u32_e64 v53, null, v67, v137, vcc_lo
	v_cvt_f64_f32_e32 v[50:51], v0
	s_mov_b32 s1, 0
	flat_store_dwordx2 v[52:53], v[50:51]
.LBB124_129:
	v_mov_b32_e32 v0, 0
	s_andn2_b32 vcc_lo, exec_lo, s1
	s_cbranch_vccnz .LBB124_131
; %bb.130:
	v_add_co_u32 v50, vcc_lo, v68, v136
	v_add_co_ci_u32_e64 v51, null, v69, v137, vcc_lo
	flat_load_dwordx2 v[50:51], v[50:51]
	s_waitcnt vmcnt(0) lgkmcnt(0)
	v_mul_f64 v[50:51], s[2:3], v[50:51]
	v_cvt_f32_f64_e32 v0, v[50:51]
	v_add_co_u32 v50, vcc_lo, v66, v136
	v_add_co_ci_u32_e64 v51, null, v67, v137, vcc_lo
	v_add_co_u32 v52, vcc_lo, v68, v130
	v_add_co_ci_u32_e64 v53, null, v69, v131, vcc_lo
	v_min_f32_e32 v0, v0, v1
	v_cvt_f64_f32_e32 v[0:1], v0
	flat_store_dwordx2 v[50:51], v[0:1]
	flat_load_dwordx2 v[0:1], v[52:53]
	s_waitcnt vmcnt(0) lgkmcnt(0)
	v_mul_f64 v[0:1], s[2:3], v[0:1]
	v_cvt_f32_f64_e32 v0, v[0:1]
.LBB124_131:
	v_add_f64 v[46:47], v[46:47], v[10:11]
	v_add_f64 v[48:49], v[48:49], v[12:13]
	;; [unrolled: 1-line block ×8, first 2 shown]
	s_mov_b32 s1, -1
	v_cvt_f32_f64_e32 v1, v[46:47]
	v_cvt_f32_f64_e32 v46, v[48:49]
	;; [unrolled: 1-line block ×8, first 2 shown]
	v_min3_f32 v1, v1, v46, v147
	v_min_f32_e32 v34, v42, v43
	v_min3_f32 v0, v0, v34, v1
	v_cvt_f64_f32_e32 v[34:35], v0
	v_min3_f32 v0, v38, v39, v148
	v_min3_f32 v0, v40, v36, v0
	v_add_co_u32 v36, vcc_lo, v66, v130
	v_add_co_ci_u32_e64 v37, null, v67, v131, vcc_lo
	v_max_f32_e32 v1, v0, v0
	s_mov_b32 vcc_lo, s0
	flat_store_dwordx2 v[36:37], v[34:35]
	s_cbranch_vccz .LBB124_133
; %bb.132:
	v_min_f32_e32 v0, 0, v1
	v_add_co_u32 v36, vcc_lo, v66, v140
	v_add_co_ci_u32_e64 v37, null, v67, v141, vcc_lo
	v_cvt_f64_f32_e32 v[34:35], v0
	s_mov_b32 s1, 0
	flat_store_dwordx2 v[36:37], v[34:35]
.LBB124_133:
	v_mov_b32_e32 v0, 0
	s_andn2_b32 vcc_lo, exec_lo, s1
	s_cbranch_vccnz .LBB124_135
; %bb.134:
	v_add_co_u32 v34, vcc_lo, v68, v140
	v_add_co_ci_u32_e64 v35, null, v69, v141, vcc_lo
	flat_load_dwordx2 v[34:35], v[34:35]
	s_waitcnt vmcnt(0) lgkmcnt(0)
	v_mul_f64 v[34:35], s[2:3], v[34:35]
	v_cvt_f32_f64_e32 v0, v[34:35]
	v_add_co_u32 v34, vcc_lo, v66, v140
	v_add_co_ci_u32_e64 v35, null, v67, v141, vcc_lo
	v_add_co_u32 v36, vcc_lo, v68, v132
	v_add_co_ci_u32_e64 v37, null, v69, v133, vcc_lo
	v_min_f32_e32 v0, v0, v1
	v_cvt_f64_f32_e32 v[0:1], v0
	flat_store_dwordx2 v[34:35], v[0:1]
	flat_load_dwordx2 v[0:1], v[36:37]
	s_waitcnt vmcnt(0) lgkmcnt(0)
	v_mul_f64 v[0:1], s[2:3], v[0:1]
	v_cvt_f32_f64_e32 v0, v[0:1]
.LBB124_135:
	v_add_f64 v[30:31], v[30:31], v[10:11]
	v_add_f64 v[32:33], v[32:33], v[12:13]
	;; [unrolled: 1-line block ×8, first 2 shown]
	s_mov_b32 s1, -1
	v_cvt_f32_f64_e32 v1, v[30:31]
	v_cvt_f32_f64_e32 v30, v[32:33]
	;; [unrolled: 1-line block ×8, first 2 shown]
	v_min3_f32 v1, v1, v30, v145
	v_min_f32_e32 v18, v26, v27
	v_min3_f32 v0, v0, v18, v1
	v_cvt_f64_f32_e32 v[18:19], v0
	v_min3_f32 v0, v22, v23, v146
	v_min3_f32 v0, v24, v20, v0
	v_add_co_u32 v20, vcc_lo, v66, v132
	v_add_co_ci_u32_e64 v21, null, v67, v133, vcc_lo
	v_max_f32_e32 v1, v0, v0
	s_mov_b32 vcc_lo, s0
	flat_store_dwordx2 v[20:21], v[18:19]
	s_cbranch_vccz .LBB124_137
; %bb.136:
	v_min_f32_e32 v0, 0, v1
	v_add_co_u32 v20, vcc_lo, v66, v142
	v_add_co_ci_u32_e64 v21, null, v67, v143, vcc_lo
	v_cvt_f64_f32_e32 v[18:19], v0
	s_mov_b32 s1, 0
	flat_store_dwordx2 v[20:21], v[18:19]
.LBB124_137:
	v_mov_b32_e32 v0, 0
	s_andn2_b32 vcc_lo, exec_lo, s1
	s_cbranch_vccnz .LBB124_139
; %bb.138:
	v_add_co_u32 v18, vcc_lo, v68, v142
	v_add_co_ci_u32_e64 v19, null, v69, v143, vcc_lo
	flat_load_dwordx2 v[18:19], v[18:19]
	s_waitcnt vmcnt(0) lgkmcnt(0)
	v_mul_f64 v[18:19], s[2:3], v[18:19]
	v_cvt_f32_f64_e32 v0, v[18:19]
	v_add_co_u32 v18, vcc_lo, v66, v142
	v_add_co_ci_u32_e64 v19, null, v67, v143, vcc_lo
	v_add_co_u32 v20, vcc_lo, v68, v138
	v_add_co_ci_u32_e64 v21, null, v69, v139, vcc_lo
	v_min_f32_e32 v0, v0, v1
	v_cvt_f64_f32_e32 v[0:1], v0
	flat_store_dwordx2 v[18:19], v[0:1]
	flat_load_dwordx2 v[0:1], v[20:21]
	s_waitcnt vmcnt(0) lgkmcnt(0)
	v_mul_f64 v[0:1], s[2:3], v[0:1]
	v_cvt_f32_f64_e32 v0, v[0:1]
.LBB124_139:
	v_add_f64 v[6:7], v[6:7], v[14:15]
	v_add_f64 v[8:9], v[8:9], v[16:17]
	;; [unrolled: 1-line block ×4, first 2 shown]
	v_cvt_f32_f64_e32 v5, v[6:7]
	v_cvt_f32_f64_e32 v6, v[8:9]
	;; [unrolled: 1-line block ×4, first 2 shown]
	v_min_f32_e32 v3, v5, v6
	v_min3_f32 v1, v1, v2, v144
	v_add_co_u32 v2, vcc_lo, v66, v138
	v_min3_f32 v0, v0, v3, v1
	v_add_co_ci_u32_e64 v3, null, v67, v139, vcc_lo
	v_cvt_f64_f32_e32 v[0:1], v0
	flat_store_dwordx2 v[2:3], v[0:1]
	s_endpgm
	.section	.rodata,"a",@progbits
	.p2align	6, 0x0
	.amdhsa_kernel _ZN12_GLOBAL__N_120geam_min_plus_kernelId15HIP_vector_typeIdLj2EEdLi8ELi32ELi64ELi256ELi4ELi4ELi64ELi64ELi4ELc84ELc84ELb1ELb0ELb1EdKPKdKPdEEviiiT16_PT17_ilSA_ilS8_SA_ilPT18_ili26rocblas_geam_ex_operation_
		.amdhsa_group_segment_fixed_size 20480
		.amdhsa_private_segment_fixed_size 0
		.amdhsa_kernarg_size 136
		.amdhsa_user_sgpr_count 6
		.amdhsa_user_sgpr_private_segment_buffer 1
		.amdhsa_user_sgpr_dispatch_ptr 0
		.amdhsa_user_sgpr_queue_ptr 0
		.amdhsa_user_sgpr_kernarg_segment_ptr 1
		.amdhsa_user_sgpr_dispatch_id 0
		.amdhsa_user_sgpr_flat_scratch_init 0
		.amdhsa_user_sgpr_private_segment_size 0
		.amdhsa_wavefront_size32 1
		.amdhsa_uses_dynamic_stack 0
		.amdhsa_system_sgpr_private_segment_wavefront_offset 0
		.amdhsa_system_sgpr_workgroup_id_x 1
		.amdhsa_system_sgpr_workgroup_id_y 0
		.amdhsa_system_sgpr_workgroup_id_z 1
		.amdhsa_system_sgpr_workgroup_info 0
		.amdhsa_system_vgpr_workitem_id 1
		.amdhsa_next_free_vgpr 221
		.amdhsa_next_free_sgpr 22
		.amdhsa_reserve_vcc 1
		.amdhsa_reserve_flat_scratch 1
		.amdhsa_float_round_mode_32 0
		.amdhsa_float_round_mode_16_64 0
		.amdhsa_float_denorm_mode_32 3
		.amdhsa_float_denorm_mode_16_64 3
		.amdhsa_dx10_clamp 1
		.amdhsa_ieee_mode 1
		.amdhsa_fp16_overflow 0
		.amdhsa_workgroup_processor_mode 1
		.amdhsa_memory_ordered 1
		.amdhsa_forward_progress 1
		.amdhsa_shared_vgpr_count 0
		.amdhsa_exception_fp_ieee_invalid_op 0
		.amdhsa_exception_fp_denorm_src 0
		.amdhsa_exception_fp_ieee_div_zero 0
		.amdhsa_exception_fp_ieee_overflow 0
		.amdhsa_exception_fp_ieee_underflow 0
		.amdhsa_exception_fp_ieee_inexact 0
		.amdhsa_exception_int_div_zero 0
	.end_amdhsa_kernel
	.section	.text._ZN12_GLOBAL__N_120geam_min_plus_kernelId15HIP_vector_typeIdLj2EEdLi8ELi32ELi64ELi256ELi4ELi4ELi64ELi64ELi4ELc84ELc84ELb1ELb0ELb1EdKPKdKPdEEviiiT16_PT17_ilSA_ilS8_SA_ilPT18_ili26rocblas_geam_ex_operation_,"axG",@progbits,_ZN12_GLOBAL__N_120geam_min_plus_kernelId15HIP_vector_typeIdLj2EEdLi8ELi32ELi64ELi256ELi4ELi4ELi64ELi64ELi4ELc84ELc84ELb1ELb0ELb1EdKPKdKPdEEviiiT16_PT17_ilSA_ilS8_SA_ilPT18_ili26rocblas_geam_ex_operation_,comdat
.Lfunc_end124:
	.size	_ZN12_GLOBAL__N_120geam_min_plus_kernelId15HIP_vector_typeIdLj2EEdLi8ELi32ELi64ELi256ELi4ELi4ELi64ELi64ELi4ELc84ELc84ELb1ELb0ELb1EdKPKdKPdEEviiiT16_PT17_ilSA_ilS8_SA_ilPT18_ili26rocblas_geam_ex_operation_, .Lfunc_end124-_ZN12_GLOBAL__N_120geam_min_plus_kernelId15HIP_vector_typeIdLj2EEdLi8ELi32ELi64ELi256ELi4ELi4ELi64ELi64ELi4ELc84ELc84ELb1ELb0ELb1EdKPKdKPdEEviiiT16_PT17_ilSA_ilS8_SA_ilPT18_ili26rocblas_geam_ex_operation_
                                        ; -- End function
	.set _ZN12_GLOBAL__N_120geam_min_plus_kernelId15HIP_vector_typeIdLj2EEdLi8ELi32ELi64ELi256ELi4ELi4ELi64ELi64ELi4ELc84ELc84ELb1ELb0ELb1EdKPKdKPdEEviiiT16_PT17_ilSA_ilS8_SA_ilPT18_ili26rocblas_geam_ex_operation_.num_vgpr, 221
	.set _ZN12_GLOBAL__N_120geam_min_plus_kernelId15HIP_vector_typeIdLj2EEdLi8ELi32ELi64ELi256ELi4ELi4ELi64ELi64ELi4ELc84ELc84ELb1ELb0ELb1EdKPKdKPdEEviiiT16_PT17_ilSA_ilS8_SA_ilPT18_ili26rocblas_geam_ex_operation_.num_agpr, 0
	.set _ZN12_GLOBAL__N_120geam_min_plus_kernelId15HIP_vector_typeIdLj2EEdLi8ELi32ELi64ELi256ELi4ELi4ELi64ELi64ELi4ELc84ELc84ELb1ELb0ELb1EdKPKdKPdEEviiiT16_PT17_ilSA_ilS8_SA_ilPT18_ili26rocblas_geam_ex_operation_.numbered_sgpr, 22
	.set _ZN12_GLOBAL__N_120geam_min_plus_kernelId15HIP_vector_typeIdLj2EEdLi8ELi32ELi64ELi256ELi4ELi4ELi64ELi64ELi4ELc84ELc84ELb1ELb0ELb1EdKPKdKPdEEviiiT16_PT17_ilSA_ilS8_SA_ilPT18_ili26rocblas_geam_ex_operation_.num_named_barrier, 0
	.set _ZN12_GLOBAL__N_120geam_min_plus_kernelId15HIP_vector_typeIdLj2EEdLi8ELi32ELi64ELi256ELi4ELi4ELi64ELi64ELi4ELc84ELc84ELb1ELb0ELb1EdKPKdKPdEEviiiT16_PT17_ilSA_ilS8_SA_ilPT18_ili26rocblas_geam_ex_operation_.private_seg_size, 0
	.set _ZN12_GLOBAL__N_120geam_min_plus_kernelId15HIP_vector_typeIdLj2EEdLi8ELi32ELi64ELi256ELi4ELi4ELi64ELi64ELi4ELc84ELc84ELb1ELb0ELb1EdKPKdKPdEEviiiT16_PT17_ilSA_ilS8_SA_ilPT18_ili26rocblas_geam_ex_operation_.uses_vcc, 1
	.set _ZN12_GLOBAL__N_120geam_min_plus_kernelId15HIP_vector_typeIdLj2EEdLi8ELi32ELi64ELi256ELi4ELi4ELi64ELi64ELi4ELc84ELc84ELb1ELb0ELb1EdKPKdKPdEEviiiT16_PT17_ilSA_ilS8_SA_ilPT18_ili26rocblas_geam_ex_operation_.uses_flat_scratch, 1
	.set _ZN12_GLOBAL__N_120geam_min_plus_kernelId15HIP_vector_typeIdLj2EEdLi8ELi32ELi64ELi256ELi4ELi4ELi64ELi64ELi4ELc84ELc84ELb1ELb0ELb1EdKPKdKPdEEviiiT16_PT17_ilSA_ilS8_SA_ilPT18_ili26rocblas_geam_ex_operation_.has_dyn_sized_stack, 0
	.set _ZN12_GLOBAL__N_120geam_min_plus_kernelId15HIP_vector_typeIdLj2EEdLi8ELi32ELi64ELi256ELi4ELi4ELi64ELi64ELi4ELc84ELc84ELb1ELb0ELb1EdKPKdKPdEEviiiT16_PT17_ilSA_ilS8_SA_ilPT18_ili26rocblas_geam_ex_operation_.has_recursion, 0
	.set _ZN12_GLOBAL__N_120geam_min_plus_kernelId15HIP_vector_typeIdLj2EEdLi8ELi32ELi64ELi256ELi4ELi4ELi64ELi64ELi4ELc84ELc84ELb1ELb0ELb1EdKPKdKPdEEviiiT16_PT17_ilSA_ilS8_SA_ilPT18_ili26rocblas_geam_ex_operation_.has_indirect_call, 0
	.section	.AMDGPU.csdata,"",@progbits
; Kernel info:
; codeLenInByte = 26404
; TotalNumSgprs: 24
; NumVgprs: 221
; ScratchSize: 0
; MemoryBound: 0
; FloatMode: 240
; IeeeMode: 1
; LDSByteSize: 20480 bytes/workgroup (compile time only)
; SGPRBlocks: 0
; VGPRBlocks: 27
; NumSGPRsForWavesPerEU: 24
; NumVGPRsForWavesPerEU: 221
; Occupancy: 4
; WaveLimiterHint : 1
; COMPUTE_PGM_RSRC2:SCRATCH_EN: 0
; COMPUTE_PGM_RSRC2:USER_SGPR: 6
; COMPUTE_PGM_RSRC2:TRAP_HANDLER: 0
; COMPUTE_PGM_RSRC2:TGID_X_EN: 1
; COMPUTE_PGM_RSRC2:TGID_Y_EN: 0
; COMPUTE_PGM_RSRC2:TGID_Z_EN: 1
; COMPUTE_PGM_RSRC2:TIDIG_COMP_CNT: 1
	.section	.text._ZN12_GLOBAL__N_120geam_min_plus_kernelId15HIP_vector_typeIdLj2EEdLi8ELi32ELi64ELi256ELi4ELi4ELi64ELi64ELi4ELc84ELc84ELb0ELb0ELb1EdKPKdKPdEEviiiT16_PT17_ilSA_ilS8_SA_ilPT18_ili26rocblas_geam_ex_operation_,"axG",@progbits,_ZN12_GLOBAL__N_120geam_min_plus_kernelId15HIP_vector_typeIdLj2EEdLi8ELi32ELi64ELi256ELi4ELi4ELi64ELi64ELi4ELc84ELc84ELb0ELb0ELb1EdKPKdKPdEEviiiT16_PT17_ilSA_ilS8_SA_ilPT18_ili26rocblas_geam_ex_operation_,comdat
	.globl	_ZN12_GLOBAL__N_120geam_min_plus_kernelId15HIP_vector_typeIdLj2EEdLi8ELi32ELi64ELi256ELi4ELi4ELi64ELi64ELi4ELc84ELc84ELb0ELb0ELb1EdKPKdKPdEEviiiT16_PT17_ilSA_ilS8_SA_ilPT18_ili26rocblas_geam_ex_operation_ ; -- Begin function _ZN12_GLOBAL__N_120geam_min_plus_kernelId15HIP_vector_typeIdLj2EEdLi8ELi32ELi64ELi256ELi4ELi4ELi64ELi64ELi4ELc84ELc84ELb0ELb0ELb1EdKPKdKPdEEviiiT16_PT17_ilSA_ilS8_SA_ilPT18_ili26rocblas_geam_ex_operation_
	.p2align	8
	.type	_ZN12_GLOBAL__N_120geam_min_plus_kernelId15HIP_vector_typeIdLj2EEdLi8ELi32ELi64ELi256ELi4ELi4ELi64ELi64ELi4ELc84ELc84ELb0ELb0ELb1EdKPKdKPdEEviiiT16_PT17_ilSA_ilS8_SA_ilPT18_ili26rocblas_geam_ex_operation_,@function
_ZN12_GLOBAL__N_120geam_min_plus_kernelId15HIP_vector_typeIdLj2EEdLi8ELi32ELi64ELi256ELi4ELi4ELi64ELi64ELi4ELc84ELc84ELb0ELb0ELb1EdKPKdKPdEEviiiT16_PT17_ilSA_ilS8_SA_ilPT18_ili26rocblas_geam_ex_operation_: ; @_ZN12_GLOBAL__N_120geam_min_plus_kernelId15HIP_vector_typeIdLj2EEdLi8ELi32ELi64ELi256ELi4ELi4ELi64ELi64ELi4ELc84ELc84ELb0ELb0ELb1EdKPKdKPdEEviiiT16_PT17_ilSA_ilS8_SA_ilPT18_ili26rocblas_geam_ex_operation_
; %bb.0:
	s_clause 0x1
	s_load_dwordx4 s[8:11], s[4:5], 0x10
	s_load_dwordx4 s[12:15], s[4:5], 0x28
	s_mov_b32 s20, s7
	s_mov_b64 s[16:17], 0
	s_waitcnt lgkmcnt(0)
	v_cmp_eq_f64_e64 s7, s[8:9], 0
	s_and_b32 vcc_lo, exec_lo, s7
	s_cbranch_vccnz .LBB125_2
; %bb.1:
	s_mov_b32 s21, 0
	s_lshl_b64 s[0:1], s[20:21], 3
	s_add_u32 s0, s10, s0
	s_addc_u32 s1, s11, s1
	s_lshl_b64 s[2:3], s[12:13], 3
	s_load_dwordx2 s[0:1], s[0:1], 0x0
	s_waitcnt lgkmcnt(0)
	s_add_u32 s16, s0, s2
	s_addc_u32 s17, s1, s3
.LBB125_2:
	s_clause 0x1
	s_load_dwordx4 s[0:3], s[4:5], 0x40
	s_load_dwordx2 s[22:23], s[4:5], 0x50
	s_andn2_b32 vcc_lo, exec_lo, s7
	s_mov_b32 s21, 0
	s_cbranch_vccnz .LBB125_4
; %bb.3:
	s_mov_b32 s7, s21
	s_mov_b64 s[10:11], 0
	s_andn2_b32 vcc_lo, exec_lo, s7
	s_mov_b64 s[18:19], 0
	s_cbranch_vccz .LBB125_5
	s_branch .LBB125_6
.LBB125_4:
	s_mov_b64 s[10:11], 0
	s_mov_b64 s[18:19], 0
.LBB125_5:
	s_lshl_b64 s[12:13], s[20:21], 3
	s_add_u32 s12, s14, s12
	s_addc_u32 s13, s15, s13
	s_waitcnt lgkmcnt(0)
	s_lshl_b64 s[0:1], s[0:1], 3
	s_load_dwordx2 s[12:13], s[12:13], 0x0
	s_waitcnt lgkmcnt(0)
	s_add_u32 s18, s12, s0
	s_addc_u32 s19, s13, s1
.LBB125_6:
	s_waitcnt lgkmcnt(0)
	v_cmp_eq_f64_e64 s0, s[2:3], 0
	v_cmp_neq_f64_e64 s24, s[8:9], 0
	s_load_dwordx4 s[12:15], s[4:5], 0x60
	s_and_b32 s0, exec_lo, s0
	s_mov_b32 vcc_lo, s0
	s_cbranch_vccnz .LBB125_8
; %bb.7:
	s_lshl_b64 s[10:11], s[20:21], 3
	s_add_u32 s10, s22, s10
	s_addc_u32 s11, s23, s11
	s_waitcnt lgkmcnt(0)
	s_lshl_b64 s[12:13], s[12:13], 3
	s_load_dwordx2 s[10:11], s[10:11], 0x0
	s_waitcnt lgkmcnt(0)
	s_add_u32 s10, s10, s12
	s_addc_u32 s11, s11, s13
.LBB125_8:
	s_clause 0x1
	s_load_dword s1, s[4:5], 0x0
	s_load_dword s7, s[4:5], 0x20
	s_waitcnt lgkmcnt(0)
	s_lshl_b64 s[12:13], s[20:21], 3
	v_lshl_add_u32 v6, v1, 3, v0
	s_add_u32 s12, s14, s12
	s_addc_u32 s13, s15, s13
	v_cndmask_b32_e64 v4, 0, 1, s24
	v_and_b32_e32 v7, 3, v0
	v_lshrrev_b32_e32 v78, 2, v6
	v_lshlrev_b32_e32 v76, 3, v7
	s_add_i32 s1, s1, -1
	s_ashr_i32 s14, s1, 31
	s_lshr_b32 s14, s14, 26
	s_add_i32 s1, s1, s14
	s_ashr_i32 s1, s1, 6
	s_add_i32 s14, s1, 1
	s_not_b32 s1, s1
	v_cvt_f32_u32_e32 v2, s14
	v_rcp_iflag_f32_e32 v2, v2
	v_mul_f32_e32 v2, 0x4f7ffffe, v2
	v_cvt_u32_f32_e32 v2, v2
	v_readfirstlane_b32 s15, v2
	v_mov_b32_e32 v2, 0
	v_mov_b32_e32 v3, 0
	s_mul_i32 s1, s1, s15
	s_mul_hi_u32 s1, s15, s1
	s_add_i32 s15, s15, s1
	s_mul_hi_u32 s1, s6, s15
	s_mul_i32 s15, s1, s14
	s_add_i32 s20, s1, 1
	s_sub_i32 s15, s6, s15
	s_sub_i32 s21, s15, s14
	s_cmp_ge_u32 s15, s14
	s_cselect_b32 s1, s20, s1
	s_cselect_b32 s15, s21, s15
	s_add_i32 s20, s1, 1
	s_cmp_ge_u32 s15, s14
	s_cselect_b32 s15, s20, s1
	v_cmp_ne_u32_e64 s1, 1, v4
	s_mul_i32 s22, s15, s14
	v_mov_b32_e32 v4, 0
	s_sub_i32 s14, s6, s22
	v_mov_b32_e32 v5, 0
	s_lshl_b32 s20, s14, 6
	s_andn2_b32 vcc_lo, exec_lo, s24
	v_add_nc_u32_e32 v14, s20, v78
	s_cbranch_vccnz .LBB125_10
; %bb.9:
	v_mad_i64_i32 v[4:5], null, v14, s7, 0
	v_lshlrev_b64 v[4:5], 3, v[4:5]
	v_add_co_u32 v4, vcc_lo, s16, v4
	v_add_co_ci_u32_e64 v5, null, s17, v5, vcc_lo
	v_add_co_u32 v4, vcc_lo, v4, v76
	v_add_co_ci_u32_e64 v5, null, 0, v5, vcc_lo
	flat_load_dwordx2 v[4:5], v[4:5]
	s_waitcnt vmcnt(0) lgkmcnt(0)
	v_mul_f64 v[4:5], s[8:9], v[4:5]
.LBB125_10:
	s_load_dword s14, s[4:5], 0x38
	v_lshrrev_b32_e32 v77, 6, v6
	v_and_b32_e32 v79, 63, v6
	s_lshl_b32 s21, s15, 8
	s_waitcnt lgkmcnt(0)
	v_mad_i64_i32 v[7:8], null, s14, v77, 0
	s_ashr_i32 s15, s14, 31
	v_lshlrev_b64 v[9:10], 3, v[7:8]
	v_or_b32_e32 v8, s21, v79
	v_mov_b32_e32 v6, 0
	v_mov_b32_e32 v7, 0
	v_add_co_u32 v15, vcc_lo, s18, v9
	v_add_co_ci_u32_e64 v16, null, s19, v10, vcc_lo
	v_ashrrev_i32_e32 v9, 31, v8
	s_and_b32 vcc_lo, exec_lo, s1
	s_cbranch_vccnz .LBB125_12
; %bb.11:
	v_lshlrev_b64 v[2:3], 3, v[8:9]
	v_add_co_u32 v2, vcc_lo, v15, v2
	v_add_co_ci_u32_e64 v3, null, v16, v3, vcc_lo
	s_clause 0x1
	flat_load_dwordx2 v[6:7], v[2:3]
	flat_load_dwordx2 v[10:11], v[2:3] offset:512
	s_waitcnt vmcnt(1) lgkmcnt(1)
	v_mul_f64 v[2:3], s[8:9], v[6:7]
	s_waitcnt vmcnt(0) lgkmcnt(0)
	v_mul_f64 v[6:7], s[8:9], v[10:11]
.LBB125_12:
	v_mov_b32_e32 v66, 0
	v_mov_b32_e32 v10, 0
	;; [unrolled: 1-line block ×6, first 2 shown]
	s_and_b32 vcc_lo, exec_lo, s1
	s_cbranch_vccnz .LBB125_14
; %bb.13:
	v_lshlrev_b64 v[10:11], 3, v[8:9]
	v_add_co_u32 v10, vcc_lo, v15, v10
	v_add_co_ci_u32_e64 v11, null, v16, v11, vcc_lo
	s_clause 0x1
	flat_load_dwordx2 v[12:13], v[10:11] offset:1024
	flat_load_dwordx2 v[15:16], v[10:11] offset:1536
	s_waitcnt vmcnt(1) lgkmcnt(1)
	v_mul_f64 v[10:11], s[8:9], v[12:13]
	s_waitcnt vmcnt(0) lgkmcnt(0)
	v_mul_f64 v[12:13], s[8:9], v[15:16]
.LBB125_14:
	s_and_b32 vcc_lo, exec_lo, s1
	s_cbranch_vccnz .LBB125_16
; %bb.15:
	v_mad_i64_i32 v[14:15], null, v14, s7, 0
	v_lshlrev_b64 v[14:15], 3, v[14:15]
	v_add_co_u32 v14, vcc_lo, s16, v14
	v_add_co_ci_u32_e64 v15, null, s17, v15, vcc_lo
	v_add_co_u32 v14, vcc_lo, v14, v76
	v_add_co_ci_u32_e64 v15, null, 0, v15, vcc_lo
	flat_load_dwordx2 v[14:15], v[14:15] offset:32
	s_waitcnt vmcnt(0) lgkmcnt(0)
	v_mul_f64 v[66:67], s[8:9], v[14:15]
.LBB125_16:
	v_add_nc_u32_e32 v14, 4, v77
	v_mov_b32_e32 v68, 0
	v_mov_b32_e32 v70, 0
	;; [unrolled: 1-line block ×4, first 2 shown]
	v_mad_i64_i32 v[14:15], null, s14, v14, 0
	v_mov_b32_e32 v71, 0
	v_mov_b32_e32 v73, 0
	v_lshlrev_b64 v[14:15], 3, v[14:15]
	v_add_co_u32 v14, vcc_lo, s18, v14
	v_add_co_ci_u32_e64 v15, null, s19, v15, vcc_lo
	s_and_b32 vcc_lo, exec_lo, s1
	s_cbranch_vccnz .LBB125_18
; %bb.17:
	v_lshlrev_b64 v[16:17], 3, v[8:9]
	v_add_co_u32 v16, vcc_lo, v14, v16
	v_add_co_ci_u32_e64 v17, null, v15, v17, vcc_lo
	s_clause 0x1
	flat_load_dwordx2 v[18:19], v[16:17]
	flat_load_dwordx2 v[16:17], v[16:17] offset:512
	s_waitcnt vmcnt(1) lgkmcnt(1)
	v_mul_f64 v[70:71], s[8:9], v[18:19]
	s_waitcnt vmcnt(0) lgkmcnt(0)
	v_mul_f64 v[72:73], s[8:9], v[16:17]
.LBB125_18:
	v_mov_b32_e32 v74, 0
	v_mov_b32_e32 v75, 0
	s_and_b32 vcc_lo, exec_lo, s1
	s_cbranch_vccnz .LBB125_20
; %bb.19:
	v_lshlrev_b64 v[8:9], 3, v[8:9]
	v_add_co_u32 v8, vcc_lo, v14, v8
	v_add_co_ci_u32_e64 v9, null, v15, v9, vcc_lo
	s_clause 0x1
	flat_load_dwordx2 v[14:15], v[8:9] offset:1024
	flat_load_dwordx2 v[8:9], v[8:9] offset:1536
	s_waitcnt vmcnt(1) lgkmcnt(1)
	v_mul_f64 v[68:69], s[8:9], v[14:15]
	s_waitcnt vmcnt(0) lgkmcnt(0)
	v_mul_f64 v[74:75], s[8:9], v[8:9]
.LBB125_20:
	v_lshl_or_b32 v80, v78, 5, v76
	s_load_dwordx2 s[12:13], s[12:13], 0x0
	s_load_dword s23, s[4:5], 0x8
	v_lshlrev_b32_e32 v149, 5, v0
	v_lshlrev_b32_e32 v148, 5, v1
	ds_write_b64 v80, v[4:5] offset:16384
	v_lshlrev_b32_e32 v4, 5, v79
	v_lshl_add_u32 v150, v77, 3, v4
	ds_write2st64_b64 v150, v[2:3], v[6:7] offset1:4
	ds_write2st64_b64 v150, v[10:11], v[12:13] offset0:8 offset1:12
	s_waitcnt lgkmcnt(0)
	s_barrier
	buffer_gl0_inv
	ds_read_b128 v[10:13], v149 offset:16640
	ds_read_b128 v[14:17], v149 offset:16896
	;; [unrolled: 1-line block ×16, first 2 shown]
	ds_read_b128 v[85:88], v148
	ds_read_b128 v[6:9], v148 offset:16
	s_cmp_lt_i32 s23, 9
	s_waitcnt lgkmcnt(1)
	v_add_f64 v[89:90], v[83:84], v[87:88]
	v_add_f64 v[91:92], v[81:82], v[85:86]
	s_waitcnt lgkmcnt(0)
	v_add_f64 v[145:146], v[4:5], v[8:9]
	v_add_f64 v[151:152], v[2:3], v[6:7]
	v_cvt_f32_f64_e32 v89, v[89:90]
	v_cvt_f32_f64_e32 v91, v[91:92]
	;; [unrolled: 1-line block ×4, first 2 shown]
	v_min3_f32 v144, v91, v89, 0x7f800000
	v_add_f64 v[89:90], v[12:13], v[87:88]
	v_add_f64 v[91:92], v[10:11], v[85:86]
	v_min3_f32 v222, v147, v145, v144
	v_cvt_f32_f64_e32 v89, v[89:90]
	v_cvt_f32_f64_e32 v91, v[91:92]
	v_min3_f32 v143, v91, v89, 0x7f800000
	v_add_f64 v[89:90], v[16:17], v[87:88]
	v_add_f64 v[91:92], v[14:15], v[85:86]
	v_cvt_f32_f64_e32 v89, v[89:90]
	v_cvt_f32_f64_e32 v91, v[91:92]
	v_min3_f32 v142, v91, v89, 0x7f800000
	v_add_f64 v[89:90], v[20:21], v[87:88]
	v_add_f64 v[91:92], v[18:19], v[85:86]
	;; [unrolled: 5-line block ×5, first 2 shown]
	v_add_f64 v[87:88], v[36:37], v[87:88]
	v_add_f64 v[85:86], v[34:35], v[85:86]
	v_cvt_f32_f64_e32 v89, v[89:90]
	v_cvt_f32_f64_e32 v91, v[91:92]
	v_cvt_f32_f64_e32 v85, v[85:86]
	v_cvt_f32_f64_e32 v86, v[87:88]
	v_add_f64 v[87:88], v[81:82], v[38:39]
	v_min3_f32 v138, v91, v89, 0x7f800000
	v_min3_f32 v137, v85, v86, 0x7f800000
	v_add_f64 v[85:86], v[83:84], v[40:41]
	v_cvt_f32_f64_e32 v87, v[87:88]
	v_cvt_f32_f64_e32 v85, v[85:86]
	v_min3_f32 v136, v87, v85, 0x7f800000
	v_add_f64 v[85:86], v[12:13], v[40:41]
	v_add_f64 v[87:88], v[10:11], v[38:39]
	v_cvt_f32_f64_e32 v85, v[85:86]
	v_cvt_f32_f64_e32 v87, v[87:88]
	v_min3_f32 v135, v87, v85, 0x7f800000
	v_add_f64 v[85:86], v[16:17], v[40:41]
	;; [unrolled: 5-line block ×6, first 2 shown]
	v_add_f64 v[87:88], v[30:31], v[38:39]
	v_add_f64 v[40:41], v[36:37], v[40:41]
	;; [unrolled: 1-line block ×3, first 2 shown]
	v_cvt_f32_f64_e32 v85, v[85:86]
	v_cvt_f32_f64_e32 v87, v[87:88]
	;; [unrolled: 1-line block ×4, first 2 shown]
	v_add_f64 v[40:41], v[81:82], v[42:43]
	v_min3_f32 v130, v87, v85, 0x7f800000
	v_min3_f32 v129, v38, v39, 0x7f800000
	v_add_f64 v[38:39], v[83:84], v[44:45]
	v_cvt_f32_f64_e32 v40, v[40:41]
	v_cvt_f32_f64_e32 v38, v[38:39]
	v_min3_f32 v128, v40, v38, 0x7f800000
	v_add_f64 v[38:39], v[12:13], v[44:45]
	v_add_f64 v[40:41], v[10:11], v[42:43]
	v_cvt_f32_f64_e32 v38, v[38:39]
	v_cvt_f32_f64_e32 v40, v[40:41]
	v_min3_f32 v127, v40, v38, 0x7f800000
	v_add_f64 v[38:39], v[16:17], v[44:45]
	;; [unrolled: 5-line block ×33, first 2 shown]
	v_add_f64 v[40:41], v[10:11], v[58:59]
	v_add_f64 v[12:13], v[12:13], v[64:65]
	;; [unrolled: 1-line block ×3, first 2 shown]
	v_cvt_f32_f64_e32 v38, v[38:39]
	v_cvt_f32_f64_e32 v40, v[40:41]
	;; [unrolled: 1-line block ×4, first 2 shown]
	v_add_f64 v[12:13], v[14:15], v[62:63]
	v_min3_f32 v95, v40, v38, 0x7f800000
	v_add_f64 v[38:39], v[16:17], v[60:61]
	v_add_f64 v[40:41], v[14:15], v[58:59]
	v_min3_f32 v87, v10, v11, 0x7f800000
	v_add_f64 v[10:11], v[16:17], v[64:65]
	v_cvt_f32_f64_e32 v12, v[12:13]
	v_cvt_f32_f64_e32 v38, v[38:39]
	;; [unrolled: 1-line block ×4, first 2 shown]
	v_min3_f32 v94, v40, v38, 0x7f800000
	v_add_f64 v[38:39], v[20:21], v[60:61]
	v_add_f64 v[40:41], v[18:19], v[58:59]
	v_min3_f32 v86, v12, v10, 0x7f800000
	v_add_f64 v[10:11], v[20:21], v[64:65]
	v_add_f64 v[12:13], v[18:19], v[62:63]
	v_cvt_f32_f64_e32 v38, v[38:39]
	v_cvt_f32_f64_e32 v40, v[40:41]
	;; [unrolled: 1-line block ×4, first 2 shown]
	v_min3_f32 v93, v40, v38, 0x7f800000
	v_add_f64 v[38:39], v[24:25], v[60:61]
	v_add_f64 v[40:41], v[22:23], v[58:59]
	v_min3_f32 v85, v12, v10, 0x7f800000
	v_add_f64 v[10:11], v[24:25], v[64:65]
	v_add_f64 v[12:13], v[22:23], v[62:63]
	v_cvt_f32_f64_e32 v38, v[38:39]
	v_cvt_f32_f64_e32 v40, v[40:41]
	;; [unrolled: 1-line block ×4, first 2 shown]
	v_min3_f32 v92, v40, v38, 0x7f800000
	v_add_f64 v[38:39], v[28:29], v[60:61]
	v_add_f64 v[40:41], v[26:27], v[58:59]
	v_cvt_f32_f64_e32 v38, v[38:39]
	v_cvt_f32_f64_e32 v40, v[40:41]
	v_min3_f32 v91, v40, v38, 0x7f800000
	v_add_f64 v[38:39], v[32:33], v[60:61]
	v_add_f64 v[40:41], v[30:31], v[58:59]
	v_cvt_f32_f64_e32 v38, v[38:39]
	v_cvt_f32_f64_e32 v40, v[40:41]
	;; [unrolled: 5-line block ×3, first 2 shown]
	v_min3_f32 v89, v40, v38, 0x7f800000
	v_add_f64 v[38:39], v[83:84], v[64:65]
	v_min3_f32 v84, v12, v10, 0x7f800000
	v_add_f64 v[10:11], v[28:29], v[64:65]
	v_add_f64 v[12:13], v[26:27], v[62:63]
	;; [unrolled: 1-line block ×3, first 2 shown]
	v_cvt_f32_f64_e32 v38, v[38:39]
	v_cvt_f32_f64_e32 v10, v[10:11]
	;; [unrolled: 1-line block ×4, first 2 shown]
	v_min3_f32 v83, v12, v10, 0x7f800000
	v_add_f64 v[10:11], v[32:33], v[64:65]
	v_add_f64 v[12:13], v[30:31], v[62:63]
	v_min3_f32 v88, v40, v38, 0x7f800000
	v_cvt_f32_f64_e32 v10, v[10:11]
	v_cvt_f32_f64_e32 v12, v[12:13]
	v_min3_f32 v82, v12, v10, 0x7f800000
	v_add_f64 v[10:11], v[36:37], v[64:65]
	v_add_f64 v[12:13], v[34:35], v[62:63]
	v_cvt_f32_f64_e32 v10, v[10:11]
	v_cvt_f32_f64_e32 v12, v[12:13]
	v_min3_f32 v81, v12, v10, 0x7f800000
	ds_read_b128 v[34:37], v149 offset:16656
	ds_read_b128 v[30:33], v149 offset:16912
	;; [unrolled: 1-line block ×14, first 2 shown]
	ds_write_b64 v80, v[66:67] offset:18432
	ds_write2st64_b64 v150, v[70:71], v[72:73] offset0:16 offset1:20
	ds_write2st64_b64 v150, v[68:69], v[74:75] offset0:24 offset1:28
	s_waitcnt lgkmcnt(0)
	s_barrier
	buffer_gl0_inv
	v_add_f64 v[144:145], v[36:37], v[8:9]
	v_add_f64 v[146:147], v[34:35], v[6:7]
	v_cvt_f32_f64_e32 v144, v[144:145]
	v_cvt_f32_f64_e32 v146, v[146:147]
	v_min3_f32 v220, v146, v144, v143
	v_add_f64 v[143:144], v[32:33], v[8:9]
	v_add_f64 v[145:146], v[30:31], v[6:7]
	v_cvt_f32_f64_e32 v143, v[143:144]
	v_cvt_f32_f64_e32 v145, v[145:146]
	v_min3_f32 v221, v145, v143, v142
	;; [unrolled: 5-line block ×5, first 2 shown]
	v_add_f64 v[139:140], v[16:17], v[8:9]
	v_add_f64 v[141:142], v[14:15], v[6:7]
	;; [unrolled: 1-line block ×4, first 2 shown]
	v_cvt_f32_f64_e32 v139, v[139:140]
	v_cvt_f32_f64_e32 v141, v[141:142]
	;; [unrolled: 1-line block ×4, first 2 shown]
	v_add_f64 v[8:9], v[2:3], v[62:63]
	v_min3_f32 v217, v141, v139, v138
	v_min3_f32 v214, v6, v7, v137
	v_add_f64 v[6:7], v[4:5], v[64:65]
	v_cvt_f32_f64_e32 v8, v[8:9]
	v_cvt_f32_f64_e32 v6, v[6:7]
	v_min3_f32 v215, v8, v6, v136
	v_add_f64 v[6:7], v[36:37], v[64:65]
	v_add_f64 v[8:9], v[34:35], v[62:63]
	v_cvt_f32_f64_e32 v6, v[6:7]
	v_cvt_f32_f64_e32 v8, v[8:9]
	v_min3_f32 v212, v8, v6, v135
	v_add_f64 v[6:7], v[32:33], v[64:65]
	v_add_f64 v[8:9], v[30:31], v[62:63]
	v_cvt_f32_f64_e32 v6, v[6:7]
	v_cvt_f32_f64_e32 v8, v[8:9]
	v_min3_f32 v213, v8, v6, v134
	v_add_f64 v[6:7], v[28:29], v[64:65]
	v_add_f64 v[8:9], v[26:27], v[62:63]
	v_cvt_f32_f64_e32 v6, v[6:7]
	v_cvt_f32_f64_e32 v8, v[8:9]
	v_min3_f32 v210, v8, v6, v133
	v_add_f64 v[6:7], v[24:25], v[64:65]
	v_add_f64 v[8:9], v[22:23], v[62:63]
	v_cvt_f32_f64_e32 v6, v[6:7]
	v_cvt_f32_f64_e32 v8, v[8:9]
	v_min3_f32 v211, v8, v6, v132
	v_add_f64 v[6:7], v[20:21], v[64:65]
	v_add_f64 v[8:9], v[18:19], v[62:63]
	v_cvt_f32_f64_e32 v6, v[6:7]
	v_cvt_f32_f64_e32 v8, v[8:9]
	v_min3_f32 v208, v8, v6, v131
	v_add_f64 v[6:7], v[16:17], v[64:65]
	v_add_f64 v[8:9], v[14:15], v[62:63]
	v_cvt_f32_f64_e32 v6, v[6:7]
	v_cvt_f32_f64_e32 v8, v[8:9]
	v_min3_f32 v209, v8, v6, v130
	v_add_f64 v[6:7], v[12:13], v[64:65]
	v_add_f64 v[8:9], v[10:11], v[62:63]
	v_cvt_f32_f64_e32 v6, v[6:7]
	v_cvt_f32_f64_e32 v8, v[8:9]
	v_min3_f32 v207, v8, v6, v129
	v_add_f64 v[6:7], v[4:5], v[60:61]
	v_add_f64 v[8:9], v[2:3], v[58:59]
	v_cvt_f32_f64_e32 v6, v[6:7]
	v_cvt_f32_f64_e32 v8, v[8:9]
	v_min3_f32 v206, v8, v6, v128
	v_add_f64 v[6:7], v[36:37], v[60:61]
	v_add_f64 v[8:9], v[34:35], v[58:59]
	v_cvt_f32_f64_e32 v6, v[6:7]
	v_cvt_f32_f64_e32 v8, v[8:9]
	v_min3_f32 v204, v8, v6, v127
	v_add_f64 v[6:7], v[32:33], v[60:61]
	v_add_f64 v[8:9], v[30:31], v[58:59]
	v_cvt_f32_f64_e32 v6, v[6:7]
	v_cvt_f32_f64_e32 v8, v[8:9]
	v_min3_f32 v205, v8, v6, v126
	v_add_f64 v[6:7], v[28:29], v[60:61]
	v_add_f64 v[8:9], v[26:27], v[58:59]
	v_cvt_f32_f64_e32 v6, v[6:7]
	v_cvt_f32_f64_e32 v8, v[8:9]
	v_min3_f32 v202, v8, v6, v125
	v_add_f64 v[6:7], v[24:25], v[60:61]
	v_add_f64 v[8:9], v[22:23], v[58:59]
	v_cvt_f32_f64_e32 v6, v[6:7]
	v_cvt_f32_f64_e32 v8, v[8:9]
	v_min3_f32 v203, v8, v6, v124
	v_add_f64 v[6:7], v[20:21], v[60:61]
	v_add_f64 v[8:9], v[18:19], v[58:59]
	v_cvt_f32_f64_e32 v6, v[6:7]
	v_cvt_f32_f64_e32 v8, v[8:9]
	v_min3_f32 v200, v8, v6, v123
	v_add_f64 v[6:7], v[16:17], v[60:61]
	v_add_f64 v[8:9], v[14:15], v[58:59]
	v_cvt_f32_f64_e32 v6, v[6:7]
	v_cvt_f32_f64_e32 v8, v[8:9]
	v_min3_f32 v201, v8, v6, v122
	v_add_f64 v[6:7], v[12:13], v[60:61]
	v_add_f64 v[8:9], v[10:11], v[58:59]
	v_cvt_f32_f64_e32 v6, v[6:7]
	v_cvt_f32_f64_e32 v8, v[8:9]
	v_min3_f32 v198, v8, v6, v121
	v_add_f64 v[6:7], v[4:5], v[56:57]
	v_add_f64 v[8:9], v[2:3], v[54:55]
	v_cvt_f32_f64_e32 v6, v[6:7]
	v_cvt_f32_f64_e32 v8, v[8:9]
	v_min3_f32 v199, v8, v6, v120
	v_add_f64 v[6:7], v[36:37], v[56:57]
	v_add_f64 v[8:9], v[34:35], v[54:55]
	v_cvt_f32_f64_e32 v6, v[6:7]
	v_cvt_f32_f64_e32 v8, v[8:9]
	v_min3_f32 v196, v8, v6, v119
	v_add_f64 v[6:7], v[32:33], v[56:57]
	v_add_f64 v[8:9], v[30:31], v[54:55]
	v_cvt_f32_f64_e32 v6, v[6:7]
	v_cvt_f32_f64_e32 v8, v[8:9]
	v_min3_f32 v197, v8, v6, v118
	v_add_f64 v[6:7], v[28:29], v[56:57]
	v_add_f64 v[8:9], v[26:27], v[54:55]
	v_cvt_f32_f64_e32 v6, v[6:7]
	v_cvt_f32_f64_e32 v8, v[8:9]
	v_min3_f32 v194, v8, v6, v117
	v_add_f64 v[6:7], v[24:25], v[56:57]
	v_add_f64 v[8:9], v[22:23], v[54:55]
	v_cvt_f32_f64_e32 v6, v[6:7]
	v_cvt_f32_f64_e32 v8, v[8:9]
	v_min3_f32 v195, v8, v6, v116
	v_add_f64 v[6:7], v[20:21], v[56:57]
	v_add_f64 v[8:9], v[18:19], v[54:55]
	v_cvt_f32_f64_e32 v6, v[6:7]
	v_cvt_f32_f64_e32 v8, v[8:9]
	v_min3_f32 v192, v8, v6, v115
	v_add_f64 v[6:7], v[16:17], v[56:57]
	v_add_f64 v[8:9], v[14:15], v[54:55]
	v_cvt_f32_f64_e32 v6, v[6:7]
	v_cvt_f32_f64_e32 v8, v[8:9]
	v_min3_f32 v193, v8, v6, v114
	v_add_f64 v[6:7], v[12:13], v[56:57]
	v_add_f64 v[8:9], v[10:11], v[54:55]
	v_cvt_f32_f64_e32 v6, v[6:7]
	v_cvt_f32_f64_e32 v8, v[8:9]
	v_min3_f32 v190, v8, v6, v113
	v_add_f64 v[6:7], v[4:5], v[52:53]
	v_add_f64 v[8:9], v[2:3], v[50:51]
	v_cvt_f32_f64_e32 v6, v[6:7]
	v_cvt_f32_f64_e32 v8, v[8:9]
	v_min3_f32 v191, v8, v6, v112
	v_add_f64 v[6:7], v[36:37], v[52:53]
	v_add_f64 v[8:9], v[34:35], v[50:51]
	v_cvt_f32_f64_e32 v6, v[6:7]
	v_cvt_f32_f64_e32 v8, v[8:9]
	v_min3_f32 v188, v8, v6, v111
	v_add_f64 v[6:7], v[32:33], v[52:53]
	v_add_f64 v[8:9], v[30:31], v[50:51]
	v_cvt_f32_f64_e32 v6, v[6:7]
	v_cvt_f32_f64_e32 v8, v[8:9]
	v_min3_f32 v189, v8, v6, v110
	v_add_f64 v[6:7], v[28:29], v[52:53]
	v_add_f64 v[8:9], v[26:27], v[50:51]
	v_cvt_f32_f64_e32 v6, v[6:7]
	v_cvt_f32_f64_e32 v8, v[8:9]
	v_min3_f32 v186, v8, v6, v109
	v_add_f64 v[6:7], v[24:25], v[52:53]
	v_add_f64 v[8:9], v[22:23], v[50:51]
	v_cvt_f32_f64_e32 v6, v[6:7]
	v_cvt_f32_f64_e32 v8, v[8:9]
	v_min3_f32 v187, v8, v6, v108
	v_add_f64 v[6:7], v[20:21], v[52:53]
	v_add_f64 v[8:9], v[18:19], v[50:51]
	v_cvt_f32_f64_e32 v6, v[6:7]
	v_cvt_f32_f64_e32 v8, v[8:9]
	v_min3_f32 v185, v8, v6, v107
	v_add_f64 v[6:7], v[16:17], v[52:53]
	v_add_f64 v[8:9], v[14:15], v[50:51]
	v_cvt_f32_f64_e32 v6, v[6:7]
	v_cvt_f32_f64_e32 v8, v[8:9]
	v_min3_f32 v184, v8, v6, v106
	v_add_f64 v[6:7], v[12:13], v[52:53]
	v_add_f64 v[8:9], v[10:11], v[50:51]
	v_cvt_f32_f64_e32 v6, v[6:7]
	v_cvt_f32_f64_e32 v8, v[8:9]
	v_min3_f32 v182, v8, v6, v105
	v_add_f64 v[6:7], v[4:5], v[48:49]
	v_add_f64 v[8:9], v[2:3], v[46:47]
	v_cvt_f32_f64_e32 v6, v[6:7]
	v_cvt_f32_f64_e32 v8, v[8:9]
	v_min3_f32 v183, v8, v6, v104
	v_add_f64 v[6:7], v[36:37], v[48:49]
	v_add_f64 v[8:9], v[34:35], v[46:47]
	v_cvt_f32_f64_e32 v6, v[6:7]
	v_cvt_f32_f64_e32 v8, v[8:9]
	v_min3_f32 v180, v8, v6, v103
	v_add_f64 v[6:7], v[32:33], v[48:49]
	v_add_f64 v[8:9], v[30:31], v[46:47]
	v_cvt_f32_f64_e32 v6, v[6:7]
	v_cvt_f32_f64_e32 v8, v[8:9]
	v_min3_f32 v181, v8, v6, v102
	v_add_f64 v[6:7], v[28:29], v[48:49]
	v_add_f64 v[8:9], v[26:27], v[46:47]
	v_cvt_f32_f64_e32 v6, v[6:7]
	v_cvt_f32_f64_e32 v8, v[8:9]
	v_min3_f32 v178, v8, v6, v101
	v_add_f64 v[6:7], v[24:25], v[48:49]
	v_add_f64 v[8:9], v[22:23], v[46:47]
	v_cvt_f32_f64_e32 v6, v[6:7]
	v_cvt_f32_f64_e32 v8, v[8:9]
	v_min3_f32 v179, v8, v6, v100
	v_add_f64 v[6:7], v[20:21], v[48:49]
	v_add_f64 v[8:9], v[18:19], v[46:47]
	v_cvt_f32_f64_e32 v6, v[6:7]
	v_cvt_f32_f64_e32 v8, v[8:9]
	v_min3_f32 v176, v8, v6, v99
	v_add_f64 v[6:7], v[16:17], v[48:49]
	v_add_f64 v[8:9], v[14:15], v[46:47]
	v_cvt_f32_f64_e32 v6, v[6:7]
	v_cvt_f32_f64_e32 v8, v[8:9]
	v_min3_f32 v177, v8, v6, v98
	v_add_f64 v[6:7], v[12:13], v[48:49]
	v_add_f64 v[8:9], v[10:11], v[46:47]
	v_cvt_f32_f64_e32 v6, v[6:7]
	v_cvt_f32_f64_e32 v8, v[8:9]
	v_min3_f32 v170, v8, v6, v97
	v_add_f64 v[6:7], v[4:5], v[44:45]
	v_add_f64 v[8:9], v[2:3], v[42:43]
	v_add_f64 v[4:5], v[4:5], v[40:41]
	;; [unrolled: 1-line block ×3, first 2 shown]
	v_cvt_f32_f64_e32 v6, v[6:7]
	v_cvt_f32_f64_e32 v8, v[8:9]
	;; [unrolled: 1-line block ×4, first 2 shown]
	v_add_f64 v[4:5], v[34:35], v[38:39]
	v_min3_f32 v173, v8, v6, v96
	v_add_f64 v[6:7], v[36:37], v[44:45]
	v_add_f64 v[8:9], v[34:35], v[42:43]
	v_min3_f32 v158, v2, v3, v88
	v_add_f64 v[2:3], v[36:37], v[40:41]
	v_cvt_f32_f64_e32 v4, v[4:5]
	v_cvt_f32_f64_e32 v6, v[6:7]
	v_cvt_f32_f64_e32 v8, v[8:9]
	v_cvt_f32_f64_e32 v2, v[2:3]
	v_min3_f32 v164, v8, v6, v95
	v_add_f64 v[6:7], v[32:33], v[44:45]
	v_add_f64 v[8:9], v[30:31], v[42:43]
	v_min3_f32 v157, v4, v2, v87
	v_add_f64 v[2:3], v[32:33], v[40:41]
	v_add_f64 v[4:5], v[30:31], v[38:39]
	v_cvt_f32_f64_e32 v6, v[6:7]
	v_cvt_f32_f64_e32 v8, v[8:9]
	v_cvt_f32_f64_e32 v2, v[2:3]
	v_cvt_f32_f64_e32 v4, v[4:5]
	v_min3_f32 v165, v8, v6, v94
	v_add_f64 v[6:7], v[28:29], v[44:45]
	v_add_f64 v[8:9], v[26:27], v[42:43]
	v_min3_f32 v156, v4, v2, v86
	v_add_f64 v[2:3], v[28:29], v[40:41]
	;; [unrolled: 10-line block ×6, first 2 shown]
	v_add_f64 v[4:5], v[10:11], v[38:39]
	v_cvt_f32_f64_e32 v6, v[6:7]
	v_cvt_f32_f64_e32 v8, v[8:9]
	;; [unrolled: 1-line block ×4, first 2 shown]
	v_min3_f32 v159, v8, v6, v89
	v_min3_f32 v151, v4, v2, v81
	s_cbranch_scc1 .LBB125_35
; %bb.21:
	v_lshl_add_u32 v2, s6, 6, v78
	s_lshl_b32 s6, s22, 6
	v_add_nc_u32_e32 v4, s21, v79
	v_add_nc_u32_e32 v6, 12, v77
	v_add_nc_u32_e32 v8, 8, v77
	v_subrev_nc_u32_e32 v2, s6, v2
	v_add_nc_u32_e32 v166, 0x4000, v80
	v_ashrrev_i32_e32 v5, 31, v4
	v_mad_i64_i32 v[6:7], null, v6, s14, 0
	v_mad_i64_i32 v[2:3], null, s7, v2, 0
	;; [unrolled: 1-line block ×3, first 2 shown]
	v_lshlrev_b64 v[4:5], 3, v[4:5]
	v_or_b32_e32 v167, 0x4000, v149
	v_lshlrev_b64 v[130:131], 3, v[6:7]
	v_add_nc_u32_e32 v168, 0x4800, v80
	v_lshlrev_b64 v[2:3], 3, v[2:3]
	v_or_b32_e32 v169, 0x2000, v150
	v_lshlrev_b64 v[132:133], 3, v[8:9]
	v_lshl_add_u32 v171, v0, 5, 0x4800
	v_lshl_or_b32 v172, v1, 5, 0x2000
	s_lshl_b64 s[6:7], s[14:15], 6
	v_add_co_u32 v2, vcc_lo, v2, v76
	v_add_co_ci_u32_e64 v3, null, 0, v3, vcc_lo
	s_mov_b32 s14, 0
	v_add_co_u32 v2, vcc_lo, s16, v2
	v_add_co_ci_u32_e64 v3, null, s17, v3, vcc_lo
	s_add_i32 s16, s23, -8
	v_add_co_u32 v134, vcc_lo, v2, 64
	v_add_co_ci_u32_e64 v135, null, 0, v3, vcc_lo
	v_add_co_u32 v174, vcc_lo, s18, v4
	v_add_co_ci_u32_e64 v175, null, s19, v5, vcc_lo
	s_branch .LBB125_23
.LBB125_22:                             ;   in Loop: Header=BB125_23 Depth=1
	v_add_f64 v[146:147], v[100:101], v[128:129]
	v_add_f64 v[223:224], v[98:99], v[126:127]
	v_add_co_u32 v134, vcc_lo, v134, 64
	v_add_co_ci_u32_e64 v135, null, 0, v135, vcc_lo
	v_add_co_u32 v174, vcc_lo, v174, s6
	v_add_co_ci_u32_e64 v175, null, s7, v175, vcc_lo
	s_add_i32 s14, s14, 8
	s_cmp_ge_i32 s14, s16
	v_cvt_f32_f64_e32 v146, v[146:147]
	v_cvt_f32_f64_e32 v223, v[223:224]
	v_min3_f32 v222, v223, v146, v222
	v_add_f64 v[146:147], v[96:97], v[128:129]
	v_add_f64 v[223:224], v[94:95], v[126:127]
	v_cvt_f32_f64_e32 v146, v[146:147]
	v_cvt_f32_f64_e32 v223, v[223:224]
	v_min3_f32 v220, v223, v146, v220
	v_add_f64 v[146:147], v[92:93], v[128:129]
	v_add_f64 v[223:224], v[90:91], v[126:127]
	;; [unrolled: 5-line block ×3, first 2 shown]
	v_cvt_f32_f64_e32 v146, v[146:147]
	v_cvt_f32_f64_e32 v223, v[223:224]
	v_add_f64 v[224:225], v[82:83], v[126:127]
	v_min3_f32 v223, v223, v146, v218
	v_add_f64 v[146:147], v[84:85], v[128:129]
	v_cvt_f32_f64_e32 v218, v[224:225]
	v_add_f64 v[224:225], v[78:79], v[126:127]
	v_cvt_f32_f64_e32 v146, v[146:147]
	v_min3_f32 v219, v218, v146, v219
	v_add_f64 v[146:147], v[80:81], v[128:129]
	v_cvt_f32_f64_e32 v218, v[224:225]
	v_add_f64 v[224:225], v[70:71], v[126:127]
	v_add_f64 v[126:127], v[66:67], v[126:127]
	v_cvt_f32_f64_e32 v146, v[146:147]
	v_cvt_f32_f64_e32 v126, v[126:127]
	v_min3_f32 v216, v218, v146, v216
	v_add_f64 v[146:147], v[72:73], v[128:129]
	v_add_f64 v[128:129], v[68:69], v[128:129]
	v_cvt_f32_f64_e32 v218, v[224:225]
	v_cvt_f32_f64_e32 v146, v[146:147]
	;; [unrolled: 1-line block ×3, first 2 shown]
	v_add_f64 v[128:129], v[98:99], v[122:123]
	v_min3_f32 v217, v218, v146, v217
	v_min3_f32 v214, v126, v127, v214
	v_add_f64 v[126:127], v[100:101], v[124:125]
	v_cvt_f32_f64_e32 v128, v[128:129]
	v_add_f64 v[146:147], v[82:83], v[106:107]
	v_cvt_f32_f64_e32 v126, v[126:127]
	v_min3_f32 v218, v128, v126, v215
	v_add_f64 v[126:127], v[96:97], v[124:125]
	v_add_f64 v[128:129], v[94:95], v[122:123]
	v_cvt_f32_f64_e32 v126, v[126:127]
	v_cvt_f32_f64_e32 v128, v[128:129]
	v_min3_f32 v215, v128, v126, v212
	v_add_f64 v[126:127], v[92:93], v[124:125]
	v_add_f64 v[128:129], v[90:91], v[122:123]
	v_cvt_f32_f64_e32 v126, v[126:127]
	;; [unrolled: 5-line block ×5, first 2 shown]
	v_cvt_f32_f64_e32 v128, v[128:129]
	v_min3_f32 v208, v128, v126, v208
	v_add_f64 v[126:127], v[72:73], v[124:125]
	v_add_f64 v[128:129], v[70:71], v[122:123]
	;; [unrolled: 1-line block ×4, first 2 shown]
	v_cvt_f32_f64_e32 v126, v[126:127]
	v_cvt_f32_f64_e32 v128, v[128:129]
	;; [unrolled: 1-line block ×4, first 2 shown]
	v_add_f64 v[124:125], v[98:99], v[118:119]
	v_min3_f32 v209, v128, v126, v209
	v_min3_f32 v207, v122, v123, v207
	v_add_f64 v[122:123], v[100:101], v[120:121]
	v_cvt_f32_f64_e32 v124, v[124:125]
	v_cvt_f32_f64_e32 v122, v[122:123]
	v_min3_f32 v206, v124, v122, v206
	v_add_f64 v[122:123], v[96:97], v[120:121]
	v_add_f64 v[124:125], v[94:95], v[118:119]
	v_cvt_f32_f64_e32 v122, v[122:123]
	v_cvt_f32_f64_e32 v124, v[124:125]
	v_min3_f32 v204, v124, v122, v204
	v_add_f64 v[122:123], v[92:93], v[120:121]
	;; [unrolled: 5-line block ×6, first 2 shown]
	v_add_f64 v[124:125], v[70:71], v[118:119]
	v_add_f64 v[120:121], v[68:69], v[120:121]
	;; [unrolled: 1-line block ×3, first 2 shown]
	v_cvt_f32_f64_e32 v122, v[122:123]
	v_cvt_f32_f64_e32 v124, v[124:125]
	;; [unrolled: 1-line block ×4, first 2 shown]
	v_add_f64 v[120:121], v[98:99], v[114:115]
	v_min3_f32 v201, v124, v122, v201
	v_min3_f32 v198, v118, v119, v198
	v_add_f64 v[118:119], v[100:101], v[116:117]
	v_cvt_f32_f64_e32 v120, v[120:121]
	v_cvt_f32_f64_e32 v118, v[118:119]
	v_min3_f32 v199, v120, v118, v199
	v_add_f64 v[118:119], v[96:97], v[116:117]
	v_add_f64 v[120:121], v[94:95], v[114:115]
	v_cvt_f32_f64_e32 v118, v[118:119]
	v_cvt_f32_f64_e32 v120, v[120:121]
	v_min3_f32 v196, v120, v118, v196
	v_add_f64 v[118:119], v[92:93], v[116:117]
	;; [unrolled: 5-line block ×3, first 2 shown]
	v_add_f64 v[120:121], v[86:87], v[114:115]
	v_cvt_f32_f64_e32 v118, v[118:119]
	v_cvt_f32_f64_e32 v120, v[120:121]
	v_add_f64 v[121:122], v[82:83], v[114:115]
	v_min3_f32 v118, v120, v118, v194
	v_add_f64 v[119:120], v[84:85], v[116:117]
	v_cvt_f32_f64_e32 v121, v[121:122]
	v_add_f64 v[122:123], v[78:79], v[114:115]
	v_cvt_f32_f64_e32 v119, v[119:120]
	v_cvt_f32_f64_e32 v122, v[122:123]
	v_add_f64 v[123:124], v[70:71], v[114:115]
	v_add_f64 v[114:115], v[66:67], v[114:115]
	v_min3_f32 v119, v121, v119, v195
	v_add_f64 v[120:121], v[80:81], v[116:117]
	v_cvt_f32_f64_e32 v123, v[123:124]
	v_cvt_f32_f64_e32 v114, v[114:115]
	v_add_f64 v[124:125], v[90:91], v[110:111]
	v_cvt_f32_f64_e32 v120, v[120:121]
	v_min3_f32 v120, v122, v120, v192
	v_add_f64 v[121:122], v[72:73], v[116:117]
	v_add_f64 v[116:117], v[68:69], v[116:117]
	v_cvt_f32_f64_e32 v121, v[121:122]
	v_cvt_f32_f64_e32 v115, v[116:117]
	v_min3_f32 v121, v123, v121, v193
	v_min3_f32 v114, v114, v115, v190
	v_add_f64 v[115:116], v[100:101], v[112:113]
	v_add_f64 v[122:123], v[98:99], v[110:111]
	v_cvt_f32_f64_e32 v115, v[115:116]
	v_cvt_f32_f64_e32 v117, v[122:123]
	v_add_f64 v[122:123], v[94:95], v[110:111]
	v_min3_f32 v115, v117, v115, v191
	v_add_f64 v[116:117], v[96:97], v[112:113]
	v_cvt_f32_f64_e32 v122, v[122:123]
	v_cvt_f32_f64_e32 v116, v[116:117]
	;; [unrolled: 1-line block ×3, first 2 shown]
	v_add_f64 v[124:125], v[86:87], v[110:111]
	v_min3_f32 v116, v122, v116, v188
	v_add_f64 v[122:123], v[92:93], v[112:113]
	v_cvt_f32_f64_e32 v124, v[124:125]
	v_add_f64 v[125:126], v[82:83], v[110:111]
	v_cvt_f32_f64_e32 v122, v[122:123]
	v_cvt_f32_f64_e32 v125, v[125:126]
	v_add_f64 v[126:127], v[78:79], v[110:111]
	v_min3_f32 v117, v117, v122, v189
	v_add_f64 v[122:123], v[88:89], v[112:113]
	v_cvt_f32_f64_e32 v126, v[126:127]
	v_add_f64 v[127:128], v[70:71], v[110:111]
	v_add_f64 v[110:111], v[66:67], v[110:111]
	v_cvt_f32_f64_e32 v122, v[122:123]
	v_cvt_f32_f64_e32 v127, v[127:128]
	;; [unrolled: 1-line block ×3, first 2 shown]
	v_min3_f32 v122, v124, v122, v186
	v_add_f64 v[123:124], v[84:85], v[112:113]
	v_cvt_f32_f64_e32 v123, v[123:124]
	v_min3_f32 v123, v125, v123, v187
	v_add_f64 v[124:125], v[80:81], v[112:113]
	v_cvt_f32_f64_e32 v124, v[124:125]
	v_min3_f32 v124, v126, v124, v185
	v_add_f64 v[125:126], v[72:73], v[112:113]
	v_add_f64 v[112:113], v[68:69], v[112:113]
	v_cvt_f32_f64_e32 v125, v[125:126]
	v_cvt_f32_f64_e32 v111, v[112:113]
	v_min3_f32 v125, v127, v125, v184
	v_min3_f32 v112, v110, v111, v182
	v_add_f64 v[110:111], v[100:101], v[108:109]
	v_add_f64 v[126:127], v[98:99], v[106:107]
	v_cvt_f32_f64_e32 v110, v[110:111]
	v_cvt_f32_f64_e32 v113, v[126:127]
	v_add_f64 v[126:127], v[94:95], v[106:107]
	v_min3_f32 v113, v113, v110, v183
	v_add_f64 v[110:111], v[96:97], v[108:109]
	v_cvt_f32_f64_e32 v126, v[126:127]
	v_add_f64 v[127:128], v[90:91], v[106:107]
	v_cvt_f32_f64_e32 v110, v[110:111]
	v_cvt_f32_f64_e32 v127, v[127:128]
	v_add_f64 v[128:129], v[86:87], v[106:107]
	v_min3_f32 v126, v126, v110, v180
	v_add_f64 v[110:111], v[92:93], v[108:109]
	v_cvt_f32_f64_e32 v128, v[128:129]
	v_cvt_f32_f64_e32 v129, v[146:147]
	v_add_f64 v[146:147], v[78:79], v[106:107]
	v_cvt_f32_f64_e32 v110, v[110:111]
	v_cvt_f32_f64_e32 v146, v[146:147]
	v_min3_f32 v127, v127, v110, v181
	v_add_f64 v[110:111], v[88:89], v[108:109]
	v_cvt_f32_f64_e32 v110, v[110:111]
	v_min3_f32 v128, v128, v110, v178
	v_add_f64 v[110:111], v[84:85], v[108:109]
	;; [unrolled: 3-line block ×3, first 2 shown]
	v_add_f64 v[178:179], v[70:71], v[106:107]
	v_add_f64 v[106:107], v[66:67], v[106:107]
	v_cvt_f32_f64_e32 v110, v[110:111]
	v_cvt_f32_f64_e32 v147, v[178:179]
	;; [unrolled: 1-line block ×3, first 2 shown]
	v_min3_f32 v146, v146, v110, v176
	v_add_f64 v[110:111], v[72:73], v[108:109]
	v_add_f64 v[108:109], v[68:69], v[108:109]
	v_cvt_f32_f64_e32 v110, v[110:111]
	v_cvt_f32_f64_e32 v107, v[108:109]
	v_add_f64 v[108:109], v[98:99], v[102:103]
	v_add_f64 v[98:99], v[98:99], v[74:75]
	v_min3_f32 v147, v147, v110, v177
	v_min3_f32 v170, v106, v107, v170
	v_add_f64 v[106:107], v[100:101], v[104:105]
	v_cvt_f32_f64_e32 v108, v[108:109]
	v_add_f64 v[100:101], v[100:101], v[76:77]
	v_cvt_f32_f64_e32 v98, v[98:99]
	v_cvt_f32_f64_e32 v106, v[106:107]
	;; [unrolled: 1-line block ×3, first 2 shown]
	v_min3_f32 v173, v108, v106, v173
	v_add_f64 v[106:107], v[96:97], v[104:105]
	v_add_f64 v[108:109], v[94:95], v[102:103]
	;; [unrolled: 1-line block ×4, first 2 shown]
	v_min3_f32 v98, v98, v99, v158
	v_add_f64 v[99:100], v[10:11], v[46:47]
	v_cvt_f32_f64_e32 v106, v[106:107]
	v_cvt_f32_f64_e32 v108, v[108:109]
	v_add_f64 v[109:110], v[90:91], v[102:103]
	v_add_f64 v[90:91], v[90:91], v[74:75]
	v_cvt_f32_f64_e32 v94, v[94:95]
	v_cvt_f32_f64_e32 v95, v[96:97]
	v_min3_f32 v106, v108, v106, v164
	v_add_f64 v[107:108], v[92:93], v[104:105]
	v_cvt_f32_f64_e32 v109, v[109:110]
	v_add_f64 v[110:111], v[86:87], v[102:103]
	v_add_f64 v[86:87], v[86:87], v[74:75]
	;; [unrolled: 1-line block ×3, first 2 shown]
	v_cvt_f32_f64_e32 v90, v[90:91]
	v_min3_f32 v94, v94, v95, v157
	v_add_f64 v[95:96], v[6:7], v[50:51]
	v_cvt_f32_f64_e32 v107, v[107:108]
	v_cvt_f32_f64_e32 v110, v[110:111]
	;; [unrolled: 1-line block ×4, first 2 shown]
	v_min3_f32 v107, v109, v107, v165
	v_add_f64 v[108:109], v[88:89], v[104:105]
	v_add_f64 v[164:165], v[82:83], v[102:103]
	;; [unrolled: 1-line block ×4, first 2 shown]
	v_min3_f32 v90, v90, v91, v156
	v_add_f64 v[91:92], v[26:27], v[50:51]
	v_cvt_f32_f64_e32 v108, v[108:109]
	v_cvt_f32_f64_e32 v111, v[164:165]
	v_add_f64 v[164:165], v[70:71], v[102:103]
	v_add_f64 v[70:71], v[70:71], v[74:75]
	v_cvt_f32_f64_e32 v82, v[82:83]
	v_cvt_f32_f64_e32 v87, v[88:89]
	v_min3_f32 v108, v110, v108, v162
	v_add_f64 v[109:110], v[84:85], v[104:105]
	v_add_f64 v[84:85], v[84:85], v[76:77]
	v_cvt_f32_f64_e32 v70, v[70:71]
	v_min3_f32 v86, v86, v87, v154
	v_add_f64 v[87:88], v[14:15], v[54:55]
	v_cvt_f32_f64_e32 v109, v[109:110]
	v_cvt_f32_f64_e32 v83, v[84:85]
	v_min3_f32 v109, v111, v109, v163
	v_add_f64 v[110:111], v[80:81], v[104:105]
	v_add_f64 v[162:163], v[78:79], v[102:103]
	v_add_f64 v[102:103], v[66:67], v[102:103]
	v_add_f64 v[66:67], v[66:67], v[74:75]
	v_add_f64 v[78:79], v[78:79], v[74:75]
	v_add_f64 v[74:75], v[26:27], v[62:63]
	v_add_f64 v[80:81], v[80:81], v[76:77]
	v_min3_f32 v82, v82, v83, v155
	v_add_f64 v[83:84], v[10:11], v[58:59]
	v_cvt_f32_f64_e32 v110, v[110:111]
	v_cvt_f32_f64_e32 v162, v[162:163]
	;; [unrolled: 1-line block ×7, first 2 shown]
	v_min3_f32 v110, v162, v110, v160
	v_add_f64 v[162:163], v[72:73], v[104:105]
	v_add_f64 v[104:105], v[68:69], v[104:105]
	v_add_f64 v[68:69], v[68:69], v[76:77]
	v_add_f64 v[72:73], v[72:73], v[76:77]
	v_add_f64 v[76:77], v[14:15], v[62:63]
	v_min3_f32 v78, v78, v79, v152
	v_add_f64 v[79:80], v[26:27], v[58:59]
	v_cvt_f32_f64_e32 v160, v[162:163]
	v_cvt_f32_f64_e32 v103, v[104:105]
	v_cvt_f32_f64_e32 v67, v[68:69]
	v_cvt_f32_f64_e32 v71, v[72:73]
	v_add_f64 v[68:69], v[34:35], v[62:63]
	v_min3_f32 v111, v111, v160, v161
	v_min3_f32 v102, v102, v103, v159
	;; [unrolled: 1-line block ×3, first 2 shown]
	v_add_f64 v[66:67], v[36:37], v[64:65]
	v_cvt_f32_f64_e32 v68, v[68:69]
	v_min3_f32 v71, v70, v71, v153
	v_add_f64 v[69:70], v[30:31], v[62:63]
	v_cvt_f32_f64_e32 v66, v[66:67]
	v_cvt_f32_f64_e32 v69, v[69:70]
	v_cvt_f32_f64_e32 v70, v[74:75]
	v_add_f64 v[74:75], v[18:19], v[62:63]
	v_min3_f32 v66, v68, v66, v222
	v_add_f64 v[67:68], v[32:33], v[64:65]
	v_cvt_f32_f64_e32 v72, v[74:75]
	v_add_f64 v[74:75], v[16:17], v[64:65]
	v_cvt_f32_f64_e32 v67, v[67:68]
	v_min3_f32 v67, v69, v67, v220
	v_add_f64 v[68:69], v[28:29], v[64:65]
	v_cvt_f32_f64_e32 v68, v[68:69]
	v_min3_f32 v68, v70, v68, v221
	v_add_f64 v[69:70], v[20:21], v[64:65]
	v_cvt_f32_f64_e32 v69, v[69:70]
	v_cvt_f32_f64_e32 v70, v[76:77]
	v_add_f64 v[76:77], v[10:11], v[62:63]
	v_min3_f32 v69, v72, v69, v223
	v_cvt_f32_f64_e32 v72, v[74:75]
	v_add_f64 v[74:75], v[12:13], v[64:65]
	v_min3_f32 v70, v70, v72, v219
	v_cvt_f32_f64_e32 v72, v[76:77]
	v_cvt_f32_f64_e32 v74, v[74:75]
	v_add_f64 v[76:77], v[6:7], v[62:63]
	v_add_f64 v[62:63], v[2:3], v[62:63]
	v_min3_f32 v72, v72, v74, v216
	v_add_f64 v[74:75], v[8:9], v[64:65]
	v_add_f64 v[64:65], v[4:5], v[64:65]
	v_cvt_f32_f64_e32 v76, v[76:77]
	v_cvt_f32_f64_e32 v62, v[62:63]
	v_cvt_f32_f64_e32 v74, v[74:75]
	v_cvt_f32_f64_e32 v63, v[64:65]
	v_min3_f32 v74, v76, v74, v217
	v_min3_f32 v62, v62, v63, v214
	v_add_f64 v[63:64], v[36:37], v[60:61]
	v_add_f64 v[75:76], v[34:35], v[58:59]
	v_cvt_f32_f64_e32 v63, v[63:64]
	v_cvt_f32_f64_e32 v65, v[75:76]
	v_add_f64 v[75:76], v[30:31], v[58:59]
	v_min3_f32 v63, v65, v63, v218
	v_add_f64 v[64:65], v[32:33], v[60:61]
	v_cvt_f32_f64_e32 v75, v[75:76]
	v_cvt_f32_f64_e32 v64, v[64:65]
	;; [unrolled: 1-line block ×3, first 2 shown]
	v_add_f64 v[79:80], v[18:19], v[58:59]
	v_min3_f32 v64, v75, v64, v215
	v_add_f64 v[75:76], v[28:29], v[60:61]
	v_cvt_f32_f64_e32 v77, v[79:80]
	v_add_f64 v[79:80], v[14:15], v[58:59]
	v_cvt_f32_f64_e32 v75, v[75:76]
	v_cvt_f32_f64_e32 v79, v[79:80]
	v_min3_f32 v65, v65, v75, v213
	v_add_f64 v[75:76], v[20:21], v[60:61]
	v_cvt_f32_f64_e32 v75, v[75:76]
	v_min3_f32 v75, v77, v75, v212
	v_add_f64 v[76:77], v[16:17], v[60:61]
	v_cvt_f32_f64_e32 v76, v[76:77]
	v_cvt_f32_f64_e32 v77, v[83:84]
	v_add_f64 v[83:84], v[6:7], v[58:59]
	v_add_f64 v[58:59], v[2:3], v[58:59]
	v_min3_f32 v76, v79, v76, v210
	v_add_f64 v[79:80], v[12:13], v[60:61]
	v_cvt_f32_f64_e32 v81, v[83:84]
	v_cvt_f32_f64_e32 v58, v[58:59]
	v_add_f64 v[83:84], v[26:27], v[54:55]
	v_cvt_f32_f64_e32 v79, v[79:80]
	v_min3_f32 v77, v77, v79, v208
	v_add_f64 v[79:80], v[8:9], v[60:61]
	v_add_f64 v[60:61], v[4:5], v[60:61]
	v_cvt_f32_f64_e32 v79, v[79:80]
	v_cvt_f32_f64_e32 v59, v[60:61]
	v_min3_f32 v79, v81, v79, v209
	v_min3_f32 v58, v58, v59, v207
	v_add_f64 v[59:60], v[36:37], v[56:57]
	v_add_f64 v[80:81], v[34:35], v[54:55]
	v_cvt_f32_f64_e32 v59, v[59:60]
	v_cvt_f32_f64_e32 v61, v[80:81]
	v_add_f64 v[80:81], v[30:31], v[54:55]
	v_min3_f32 v59, v61, v59, v206
	v_add_f64 v[60:61], v[32:33], v[56:57]
	v_cvt_f32_f64_e32 v80, v[80:81]
	v_cvt_f32_f64_e32 v60, v[60:61]
	;; [unrolled: 1-line block ×3, first 2 shown]
	v_add_f64 v[83:84], v[18:19], v[54:55]
	v_min3_f32 v60, v80, v60, v204
	v_add_f64 v[80:81], v[28:29], v[56:57]
	v_cvt_f32_f64_e32 v83, v[83:84]
	v_cvt_f32_f64_e32 v80, v[80:81]
	v_min3_f32 v61, v61, v80, v205
	v_add_f64 v[80:81], v[20:21], v[56:57]
	v_cvt_f32_f64_e32 v80, v[80:81]
	v_cvt_f32_f64_e32 v81, v[87:88]
	v_add_f64 v[87:88], v[10:11], v[54:55]
	v_min3_f32 v80, v83, v80, v202
	v_add_f64 v[83:84], v[16:17], v[56:57]
	v_cvt_f32_f64_e32 v85, v[87:88]
	v_add_f64 v[87:88], v[6:7], v[54:55]
	v_add_f64 v[54:55], v[2:3], v[54:55]
	v_cvt_f32_f64_e32 v83, v[83:84]
	v_cvt_f32_f64_e32 v87, v[87:88]
	;; [unrolled: 1-line block ×3, first 2 shown]
	v_min3_f32 v81, v81, v83, v203
	v_add_f64 v[83:84], v[12:13], v[56:57]
	v_cvt_f32_f64_e32 v83, v[83:84]
	v_min3_f32 v83, v85, v83, v200
	v_add_f64 v[84:85], v[8:9], v[56:57]
	v_add_f64 v[56:57], v[4:5], v[56:57]
	v_cvt_f32_f64_e32 v84, v[84:85]
	v_cvt_f32_f64_e32 v55, v[56:57]
	v_min3_f32 v84, v87, v84, v201
	v_min3_f32 v54, v54, v55, v198
	v_add_f64 v[55:56], v[36:37], v[52:53]
	v_add_f64 v[87:88], v[34:35], v[50:51]
	v_cvt_f32_f64_e32 v55, v[55:56]
	v_cvt_f32_f64_e32 v57, v[87:88]
	v_add_f64 v[87:88], v[30:31], v[50:51]
	v_min3_f32 v55, v57, v55, v199
	v_add_f64 v[56:57], v[32:33], v[52:53]
	v_cvt_f32_f64_e32 v85, v[87:88]
	v_add_f64 v[87:88], v[28:29], v[52:53]
	v_cvt_f32_f64_e32 v56, v[56:57]
	v_cvt_f32_f64_e32 v57, v[91:92]
	v_add_f64 v[91:92], v[18:19], v[50:51]
	v_min3_f32 v56, v85, v56, v196
	v_cvt_f32_f64_e32 v85, v[87:88]
	v_add_f64 v[87:88], v[20:21], v[52:53]
	v_min3_f32 v57, v57, v85, v197
	v_cvt_f32_f64_e32 v85, v[91:92]
	v_cvt_f32_f64_e32 v87, v[87:88]
	v_add_f64 v[91:92], v[14:15], v[50:51]
	v_min3_f32 v85, v85, v87, v118
	v_add_f64 v[87:88], v[16:17], v[52:53]
	v_cvt_f32_f64_e32 v89, v[91:92]
	v_add_f64 v[91:92], v[10:11], v[50:51]
	v_add_f64 v[50:51], v[2:3], v[50:51]
	v_cvt_f32_f64_e32 v87, v[87:88]
	v_cvt_f32_f64_e32 v91, v[91:92]
	;; [unrolled: 1-line block ×3, first 2 shown]
	v_min3_f32 v87, v89, v87, v119
	v_add_f64 v[88:89], v[12:13], v[52:53]
	v_cvt_f32_f64_e32 v88, v[88:89]
	v_cvt_f32_f64_e32 v89, v[95:96]
	v_add_f64 v[95:96], v[26:27], v[46:47]
	v_min3_f32 v88, v91, v88, v120
	v_add_f64 v[91:92], v[8:9], v[52:53]
	v_add_f64 v[52:53], v[4:5], v[52:53]
	v_cvt_f32_f64_e32 v91, v[91:92]
	v_cvt_f32_f64_e32 v51, v[52:53]
	v_min3_f32 v89, v89, v91, v121
	v_min3_f32 v50, v50, v51, v114
	v_add_f64 v[51:52], v[36:37], v[48:49]
	v_add_f64 v[91:92], v[34:35], v[46:47]
	v_cvt_f32_f64_e32 v51, v[51:52]
	v_cvt_f32_f64_e32 v53, v[91:92]
	v_add_f64 v[91:92], v[30:31], v[46:47]
	v_min3_f32 v51, v53, v51, v115
	v_add_f64 v[52:53], v[32:33], v[48:49]
	v_cvt_f32_f64_e32 v91, v[91:92]
	v_cvt_f32_f64_e32 v52, v[52:53]
	;; [unrolled: 1-line block ×3, first 2 shown]
	v_add_f64 v[95:96], v[18:19], v[46:47]
	v_min3_f32 v52, v91, v52, v116
	v_add_f64 v[91:92], v[28:29], v[48:49]
	v_cvt_f32_f64_e32 v93, v[95:96]
	v_add_f64 v[95:96], v[14:15], v[46:47]
	v_cvt_f32_f64_e32 v91, v[91:92]
	v_cvt_f32_f64_e32 v95, v[95:96]
	v_min3_f32 v53, v53, v91, v117
	v_add_f64 v[91:92], v[20:21], v[48:49]
	v_cvt_f32_f64_e32 v91, v[91:92]
	v_min3_f32 v91, v93, v91, v122
	v_add_f64 v[92:93], v[16:17], v[48:49]
	v_cvt_f32_f64_e32 v92, v[92:93]
	v_cvt_f32_f64_e32 v93, v[99:100]
	v_add_f64 v[99:100], v[6:7], v[46:47]
	v_add_f64 v[46:47], v[2:3], v[46:47]
	v_min3_f32 v92, v95, v92, v123
	v_add_f64 v[95:96], v[12:13], v[48:49]
	v_cvt_f32_f64_e32 v46, v[46:47]
	v_cvt_f32_f64_e32 v95, v[95:96]
	v_min3_f32 v151, v93, v95, v124
	v_add_f64 v[95:96], v[8:9], v[48:49]
	v_add_f64 v[48:49], v[4:5], v[48:49]
	v_cvt_f32_f64_e32 v93, v[99:100]
	v_add_f64 v[99:100], v[26:27], v[42:43]
	v_cvt_f32_f64_e32 v95, v[95:96]
	v_cvt_f32_f64_e32 v47, v[48:49]
	v_min3_f32 v152, v93, v95, v125
	v_min3_f32 v46, v46, v47, v112
	v_add_f64 v[47:48], v[36:37], v[44:45]
	v_add_f64 v[95:96], v[34:35], v[42:43]
	v_cvt_f32_f64_e32 v47, v[47:48]
	v_cvt_f32_f64_e32 v49, v[95:96]
	v_add_f64 v[95:96], v[30:31], v[42:43]
	v_min3_f32 v47, v49, v47, v113
	v_add_f64 v[48:49], v[32:33], v[44:45]
	v_cvt_f32_f64_e32 v93, v[95:96]
	v_add_f64 v[95:96], v[28:29], v[44:45]
	v_cvt_f32_f64_e32 v48, v[48:49]
	v_cvt_f32_f64_e32 v49, v[99:100]
	v_add_f64 v[99:100], v[18:19], v[42:43]
	v_min3_f32 v48, v93, v48, v126
	v_cvt_f32_f64_e32 v93, v[95:96]
	v_add_f64 v[95:96], v[20:21], v[44:45]
	v_min3_f32 v49, v49, v93, v127
	v_cvt_f32_f64_e32 v93, v[99:100]
	v_cvt_f32_f64_e32 v95, v[95:96]
	v_add_f64 v[99:100], v[14:15], v[42:43]
	v_min3_f32 v153, v93, v95, v128
	v_add_f64 v[95:96], v[16:17], v[44:45]
	v_cvt_f32_f64_e32 v93, v[99:100]
	v_add_f64 v[99:100], v[10:11], v[42:43]
	v_cvt_f32_f64_e32 v95, v[95:96]
	v_min3_f32 v154, v93, v95, v129
	v_add_f64 v[95:96], v[12:13], v[44:45]
	v_cvt_f32_f64_e32 v93, v[99:100]
	v_add_f64 v[99:100], v[6:7], v[42:43]
	v_add_f64 v[42:43], v[2:3], v[42:43]
	v_cvt_f32_f64_e32 v95, v[95:96]
	v_cvt_f32_f64_e32 v42, v[42:43]
	v_min3_f32 v146, v93, v95, v146
	v_add_f64 v[95:96], v[8:9], v[44:45]
	v_add_f64 v[44:45], v[4:5], v[44:45]
	v_cvt_f32_f64_e32 v93, v[99:100]
	v_add_f64 v[99:100], v[26:27], v[38:39]
	v_add_f64 v[26:27], v[26:27], v[22:23]
	v_cvt_f32_f64_e32 v95, v[95:96]
	v_cvt_f32_f64_e32 v43, v[44:45]
	;; [unrolled: 1-line block ×3, first 2 shown]
	v_min3_f32 v147, v93, v95, v147
	v_min3_f32 v42, v42, v43, v170
	v_add_f64 v[43:44], v[36:37], v[40:41]
	v_add_f64 v[95:96], v[34:35], v[38:39]
	;; [unrolled: 1-line block ×4, first 2 shown]
	v_cvt_f32_f64_e32 v43, v[43:44]
	v_cvt_f32_f64_e32 v45, v[95:96]
	v_add_f64 v[95:96], v[30:31], v[38:39]
	v_add_f64 v[30:31], v[30:31], v[22:23]
	v_cvt_f32_f64_e32 v34, v[34:35]
	v_cvt_f32_f64_e32 v35, v[36:37]
	v_min3_f32 v43, v45, v43, v173
	v_add_f64 v[44:45], v[32:33], v[40:41]
	v_cvt_f32_f64_e32 v93, v[95:96]
	v_add_f64 v[95:96], v[28:29], v[40:41]
	v_add_f64 v[32:33], v[32:33], v[24:25]
	;; [unrolled: 1-line block ×3, first 2 shown]
	v_cvt_f32_f64_e32 v30, v[30:31]
	v_min3_f32 v192, v34, v35, v98
	v_cvt_f32_f64_e32 v44, v[44:45]
	v_cvt_f32_f64_e32 v45, v[99:100]
	v_add_f64 v[99:100], v[18:19], v[38:39]
	v_add_f64 v[18:19], v[18:19], v[22:23]
	v_cvt_f32_f64_e32 v31, v[32:33]
	v_cvt_f32_f64_e32 v27, v[28:29]
	v_min3_f32 v44, v93, v44, v106
	v_cvt_f32_f64_e32 v93, v[95:96]
	v_add_f64 v[95:96], v[20:21], v[40:41]
	v_add_f64 v[20:21], v[20:21], v[24:25]
	v_cvt_f32_f64_e32 v18, v[18:19]
	v_min3_f32 v193, v30, v31, v94
	v_min3_f32 v194, v26, v27, v90
	;; [unrolled: 1-line block ×3, first 2 shown]
	v_cvt_f32_f64_e32 v93, v[99:100]
	v_cvt_f32_f64_e32 v95, v[95:96]
	v_add_f64 v[99:100], v[14:15], v[38:39]
	v_add_f64 v[14:15], v[14:15], v[22:23]
	v_cvt_f32_f64_e32 v19, v[20:21]
	v_min3_f32 v155, v93, v95, v108
	v_add_f64 v[95:96], v[16:17], v[40:41]
	v_cvt_f32_f64_e32 v93, v[99:100]
	v_add_f64 v[99:100], v[10:11], v[38:39]
	v_add_f64 v[16:17], v[16:17], v[24:25]
	;; [unrolled: 1-line block ×3, first 2 shown]
	v_cvt_f32_f64_e32 v14, v[14:15]
	v_min3_f32 v195, v18, v19, v86
	v_cvt_f32_f64_e32 v95, v[95:96]
	v_cvt_f32_f64_e32 v15, v[16:17]
	;; [unrolled: 1-line block ×3, first 2 shown]
	v_min3_f32 v156, v93, v95, v109
	v_add_f64 v[95:96], v[12:13], v[40:41]
	v_cvt_f32_f64_e32 v93, v[99:100]
	v_add_f64 v[99:100], v[6:7], v[38:39]
	v_add_f64 v[38:39], v[2:3], v[38:39]
	;; [unrolled: 1-line block ×5, first 2 shown]
	v_min3_f32 v196, v14, v15, v82
	v_cvt_f32_f64_e32 v95, v[95:96]
	v_cvt_f32_f64_e32 v38, v[38:39]
	;; [unrolled: 1-line block ×5, first 2 shown]
	v_min3_f32 v157, v93, v95, v110
	v_add_f64 v[95:96], v[8:9], v[40:41]
	v_add_f64 v[40:41], v[4:5], v[40:41]
	;; [unrolled: 1-line block ×4, first 2 shown]
	v_cvt_f32_f64_e32 v93, v[99:100]
	v_min3_f32 v197, v10, v11, v78
	v_cvt_f32_f64_e32 v95, v[95:96]
	v_cvt_f32_f64_e32 v39, v[40:41]
	;; [unrolled: 1-line block ×4, first 2 shown]
	v_min3_f32 v170, v93, v95, v111
	v_min3_f32 v173, v38, v39, v102
	;; [unrolled: 1-line block ×4, first 2 shown]
	ds_read_b128 v[6:9], v167 offset:256
	ds_read_b128 v[10:13], v167 offset:512
	;; [unrolled: 1-line block ×14, first 2 shown]
	ds_read_b128 v[97:100], v148
	ds_read_b128 v[34:37], v148 offset:16
	ds_read_b128 v[188:191], v167
	ds_read_b128 v[2:5], v167 offset:16
	s_waitcnt lgkmcnt(1)
	v_add_f64 v[101:102], v[190:191], v[99:100]
	v_add_f64 v[103:104], v[188:189], v[97:98]
	v_cvt_f32_f64_e32 v73, v[101:102]
	v_cvt_f32_f64_e32 v71, v[103:104]
	v_add_f64 v[101:102], v[8:9], v[99:100]
	v_add_f64 v[103:104], v[6:7], v[97:98]
	v_min3_f32 v129, v71, v73, v66
	v_cvt_f32_f64_e32 v71, v[101:102]
	v_cvt_f32_f64_e32 v66, v[103:104]
	v_add_f64 v[101:102], v[10:11], v[97:98]
	v_min3_f32 v128, v66, v71, v67
	v_add_f64 v[66:67], v[12:13], v[99:100]
	v_cvt_f32_f64_e32 v71, v[101:102]
	v_add_f64 v[101:102], v[14:15], v[97:98]
	v_cvt_f32_f64_e32 v66, v[66:67]
	v_min3_f32 v127, v71, v66, v68
	v_add_f64 v[66:67], v[16:17], v[99:100]
	v_cvt_f32_f64_e32 v68, v[101:102]
	v_cvt_f32_f64_e32 v66, v[66:67]
	v_min3_f32 v126, v68, v66, v69
	v_add_f64 v[66:67], v[20:21], v[99:100]
	v_add_f64 v[68:69], v[18:19], v[97:98]
	v_cvt_f32_f64_e32 v66, v[66:67]
	v_cvt_f32_f64_e32 v68, v[68:69]
	v_min3_f32 v125, v68, v66, v70
	v_add_f64 v[66:67], v[24:25], v[99:100]
	;; [unrolled: 5-line block ×11, first 2 shown]
	v_add_f64 v[64:65], v[26:27], v[38:39]
	v_add_f64 v[40:41], v[32:33], v[40:41]
	;; [unrolled: 1-line block ×3, first 2 shown]
	v_cvt_f32_f64_e32 v62, v[62:63]
	v_cvt_f32_f64_e32 v64, v[64:65]
	;; [unrolled: 1-line block ×4, first 2 shown]
	v_add_f64 v[40:41], v[188:189], v[93:94]
	v_min3_f32 v115, v64, v62, v79
	v_min3_f32 v114, v38, v39, v58
	v_add_f64 v[38:39], v[190:191], v[95:96]
	v_cvt_f32_f64_e32 v40, v[40:41]
	v_cvt_f32_f64_e32 v38, v[38:39]
	v_min3_f32 v113, v40, v38, v59
	v_add_f64 v[38:39], v[8:9], v[95:96]
	v_add_f64 v[40:41], v[6:7], v[93:94]
	v_cvt_f32_f64_e32 v38, v[38:39]
	v_cvt_f32_f64_e32 v40, v[40:41]
	v_min3_f32 v112, v40, v38, v60
	v_add_f64 v[38:39], v[12:13], v[95:96]
	;; [unrolled: 5-line block ×23, first 2 shown]
	v_add_f64 v[40:41], v[30:31], v[162:163]
	s_waitcnt lgkmcnt(0)
	v_add_f64 v[151:152], v[2:3], v[34:35]
	v_cvt_f32_f64_e32 v38, v[38:39]
	v_cvt_f32_f64_e32 v40, v[40:41]
	v_cvt_f32_f64_e32 v151, v[151:152]
	v_min3_f32 v90, v40, v38, v46
	v_add_f64 v[38:39], v[190:191], v[178:179]
	v_add_f64 v[40:41], v[188:189], v[176:177]
	v_cvt_f32_f64_e32 v38, v[38:39]
	v_cvt_f32_f64_e32 v40, v[40:41]
	v_min3_f32 v89, v40, v38, v47
	v_add_f64 v[38:39], v[8:9], v[178:179]
	v_add_f64 v[40:41], v[6:7], v[176:177]
	v_cvt_f32_f64_e32 v38, v[38:39]
	v_cvt_f32_f64_e32 v40, v[40:41]
	;; [unrolled: 5-line block ×7, first 2 shown]
	v_min3_f32 v83, v40, v38, v147
	v_add_f64 v[38:39], v[32:33], v[178:179]
	v_add_f64 v[40:41], v[30:31], v[176:177]
	;; [unrolled: 1-line block ×3, first 2 shown]
	v_cvt_f32_f64_e32 v38, v[38:39]
	v_cvt_f32_f64_e32 v40, v[40:41]
	;; [unrolled: 1-line block ×3, first 2 shown]
	v_min3_f32 v82, v40, v38, v42
	v_add_f64 v[38:39], v[190:191], v[182:183]
	v_add_f64 v[40:41], v[188:189], v[180:181]
	v_min3_f32 v222, v151, v146, v129
	v_cvt_f32_f64_e32 v38, v[38:39]
	v_cvt_f32_f64_e32 v40, v[40:41]
	v_min3_f32 v81, v40, v38, v43
	v_add_f64 v[38:39], v[8:9], v[182:183]
	v_add_f64 v[40:41], v[6:7], v[180:181]
	;; [unrolled: 1-line block ×4, first 2 shown]
	v_cvt_f32_f64_e32 v38, v[38:39]
	v_cvt_f32_f64_e32 v40, v[40:41]
	;; [unrolled: 1-line block ×4, first 2 shown]
	v_add_f64 v[8:9], v[10:11], v[184:185]
	v_min3_f32 v80, v40, v38, v44
	v_add_f64 v[38:39], v[12:13], v[182:183]
	v_add_f64 v[40:41], v[10:11], v[180:181]
	v_min3_f32 v72, v6, v7, v193
	v_add_f64 v[6:7], v[12:13], v[186:187]
	v_cvt_f32_f64_e32 v8, v[8:9]
	v_cvt_f32_f64_e32 v38, v[38:39]
	v_cvt_f32_f64_e32 v40, v[40:41]
	v_cvt_f32_f64_e32 v6, v[6:7]
	v_min3_f32 v79, v40, v38, v45
	v_add_f64 v[38:39], v[16:17], v[182:183]
	v_add_f64 v[40:41], v[14:15], v[180:181]
	v_min3_f32 v71, v8, v6, v194
	v_add_f64 v[6:7], v[16:17], v[186:187]
	v_add_f64 v[8:9], v[14:15], v[184:185]
	v_cvt_f32_f64_e32 v38, v[38:39]
	v_cvt_f32_f64_e32 v40, v[40:41]
	v_cvt_f32_f64_e32 v6, v[6:7]
	v_cvt_f32_f64_e32 v8, v[8:9]
	v_min3_f32 v78, v40, v38, v155
	v_add_f64 v[38:39], v[20:21], v[182:183]
	v_add_f64 v[40:41], v[18:19], v[180:181]
	v_min3_f32 v70, v8, v6, v195
	v_add_f64 v[6:7], v[20:21], v[186:187]
	;; [unrolled: 10-line block ×5, first 2 shown]
	v_add_f64 v[8:9], v[30:31], v[184:185]
	v_cvt_f32_f64_e32 v38, v[38:39]
	v_cvt_f32_f64_e32 v40, v[40:41]
	;; [unrolled: 1-line block ×4, first 2 shown]
	v_min3_f32 v74, v40, v38, v173
	v_add_f64 v[38:39], v[190:191], v[186:187]
	v_add_f64 v[40:41], v[188:189], v[184:185]
	v_min3_f32 v66, v8, v6, v199
	v_cvt_f32_f64_e32 v38, v[38:39]
	v_cvt_f32_f64_e32 v40, v[40:41]
	v_min3_f32 v73, v40, v38, v192
	ds_read_b128 v[22:25], v167 offset:272
	ds_read_b128 v[18:21], v167 offset:528
	;; [unrolled: 1-line block ×14, first 2 shown]
	ds_write_b64 v168, v[136:137]
	ds_write2st64_b64 v169, v[140:141], v[142:143] offset1:4
	ds_write2st64_b64 v169, v[138:139], v[144:145] offset0:8 offset1:12
	s_waitcnt lgkmcnt(0)
	s_barrier
	buffer_gl0_inv
	v_add_f64 v[146:147], v[24:25], v[36:37]
	v_add_f64 v[151:152], v[22:23], v[34:35]
	v_cvt_f32_f64_e32 v146, v[146:147]
	v_cvt_f32_f64_e32 v129, v[151:152]
	v_min3_f32 v220, v129, v146, v128
	v_add_f64 v[128:129], v[20:21], v[36:37]
	v_add_f64 v[146:147], v[18:19], v[34:35]
	v_cvt_f32_f64_e32 v128, v[128:129]
	v_cvt_f32_f64_e32 v146, v[146:147]
	v_min3_f32 v221, v146, v128, v127
	;; [unrolled: 5-line block ×5, first 2 shown]
	v_add_f64 v[124:125], v[32:33], v[36:37]
	v_add_f64 v[126:127], v[30:31], v[34:35]
	;; [unrolled: 1-line block ×4, first 2 shown]
	v_cvt_f32_f64_e32 v124, v[124:125]
	v_cvt_f32_f64_e32 v126, v[126:127]
	;; [unrolled: 1-line block ×4, first 2 shown]
	v_add_f64 v[36:37], v[2:3], v[62:63]
	v_min3_f32 v217, v126, v124, v123
	v_min3_f32 v214, v34, v35, v122
	v_add_f64 v[34:35], v[4:5], v[64:65]
	v_cvt_f32_f64_e32 v36, v[36:37]
	v_cvt_f32_f64_e32 v34, v[34:35]
	v_min3_f32 v215, v36, v34, v121
	v_add_f64 v[34:35], v[24:25], v[64:65]
	v_add_f64 v[36:37], v[22:23], v[62:63]
	v_cvt_f32_f64_e32 v34, v[34:35]
	v_cvt_f32_f64_e32 v36, v[36:37]
	v_min3_f32 v212, v36, v34, v120
	v_add_f64 v[34:35], v[20:21], v[64:65]
	;; [unrolled: 5-line block ×40, first 2 shown]
	v_add_f64 v[36:37], v[2:3], v[42:43]
	v_add_f64 v[4:5], v[4:5], v[40:41]
	;; [unrolled: 1-line block ×3, first 2 shown]
	v_cvt_f32_f64_e32 v34, v[34:35]
	v_cvt_f32_f64_e32 v36, v[36:37]
	;; [unrolled: 1-line block ×4, first 2 shown]
	v_add_f64 v[4:5], v[22:23], v[38:39]
	v_min3_f32 v173, v36, v34, v81
	v_add_f64 v[34:35], v[24:25], v[44:45]
	v_add_f64 v[36:37], v[22:23], v[42:43]
	v_min3_f32 v158, v2, v3, v73
	v_add_f64 v[2:3], v[24:25], v[40:41]
	v_cvt_f32_f64_e32 v4, v[4:5]
	v_cvt_f32_f64_e32 v34, v[34:35]
	v_cvt_f32_f64_e32 v36, v[36:37]
	v_cvt_f32_f64_e32 v2, v[2:3]
	v_min3_f32 v164, v36, v34, v80
	v_add_f64 v[34:35], v[20:21], v[44:45]
	v_add_f64 v[36:37], v[18:19], v[42:43]
	v_min3_f32 v157, v4, v2, v72
	v_add_f64 v[2:3], v[20:21], v[40:41]
	v_add_f64 v[4:5], v[18:19], v[38:39]
	v_cvt_f32_f64_e32 v34, v[34:35]
	v_cvt_f32_f64_e32 v36, v[36:37]
	v_cvt_f32_f64_e32 v2, v[2:3]
	v_cvt_f32_f64_e32 v4, v[4:5]
	v_min3_f32 v165, v36, v34, v79
	v_add_f64 v[34:35], v[16:17], v[44:45]
	v_add_f64 v[36:37], v[14:15], v[42:43]
	v_min3_f32 v156, v4, v2, v71
	v_add_f64 v[2:3], v[16:17], v[40:41]
	;; [unrolled: 10-line block ×6, first 2 shown]
	v_add_f64 v[4:5], v[26:27], v[38:39]
	v_cvt_f32_f64_e32 v34, v[34:35]
	v_cvt_f32_f64_e32 v36, v[36:37]
	;; [unrolled: 1-line block ×4, first 2 shown]
	v_min3_f32 v159, v36, v34, v74
	v_min3_f32 v151, v4, v2, v66
	s_cbranch_scc1 .LBB125_35
.LBB125_23:                             ; =>This Inner Loop Header: Depth=1
	v_mov_b32_e32 v140, 0
	v_mov_b32_e32 v138, 0
	;; [unrolled: 1-line block ×4, first 2 shown]
	s_and_b32 vcc_lo, exec_lo, s1
	s_cbranch_vccnz .LBB125_25
; %bb.24:                               ;   in Loop: Header=BB125_23 Depth=1
	flat_load_dwordx2 v[2:3], v[134:135]
	s_waitcnt vmcnt(0) lgkmcnt(0)
	v_mul_f64 v[138:139], s[8:9], v[2:3]
.LBB125_25:                             ;   in Loop: Header=BB125_23 Depth=1
	v_mov_b32_e32 v142, 0
	v_mov_b32_e32 v143, 0
	s_and_b32 vcc_lo, exec_lo, s1
	s_cbranch_vccnz .LBB125_27
; %bb.26:                               ;   in Loop: Header=BB125_23 Depth=1
	v_add_co_u32 v2, vcc_lo, v174, v132
	v_add_co_ci_u32_e64 v3, null, v175, v133, vcc_lo
	s_clause 0x1
	flat_load_dwordx2 v[4:5], v[2:3]
	flat_load_dwordx2 v[2:3], v[2:3] offset:512
	s_waitcnt vmcnt(1) lgkmcnt(1)
	v_mul_f64 v[140:141], s[8:9], v[4:5]
	s_waitcnt vmcnt(0) lgkmcnt(0)
	v_mul_f64 v[142:143], s[8:9], v[2:3]
.LBB125_27:                             ;   in Loop: Header=BB125_23 Depth=1
	v_mov_b32_e32 v136, 0
	v_mov_b32_e32 v144, 0
	;; [unrolled: 1-line block ×6, first 2 shown]
	s_and_b32 vcc_lo, exec_lo, s1
	s_cbranch_vccnz .LBB125_29
; %bb.28:                               ;   in Loop: Header=BB125_23 Depth=1
	v_add_co_u32 v2, vcc_lo, v174, v132
	v_add_co_ci_u32_e64 v3, null, v175, v133, vcc_lo
	s_clause 0x1
	flat_load_dwordx2 v[4:5], v[2:3] offset:1024
	flat_load_dwordx2 v[2:3], v[2:3] offset:1536
	s_waitcnt vmcnt(1) lgkmcnt(1)
	v_mul_f64 v[144:145], s[8:9], v[4:5]
	s_waitcnt vmcnt(0) lgkmcnt(0)
	v_mul_f64 v[146:147], s[8:9], v[2:3]
.LBB125_29:                             ;   in Loop: Header=BB125_23 Depth=1
	ds_read_b128 v[126:129], v172
	ds_read_b128 v[62:65], v172 offset:16
	ds_read_b128 v[98:101], v171
	ds_read_b128 v[34:37], v171 offset:16
	ds_read_b128 v[94:97], v171 offset:256
	ds_read_b128 v[30:33], v171 offset:272
	ds_read_b128 v[90:93], v171 offset:512
	ds_read_b128 v[26:29], v171 offset:528
	ds_read_b128 v[86:89], v171 offset:768
	ds_read_b128 v[18:21], v171 offset:784
	ds_read_b128 v[82:85], v171 offset:1024
	ds_read_b128 v[14:17], v171 offset:1040
	ds_read_b128 v[78:81], v171 offset:1280
	ds_read_b128 v[10:13], v171 offset:1296
	ds_read_b128 v[70:73], v171 offset:1536
	ds_read_b128 v[6:9], v171 offset:1552
	ds_read_b128 v[66:69], v171 offset:1792
	ds_read_b128 v[2:5], v171 offset:1808
	ds_read_b128 v[122:125], v172 offset:1024
	ds_read_b128 v[58:61], v172 offset:1040
	ds_read_b128 v[118:121], v172 offset:2048
	ds_read_b128 v[54:57], v172 offset:2064
	ds_read_b128 v[114:117], v172 offset:3072
	ds_read_b128 v[50:53], v172 offset:3088
	ds_read_b128 v[110:113], v172 offset:4096
	ds_read_b128 v[46:49], v172 offset:4112
	ds_read_b128 v[106:109], v172 offset:5120
	ds_read_b128 v[42:45], v172 offset:5136
	ds_read_b128 v[102:105], v172 offset:6144
	ds_read_b128 v[38:41], v172 offset:6160
	ds_read_b128 v[74:77], v172 offset:7168
	ds_read_b128 v[22:25], v172 offset:7184
	s_and_b32 vcc_lo, exec_lo, s1
	ds_write_b64 v166, v[138:139]
	ds_write2st64_b64 v150, v[140:141], v[142:143] offset1:4
	ds_write2st64_b64 v150, v[144:145], v[146:147] offset0:8 offset1:12
	s_waitcnt lgkmcnt(0)
	s_barrier
	buffer_gl0_inv
	s_cbranch_vccnz .LBB125_31
; %bb.30:                               ;   in Loop: Header=BB125_23 Depth=1
	flat_load_dwordx2 v[136:137], v[134:135] offset:32
	s_waitcnt vmcnt(0) lgkmcnt(0)
	v_mul_f64 v[136:137], s[8:9], v[136:137]
.LBB125_31:                             ;   in Loop: Header=BB125_23 Depth=1
	v_mov_b32_e32 v138, 0
	v_mov_b32_e32 v140, 0
	;; [unrolled: 1-line block ×6, first 2 shown]
	s_and_b32 vcc_lo, exec_lo, s1
	s_cbranch_vccnz .LBB125_33
; %bb.32:                               ;   in Loop: Header=BB125_23 Depth=1
	v_add_co_u32 v140, vcc_lo, v174, v130
	v_add_co_ci_u32_e64 v141, null, v175, v131, vcc_lo
	s_clause 0x1
	flat_load_dwordx2 v[142:143], v[140:141]
	flat_load_dwordx2 v[144:145], v[140:141] offset:512
	s_waitcnt vmcnt(1) lgkmcnt(1)
	v_mul_f64 v[140:141], s[8:9], v[142:143]
	s_waitcnt vmcnt(0) lgkmcnt(0)
	v_mul_f64 v[142:143], s[8:9], v[144:145]
.LBB125_33:                             ;   in Loop: Header=BB125_23 Depth=1
	v_mov_b32_e32 v144, 0
	v_mov_b32_e32 v145, 0
	s_and_b32 vcc_lo, exec_lo, s1
	s_cbranch_vccnz .LBB125_22
; %bb.34:                               ;   in Loop: Header=BB125_23 Depth=1
	v_add_co_u32 v138, vcc_lo, v174, v130
	v_add_co_ci_u32_e64 v139, null, v175, v131, vcc_lo
	s_clause 0x1
	flat_load_dwordx2 v[144:145], v[138:139] offset:1024
	flat_load_dwordx2 v[146:147], v[138:139] offset:1536
	s_waitcnt vmcnt(1) lgkmcnt(1)
	v_mul_f64 v[138:139], s[8:9], v[144:145]
	s_waitcnt vmcnt(0) lgkmcnt(0)
	v_mul_f64 v[144:145], s[8:9], v[146:147]
	s_branch .LBB125_22
.LBB125_35:
	ds_read_b128 v[126:129], v148 offset:8192
	ds_read_b128 v[70:73], v149 offset:18432
	;; [unrolled: 1-line block ×4, first 2 shown]
	s_clause 0x2
	s_load_dword s1, s[4:5], 0x58
	s_load_dword s6, s[4:5], 0x70
	s_load_dwordx2 s[4:5], s[4:5], 0x78
	ds_read_b128 v[62:65], v149 offset:18688
	ds_read_b128 v[58:61], v149 offset:18704
	;; [unrolled: 1-line block ×23, first 2 shown]
	v_add_nc_u32_e32 v144, s21, v1
	ds_read_b128 v[82:85], v148 offset:13328
	v_add_nc_u32_e32 v138, s20, v0
	s_mov_b32 s7, -1
	v_ashrrev_i32_e32 v139, 31, v138
	v_add_nc_u32_e32 v0, 8, v138
	v_ashrrev_i32_e32 v1, 31, v0
	s_waitcnt lgkmcnt(0)
	v_add_f64 v[10:11], v[70:71], v[126:127]
	v_add_f64 v[12:13], v[72:73], v[128:129]
	v_add_f64 v[14:15], v[66:67], v[122:123]
	v_add_f64 v[16:17], v[68:69], v[124:125]
	v_mad_i64_i32 v[130:131], null, v144, s6, 0
	v_mad_i64_i32 v[132:133], null, v144, s1, 0
	s_lshl_b64 s[4:5], s[4:5], 3
	s_add_u32 s4, s12, s4
	s_addc_u32 s5, s13, s5
	v_lshlrev_b64 v[130:131], 3, v[130:131]
	v_lshlrev_b64 v[132:133], 3, v[132:133]
	v_add_co_u32 v145, vcc_lo, s4, v130
	v_add_co_ci_u32_e64 v146, null, s5, v131, vcc_lo
	v_cvt_f32_f64_e32 v134, v[10:11]
	v_cvt_f32_f64_e32 v135, v[12:13]
	;; [unrolled: 1-line block ×4, first 2 shown]
	ds_read_b128 v[78:81], v148 offset:14336
	ds_read_b128 v[74:77], v148 offset:14352
	;; [unrolled: 1-line block ×4, first 2 shown]
	v_add_co_u32 v147, vcc_lo, s10, v132
	v_add_co_ci_u32_e64 v148, null, s11, v133, vcc_lo
	s_mov_b32 vcc_lo, s0
	v_min3_f32 v134, v134, v135, v222
	v_min3_f32 v130, v136, v137, v134
	v_lshlrev_b64 v[134:135], 3, v[138:139]
	v_max_f32_e32 v131, v130, v130
	s_cbranch_vccz .LBB125_37
; %bb.36:
	v_min_f32_e32 v130, 0, v131
	v_add_co_u32 v136, vcc_lo, v145, v134
	v_add_co_ci_u32_e64 v137, null, v146, v135, vcc_lo
	v_cvt_f64_f32_e32 v[132:133], v130
	s_mov_b32 s7, 0
	flat_store_dwordx2 v[136:137], v[132:133]
.LBB125_37:
	v_lshlrev_b64 v[0:1], 3, v[0:1]
	v_mov_b32_e32 v130, 0
	s_andn2_b32 vcc_lo, exec_lo, s7
	s_cbranch_vccnz .LBB125_39
; %bb.38:
	v_add_co_u32 v132, vcc_lo, v147, v134
	v_add_co_ci_u32_e64 v133, null, v148, v135, vcc_lo
	flat_load_dwordx2 v[132:133], v[132:133]
	s_waitcnt vmcnt(0) lgkmcnt(0)
	v_mul_f64 v[132:133], s[2:3], v[132:133]
	v_cvt_f32_f64_e32 v130, v[132:133]
	v_add_co_u32 v132, vcc_lo, v145, v134
	v_add_co_ci_u32_e64 v133, null, v146, v135, vcc_lo
	v_add_co_u32 v136, vcc_lo, v147, v0
	v_add_co_ci_u32_e64 v137, null, v148, v1, vcc_lo
	v_min_f32_e32 v130, v130, v131
	v_cvt_f64_f32_e32 v[130:131], v130
	flat_store_dwordx2 v[132:133], v[130:131]
	flat_load_dwordx2 v[130:131], v[136:137]
	s_waitcnt vmcnt(0) lgkmcnt(0)
	v_mul_f64 v[130:131], s[2:3], v[130:131]
	v_cvt_f32_f64_e32 v130, v[130:131]
.LBB125_39:
	v_add_f64 v[131:132], v[62:63], v[126:127]
	v_add_f64 v[136:137], v[64:65], v[128:129]
	;; [unrolled: 1-line block ×7, first 2 shown]
	s_mov_b32 s7, -1
	v_cvt_f32_f64_e32 v133, v[131:132]
	v_cvt_f32_f64_e32 v136, v[136:137]
	;; [unrolled: 1-line block ×4, first 2 shown]
	v_add_f64 v[131:132], v[52:53], v[124:125]
	v_cvt_f32_f64_e32 v141, v[166:167]
	v_cvt_f32_f64_e32 v142, v[149:150]
	;; [unrolled: 1-line block ×3, first 2 shown]
	v_min3_f32 v133, v133, v136, v220
	v_min_f32_e32 v136, v137, v139
	v_cvt_f32_f64_e32 v131, v[131:132]
	v_add_nc_u32_e32 v132, 16, v138
	v_min3_f32 v130, v130, v136, v133
	v_min3_f32 v136, v141, v142, v221
	v_ashrrev_i32_e32 v133, 31, v132
	v_add_co_u32 v141, vcc_lo, v145, v0
	v_cvt_f64_f32_e32 v[139:140], v130
	v_add_nc_u32_e32 v130, 24, v138
	v_add_co_ci_u32_e64 v142, null, v146, v1, vcc_lo
	s_mov_b32 vcc_lo, s0
	v_min3_f32 v143, v143, v131, v136
	v_lshlrev_b64 v[136:137], 3, v[132:133]
	v_ashrrev_i32_e32 v131, 31, v130
	v_max_f32_e32 v133, v143, v143
	flat_store_dwordx2 v[141:142], v[139:140]
	s_cbranch_vccz .LBB125_41
; %bb.40:
	v_min_f32_e32 v132, 0, v133
	v_add_co_u32 v141, vcc_lo, v145, v136
	v_add_co_ci_u32_e64 v142, null, v146, v137, vcc_lo
	v_cvt_f64_f32_e32 v[139:140], v132
	s_mov_b32 s7, 0
	flat_store_dwordx2 v[141:142], v[139:140]
.LBB125_41:
	v_lshlrev_b64 v[130:131], 3, v[130:131]
	v_mov_b32_e32 v132, 0
	s_andn2_b32 vcc_lo, exec_lo, s7
	s_cbranch_vccnz .LBB125_43
; %bb.42:
	v_add_co_u32 v139, vcc_lo, v147, v136
	v_add_co_ci_u32_e64 v140, null, v148, v137, vcc_lo
	flat_load_dwordx2 v[139:140], v[139:140]
	s_waitcnt vmcnt(0) lgkmcnt(0)
	v_mul_f64 v[139:140], s[2:3], v[139:140]
	v_cvt_f32_f64_e32 v132, v[139:140]
	v_add_co_u32 v139, vcc_lo, v145, v136
	v_add_co_ci_u32_e64 v140, null, v146, v137, vcc_lo
	v_add_co_u32 v141, vcc_lo, v147, v130
	v_add_co_ci_u32_e64 v142, null, v148, v131, vcc_lo
	v_min_f32_e32 v132, v132, v133
	v_cvt_f64_f32_e32 v[132:133], v132
	flat_store_dwordx2 v[139:140], v[132:133]
	flat_load_dwordx2 v[132:133], v[141:142]
	s_waitcnt vmcnt(0) lgkmcnt(0)
	v_mul_f64 v[132:133], s[2:3], v[132:133]
	v_cvt_f32_f64_e32 v132, v[132:133]
.LBB125_43:
	v_add_f64 v[139:140], v[46:47], v[126:127]
	v_add_f64 v[141:142], v[48:49], v[128:129]
	;; [unrolled: 1-line block ×7, first 2 shown]
	s_mov_b32 s7, -1
	v_cvt_f32_f64_e32 v133, v[139:140]
	v_cvt_f32_f64_e32 v141, v[141:142]
	;; [unrolled: 1-line block ×4, first 2 shown]
	v_add_f64 v[139:140], v[36:37], v[124:125]
	v_cvt_f32_f64_e32 v166, v[171:172]
	v_cvt_f32_f64_e32 v167, v[168:169]
	v_cvt_f32_f64_e32 v168, v[174:175]
	v_min3_f32 v133, v133, v141, v218
	v_min_f32_e32 v141, v142, v143
	v_cvt_f32_f64_e32 v142, v[139:140]
	v_add_nc_u32_e32 v139, 32, v138
	v_min3_f32 v132, v132, v141, v133
	v_min3_f32 v133, v166, v167, v219
	v_ashrrev_i32_e32 v140, 31, v139
	v_add_co_u32 v166, vcc_lo, v145, v130
	v_cvt_f64_f32_e32 v[149:150], v132
	v_add_nc_u32_e32 v132, 40, v138
	v_lshlrev_b64 v[140:141], 3, v[139:140]
	v_add_co_ci_u32_e64 v167, null, v146, v131, vcc_lo
	s_mov_b32 vcc_lo, s0
	v_min3_f32 v142, v168, v142, v133
	v_ashrrev_i32_e32 v133, 31, v132
	v_max_f32_e32 v142, v142, v142
	flat_store_dwordx2 v[166:167], v[149:150]
	s_cbranch_vccz .LBB125_45
; %bb.44:
	v_min_f32_e32 v139, 0, v142
	v_add_co_u32 v166, vcc_lo, v145, v140
	v_add_co_ci_u32_e64 v167, null, v146, v141, vcc_lo
	v_cvt_f64_f32_e32 v[149:150], v139
	s_mov_b32 s7, 0
	flat_store_dwordx2 v[166:167], v[149:150]
.LBB125_45:
	v_lshlrev_b64 v[132:133], 3, v[132:133]
	v_mov_b32_e32 v139, 0
	s_andn2_b32 vcc_lo, exec_lo, s7
	s_cbranch_vccnz .LBB125_47
; %bb.46:
	v_add_co_u32 v149, vcc_lo, v147, v140
	v_add_co_ci_u32_e64 v150, null, v148, v141, vcc_lo
	flat_load_dwordx2 v[149:150], v[149:150]
	s_waitcnt vmcnt(0) lgkmcnt(0)
	v_mul_f64 v[149:150], s[2:3], v[149:150]
	v_cvt_f32_f64_e32 v139, v[149:150]
	v_add_co_u32 v149, vcc_lo, v145, v140
	v_add_co_ci_u32_e64 v150, null, v146, v141, vcc_lo
	v_add_co_u32 v166, vcc_lo, v147, v132
	v_add_co_ci_u32_e64 v167, null, v148, v133, vcc_lo
	v_min_f32_e32 v139, v139, v142
	v_cvt_f64_f32_e32 v[142:143], v139
	flat_store_dwordx2 v[149:150], v[142:143]
	flat_load_dwordx2 v[142:143], v[166:167]
	s_waitcnt vmcnt(0) lgkmcnt(0)
	v_mul_f64 v[142:143], s[2:3], v[142:143]
	v_cvt_f32_f64_e32 v139, v[142:143]
.LBB125_47:
	v_add_f64 v[142:143], v[30:31], v[126:127]
	v_add_f64 v[149:150], v[32:33], v[128:129]
	;; [unrolled: 1-line block ×7, first 2 shown]
	s_mov_b32 s7, -1
	v_cvt_f32_f64_e32 v220, v[142:143]
	v_cvt_f32_f64_e32 v149, v[149:150]
	;; [unrolled: 1-line block ×4, first 2 shown]
	v_add_f64 v[142:143], v[20:21], v[124:125]
	v_cvt_f32_f64_e32 v168, v[174:175]
	v_cvt_f32_f64_e32 v169, v[171:172]
	;; [unrolled: 1-line block ×3, first 2 shown]
	v_min3_f32 v149, v220, v149, v216
	v_min_f32_e32 v150, v150, v166
	v_cvt_f32_f64_e32 v172, v[142:143]
	v_add_nc_u32_e32 v142, 48, v138
	v_add_nc_u32_e32 v138, 56, v138
	v_min3_f32 v139, v139, v150, v149
	v_ashrrev_i32_e32 v143, 31, v142
	v_cvt_f64_f32_e32 v[166:167], v139
	v_min3_f32 v139, v168, v169, v217
	v_add_co_u32 v168, vcc_lo, v145, v132
	v_lshlrev_b64 v[142:143], 3, v[142:143]
	v_add_co_ci_u32_e64 v169, null, v146, v133, vcc_lo
	s_mov_b32 vcc_lo, s0
	v_min3_f32 v149, v171, v172, v139
	v_ashrrev_i32_e32 v139, 31, v138
	v_max_f32_e32 v150, v149, v149
	flat_store_dwordx2 v[168:169], v[166:167]
	s_cbranch_vccz .LBB125_49
; %bb.48:
	v_min_f32_e32 v149, 0, v150
	v_add_co_u32 v168, vcc_lo, v145, v142
	v_add_co_ci_u32_e64 v169, null, v146, v143, vcc_lo
	v_cvt_f64_f32_e32 v[166:167], v149
	s_mov_b32 s7, 0
	flat_store_dwordx2 v[168:169], v[166:167]
.LBB125_49:
	v_lshlrev_b64 v[138:139], 3, v[138:139]
	v_mov_b32_e32 v149, 0
	s_andn2_b32 vcc_lo, exec_lo, s7
	s_cbranch_vccnz .LBB125_51
; %bb.50:
	v_add_co_u32 v166, vcc_lo, v147, v142
	v_add_co_ci_u32_e64 v167, null, v148, v143, vcc_lo
	flat_load_dwordx2 v[166:167], v[166:167]
	s_waitcnt vmcnt(0) lgkmcnt(0)
	v_mul_f64 v[166:167], s[2:3], v[166:167]
	v_cvt_f32_f64_e32 v149, v[166:167]
	v_add_co_u32 v166, vcc_lo, v145, v142
	v_add_co_ci_u32_e64 v167, null, v146, v143, vcc_lo
	v_add_co_u32 v147, vcc_lo, v147, v138
	v_add_co_ci_u32_e64 v148, null, v148, v139, vcc_lo
	v_min_f32_e32 v149, v149, v150
	v_cvt_f64_f32_e32 v[149:150], v149
	flat_store_dwordx2 v[166:167], v[149:150]
	flat_load_dwordx2 v[147:148], v[147:148]
	s_waitcnt vmcnt(0) lgkmcnt(0)
	v_mul_f64 v[147:148], s[2:3], v[147:148]
	v_cvt_f32_f64_e32 v149, v[147:148]
.LBB125_51:
	v_add_f64 v[126:127], v[2:3], v[126:127]
	v_add_f64 v[128:129], v[4:5], v[128:129]
	;; [unrolled: 1-line block ×6, first 2 shown]
	v_add_co_u32 v145, vcc_lo, v145, v138
	v_add_co_ci_u32_e64 v146, null, v146, v139, vcc_lo
	s_mov_b32 s7, -1
	v_cvt_f32_f64_e32 v126, v[126:127]
	v_cvt_f32_f64_e32 v127, v[128:129]
	;; [unrolled: 1-line block ×4, first 2 shown]
	v_add_f64 v[122:123], v[66:67], v[114:115]
	v_add_f64 v[124:125], v[68:69], v[116:117]
	v_cvt_f32_f64_e32 v150, v[166:167]
	v_cvt_f32_f64_e32 v147, v[147:148]
	v_add_nc_u32_e32 v148, 32, v144
	v_min3_f32 v126, v126, v127, v214
	v_min_f32_e32 v127, v128, v129
	v_cvt_f32_f64_e32 v166, v[122:123]
	v_cvt_f32_f64_e32 v167, v[124:125]
	v_mad_i64_i32 v[122:123], null, v148, s6, 0
	v_min3_f32 v124, v149, v127, v126
	v_min3_f32 v126, v150, v147, v215
	v_cvt_f64_f32_e32 v[128:129], v124
	v_mad_i64_i32 v[124:125], null, v148, s1, 0
	v_lshlrev_b64 v[122:123], 3, v[122:123]
	v_add_co_u32 v122, vcc_lo, s4, v122
	v_lshlrev_b64 v[124:125], 3, v[124:125]
	v_add_co_ci_u32_e64 v123, null, s5, v123, vcc_lo
	v_min3_f32 v126, v166, v167, v126
	v_add_co_u32 v124, vcc_lo, s10, v124
	v_add_co_ci_u32_e64 v125, null, s11, v125, vcc_lo
	v_max_f32_e32 v127, v126, v126
	s_mov_b32 vcc_lo, s0
	flat_store_dwordx2 v[145:146], v[128:129]
	s_cbranch_vccz .LBB125_53
; %bb.52:
	v_min_f32_e32 v126, 0, v127
	v_add_co_u32 v145, vcc_lo, v122, v134
	v_add_co_ci_u32_e64 v146, null, v123, v135, vcc_lo
	v_cvt_f64_f32_e32 v[128:129], v126
	s_mov_b32 s7, 0
	flat_store_dwordx2 v[145:146], v[128:129]
.LBB125_53:
	v_mov_b32_e32 v126, 0
	s_andn2_b32 vcc_lo, exec_lo, s7
	s_cbranch_vccnz .LBB125_55
; %bb.54:
	v_add_co_u32 v128, vcc_lo, v124, v134
	v_add_co_ci_u32_e64 v129, null, v125, v135, vcc_lo
	flat_load_dwordx2 v[128:129], v[128:129]
	s_waitcnt vmcnt(0) lgkmcnt(0)
	v_mul_f64 v[128:129], s[2:3], v[128:129]
	v_cvt_f32_f64_e32 v126, v[128:129]
	v_add_co_u32 v128, vcc_lo, v122, v134
	v_add_co_ci_u32_e64 v129, null, v123, v135, vcc_lo
	v_add_co_u32 v145, vcc_lo, v124, v0
	v_add_co_ci_u32_e64 v146, null, v125, v1, vcc_lo
	v_min_f32_e32 v126, v126, v127
	v_cvt_f64_f32_e32 v[126:127], v126
	flat_store_dwordx2 v[128:129], v[126:127]
	flat_load_dwordx2 v[126:127], v[145:146]
	s_waitcnt vmcnt(0) lgkmcnt(0)
	v_mul_f64 v[126:127], s[2:3], v[126:127]
	v_cvt_f32_f64_e32 v126, v[126:127]
.LBB125_55:
	v_add_f64 v[127:128], v[62:63], v[118:119]
	v_add_f64 v[145:146], v[64:65], v[120:121]
	v_add_f64 v[147:148], v[58:59], v[114:115]
	v_add_f64 v[149:150], v[60:61], v[116:117]
	v_add_f64 v[166:167], v[56:57], v[120:121]
	v_add_f64 v[168:169], v[54:55], v[118:119]
	v_add_f64 v[171:172], v[50:51], v[114:115]
	s_mov_b32 s7, -1
	v_cvt_f32_f64_e32 v129, v[127:128]
	v_cvt_f32_f64_e32 v145, v[145:146]
	v_cvt_f32_f64_e32 v146, v[147:148]
	v_cvt_f32_f64_e32 v147, v[149:150]
	v_add_f64 v[127:128], v[52:53], v[116:117]
	v_cvt_f32_f64_e32 v148, v[168:169]
	v_cvt_f32_f64_e32 v149, v[166:167]
	v_cvt_f32_f64_e32 v150, v[171:172]
	v_min3_f32 v129, v129, v145, v212
	v_min_f32_e32 v145, v146, v147
	v_cvt_f32_f64_e32 v127, v[127:128]
	v_min3_f32 v126, v126, v145, v129
	v_add_co_u32 v145, vcc_lo, v122, v0
	v_add_co_ci_u32_e64 v146, null, v123, v1, vcc_lo
	v_cvt_f64_f32_e32 v[128:129], v126
	v_min3_f32 v126, v148, v149, v213
	s_mov_b32 vcc_lo, s0
	v_min3_f32 v126, v150, v127, v126
	v_max_f32_e32 v127, v126, v126
	flat_store_dwordx2 v[145:146], v[128:129]
	s_cbranch_vccz .LBB125_57
; %bb.56:
	v_min_f32_e32 v126, 0, v127
	v_add_co_u32 v145, vcc_lo, v122, v136
	v_add_co_ci_u32_e64 v146, null, v123, v137, vcc_lo
	v_cvt_f64_f32_e32 v[128:129], v126
	s_mov_b32 s7, 0
	flat_store_dwordx2 v[145:146], v[128:129]
.LBB125_57:
	v_mov_b32_e32 v126, 0
	s_andn2_b32 vcc_lo, exec_lo, s7
	s_cbranch_vccnz .LBB125_59
; %bb.58:
	v_add_co_u32 v128, vcc_lo, v124, v136
	v_add_co_ci_u32_e64 v129, null, v125, v137, vcc_lo
	flat_load_dwordx2 v[128:129], v[128:129]
	s_waitcnt vmcnt(0) lgkmcnt(0)
	v_mul_f64 v[128:129], s[2:3], v[128:129]
	v_cvt_f32_f64_e32 v126, v[128:129]
	v_add_co_u32 v128, vcc_lo, v122, v136
	v_add_co_ci_u32_e64 v129, null, v123, v137, vcc_lo
	v_add_co_u32 v145, vcc_lo, v124, v130
	v_add_co_ci_u32_e64 v146, null, v125, v131, vcc_lo
	v_min_f32_e32 v126, v126, v127
	v_cvt_f64_f32_e32 v[126:127], v126
	flat_store_dwordx2 v[128:129], v[126:127]
	flat_load_dwordx2 v[126:127], v[145:146]
	s_waitcnt vmcnt(0) lgkmcnt(0)
	v_mul_f64 v[126:127], s[2:3], v[126:127]
	v_cvt_f32_f64_e32 v126, v[126:127]
.LBB125_59:
	v_add_f64 v[127:128], v[46:47], v[118:119]
	v_add_f64 v[145:146], v[48:49], v[120:121]
	v_add_f64 v[147:148], v[42:43], v[114:115]
	v_add_f64 v[149:150], v[44:45], v[116:117]
	v_add_f64 v[166:167], v[40:41], v[120:121]
	v_add_f64 v[168:169], v[38:39], v[118:119]
	v_add_f64 v[171:172], v[34:35], v[114:115]
	s_mov_b32 s7, -1
	v_cvt_f32_f64_e32 v129, v[127:128]
	v_cvt_f32_f64_e32 v145, v[145:146]
	v_cvt_f32_f64_e32 v146, v[147:148]
	v_cvt_f32_f64_e32 v147, v[149:150]
	v_add_f64 v[127:128], v[36:37], v[116:117]
	v_cvt_f32_f64_e32 v148, v[168:169]
	v_cvt_f32_f64_e32 v149, v[166:167]
	v_cvt_f32_f64_e32 v150, v[171:172]
	v_min3_f32 v129, v129, v145, v210
	v_min_f32_e32 v145, v146, v147
	v_cvt_f32_f64_e32 v127, v[127:128]
	v_min3_f32 v126, v126, v145, v129
	v_add_co_u32 v145, vcc_lo, v122, v130
	v_add_co_ci_u32_e64 v146, null, v123, v131, vcc_lo
	v_cvt_f64_f32_e32 v[128:129], v126
	v_min3_f32 v126, v148, v149, v211
	s_mov_b32 vcc_lo, s0
	v_min3_f32 v126, v150, v127, v126
	v_max_f32_e32 v127, v126, v126
	;; [unrolled: 59-line block ×3, first 2 shown]
	flat_store_dwordx2 v[145:146], v[128:129]
	s_cbranch_vccz .LBB125_65
; %bb.64:
	v_min_f32_e32 v126, 0, v127
	v_add_co_u32 v145, vcc_lo, v122, v142
	v_add_co_ci_u32_e64 v146, null, v123, v143, vcc_lo
	v_cvt_f64_f32_e32 v[128:129], v126
	s_mov_b32 s7, 0
	flat_store_dwordx2 v[145:146], v[128:129]
.LBB125_65:
	v_mov_b32_e32 v126, 0
	s_andn2_b32 vcc_lo, exec_lo, s7
	s_cbranch_vccnz .LBB125_67
; %bb.66:
	v_add_co_u32 v128, vcc_lo, v124, v142
	v_add_co_ci_u32_e64 v129, null, v125, v143, vcc_lo
	flat_load_dwordx2 v[128:129], v[128:129]
	s_waitcnt vmcnt(0) lgkmcnt(0)
	v_mul_f64 v[128:129], s[2:3], v[128:129]
	v_cvt_f32_f64_e32 v126, v[128:129]
	v_add_co_u32 v128, vcc_lo, v122, v142
	v_add_co_ci_u32_e64 v129, null, v123, v143, vcc_lo
	v_add_co_u32 v124, vcc_lo, v124, v138
	v_add_co_ci_u32_e64 v125, null, v125, v139, vcc_lo
	v_min_f32_e32 v126, v126, v127
	v_cvt_f64_f32_e32 v[126:127], v126
	flat_store_dwordx2 v[128:129], v[126:127]
	flat_load_dwordx2 v[124:125], v[124:125]
	s_waitcnt vmcnt(0) lgkmcnt(0)
	v_mul_f64 v[124:125], s[2:3], v[124:125]
	v_cvt_f32_f64_e32 v126, v[124:125]
.LBB125_67:
	v_add_f64 v[118:119], v[2:3], v[118:119]
	v_add_f64 v[120:121], v[4:5], v[120:121]
	;; [unrolled: 1-line block ×6, first 2 shown]
	v_add_co_u32 v122, vcc_lo, v122, v138
	v_add_co_ci_u32_e64 v123, null, v123, v139, vcc_lo
	s_mov_b32 s7, -1
	v_cvt_f32_f64_e32 v118, v[118:119]
	v_cvt_f32_f64_e32 v119, v[120:121]
	;; [unrolled: 1-line block ×4, first 2 shown]
	v_add_f64 v[114:115], v[66:67], v[106:107]
	v_add_f64 v[116:117], v[68:69], v[108:109]
	v_cvt_f32_f64_e32 v127, v[127:128]
	v_cvt_f32_f64_e32 v124, v[124:125]
	v_add_nc_u32_e32 v125, 64, v144
	v_min3_f32 v118, v118, v119, v207
	v_min_f32_e32 v119, v120, v121
	v_cvt_f32_f64_e32 v128, v[114:115]
	v_cvt_f32_f64_e32 v129, v[116:117]
	v_mad_i64_i32 v[114:115], null, v125, s6, 0
	v_min3_f32 v116, v126, v119, v118
	v_min3_f32 v118, v127, v124, v206
	v_cvt_f64_f32_e32 v[120:121], v116
	v_mad_i64_i32 v[116:117], null, v125, s1, 0
	v_lshlrev_b64 v[114:115], 3, v[114:115]
	v_add_co_u32 v114, vcc_lo, s4, v114
	v_lshlrev_b64 v[116:117], 3, v[116:117]
	v_add_co_ci_u32_e64 v115, null, s5, v115, vcc_lo
	v_min3_f32 v118, v128, v129, v118
	v_add_co_u32 v116, vcc_lo, s10, v116
	v_add_co_ci_u32_e64 v117, null, s11, v117, vcc_lo
	v_max_f32_e32 v119, v118, v118
	s_mov_b32 vcc_lo, s0
	flat_store_dwordx2 v[122:123], v[120:121]
	s_cbranch_vccz .LBB125_69
; %bb.68:
	v_min_f32_e32 v118, 0, v119
	v_add_co_u32 v122, vcc_lo, v114, v134
	v_add_co_ci_u32_e64 v123, null, v115, v135, vcc_lo
	v_cvt_f64_f32_e32 v[120:121], v118
	s_mov_b32 s7, 0
	flat_store_dwordx2 v[122:123], v[120:121]
.LBB125_69:
	v_mov_b32_e32 v118, 0
	s_andn2_b32 vcc_lo, exec_lo, s7
	s_cbranch_vccnz .LBB125_71
; %bb.70:
	v_add_co_u32 v120, vcc_lo, v116, v134
	v_add_co_ci_u32_e64 v121, null, v117, v135, vcc_lo
	flat_load_dwordx2 v[120:121], v[120:121]
	s_waitcnt vmcnt(0) lgkmcnt(0)
	v_mul_f64 v[120:121], s[2:3], v[120:121]
	v_cvt_f32_f64_e32 v118, v[120:121]
	v_add_co_u32 v120, vcc_lo, v114, v134
	v_add_co_ci_u32_e64 v121, null, v115, v135, vcc_lo
	v_add_co_u32 v122, vcc_lo, v116, v0
	v_add_co_ci_u32_e64 v123, null, v117, v1, vcc_lo
	v_min_f32_e32 v118, v118, v119
	v_cvt_f64_f32_e32 v[118:119], v118
	flat_store_dwordx2 v[120:121], v[118:119]
	flat_load_dwordx2 v[118:119], v[122:123]
	s_waitcnt vmcnt(0) lgkmcnt(0)
	v_mul_f64 v[118:119], s[2:3], v[118:119]
	v_cvt_f32_f64_e32 v118, v[118:119]
.LBB125_71:
	v_add_f64 v[119:120], v[62:63], v[110:111]
	v_add_f64 v[121:122], v[64:65], v[112:113]
	v_add_f64 v[123:124], v[58:59], v[106:107]
	v_add_f64 v[125:126], v[60:61], v[108:109]
	v_add_f64 v[127:128], v[56:57], v[112:113]
	v_add_f64 v[145:146], v[54:55], v[110:111]
	v_add_f64 v[147:148], v[50:51], v[106:107]
	s_mov_b32 s7, -1
	v_cvt_f32_f64_e32 v129, v[119:120]
	v_cvt_f32_f64_e32 v121, v[121:122]
	v_cvt_f32_f64_e32 v122, v[123:124]
	v_cvt_f32_f64_e32 v123, v[125:126]
	v_add_f64 v[119:120], v[52:53], v[108:109]
	v_cvt_f32_f64_e32 v124, v[145:146]
	v_cvt_f32_f64_e32 v125, v[127:128]
	v_cvt_f32_f64_e32 v126, v[147:148]
	v_min3_f32 v121, v129, v121, v204
	v_min_f32_e32 v122, v122, v123
	v_cvt_f32_f64_e32 v119, v[119:120]
	v_min3_f32 v118, v118, v122, v121
	v_add_co_u32 v122, vcc_lo, v114, v0
	v_add_co_ci_u32_e64 v123, null, v115, v1, vcc_lo
	v_cvt_f64_f32_e32 v[120:121], v118
	v_min3_f32 v118, v124, v125, v205
	s_mov_b32 vcc_lo, s0
	v_min3_f32 v118, v126, v119, v118
	v_max_f32_e32 v119, v118, v118
	flat_store_dwordx2 v[122:123], v[120:121]
	s_cbranch_vccz .LBB125_73
; %bb.72:
	v_min_f32_e32 v118, 0, v119
	v_add_co_u32 v122, vcc_lo, v114, v136
	v_add_co_ci_u32_e64 v123, null, v115, v137, vcc_lo
	v_cvt_f64_f32_e32 v[120:121], v118
	s_mov_b32 s7, 0
	flat_store_dwordx2 v[122:123], v[120:121]
.LBB125_73:
	v_mov_b32_e32 v118, 0
	s_andn2_b32 vcc_lo, exec_lo, s7
	s_cbranch_vccnz .LBB125_75
; %bb.74:
	v_add_co_u32 v120, vcc_lo, v116, v136
	v_add_co_ci_u32_e64 v121, null, v117, v137, vcc_lo
	flat_load_dwordx2 v[120:121], v[120:121]
	s_waitcnt vmcnt(0) lgkmcnt(0)
	v_mul_f64 v[120:121], s[2:3], v[120:121]
	v_cvt_f32_f64_e32 v118, v[120:121]
	v_add_co_u32 v120, vcc_lo, v114, v136
	v_add_co_ci_u32_e64 v121, null, v115, v137, vcc_lo
	v_add_co_u32 v122, vcc_lo, v116, v130
	v_add_co_ci_u32_e64 v123, null, v117, v131, vcc_lo
	v_min_f32_e32 v118, v118, v119
	v_cvt_f64_f32_e32 v[118:119], v118
	flat_store_dwordx2 v[120:121], v[118:119]
	flat_load_dwordx2 v[118:119], v[122:123]
	s_waitcnt vmcnt(0) lgkmcnt(0)
	v_mul_f64 v[118:119], s[2:3], v[118:119]
	v_cvt_f32_f64_e32 v118, v[118:119]
.LBB125_75:
	v_add_f64 v[119:120], v[46:47], v[110:111]
	v_add_f64 v[121:122], v[48:49], v[112:113]
	v_add_f64 v[123:124], v[42:43], v[106:107]
	v_add_f64 v[125:126], v[44:45], v[108:109]
	v_add_f64 v[127:128], v[40:41], v[112:113]
	v_add_f64 v[145:146], v[38:39], v[110:111]
	v_add_f64 v[147:148], v[34:35], v[106:107]
	s_mov_b32 s7, -1
	v_cvt_f32_f64_e32 v129, v[119:120]
	v_cvt_f32_f64_e32 v121, v[121:122]
	v_cvt_f32_f64_e32 v122, v[123:124]
	v_cvt_f32_f64_e32 v123, v[125:126]
	v_add_f64 v[119:120], v[36:37], v[108:109]
	v_cvt_f32_f64_e32 v124, v[145:146]
	v_cvt_f32_f64_e32 v125, v[127:128]
	v_cvt_f32_f64_e32 v126, v[147:148]
	v_min3_f32 v121, v129, v121, v202
	v_min_f32_e32 v122, v122, v123
	v_cvt_f32_f64_e32 v119, v[119:120]
	v_min3_f32 v118, v118, v122, v121
	v_add_co_u32 v122, vcc_lo, v114, v130
	v_add_co_ci_u32_e64 v123, null, v115, v131, vcc_lo
	v_cvt_f64_f32_e32 v[120:121], v118
	v_min3_f32 v118, v124, v125, v203
	s_mov_b32 vcc_lo, s0
	v_min3_f32 v118, v126, v119, v118
	v_max_f32_e32 v119, v118, v118
	;; [unrolled: 59-line block ×3, first 2 shown]
	flat_store_dwordx2 v[122:123], v[120:121]
	s_cbranch_vccz .LBB125_81
; %bb.80:
	v_min_f32_e32 v118, 0, v119
	v_add_co_u32 v122, vcc_lo, v114, v142
	v_add_co_ci_u32_e64 v123, null, v115, v143, vcc_lo
	v_cvt_f64_f32_e32 v[120:121], v118
	s_mov_b32 s7, 0
	flat_store_dwordx2 v[122:123], v[120:121]
.LBB125_81:
	v_mov_b32_e32 v118, 0
	s_andn2_b32 vcc_lo, exec_lo, s7
	s_cbranch_vccnz .LBB125_83
; %bb.82:
	v_add_co_u32 v120, vcc_lo, v116, v142
	v_add_co_ci_u32_e64 v121, null, v117, v143, vcc_lo
	flat_load_dwordx2 v[120:121], v[120:121]
	s_waitcnt vmcnt(0) lgkmcnt(0)
	v_mul_f64 v[120:121], s[2:3], v[120:121]
	v_cvt_f32_f64_e32 v118, v[120:121]
	v_add_co_u32 v120, vcc_lo, v114, v142
	v_add_co_ci_u32_e64 v121, null, v115, v143, vcc_lo
	v_add_co_u32 v116, vcc_lo, v116, v138
	v_add_co_ci_u32_e64 v117, null, v117, v139, vcc_lo
	v_min_f32_e32 v118, v118, v119
	v_cvt_f64_f32_e32 v[118:119], v118
	flat_store_dwordx2 v[120:121], v[118:119]
	flat_load_dwordx2 v[116:117], v[116:117]
	s_waitcnt vmcnt(0) lgkmcnt(0)
	v_mul_f64 v[116:117], s[2:3], v[116:117]
	v_cvt_f32_f64_e32 v118, v[116:117]
.LBB125_83:
	v_add_f64 v[110:111], v[2:3], v[110:111]
	v_add_f64 v[112:113], v[4:5], v[112:113]
	;; [unrolled: 1-line block ×6, first 2 shown]
	v_add_co_u32 v114, vcc_lo, v114, v138
	v_add_co_ci_u32_e64 v115, null, v115, v139, vcc_lo
	s_mov_b32 s7, -1
	v_cvt_f32_f64_e32 v110, v[110:111]
	v_cvt_f32_f64_e32 v111, v[112:113]
	;; [unrolled: 1-line block ×4, first 2 shown]
	v_add_f64 v[106:107], v[66:67], v[98:99]
	v_add_f64 v[108:109], v[68:69], v[100:101]
	v_cvt_f32_f64_e32 v119, v[119:120]
	v_cvt_f32_f64_e32 v116, v[116:117]
	v_add_nc_u32_e32 v117, 0x60, v144
	v_min3_f32 v110, v110, v111, v198
	v_min_f32_e32 v111, v112, v113
	v_cvt_f32_f64_e32 v120, v[106:107]
	v_cvt_f32_f64_e32 v121, v[108:109]
	v_mad_i64_i32 v[106:107], null, v117, s6, 0
	v_min3_f32 v108, v118, v111, v110
	v_min3_f32 v110, v119, v116, v199
	v_cvt_f64_f32_e32 v[112:113], v108
	v_mad_i64_i32 v[108:109], null, v117, s1, 0
	v_lshlrev_b64 v[106:107], 3, v[106:107]
	v_add_co_u32 v106, vcc_lo, s4, v106
	v_lshlrev_b64 v[108:109], 3, v[108:109]
	v_add_co_ci_u32_e64 v107, null, s5, v107, vcc_lo
	v_min3_f32 v110, v120, v121, v110
	v_add_co_u32 v108, vcc_lo, s10, v108
	v_add_co_ci_u32_e64 v109, null, s11, v109, vcc_lo
	v_max_f32_e32 v111, v110, v110
	s_mov_b32 vcc_lo, s0
	flat_store_dwordx2 v[114:115], v[112:113]
	s_cbranch_vccz .LBB125_85
; %bb.84:
	v_min_f32_e32 v110, 0, v111
	v_add_co_u32 v114, vcc_lo, v106, v134
	v_add_co_ci_u32_e64 v115, null, v107, v135, vcc_lo
	v_cvt_f64_f32_e32 v[112:113], v110
	s_mov_b32 s7, 0
	flat_store_dwordx2 v[114:115], v[112:113]
.LBB125_85:
	v_mov_b32_e32 v110, 0
	s_andn2_b32 vcc_lo, exec_lo, s7
	s_cbranch_vccnz .LBB125_87
; %bb.86:
	v_add_co_u32 v112, vcc_lo, v108, v134
	v_add_co_ci_u32_e64 v113, null, v109, v135, vcc_lo
	flat_load_dwordx2 v[112:113], v[112:113]
	s_waitcnt vmcnt(0) lgkmcnt(0)
	v_mul_f64 v[112:113], s[2:3], v[112:113]
	v_cvt_f32_f64_e32 v110, v[112:113]
	v_add_co_u32 v112, vcc_lo, v106, v134
	v_add_co_ci_u32_e64 v113, null, v107, v135, vcc_lo
	v_add_co_u32 v114, vcc_lo, v108, v0
	v_add_co_ci_u32_e64 v115, null, v109, v1, vcc_lo
	v_min_f32_e32 v110, v110, v111
	v_cvt_f64_f32_e32 v[110:111], v110
	flat_store_dwordx2 v[112:113], v[110:111]
	flat_load_dwordx2 v[110:111], v[114:115]
	s_waitcnt vmcnt(0) lgkmcnt(0)
	v_mul_f64 v[110:111], s[2:3], v[110:111]
	v_cvt_f32_f64_e32 v110, v[110:111]
.LBB125_87:
	v_add_f64 v[111:112], v[62:63], v[102:103]
	v_add_f64 v[113:114], v[64:65], v[104:105]
	v_add_f64 v[115:116], v[58:59], v[98:99]
	v_add_f64 v[117:118], v[60:61], v[100:101]
	v_add_f64 v[119:120], v[56:57], v[104:105]
	v_add_f64 v[121:122], v[54:55], v[102:103]
	v_add_f64 v[123:124], v[50:51], v[98:99]
	s_mov_b32 s7, -1
	v_cvt_f32_f64_e32 v125, v[111:112]
	v_cvt_f32_f64_e32 v113, v[113:114]
	v_cvt_f32_f64_e32 v114, v[115:116]
	v_cvt_f32_f64_e32 v115, v[117:118]
	v_add_f64 v[111:112], v[52:53], v[100:101]
	v_cvt_f32_f64_e32 v116, v[121:122]
	v_cvt_f32_f64_e32 v117, v[119:120]
	v_cvt_f32_f64_e32 v118, v[123:124]
	v_min3_f32 v113, v125, v113, v196
	v_min_f32_e32 v114, v114, v115
	v_cvt_f32_f64_e32 v111, v[111:112]
	v_min3_f32 v110, v110, v114, v113
	v_add_co_u32 v114, vcc_lo, v106, v0
	v_add_co_ci_u32_e64 v115, null, v107, v1, vcc_lo
	v_cvt_f64_f32_e32 v[112:113], v110
	v_min3_f32 v110, v116, v117, v197
	s_mov_b32 vcc_lo, s0
	v_min3_f32 v110, v118, v111, v110
	v_max_f32_e32 v111, v110, v110
	flat_store_dwordx2 v[114:115], v[112:113]
	s_cbranch_vccz .LBB125_89
; %bb.88:
	v_min_f32_e32 v110, 0, v111
	v_add_co_u32 v114, vcc_lo, v106, v136
	v_add_co_ci_u32_e64 v115, null, v107, v137, vcc_lo
	v_cvt_f64_f32_e32 v[112:113], v110
	s_mov_b32 s7, 0
	flat_store_dwordx2 v[114:115], v[112:113]
.LBB125_89:
	v_mov_b32_e32 v110, 0
	s_andn2_b32 vcc_lo, exec_lo, s7
	s_cbranch_vccnz .LBB125_91
; %bb.90:
	v_add_co_u32 v112, vcc_lo, v108, v136
	v_add_co_ci_u32_e64 v113, null, v109, v137, vcc_lo
	flat_load_dwordx2 v[112:113], v[112:113]
	s_waitcnt vmcnt(0) lgkmcnt(0)
	v_mul_f64 v[112:113], s[2:3], v[112:113]
	v_cvt_f32_f64_e32 v110, v[112:113]
	v_add_co_u32 v112, vcc_lo, v106, v136
	v_add_co_ci_u32_e64 v113, null, v107, v137, vcc_lo
	v_add_co_u32 v114, vcc_lo, v108, v130
	v_add_co_ci_u32_e64 v115, null, v109, v131, vcc_lo
	v_min_f32_e32 v110, v110, v111
	v_cvt_f64_f32_e32 v[110:111], v110
	flat_store_dwordx2 v[112:113], v[110:111]
	flat_load_dwordx2 v[110:111], v[114:115]
	s_waitcnt vmcnt(0) lgkmcnt(0)
	v_mul_f64 v[110:111], s[2:3], v[110:111]
	v_cvt_f32_f64_e32 v110, v[110:111]
.LBB125_91:
	v_add_f64 v[111:112], v[46:47], v[102:103]
	v_add_f64 v[113:114], v[48:49], v[104:105]
	v_add_f64 v[115:116], v[42:43], v[98:99]
	v_add_f64 v[117:118], v[44:45], v[100:101]
	v_add_f64 v[119:120], v[40:41], v[104:105]
	v_add_f64 v[121:122], v[38:39], v[102:103]
	v_add_f64 v[123:124], v[34:35], v[98:99]
	s_mov_b32 s7, -1
	v_cvt_f32_f64_e32 v125, v[111:112]
	v_cvt_f32_f64_e32 v113, v[113:114]
	v_cvt_f32_f64_e32 v114, v[115:116]
	v_cvt_f32_f64_e32 v115, v[117:118]
	v_add_f64 v[111:112], v[36:37], v[100:101]
	v_cvt_f32_f64_e32 v116, v[121:122]
	v_cvt_f32_f64_e32 v117, v[119:120]
	v_cvt_f32_f64_e32 v118, v[123:124]
	v_min3_f32 v113, v125, v113, v194
	v_min_f32_e32 v114, v114, v115
	v_cvt_f32_f64_e32 v111, v[111:112]
	v_min3_f32 v110, v110, v114, v113
	v_add_co_u32 v114, vcc_lo, v106, v130
	v_add_co_ci_u32_e64 v115, null, v107, v131, vcc_lo
	v_cvt_f64_f32_e32 v[112:113], v110
	v_min3_f32 v110, v116, v117, v195
	s_mov_b32 vcc_lo, s0
	v_min3_f32 v110, v118, v111, v110
	v_max_f32_e32 v111, v110, v110
	;; [unrolled: 59-line block ×3, first 2 shown]
	flat_store_dwordx2 v[114:115], v[112:113]
	s_cbranch_vccz .LBB125_97
; %bb.96:
	v_min_f32_e32 v110, 0, v111
	v_add_co_u32 v114, vcc_lo, v106, v142
	v_add_co_ci_u32_e64 v115, null, v107, v143, vcc_lo
	v_cvt_f64_f32_e32 v[112:113], v110
	s_mov_b32 s7, 0
	flat_store_dwordx2 v[114:115], v[112:113]
.LBB125_97:
	v_mov_b32_e32 v110, 0
	s_andn2_b32 vcc_lo, exec_lo, s7
	s_cbranch_vccnz .LBB125_99
; %bb.98:
	v_add_co_u32 v112, vcc_lo, v108, v142
	v_add_co_ci_u32_e64 v113, null, v109, v143, vcc_lo
	flat_load_dwordx2 v[112:113], v[112:113]
	s_waitcnt vmcnt(0) lgkmcnt(0)
	v_mul_f64 v[112:113], s[2:3], v[112:113]
	v_cvt_f32_f64_e32 v110, v[112:113]
	v_add_co_u32 v112, vcc_lo, v106, v142
	v_add_co_ci_u32_e64 v113, null, v107, v143, vcc_lo
	v_add_co_u32 v108, vcc_lo, v108, v138
	v_add_co_ci_u32_e64 v109, null, v109, v139, vcc_lo
	v_min_f32_e32 v110, v110, v111
	v_cvt_f64_f32_e32 v[110:111], v110
	flat_store_dwordx2 v[112:113], v[110:111]
	flat_load_dwordx2 v[108:109], v[108:109]
	s_waitcnt vmcnt(0) lgkmcnt(0)
	v_mul_f64 v[108:109], s[2:3], v[108:109]
	v_cvt_f32_f64_e32 v110, v[108:109]
.LBB125_99:
	v_add_f64 v[102:103], v[2:3], v[102:103]
	v_add_f64 v[104:105], v[4:5], v[104:105]
	;; [unrolled: 1-line block ×6, first 2 shown]
	v_add_co_u32 v106, vcc_lo, v106, v138
	v_add_co_ci_u32_e64 v107, null, v107, v139, vcc_lo
	s_mov_b32 s7, -1
	v_cvt_f32_f64_e32 v102, v[102:103]
	v_cvt_f32_f64_e32 v103, v[104:105]
	;; [unrolled: 1-line block ×4, first 2 shown]
	v_add_f64 v[98:99], v[66:67], v[90:91]
	v_add_f64 v[100:101], v[68:69], v[92:93]
	v_cvt_f32_f64_e32 v111, v[111:112]
	v_cvt_f32_f64_e32 v108, v[108:109]
	v_add_nc_u32_e32 v109, 0x80, v144
	v_min3_f32 v102, v102, v103, v190
	v_min_f32_e32 v103, v104, v105
	v_cvt_f32_f64_e32 v112, v[98:99]
	v_cvt_f32_f64_e32 v113, v[100:101]
	v_mad_i64_i32 v[98:99], null, v109, s6, 0
	v_min3_f32 v100, v110, v103, v102
	v_min3_f32 v102, v111, v108, v191
	v_cvt_f64_f32_e32 v[104:105], v100
	v_mad_i64_i32 v[100:101], null, v109, s1, 0
	v_lshlrev_b64 v[98:99], 3, v[98:99]
	v_add_co_u32 v98, vcc_lo, s4, v98
	v_lshlrev_b64 v[100:101], 3, v[100:101]
	v_add_co_ci_u32_e64 v99, null, s5, v99, vcc_lo
	v_min3_f32 v102, v112, v113, v102
	v_add_co_u32 v100, vcc_lo, s10, v100
	v_add_co_ci_u32_e64 v101, null, s11, v101, vcc_lo
	v_max_f32_e32 v103, v102, v102
	s_mov_b32 vcc_lo, s0
	flat_store_dwordx2 v[106:107], v[104:105]
	s_cbranch_vccz .LBB125_101
; %bb.100:
	v_min_f32_e32 v102, 0, v103
	v_add_co_u32 v106, vcc_lo, v98, v134
	v_add_co_ci_u32_e64 v107, null, v99, v135, vcc_lo
	v_cvt_f64_f32_e32 v[104:105], v102
	s_mov_b32 s7, 0
	flat_store_dwordx2 v[106:107], v[104:105]
.LBB125_101:
	v_mov_b32_e32 v102, 0
	s_andn2_b32 vcc_lo, exec_lo, s7
	s_cbranch_vccnz .LBB125_103
; %bb.102:
	v_add_co_u32 v104, vcc_lo, v100, v134
	v_add_co_ci_u32_e64 v105, null, v101, v135, vcc_lo
	flat_load_dwordx2 v[104:105], v[104:105]
	s_waitcnt vmcnt(0) lgkmcnt(0)
	v_mul_f64 v[104:105], s[2:3], v[104:105]
	v_cvt_f32_f64_e32 v102, v[104:105]
	v_add_co_u32 v104, vcc_lo, v98, v134
	v_add_co_ci_u32_e64 v105, null, v99, v135, vcc_lo
	v_add_co_u32 v106, vcc_lo, v100, v0
	v_add_co_ci_u32_e64 v107, null, v101, v1, vcc_lo
	v_min_f32_e32 v102, v102, v103
	v_cvt_f64_f32_e32 v[102:103], v102
	flat_store_dwordx2 v[104:105], v[102:103]
	flat_load_dwordx2 v[102:103], v[106:107]
	s_waitcnt vmcnt(0) lgkmcnt(0)
	v_mul_f64 v[102:103], s[2:3], v[102:103]
	v_cvt_f32_f64_e32 v102, v[102:103]
.LBB125_103:
	v_add_f64 v[103:104], v[62:63], v[94:95]
	v_add_f64 v[105:106], v[64:65], v[96:97]
	v_add_f64 v[107:108], v[58:59], v[90:91]
	v_add_f64 v[109:110], v[60:61], v[92:93]
	v_add_f64 v[111:112], v[56:57], v[96:97]
	v_add_f64 v[113:114], v[54:55], v[94:95]
	v_add_f64 v[115:116], v[50:51], v[90:91]
	s_mov_b32 s7, -1
	v_cvt_f32_f64_e32 v117, v[103:104]
	v_cvt_f32_f64_e32 v105, v[105:106]
	v_cvt_f32_f64_e32 v106, v[107:108]
	v_cvt_f32_f64_e32 v107, v[109:110]
	v_add_f64 v[103:104], v[52:53], v[92:93]
	v_cvt_f32_f64_e32 v108, v[113:114]
	v_cvt_f32_f64_e32 v109, v[111:112]
	v_cvt_f32_f64_e32 v110, v[115:116]
	v_min3_f32 v105, v117, v105, v188
	v_min_f32_e32 v106, v106, v107
	v_cvt_f32_f64_e32 v103, v[103:104]
	v_min3_f32 v102, v102, v106, v105
	v_add_co_u32 v106, vcc_lo, v98, v0
	v_add_co_ci_u32_e64 v107, null, v99, v1, vcc_lo
	v_cvt_f64_f32_e32 v[104:105], v102
	v_min3_f32 v102, v108, v109, v189
	s_mov_b32 vcc_lo, s0
	v_min3_f32 v102, v110, v103, v102
	v_max_f32_e32 v103, v102, v102
	flat_store_dwordx2 v[106:107], v[104:105]
	s_cbranch_vccz .LBB125_105
; %bb.104:
	v_min_f32_e32 v102, 0, v103
	v_add_co_u32 v106, vcc_lo, v98, v136
	v_add_co_ci_u32_e64 v107, null, v99, v137, vcc_lo
	v_cvt_f64_f32_e32 v[104:105], v102
	s_mov_b32 s7, 0
	flat_store_dwordx2 v[106:107], v[104:105]
.LBB125_105:
	v_mov_b32_e32 v102, 0
	s_andn2_b32 vcc_lo, exec_lo, s7
	s_cbranch_vccnz .LBB125_107
; %bb.106:
	v_add_co_u32 v104, vcc_lo, v100, v136
	v_add_co_ci_u32_e64 v105, null, v101, v137, vcc_lo
	flat_load_dwordx2 v[104:105], v[104:105]
	s_waitcnt vmcnt(0) lgkmcnt(0)
	v_mul_f64 v[104:105], s[2:3], v[104:105]
	v_cvt_f32_f64_e32 v102, v[104:105]
	v_add_co_u32 v104, vcc_lo, v98, v136
	v_add_co_ci_u32_e64 v105, null, v99, v137, vcc_lo
	v_add_co_u32 v106, vcc_lo, v100, v130
	v_add_co_ci_u32_e64 v107, null, v101, v131, vcc_lo
	v_min_f32_e32 v102, v102, v103
	v_cvt_f64_f32_e32 v[102:103], v102
	flat_store_dwordx2 v[104:105], v[102:103]
	flat_load_dwordx2 v[102:103], v[106:107]
	s_waitcnt vmcnt(0) lgkmcnt(0)
	v_mul_f64 v[102:103], s[2:3], v[102:103]
	v_cvt_f32_f64_e32 v102, v[102:103]
.LBB125_107:
	v_add_f64 v[103:104], v[46:47], v[94:95]
	v_add_f64 v[105:106], v[48:49], v[96:97]
	v_add_f64 v[107:108], v[42:43], v[90:91]
	v_add_f64 v[109:110], v[44:45], v[92:93]
	v_add_f64 v[111:112], v[40:41], v[96:97]
	v_add_f64 v[113:114], v[38:39], v[94:95]
	v_add_f64 v[115:116], v[34:35], v[90:91]
	s_mov_b32 s7, -1
	v_cvt_f32_f64_e32 v117, v[103:104]
	v_cvt_f32_f64_e32 v105, v[105:106]
	v_cvt_f32_f64_e32 v106, v[107:108]
	v_cvt_f32_f64_e32 v107, v[109:110]
	v_add_f64 v[103:104], v[36:37], v[92:93]
	v_cvt_f32_f64_e32 v108, v[113:114]
	v_cvt_f32_f64_e32 v109, v[111:112]
	v_cvt_f32_f64_e32 v110, v[115:116]
	v_min3_f32 v105, v117, v105, v186
	v_min_f32_e32 v106, v106, v107
	v_cvt_f32_f64_e32 v103, v[103:104]
	v_min3_f32 v102, v102, v106, v105
	v_add_co_u32 v106, vcc_lo, v98, v130
	v_add_co_ci_u32_e64 v107, null, v99, v131, vcc_lo
	v_cvt_f64_f32_e32 v[104:105], v102
	v_min3_f32 v102, v108, v109, v187
	s_mov_b32 vcc_lo, s0
	v_min3_f32 v102, v110, v103, v102
	v_max_f32_e32 v103, v102, v102
	;; [unrolled: 59-line block ×3, first 2 shown]
	flat_store_dwordx2 v[106:107], v[104:105]
	s_cbranch_vccz .LBB125_113
; %bb.112:
	v_min_f32_e32 v102, 0, v103
	v_add_co_u32 v106, vcc_lo, v98, v142
	v_add_co_ci_u32_e64 v107, null, v99, v143, vcc_lo
	v_cvt_f64_f32_e32 v[104:105], v102
	s_mov_b32 s7, 0
	flat_store_dwordx2 v[106:107], v[104:105]
.LBB125_113:
	v_mov_b32_e32 v102, 0
	s_andn2_b32 vcc_lo, exec_lo, s7
	s_cbranch_vccnz .LBB125_115
; %bb.114:
	v_add_co_u32 v104, vcc_lo, v100, v142
	v_add_co_ci_u32_e64 v105, null, v101, v143, vcc_lo
	flat_load_dwordx2 v[104:105], v[104:105]
	s_waitcnt vmcnt(0) lgkmcnt(0)
	v_mul_f64 v[104:105], s[2:3], v[104:105]
	v_cvt_f32_f64_e32 v102, v[104:105]
	v_add_co_u32 v104, vcc_lo, v98, v142
	v_add_co_ci_u32_e64 v105, null, v99, v143, vcc_lo
	v_add_co_u32 v100, vcc_lo, v100, v138
	v_add_co_ci_u32_e64 v101, null, v101, v139, vcc_lo
	v_min_f32_e32 v102, v102, v103
	v_cvt_f64_f32_e32 v[102:103], v102
	flat_store_dwordx2 v[104:105], v[102:103]
	flat_load_dwordx2 v[100:101], v[100:101]
	s_waitcnt vmcnt(0) lgkmcnt(0)
	v_mul_f64 v[100:101], s[2:3], v[100:101]
	v_cvt_f32_f64_e32 v102, v[100:101]
.LBB125_115:
	v_add_f64 v[94:95], v[2:3], v[94:95]
	v_add_f64 v[96:97], v[4:5], v[96:97]
	;; [unrolled: 1-line block ×6, first 2 shown]
	v_add_co_u32 v98, vcc_lo, v98, v138
	v_add_co_ci_u32_e64 v99, null, v99, v139, vcc_lo
	s_mov_b32 s7, -1
	v_cvt_f32_f64_e32 v94, v[94:95]
	v_cvt_f32_f64_e32 v95, v[96:97]
	;; [unrolled: 1-line block ×4, first 2 shown]
	v_add_f64 v[90:91], v[66:67], v[82:83]
	v_add_f64 v[92:93], v[68:69], v[84:85]
	v_cvt_f32_f64_e32 v103, v[103:104]
	v_cvt_f32_f64_e32 v100, v[100:101]
	v_add_nc_u32_e32 v101, 0xa0, v144
	v_min3_f32 v94, v94, v95, v182
	v_min_f32_e32 v95, v96, v97
	v_cvt_f32_f64_e32 v104, v[90:91]
	v_cvt_f32_f64_e32 v105, v[92:93]
	v_mad_i64_i32 v[90:91], null, v101, s6, 0
	v_min3_f32 v92, v102, v95, v94
	v_min3_f32 v94, v103, v100, v183
	v_cvt_f64_f32_e32 v[96:97], v92
	v_mad_i64_i32 v[92:93], null, v101, s1, 0
	v_lshlrev_b64 v[90:91], 3, v[90:91]
	v_add_co_u32 v90, vcc_lo, s4, v90
	v_lshlrev_b64 v[92:93], 3, v[92:93]
	v_add_co_ci_u32_e64 v91, null, s5, v91, vcc_lo
	v_min3_f32 v94, v104, v105, v94
	v_add_co_u32 v92, vcc_lo, s10, v92
	v_add_co_ci_u32_e64 v93, null, s11, v93, vcc_lo
	v_max_f32_e32 v95, v94, v94
	s_mov_b32 vcc_lo, s0
	flat_store_dwordx2 v[98:99], v[96:97]
	s_cbranch_vccz .LBB125_117
; %bb.116:
	v_min_f32_e32 v94, 0, v95
	v_add_co_u32 v98, vcc_lo, v90, v134
	v_add_co_ci_u32_e64 v99, null, v91, v135, vcc_lo
	v_cvt_f64_f32_e32 v[96:97], v94
	s_mov_b32 s7, 0
	flat_store_dwordx2 v[98:99], v[96:97]
.LBB125_117:
	v_mov_b32_e32 v94, 0
	s_andn2_b32 vcc_lo, exec_lo, s7
	s_cbranch_vccnz .LBB125_119
; %bb.118:
	v_add_co_u32 v96, vcc_lo, v92, v134
	v_add_co_ci_u32_e64 v97, null, v93, v135, vcc_lo
	flat_load_dwordx2 v[96:97], v[96:97]
	s_waitcnt vmcnt(0) lgkmcnt(0)
	v_mul_f64 v[96:97], s[2:3], v[96:97]
	v_cvt_f32_f64_e32 v94, v[96:97]
	v_add_co_u32 v96, vcc_lo, v90, v134
	v_add_co_ci_u32_e64 v97, null, v91, v135, vcc_lo
	v_add_co_u32 v98, vcc_lo, v92, v0
	v_add_co_ci_u32_e64 v99, null, v93, v1, vcc_lo
	v_min_f32_e32 v94, v94, v95
	v_cvt_f64_f32_e32 v[94:95], v94
	flat_store_dwordx2 v[96:97], v[94:95]
	flat_load_dwordx2 v[94:95], v[98:99]
	s_waitcnt vmcnt(0) lgkmcnt(0)
	v_mul_f64 v[94:95], s[2:3], v[94:95]
	v_cvt_f32_f64_e32 v94, v[94:95]
.LBB125_119:
	v_add_f64 v[95:96], v[62:63], v[86:87]
	v_add_f64 v[97:98], v[64:65], v[88:89]
	v_add_f64 v[99:100], v[58:59], v[82:83]
	v_add_f64 v[101:102], v[60:61], v[84:85]
	v_add_f64 v[103:104], v[56:57], v[88:89]
	v_add_f64 v[105:106], v[54:55], v[86:87]
	v_add_f64 v[107:108], v[50:51], v[82:83]
	s_mov_b32 s7, -1
	v_cvt_f32_f64_e32 v109, v[95:96]
	v_cvt_f32_f64_e32 v97, v[97:98]
	v_cvt_f32_f64_e32 v98, v[99:100]
	v_cvt_f32_f64_e32 v99, v[101:102]
	v_add_f64 v[95:96], v[52:53], v[84:85]
	v_cvt_f32_f64_e32 v100, v[105:106]
	v_cvt_f32_f64_e32 v101, v[103:104]
	v_cvt_f32_f64_e32 v102, v[107:108]
	v_min3_f32 v97, v109, v97, v180
	v_min_f32_e32 v98, v98, v99
	v_cvt_f32_f64_e32 v95, v[95:96]
	v_min3_f32 v94, v94, v98, v97
	v_add_co_u32 v98, vcc_lo, v90, v0
	v_add_co_ci_u32_e64 v99, null, v91, v1, vcc_lo
	v_cvt_f64_f32_e32 v[96:97], v94
	v_min3_f32 v94, v100, v101, v181
	s_mov_b32 vcc_lo, s0
	v_min3_f32 v94, v102, v95, v94
	v_max_f32_e32 v95, v94, v94
	flat_store_dwordx2 v[98:99], v[96:97]
	s_cbranch_vccz .LBB125_121
; %bb.120:
	v_min_f32_e32 v94, 0, v95
	v_add_co_u32 v98, vcc_lo, v90, v136
	v_add_co_ci_u32_e64 v99, null, v91, v137, vcc_lo
	v_cvt_f64_f32_e32 v[96:97], v94
	s_mov_b32 s7, 0
	flat_store_dwordx2 v[98:99], v[96:97]
.LBB125_121:
	v_mov_b32_e32 v94, 0
	s_andn2_b32 vcc_lo, exec_lo, s7
	s_cbranch_vccnz .LBB125_123
; %bb.122:
	v_add_co_u32 v96, vcc_lo, v92, v136
	v_add_co_ci_u32_e64 v97, null, v93, v137, vcc_lo
	flat_load_dwordx2 v[96:97], v[96:97]
	s_waitcnt vmcnt(0) lgkmcnt(0)
	v_mul_f64 v[96:97], s[2:3], v[96:97]
	v_cvt_f32_f64_e32 v94, v[96:97]
	v_add_co_u32 v96, vcc_lo, v90, v136
	v_add_co_ci_u32_e64 v97, null, v91, v137, vcc_lo
	v_add_co_u32 v98, vcc_lo, v92, v130
	v_add_co_ci_u32_e64 v99, null, v93, v131, vcc_lo
	v_min_f32_e32 v94, v94, v95
	v_cvt_f64_f32_e32 v[94:95], v94
	flat_store_dwordx2 v[96:97], v[94:95]
	flat_load_dwordx2 v[94:95], v[98:99]
	s_waitcnt vmcnt(0) lgkmcnt(0)
	v_mul_f64 v[94:95], s[2:3], v[94:95]
	v_cvt_f32_f64_e32 v94, v[94:95]
.LBB125_123:
	v_add_f64 v[95:96], v[46:47], v[86:87]
	v_add_f64 v[97:98], v[48:49], v[88:89]
	v_add_f64 v[99:100], v[42:43], v[82:83]
	v_add_f64 v[101:102], v[44:45], v[84:85]
	v_add_f64 v[103:104], v[40:41], v[88:89]
	v_add_f64 v[105:106], v[38:39], v[86:87]
	v_add_f64 v[107:108], v[34:35], v[82:83]
	s_mov_b32 s7, -1
	v_cvt_f32_f64_e32 v109, v[95:96]
	v_cvt_f32_f64_e32 v97, v[97:98]
	v_cvt_f32_f64_e32 v98, v[99:100]
	v_cvt_f32_f64_e32 v99, v[101:102]
	v_add_f64 v[95:96], v[36:37], v[84:85]
	v_cvt_f32_f64_e32 v100, v[105:106]
	v_cvt_f32_f64_e32 v101, v[103:104]
	v_cvt_f32_f64_e32 v102, v[107:108]
	v_min3_f32 v97, v109, v97, v178
	v_min_f32_e32 v98, v98, v99
	v_cvt_f32_f64_e32 v95, v[95:96]
	v_min3_f32 v94, v94, v98, v97
	v_add_co_u32 v98, vcc_lo, v90, v130
	v_add_co_ci_u32_e64 v99, null, v91, v131, vcc_lo
	v_cvt_f64_f32_e32 v[96:97], v94
	v_min3_f32 v94, v100, v101, v179
	s_mov_b32 vcc_lo, s0
	v_min3_f32 v94, v102, v95, v94
	v_max_f32_e32 v95, v94, v94
	;; [unrolled: 59-line block ×3, first 2 shown]
	flat_store_dwordx2 v[98:99], v[96:97]
	s_cbranch_vccz .LBB125_129
; %bb.128:
	v_min_f32_e32 v94, 0, v95
	v_add_co_u32 v98, vcc_lo, v90, v142
	v_add_co_ci_u32_e64 v99, null, v91, v143, vcc_lo
	v_cvt_f64_f32_e32 v[96:97], v94
	s_mov_b32 s7, 0
	flat_store_dwordx2 v[98:99], v[96:97]
.LBB125_129:
	v_mov_b32_e32 v94, 0
	s_andn2_b32 vcc_lo, exec_lo, s7
	s_cbranch_vccnz .LBB125_131
; %bb.130:
	v_add_co_u32 v96, vcc_lo, v92, v142
	v_add_co_ci_u32_e64 v97, null, v93, v143, vcc_lo
	flat_load_dwordx2 v[96:97], v[96:97]
	s_waitcnt vmcnt(0) lgkmcnt(0)
	v_mul_f64 v[96:97], s[2:3], v[96:97]
	v_cvt_f32_f64_e32 v94, v[96:97]
	v_add_co_u32 v96, vcc_lo, v90, v142
	v_add_co_ci_u32_e64 v97, null, v91, v143, vcc_lo
	v_add_co_u32 v92, vcc_lo, v92, v138
	v_add_co_ci_u32_e64 v93, null, v93, v139, vcc_lo
	v_min_f32_e32 v94, v94, v95
	v_cvt_f64_f32_e32 v[94:95], v94
	flat_store_dwordx2 v[96:97], v[94:95]
	flat_load_dwordx2 v[92:93], v[92:93]
	s_waitcnt vmcnt(0) lgkmcnt(0)
	v_mul_f64 v[92:93], s[2:3], v[92:93]
	v_cvt_f32_f64_e32 v94, v[92:93]
.LBB125_131:
	v_add_f64 v[86:87], v[2:3], v[86:87]
	v_add_f64 v[88:89], v[4:5], v[88:89]
	;; [unrolled: 1-line block ×4, first 2 shown]
	s_waitcnt lgkmcnt(26)
	v_add_f64 v[92:93], v[72:73], v[80:81]
	v_add_f64 v[95:96], v[70:71], v[78:79]
	v_add_co_u32 v90, vcc_lo, v90, v138
	v_add_co_ci_u32_e64 v91, null, v91, v139, vcc_lo
	s_mov_b32 s7, -1
	v_cvt_f32_f64_e32 v86, v[86:87]
	v_cvt_f32_f64_e32 v87, v[88:89]
	;; [unrolled: 1-line block ×4, first 2 shown]
	s_waitcnt lgkmcnt(25)
	v_add_f64 v[82:83], v[66:67], v[74:75]
	v_add_f64 v[84:85], v[68:69], v[76:77]
	v_cvt_f32_f64_e32 v95, v[95:96]
	v_cvt_f32_f64_e32 v92, v[92:93]
	v_add_nc_u32_e32 v93, 0xc0, v144
	v_min3_f32 v86, v86, v87, v170
	v_min_f32_e32 v87, v88, v89
	v_cvt_f32_f64_e32 v96, v[82:83]
	v_cvt_f32_f64_e32 v97, v[84:85]
	v_mad_i64_i32 v[82:83], null, v93, s6, 0
	v_min3_f32 v84, v94, v87, v86
	v_min3_f32 v86, v95, v92, v173
	v_cvt_f64_f32_e32 v[88:89], v84
	v_mad_i64_i32 v[84:85], null, v93, s1, 0
	v_lshlrev_b64 v[82:83], 3, v[82:83]
	v_add_co_u32 v82, vcc_lo, s4, v82
	v_lshlrev_b64 v[84:85], 3, v[84:85]
	v_add_co_ci_u32_e64 v83, null, s5, v83, vcc_lo
	v_min3_f32 v86, v96, v97, v86
	v_add_co_u32 v84, vcc_lo, s10, v84
	v_add_co_ci_u32_e64 v85, null, s11, v85, vcc_lo
	v_max_f32_e32 v87, v86, v86
	s_mov_b32 vcc_lo, s0
	flat_store_dwordx2 v[90:91], v[88:89]
	s_cbranch_vccz .LBB125_133
; %bb.132:
	v_min_f32_e32 v86, 0, v87
	v_add_co_u32 v90, vcc_lo, v82, v134
	v_add_co_ci_u32_e64 v91, null, v83, v135, vcc_lo
	v_cvt_f64_f32_e32 v[88:89], v86
	s_mov_b32 s7, 0
	flat_store_dwordx2 v[90:91], v[88:89]
.LBB125_133:
	v_mov_b32_e32 v86, 0
	s_andn2_b32 vcc_lo, exec_lo, s7
	s_cbranch_vccnz .LBB125_135
; %bb.134:
	v_add_co_u32 v88, vcc_lo, v84, v134
	v_add_co_ci_u32_e64 v89, null, v85, v135, vcc_lo
	flat_load_dwordx2 v[88:89], v[88:89]
	s_waitcnt vmcnt(0) lgkmcnt(0)
	v_mul_f64 v[88:89], s[2:3], v[88:89]
	v_cvt_f32_f64_e32 v86, v[88:89]
	v_add_co_u32 v88, vcc_lo, v82, v134
	v_add_co_ci_u32_e64 v89, null, v83, v135, vcc_lo
	v_add_co_u32 v90, vcc_lo, v84, v0
	v_add_co_ci_u32_e64 v91, null, v85, v1, vcc_lo
	v_min_f32_e32 v86, v86, v87
	v_cvt_f64_f32_e32 v[86:87], v86
	flat_store_dwordx2 v[88:89], v[86:87]
	flat_load_dwordx2 v[86:87], v[90:91]
	s_waitcnt vmcnt(0) lgkmcnt(0)
	v_mul_f64 v[86:87], s[2:3], v[86:87]
	v_cvt_f32_f64_e32 v86, v[86:87]
.LBB125_135:
	v_add_f64 v[87:88], v[62:63], v[78:79]
	v_add_f64 v[89:90], v[64:65], v[80:81]
	v_add_f64 v[91:92], v[58:59], v[74:75]
	v_add_f64 v[93:94], v[60:61], v[76:77]
	v_add_f64 v[95:96], v[56:57], v[80:81]
	v_add_f64 v[97:98], v[54:55], v[78:79]
	v_add_f64 v[99:100], v[50:51], v[74:75]
	s_mov_b32 s7, -1
	v_cvt_f32_f64_e32 v101, v[87:88]
	v_cvt_f32_f64_e32 v89, v[89:90]
	v_cvt_f32_f64_e32 v90, v[91:92]
	v_cvt_f32_f64_e32 v91, v[93:94]
	v_add_f64 v[87:88], v[52:53], v[76:77]
	v_cvt_f32_f64_e32 v92, v[97:98]
	v_cvt_f32_f64_e32 v93, v[95:96]
	v_cvt_f32_f64_e32 v94, v[99:100]
	v_min3_f32 v89, v101, v89, v164
	v_min_f32_e32 v90, v90, v91
	v_cvt_f32_f64_e32 v87, v[87:88]
	v_min3_f32 v86, v86, v90, v89
	v_add_co_u32 v90, vcc_lo, v82, v0
	v_add_co_ci_u32_e64 v91, null, v83, v1, vcc_lo
	v_cvt_f64_f32_e32 v[88:89], v86
	v_min3_f32 v86, v92, v93, v165
	s_mov_b32 vcc_lo, s0
	v_min3_f32 v86, v94, v87, v86
	v_max_f32_e32 v87, v86, v86
	flat_store_dwordx2 v[90:91], v[88:89]
	s_cbranch_vccz .LBB125_137
; %bb.136:
	v_min_f32_e32 v86, 0, v87
	v_add_co_u32 v90, vcc_lo, v82, v136
	v_add_co_ci_u32_e64 v91, null, v83, v137, vcc_lo
	v_cvt_f64_f32_e32 v[88:89], v86
	s_mov_b32 s7, 0
	flat_store_dwordx2 v[90:91], v[88:89]
.LBB125_137:
	v_mov_b32_e32 v86, 0
	s_andn2_b32 vcc_lo, exec_lo, s7
	s_cbranch_vccnz .LBB125_139
; %bb.138:
	v_add_co_u32 v88, vcc_lo, v84, v136
	v_add_co_ci_u32_e64 v89, null, v85, v137, vcc_lo
	flat_load_dwordx2 v[88:89], v[88:89]
	s_waitcnt vmcnt(0) lgkmcnt(0)
	v_mul_f64 v[88:89], s[2:3], v[88:89]
	v_cvt_f32_f64_e32 v86, v[88:89]
	v_add_co_u32 v88, vcc_lo, v82, v136
	v_add_co_ci_u32_e64 v89, null, v83, v137, vcc_lo
	v_add_co_u32 v90, vcc_lo, v84, v130
	v_add_co_ci_u32_e64 v91, null, v85, v131, vcc_lo
	v_min_f32_e32 v86, v86, v87
	v_cvt_f64_f32_e32 v[86:87], v86
	flat_store_dwordx2 v[88:89], v[86:87]
	flat_load_dwordx2 v[86:87], v[90:91]
	s_waitcnt vmcnt(0) lgkmcnt(0)
	v_mul_f64 v[86:87], s[2:3], v[86:87]
	v_cvt_f32_f64_e32 v86, v[86:87]
.LBB125_139:
	v_add_f64 v[87:88], v[46:47], v[78:79]
	v_add_f64 v[89:90], v[48:49], v[80:81]
	v_add_f64 v[91:92], v[42:43], v[74:75]
	v_add_f64 v[93:94], v[44:45], v[76:77]
	v_add_f64 v[95:96], v[40:41], v[80:81]
	v_add_f64 v[97:98], v[38:39], v[78:79]
	v_add_f64 v[99:100], v[34:35], v[74:75]
	s_mov_b32 s7, -1
	v_cvt_f32_f64_e32 v101, v[87:88]
	v_cvt_f32_f64_e32 v89, v[89:90]
	v_cvt_f32_f64_e32 v90, v[91:92]
	v_cvt_f32_f64_e32 v91, v[93:94]
	v_add_f64 v[87:88], v[36:37], v[76:77]
	v_cvt_f32_f64_e32 v92, v[97:98]
	v_cvt_f32_f64_e32 v93, v[95:96]
	v_cvt_f32_f64_e32 v94, v[99:100]
	v_min3_f32 v89, v101, v89, v162
	v_min_f32_e32 v90, v90, v91
	v_cvt_f32_f64_e32 v87, v[87:88]
	v_min3_f32 v86, v86, v90, v89
	v_add_co_u32 v90, vcc_lo, v82, v130
	v_add_co_ci_u32_e64 v91, null, v83, v131, vcc_lo
	v_cvt_f64_f32_e32 v[88:89], v86
	v_min3_f32 v86, v92, v93, v163
	s_mov_b32 vcc_lo, s0
	v_min3_f32 v86, v94, v87, v86
	v_max_f32_e32 v87, v86, v86
	;; [unrolled: 59-line block ×3, first 2 shown]
	flat_store_dwordx2 v[90:91], v[88:89]
	s_cbranch_vccz .LBB125_145
; %bb.144:
	v_min_f32_e32 v86, 0, v87
	v_add_co_u32 v90, vcc_lo, v82, v142
	v_add_co_ci_u32_e64 v91, null, v83, v143, vcc_lo
	v_cvt_f64_f32_e32 v[88:89], v86
	s_mov_b32 s7, 0
	flat_store_dwordx2 v[90:91], v[88:89]
.LBB125_145:
	v_mov_b32_e32 v86, 0
	s_andn2_b32 vcc_lo, exec_lo, s7
	s_cbranch_vccnz .LBB125_147
; %bb.146:
	v_add_co_u32 v88, vcc_lo, v84, v142
	v_add_co_ci_u32_e64 v89, null, v85, v143, vcc_lo
	flat_load_dwordx2 v[88:89], v[88:89]
	s_waitcnt vmcnt(0) lgkmcnt(0)
	v_mul_f64 v[88:89], s[2:3], v[88:89]
	v_cvt_f32_f64_e32 v86, v[88:89]
	v_add_co_u32 v88, vcc_lo, v82, v142
	v_add_co_ci_u32_e64 v89, null, v83, v143, vcc_lo
	v_add_co_u32 v84, vcc_lo, v84, v138
	v_add_co_ci_u32_e64 v85, null, v85, v139, vcc_lo
	v_min_f32_e32 v86, v86, v87
	v_cvt_f64_f32_e32 v[86:87], v86
	flat_store_dwordx2 v[88:89], v[86:87]
	flat_load_dwordx2 v[84:85], v[84:85]
	s_waitcnt vmcnt(0) lgkmcnt(0)
	v_mul_f64 v[84:85], s[2:3], v[84:85]
	v_cvt_f32_f64_e32 v86, v[84:85]
.LBB125_147:
	v_add_f64 v[78:79], v[2:3], v[78:79]
	v_add_f64 v[80:81], v[4:5], v[80:81]
	v_add_f64 v[74:75], v[6:7], v[74:75]
	v_add_f64 v[76:77], v[8:9], v[76:77]
	s_waitcnt lgkmcnt(28)
	v_add_f64 v[72:73], v[72:73], v[12:13]
	v_add_f64 v[70:71], v[70:71], v[10:11]
	s_waitcnt lgkmcnt(27)
	v_add_f64 v[66:67], v[66:67], v[14:15]
	v_add_f64 v[68:69], v[68:69], v[16:17]
	v_cvt_f32_f64_e32 v78, v[78:79]
	v_cvt_f32_f64_e32 v79, v[80:81]
	;; [unrolled: 1-line block ×8, first 2 shown]
	v_min3_f32 v72, v78, v79, v159
	v_min_f32_e32 v73, v74, v75
	v_add_nc_u32_e32 v74, 0xe0, v144
	v_min3_f32 v70, v70, v71, v158
	v_min3_f32 v68, v86, v73, v72
	v_mad_i64_i32 v[66:67], null, v74, s6, 0
	v_min3_f32 v70, v76, v77, v70
	v_cvt_f64_f32_e32 v[72:73], v68
	v_mad_i64_i32 v[68:69], null, v74, s1, 0
	v_add_co_u32 v74, vcc_lo, v82, v138
	v_lshlrev_b64 v[66:67], 3, v[66:67]
	v_add_co_ci_u32_e64 v75, null, v83, v139, vcc_lo
	v_max_f32_e32 v71, v70, v70
	v_lshlrev_b64 v[68:69], 3, v[68:69]
	s_mov_b32 s1, -1
	v_add_co_u32 v66, vcc_lo, s4, v66
	v_add_co_ci_u32_e64 v67, null, s5, v67, vcc_lo
	v_add_co_u32 v68, vcc_lo, s10, v68
	v_add_co_ci_u32_e64 v69, null, s11, v69, vcc_lo
	s_mov_b32 vcc_lo, s0
	flat_store_dwordx2 v[74:75], v[72:73]
	s_cbranch_vccz .LBB125_149
; %bb.148:
	v_min_f32_e32 v70, 0, v71
	v_add_co_u32 v74, vcc_lo, v66, v134
	v_add_co_ci_u32_e64 v75, null, v67, v135, vcc_lo
	v_cvt_f64_f32_e32 v[72:73], v70
	s_mov_b32 s1, 0
	flat_store_dwordx2 v[74:75], v[72:73]
.LBB125_149:
	v_mov_b32_e32 v70, 0
	s_andn2_b32 vcc_lo, exec_lo, s1
	s_cbranch_vccnz .LBB125_151
; %bb.150:
	v_add_co_u32 v72, vcc_lo, v68, v134
	v_add_co_ci_u32_e64 v73, null, v69, v135, vcc_lo
	flat_load_dwordx2 v[72:73], v[72:73]
	s_waitcnt vmcnt(0) lgkmcnt(0)
	v_mul_f64 v[72:73], s[2:3], v[72:73]
	v_cvt_f32_f64_e32 v70, v[72:73]
	v_add_co_u32 v72, vcc_lo, v66, v134
	v_add_co_ci_u32_e64 v73, null, v67, v135, vcc_lo
	v_add_co_u32 v74, vcc_lo, v68, v0
	v_add_co_ci_u32_e64 v75, null, v69, v1, vcc_lo
	v_min_f32_e32 v70, v70, v71
	v_cvt_f64_f32_e32 v[70:71], v70
	flat_store_dwordx2 v[72:73], v[70:71]
	flat_load_dwordx2 v[70:71], v[74:75]
	s_waitcnt vmcnt(0) lgkmcnt(0)
	v_mul_f64 v[70:71], s[2:3], v[70:71]
	v_cvt_f32_f64_e32 v70, v[70:71]
.LBB125_151:
	v_add_f64 v[62:63], v[62:63], v[10:11]
	v_add_f64 v[64:65], v[64:65], v[12:13]
	;; [unrolled: 1-line block ×8, first 2 shown]
	s_mov_b32 s1, -1
	v_cvt_f32_f64_e32 v62, v[62:63]
	v_cvt_f32_f64_e32 v63, v[64:65]
	;; [unrolled: 1-line block ×8, first 2 shown]
	v_min3_f32 v50, v62, v63, v157
	v_min_f32_e32 v51, v58, v59
	v_min3_f32 v53, v54, v55, v156
	v_min3_f32 v50, v70, v51, v50
	v_min3_f32 v54, v56, v52, v53
	v_add_co_u32 v52, vcc_lo, v66, v0
	v_cvt_f64_f32_e32 v[50:51], v50
	v_add_co_ci_u32_e64 v53, null, v67, v1, vcc_lo
	v_max_f32_e32 v1, v54, v54
	s_mov_b32 vcc_lo, s0
	flat_store_dwordx2 v[52:53], v[50:51]
	s_cbranch_vccz .LBB125_153
; %bb.152:
	v_min_f32_e32 v0, 0, v1
	v_add_co_u32 v52, vcc_lo, v66, v136
	v_add_co_ci_u32_e64 v53, null, v67, v137, vcc_lo
	v_cvt_f64_f32_e32 v[50:51], v0
	s_mov_b32 s1, 0
	flat_store_dwordx2 v[52:53], v[50:51]
.LBB125_153:
	v_mov_b32_e32 v0, 0
	s_andn2_b32 vcc_lo, exec_lo, s1
	s_cbranch_vccnz .LBB125_155
; %bb.154:
	v_add_co_u32 v50, vcc_lo, v68, v136
	v_add_co_ci_u32_e64 v51, null, v69, v137, vcc_lo
	flat_load_dwordx2 v[50:51], v[50:51]
	s_waitcnt vmcnt(0) lgkmcnt(0)
	v_mul_f64 v[50:51], s[2:3], v[50:51]
	v_cvt_f32_f64_e32 v0, v[50:51]
	v_add_co_u32 v50, vcc_lo, v66, v136
	v_add_co_ci_u32_e64 v51, null, v67, v137, vcc_lo
	v_add_co_u32 v52, vcc_lo, v68, v130
	v_add_co_ci_u32_e64 v53, null, v69, v131, vcc_lo
	v_min_f32_e32 v0, v0, v1
	v_cvt_f64_f32_e32 v[0:1], v0
	flat_store_dwordx2 v[50:51], v[0:1]
	flat_load_dwordx2 v[0:1], v[52:53]
	s_waitcnt vmcnt(0) lgkmcnt(0)
	v_mul_f64 v[0:1], s[2:3], v[0:1]
	v_cvt_f32_f64_e32 v0, v[0:1]
.LBB125_155:
	v_add_f64 v[46:47], v[46:47], v[10:11]
	v_add_f64 v[48:49], v[48:49], v[12:13]
	;; [unrolled: 1-line block ×8, first 2 shown]
	s_mov_b32 s1, -1
	v_cvt_f32_f64_e32 v1, v[46:47]
	v_cvt_f32_f64_e32 v46, v[48:49]
	;; [unrolled: 1-line block ×8, first 2 shown]
	v_min3_f32 v1, v1, v46, v154
	v_min_f32_e32 v34, v42, v43
	v_min3_f32 v0, v0, v34, v1
	v_cvt_f64_f32_e32 v[34:35], v0
	v_min3_f32 v0, v38, v39, v155
	v_min3_f32 v0, v40, v36, v0
	v_add_co_u32 v36, vcc_lo, v66, v130
	v_add_co_ci_u32_e64 v37, null, v67, v131, vcc_lo
	v_max_f32_e32 v1, v0, v0
	s_mov_b32 vcc_lo, s0
	flat_store_dwordx2 v[36:37], v[34:35]
	s_cbranch_vccz .LBB125_157
; %bb.156:
	v_min_f32_e32 v0, 0, v1
	v_add_co_u32 v36, vcc_lo, v66, v140
	v_add_co_ci_u32_e64 v37, null, v67, v141, vcc_lo
	v_cvt_f64_f32_e32 v[34:35], v0
	s_mov_b32 s1, 0
	flat_store_dwordx2 v[36:37], v[34:35]
.LBB125_157:
	v_mov_b32_e32 v0, 0
	s_andn2_b32 vcc_lo, exec_lo, s1
	s_cbranch_vccnz .LBB125_159
; %bb.158:
	v_add_co_u32 v34, vcc_lo, v68, v140
	v_add_co_ci_u32_e64 v35, null, v69, v141, vcc_lo
	flat_load_dwordx2 v[34:35], v[34:35]
	s_waitcnt vmcnt(0) lgkmcnt(0)
	v_mul_f64 v[34:35], s[2:3], v[34:35]
	v_cvt_f32_f64_e32 v0, v[34:35]
	v_add_co_u32 v34, vcc_lo, v66, v140
	v_add_co_ci_u32_e64 v35, null, v67, v141, vcc_lo
	v_add_co_u32 v36, vcc_lo, v68, v132
	v_add_co_ci_u32_e64 v37, null, v69, v133, vcc_lo
	v_min_f32_e32 v0, v0, v1
	v_cvt_f64_f32_e32 v[0:1], v0
	flat_store_dwordx2 v[34:35], v[0:1]
	flat_load_dwordx2 v[0:1], v[36:37]
	s_waitcnt vmcnt(0) lgkmcnt(0)
	v_mul_f64 v[0:1], s[2:3], v[0:1]
	v_cvt_f32_f64_e32 v0, v[0:1]
.LBB125_159:
	v_add_f64 v[30:31], v[30:31], v[10:11]
	v_add_f64 v[32:33], v[32:33], v[12:13]
	;; [unrolled: 1-line block ×8, first 2 shown]
	s_mov_b32 s1, -1
	v_cvt_f32_f64_e32 v1, v[30:31]
	v_cvt_f32_f64_e32 v30, v[32:33]
	;; [unrolled: 1-line block ×8, first 2 shown]
	v_min3_f32 v1, v1, v30, v152
	v_min_f32_e32 v18, v26, v27
	v_min3_f32 v0, v0, v18, v1
	v_cvt_f64_f32_e32 v[18:19], v0
	v_min3_f32 v0, v22, v23, v153
	v_min3_f32 v0, v24, v20, v0
	v_add_co_u32 v20, vcc_lo, v66, v132
	v_add_co_ci_u32_e64 v21, null, v67, v133, vcc_lo
	v_max_f32_e32 v1, v0, v0
	s_mov_b32 vcc_lo, s0
	flat_store_dwordx2 v[20:21], v[18:19]
	s_cbranch_vccz .LBB125_161
; %bb.160:
	v_min_f32_e32 v0, 0, v1
	v_add_co_u32 v20, vcc_lo, v66, v142
	v_add_co_ci_u32_e64 v21, null, v67, v143, vcc_lo
	v_cvt_f64_f32_e32 v[18:19], v0
	s_mov_b32 s1, 0
	flat_store_dwordx2 v[20:21], v[18:19]
.LBB125_161:
	v_mov_b32_e32 v0, 0
	s_andn2_b32 vcc_lo, exec_lo, s1
	s_cbranch_vccnz .LBB125_163
; %bb.162:
	v_add_co_u32 v18, vcc_lo, v68, v142
	v_add_co_ci_u32_e64 v19, null, v69, v143, vcc_lo
	flat_load_dwordx2 v[18:19], v[18:19]
	s_waitcnt vmcnt(0) lgkmcnt(0)
	v_mul_f64 v[18:19], s[2:3], v[18:19]
	v_cvt_f32_f64_e32 v0, v[18:19]
	v_add_co_u32 v18, vcc_lo, v66, v142
	v_add_co_ci_u32_e64 v19, null, v67, v143, vcc_lo
	v_add_co_u32 v20, vcc_lo, v68, v138
	v_add_co_ci_u32_e64 v21, null, v69, v139, vcc_lo
	v_min_f32_e32 v0, v0, v1
	v_cvt_f64_f32_e32 v[0:1], v0
	flat_store_dwordx2 v[18:19], v[0:1]
	flat_load_dwordx2 v[0:1], v[20:21]
	s_waitcnt vmcnt(0) lgkmcnt(0)
	v_mul_f64 v[0:1], s[2:3], v[0:1]
	v_cvt_f32_f64_e32 v0, v[0:1]
.LBB125_163:
	v_add_f64 v[6:7], v[6:7], v[14:15]
	v_add_f64 v[8:9], v[8:9], v[16:17]
	;; [unrolled: 1-line block ×4, first 2 shown]
	v_cvt_f32_f64_e32 v5, v[6:7]
	v_cvt_f32_f64_e32 v6, v[8:9]
	;; [unrolled: 1-line block ×4, first 2 shown]
	v_min_f32_e32 v3, v5, v6
	v_min3_f32 v1, v1, v2, v151
	v_add_co_u32 v2, vcc_lo, v66, v138
	v_min3_f32 v0, v0, v3, v1
	v_add_co_ci_u32_e64 v3, null, v67, v139, vcc_lo
	v_cvt_f64_f32_e32 v[0:1], v0
	flat_store_dwordx2 v[2:3], v[0:1]
	s_endpgm
	.section	.rodata,"a",@progbits
	.p2align	6, 0x0
	.amdhsa_kernel _ZN12_GLOBAL__N_120geam_min_plus_kernelId15HIP_vector_typeIdLj2EEdLi8ELi32ELi64ELi256ELi4ELi4ELi64ELi64ELi4ELc84ELc84ELb0ELb0ELb1EdKPKdKPdEEviiiT16_PT17_ilSA_ilS8_SA_ilPT18_ili26rocblas_geam_ex_operation_
		.amdhsa_group_segment_fixed_size 20480
		.amdhsa_private_segment_fixed_size 0
		.amdhsa_kernarg_size 136
		.amdhsa_user_sgpr_count 6
		.amdhsa_user_sgpr_private_segment_buffer 1
		.amdhsa_user_sgpr_dispatch_ptr 0
		.amdhsa_user_sgpr_queue_ptr 0
		.amdhsa_user_sgpr_kernarg_segment_ptr 1
		.amdhsa_user_sgpr_dispatch_id 0
		.amdhsa_user_sgpr_flat_scratch_init 0
		.amdhsa_user_sgpr_private_segment_size 0
		.amdhsa_wavefront_size32 1
		.amdhsa_uses_dynamic_stack 0
		.amdhsa_system_sgpr_private_segment_wavefront_offset 0
		.amdhsa_system_sgpr_workgroup_id_x 1
		.amdhsa_system_sgpr_workgroup_id_y 0
		.amdhsa_system_sgpr_workgroup_id_z 1
		.amdhsa_system_sgpr_workgroup_info 0
		.amdhsa_system_vgpr_workitem_id 1
		.amdhsa_next_free_vgpr 226
		.amdhsa_next_free_sgpr 25
		.amdhsa_reserve_vcc 1
		.amdhsa_reserve_flat_scratch 1
		.amdhsa_float_round_mode_32 0
		.amdhsa_float_round_mode_16_64 0
		.amdhsa_float_denorm_mode_32 3
		.amdhsa_float_denorm_mode_16_64 3
		.amdhsa_dx10_clamp 1
		.amdhsa_ieee_mode 1
		.amdhsa_fp16_overflow 0
		.amdhsa_workgroup_processor_mode 1
		.amdhsa_memory_ordered 1
		.amdhsa_forward_progress 1
		.amdhsa_shared_vgpr_count 0
		.amdhsa_exception_fp_ieee_invalid_op 0
		.amdhsa_exception_fp_denorm_src 0
		.amdhsa_exception_fp_ieee_div_zero 0
		.amdhsa_exception_fp_ieee_overflow 0
		.amdhsa_exception_fp_ieee_underflow 0
		.amdhsa_exception_fp_ieee_inexact 0
		.amdhsa_exception_int_div_zero 0
	.end_amdhsa_kernel
	.section	.text._ZN12_GLOBAL__N_120geam_min_plus_kernelId15HIP_vector_typeIdLj2EEdLi8ELi32ELi64ELi256ELi4ELi4ELi64ELi64ELi4ELc84ELc84ELb0ELb0ELb1EdKPKdKPdEEviiiT16_PT17_ilSA_ilS8_SA_ilPT18_ili26rocblas_geam_ex_operation_,"axG",@progbits,_ZN12_GLOBAL__N_120geam_min_plus_kernelId15HIP_vector_typeIdLj2EEdLi8ELi32ELi64ELi256ELi4ELi4ELi64ELi64ELi4ELc84ELc84ELb0ELb0ELb1EdKPKdKPdEEviiiT16_PT17_ilSA_ilS8_SA_ilPT18_ili26rocblas_geam_ex_operation_,comdat
.Lfunc_end125:
	.size	_ZN12_GLOBAL__N_120geam_min_plus_kernelId15HIP_vector_typeIdLj2EEdLi8ELi32ELi64ELi256ELi4ELi4ELi64ELi64ELi4ELc84ELc84ELb0ELb0ELb1EdKPKdKPdEEviiiT16_PT17_ilSA_ilS8_SA_ilPT18_ili26rocblas_geam_ex_operation_, .Lfunc_end125-_ZN12_GLOBAL__N_120geam_min_plus_kernelId15HIP_vector_typeIdLj2EEdLi8ELi32ELi64ELi256ELi4ELi4ELi64ELi64ELi4ELc84ELc84ELb0ELb0ELb1EdKPKdKPdEEviiiT16_PT17_ilSA_ilS8_SA_ilPT18_ili26rocblas_geam_ex_operation_
                                        ; -- End function
	.set _ZN12_GLOBAL__N_120geam_min_plus_kernelId15HIP_vector_typeIdLj2EEdLi8ELi32ELi64ELi256ELi4ELi4ELi64ELi64ELi4ELc84ELc84ELb0ELb0ELb1EdKPKdKPdEEviiiT16_PT17_ilSA_ilS8_SA_ilPT18_ili26rocblas_geam_ex_operation_.num_vgpr, 226
	.set _ZN12_GLOBAL__N_120geam_min_plus_kernelId15HIP_vector_typeIdLj2EEdLi8ELi32ELi64ELi256ELi4ELi4ELi64ELi64ELi4ELc84ELc84ELb0ELb0ELb1EdKPKdKPdEEviiiT16_PT17_ilSA_ilS8_SA_ilPT18_ili26rocblas_geam_ex_operation_.num_agpr, 0
	.set _ZN12_GLOBAL__N_120geam_min_plus_kernelId15HIP_vector_typeIdLj2EEdLi8ELi32ELi64ELi256ELi4ELi4ELi64ELi64ELi4ELc84ELc84ELb0ELb0ELb1EdKPKdKPdEEviiiT16_PT17_ilSA_ilS8_SA_ilPT18_ili26rocblas_geam_ex_operation_.numbered_sgpr, 25
	.set _ZN12_GLOBAL__N_120geam_min_plus_kernelId15HIP_vector_typeIdLj2EEdLi8ELi32ELi64ELi256ELi4ELi4ELi64ELi64ELi4ELc84ELc84ELb0ELb0ELb1EdKPKdKPdEEviiiT16_PT17_ilSA_ilS8_SA_ilPT18_ili26rocblas_geam_ex_operation_.num_named_barrier, 0
	.set _ZN12_GLOBAL__N_120geam_min_plus_kernelId15HIP_vector_typeIdLj2EEdLi8ELi32ELi64ELi256ELi4ELi4ELi64ELi64ELi4ELc84ELc84ELb0ELb0ELb1EdKPKdKPdEEviiiT16_PT17_ilSA_ilS8_SA_ilPT18_ili26rocblas_geam_ex_operation_.private_seg_size, 0
	.set _ZN12_GLOBAL__N_120geam_min_plus_kernelId15HIP_vector_typeIdLj2EEdLi8ELi32ELi64ELi256ELi4ELi4ELi64ELi64ELi4ELc84ELc84ELb0ELb0ELb1EdKPKdKPdEEviiiT16_PT17_ilSA_ilS8_SA_ilPT18_ili26rocblas_geam_ex_operation_.uses_vcc, 1
	.set _ZN12_GLOBAL__N_120geam_min_plus_kernelId15HIP_vector_typeIdLj2EEdLi8ELi32ELi64ELi256ELi4ELi4ELi64ELi64ELi4ELc84ELc84ELb0ELb0ELb1EdKPKdKPdEEviiiT16_PT17_ilSA_ilS8_SA_ilPT18_ili26rocblas_geam_ex_operation_.uses_flat_scratch, 1
	.set _ZN12_GLOBAL__N_120geam_min_plus_kernelId15HIP_vector_typeIdLj2EEdLi8ELi32ELi64ELi256ELi4ELi4ELi64ELi64ELi4ELc84ELc84ELb0ELb0ELb1EdKPKdKPdEEviiiT16_PT17_ilSA_ilS8_SA_ilPT18_ili26rocblas_geam_ex_operation_.has_dyn_sized_stack, 0
	.set _ZN12_GLOBAL__N_120geam_min_plus_kernelId15HIP_vector_typeIdLj2EEdLi8ELi32ELi64ELi256ELi4ELi4ELi64ELi64ELi4ELc84ELc84ELb0ELb0ELb1EdKPKdKPdEEviiiT16_PT17_ilSA_ilS8_SA_ilPT18_ili26rocblas_geam_ex_operation_.has_recursion, 0
	.set _ZN12_GLOBAL__N_120geam_min_plus_kernelId15HIP_vector_typeIdLj2EEdLi8ELi32ELi64ELi256ELi4ELi4ELi64ELi64ELi4ELc84ELc84ELb0ELb0ELb1EdKPKdKPdEEviiiT16_PT17_ilSA_ilS8_SA_ilPT18_ili26rocblas_geam_ex_operation_.has_indirect_call, 0
	.section	.AMDGPU.csdata,"",@progbits
; Kernel info:
; codeLenInByte = 27092
; TotalNumSgprs: 27
; NumVgprs: 226
; ScratchSize: 0
; MemoryBound: 1
; FloatMode: 240
; IeeeMode: 1
; LDSByteSize: 20480 bytes/workgroup (compile time only)
; SGPRBlocks: 0
; VGPRBlocks: 28
; NumSGPRsForWavesPerEU: 27
; NumVGPRsForWavesPerEU: 226
; Occupancy: 4
; WaveLimiterHint : 1
; COMPUTE_PGM_RSRC2:SCRATCH_EN: 0
; COMPUTE_PGM_RSRC2:USER_SGPR: 6
; COMPUTE_PGM_RSRC2:TRAP_HANDLER: 0
; COMPUTE_PGM_RSRC2:TGID_X_EN: 1
; COMPUTE_PGM_RSRC2:TGID_Y_EN: 0
; COMPUTE_PGM_RSRC2:TGID_Z_EN: 1
; COMPUTE_PGM_RSRC2:TIDIG_COMP_CNT: 1
	.section	.text._ZN12_GLOBAL__N_120geam_min_plus_kernelId15HIP_vector_typeIdLj2EEdLi8ELi32ELi64ELi256ELi4ELi4ELi64ELi64ELi4ELc84ELc84ELb0ELb1ELb1EPKdKS4_KPdEEviiiT16_PT17_ilSA_ilS8_SA_ilPT18_ili26rocblas_geam_ex_operation_,"axG",@progbits,_ZN12_GLOBAL__N_120geam_min_plus_kernelId15HIP_vector_typeIdLj2EEdLi8ELi32ELi64ELi256ELi4ELi4ELi64ELi64ELi4ELc84ELc84ELb0ELb1ELb1EPKdKS4_KPdEEviiiT16_PT17_ilSA_ilS8_SA_ilPT18_ili26rocblas_geam_ex_operation_,comdat
	.globl	_ZN12_GLOBAL__N_120geam_min_plus_kernelId15HIP_vector_typeIdLj2EEdLi8ELi32ELi64ELi256ELi4ELi4ELi64ELi64ELi4ELc84ELc84ELb0ELb1ELb1EPKdKS4_KPdEEviiiT16_PT17_ilSA_ilS8_SA_ilPT18_ili26rocblas_geam_ex_operation_ ; -- Begin function _ZN12_GLOBAL__N_120geam_min_plus_kernelId15HIP_vector_typeIdLj2EEdLi8ELi32ELi64ELi256ELi4ELi4ELi64ELi64ELi4ELc84ELc84ELb0ELb1ELb1EPKdKS4_KPdEEviiiT16_PT17_ilSA_ilS8_SA_ilPT18_ili26rocblas_geam_ex_operation_
	.p2align	8
	.type	_ZN12_GLOBAL__N_120geam_min_plus_kernelId15HIP_vector_typeIdLj2EEdLi8ELi32ELi64ELi256ELi4ELi4ELi64ELi64ELi4ELc84ELc84ELb0ELb1ELb1EPKdKS4_KPdEEviiiT16_PT17_ilSA_ilS8_SA_ilPT18_ili26rocblas_geam_ex_operation_,@function
_ZN12_GLOBAL__N_120geam_min_plus_kernelId15HIP_vector_typeIdLj2EEdLi8ELi32ELi64ELi256ELi4ELi4ELi64ELi64ELi4ELc84ELc84ELb0ELb1ELb1EPKdKS4_KPdEEviiiT16_PT17_ilSA_ilS8_SA_ilPT18_ili26rocblas_geam_ex_operation_: ; @_ZN12_GLOBAL__N_120geam_min_plus_kernelId15HIP_vector_typeIdLj2EEdLi8ELi32ELi64ELi256ELi4ELi4ELi64ELi64ELi4ELc84ELc84ELb0ELb1ELb1EPKdKS4_KPdEEviiiT16_PT17_ilSA_ilS8_SA_ilPT18_ili26rocblas_geam_ex_operation_
; %bb.0:
	s_load_dwordx4 s[12:15], s[4:5], 0x10
	s_mov_b32 s0, s7
	s_mov_b32 s1, 0
	s_mov_b64 s[20:21], 0
	s_lshl_b64 s[24:25], s[0:1], 3
	s_load_dwordx4 s[0:3], s[4:5], 0x28
	s_mov_b64 s[22:23], 0
	s_waitcnt lgkmcnt(0)
	s_add_u32 s8, s12, s24
	s_addc_u32 s9, s13, s25
	s_load_dwordx2 s[12:13], s[4:5], 0x50
	s_load_dwordx2 s[18:19], s[8:9], 0x0
	s_load_dwordx4 s[8:11], s[4:5], 0x40
	s_waitcnt lgkmcnt(0)
	v_cmp_eq_f64_e64 s16, s[18:19], 0
	v_cmp_neq_f64_e64 s7, s[18:19], 0
	s_add_u32 s10, s10, s24
	s_addc_u32 s11, s11, s25
	s_and_b32 vcc_lo, exec_lo, s16
	s_cbranch_vccnz .LBB126_2
; %bb.1:
	s_add_u32 s14, s14, s24
	s_addc_u32 s15, s15, s25
	s_lshl_b64 s[0:1], s[0:1], 3
	s_load_dwordx2 s[14:15], s[14:15], 0x0
	s_waitcnt lgkmcnt(0)
	s_add_u32 s22, s14, s0
	s_addc_u32 s23, s15, s1
.LBB126_2:
	s_load_dwordx2 s[10:11], s[10:11], 0x0
	s_andn2_b32 vcc_lo, exec_lo, s7
	s_cbranch_vccnz .LBB126_4
; %bb.3:
	s_add_u32 s0, s2, s24
	s_addc_u32 s1, s3, s25
	s_lshl_b64 s[2:3], s[8:9], 3
	s_load_dwordx2 s[0:1], s[0:1], 0x0
	s_waitcnt lgkmcnt(0)
	s_add_u32 s20, s0, s2
	s_addc_u32 s21, s1, s3
.LBB126_4:
	s_waitcnt lgkmcnt(0)
	v_cmp_eq_f64_e64 s7, s[10:11], 0
	v_cmp_neq_f64_e64 s26, s[10:11], 0
	s_load_dwordx4 s[0:3], s[4:5], 0x60
	s_mov_b64 s[16:17], 0
	s_and_b32 vcc_lo, exec_lo, s7
	s_cbranch_vccnz .LBB126_6
; %bb.5:
	s_add_u32 s8, s12, s24
	s_addc_u32 s9, s13, s25
	s_waitcnt lgkmcnt(0)
	s_lshl_b64 s[0:1], s[0:1], 3
	s_load_dwordx2 s[8:9], s[8:9], 0x0
	s_waitcnt lgkmcnt(0)
	s_add_u32 s16, s8, s0
	s_addc_u32 s17, s9, s1
.LBB126_6:
	s_clause 0x1
	s_load_dwordx4 s[12:15], s[4:5], 0x0
	s_load_dword s28, s[4:5], 0x20
	s_waitcnt lgkmcnt(0)
	s_add_u32 s8, s2, s24
	s_addc_u32 s9, s3, s25
	v_lshl_add_u32 v4, v1, 3, v0
	v_cmp_eq_f64_e64 s25, s[18:19], 0
	v_and_b32_e32 v144, 3, v0
	v_lshrrev_b32_e32 v12, 2, v4
	s_add_i32 s0, s12, -1
	s_ashr_i32 s1, s0, 31
	s_lshr_b32 s1, s1, 26
	s_add_i32 s0, s0, s1
	s_ashr_i32 s0, s0, 6
	s_add_i32 s2, s0, 1
	s_not_b32 s0, s0
	v_cvt_f32_u32_e32 v2, s2
	v_rcp_iflag_f32_e32 v2, v2
	v_mul_f32_e32 v2, 0x4f7ffffe, v2
	v_cvt_u32_f32_e32 v2, v2
	v_readfirstlane_b32 s1, v2
                                        ; implicit-def: $vgpr2_vgpr3
	s_mul_i32 s0, s0, s1
	s_mul_hi_u32 s0, s1, s0
	s_add_i32 s1, s1, s0
	s_mul_hi_u32 s0, s6, s1
	s_mul_i32 s1, s0, s2
	s_add_i32 s3, s0, 1
	s_sub_i32 s1, s6, s1
	s_sub_i32 s7, s1, s2
	s_cmp_ge_u32 s1, s2
	s_cselect_b32 s0, s3, s0
	s_cselect_b32 s1, s7, s1
	s_add_i32 s3, s0, 1
	s_cmp_ge_u32 s1, s2
	s_cselect_b32 s1, s3, s0
	s_mul_i32 s0, s1, s2
	s_sub_i32 s0, s6, s0
                                        ; implicit-def: $sgpr6
	s_lshl_b32 s15, s0, 6
	v_cmp_le_i32_e64 s0, s14, v144
	v_add_nc_u32_e32 v78, s15, v12
	v_cmp_le_i32_e32 vcc_lo, s12, v78
	s_or_b32 s2, s0, vcc_lo
	s_nor_b32 s0, s25, s2
	s_and_saveexec_b32 s3, s0
	s_xor_b32 s3, exec_lo, s3
	s_cbranch_execz .LBB126_8
; %bb.7:
	v_mad_i64_i32 v[2:3], null, v78, s28, 0
	s_add_i32 s6, s14, -1
	v_min_u32_e32 v5, s6, v144
	v_lshlrev_b64 v[2:3], 3, v[2:3]
	v_lshlrev_b32_e32 v5, 3, v5
	v_add_co_u32 v2, s0, s22, v2
	v_add_co_ci_u32_e64 v3, null, s23, v3, s0
	v_add_co_u32 v2, s0, v2, v5
	v_add_co_ci_u32_e64 v3, null, 0, v3, s0
	flat_load_dwordx2 v[2:3], v[2:3]
	s_waitcnt vmcnt(0) lgkmcnt(0)
	v_mul_f64 v[2:3], s[18:19], v[2:3]
.LBB126_8:
	s_or_saveexec_b32 s0, s3
	v_mov_b32_e32 v5, s6
	s_xor_b32 exec_lo, exec_lo, s0
; %bb.9:
	s_add_i32 s3, s14, -1
	v_cndmask_b32_e64 v3, 0, 0x7fefffff, s2
	v_cndmask_b32_e64 v2, 0, -1, s2
	v_mov_b32_e32 v5, s3
; %bb.10:
	s_or_b32 exec_lo, exec_lo, s0
	s_load_dword s27, s[4:5], 0x38
	v_lshrrev_b32_e32 v145, 6, v4
	v_and_b32_e32 v13, 63, v4
	s_lshl_b32 s24, s1, 8
	v_min_i32_e32 v4, v145, v5
	v_or_b32_e32 v66, s24, v13
	v_cmp_le_i32_e64 s6, s14, v145
	v_cmp_le_i32_e64 s0, s13, v66
	v_ashrrev_i32_e32 v67, 31, v66
	s_or_b32 s2, s0, s6
	s_waitcnt lgkmcnt(0)
	v_mad_i64_i32 v[4:5], null, v4, s27, 0
	v_lshlrev_b64 v[6:7], 3, v[4:5]
	v_cndmask_b32_e64 v5, 0, 0x7fefffff, s2
	v_cndmask_b32_e64 v4, 0, -1, s2
	v_add_co_u32 v14, s1, s20, v6
	v_add_co_ci_u32_e64 v15, null, s21, v7, s1
	s_nor_b32 s1, s25, s2
	s_and_saveexec_b32 s2, s1
	s_cbranch_execz .LBB126_12
; %bb.11:
	v_lshlrev_b64 v[4:5], 3, v[66:67]
	v_add_co_u32 v4, s1, v14, v4
	v_add_co_ci_u32_e64 v5, null, v15, v5, s1
	flat_load_dwordx2 v[4:5], v[4:5]
	s_waitcnt vmcnt(0) lgkmcnt(0)
	v_mul_f64 v[4:5], s[18:19], v[4:5]
.LBB126_12:
	s_or_b32 exec_lo, exec_lo, s2
	v_or_b32_e32 v6, 64, v66
	v_cmp_le_i32_e64 s1, s13, v6
	s_or_b32 s2, s1, s6
	v_cndmask_b32_e64 v7, 0, 0x7fefffff, s2
	v_cndmask_b32_e64 v6, 0, -1, s2
	s_nor_b32 s2, s25, s2
	s_and_saveexec_b32 s3, s2
	s_cbranch_execz .LBB126_14
; %bb.13:
	v_lshlrev_b64 v[6:7], 3, v[66:67]
	v_add_co_u32 v6, s2, v14, v6
	v_add_co_ci_u32_e64 v7, null, v15, v7, s2
	flat_load_dwordx2 v[6:7], v[6:7] offset:512
	s_waitcnt vmcnt(0) lgkmcnt(0)
	v_mul_f64 v[6:7], s[18:19], v[6:7]
.LBB126_14:
	s_or_b32 exec_lo, exec_lo, s3
	v_or_b32_e32 v8, 0x80, v66
	v_cmp_le_i32_e64 s2, s13, v8
	s_or_b32 s3, s2, s6
	v_cndmask_b32_e64 v9, 0, 0x7fefffff, s3
	v_cndmask_b32_e64 v8, 0, -1, s3
	s_nor_b32 s3, s25, s3
	s_and_saveexec_b32 s7, s3
	s_cbranch_execz .LBB126_16
; %bb.15:
	v_lshlrev_b64 v[8:9], 3, v[66:67]
	v_add_co_u32 v8, s3, v14, v8
	v_add_co_ci_u32_e64 v9, null, v15, v9, s3
	flat_load_dwordx2 v[8:9], v[8:9] offset:1024
	s_waitcnt vmcnt(0) lgkmcnt(0)
	v_mul_f64 v[8:9], s[18:19], v[8:9]
.LBB126_16:
	;; [unrolled: 17-line block ×3, first 2 shown]
	s_or_b32 exec_lo, exec_lo, s7
	v_or_b32_e32 v14, 4, v144
                                        ; implicit-def: $vgpr68_vgpr69
                                        ; implicit-def: $sgpr30
	v_cmp_le_i32_e64 s6, s14, v14
	s_or_b32 s7, s6, vcc_lo
	s_nor_b32 s6, s25, s7
	s_and_saveexec_b32 s29, s6
	s_xor_b32 s29, exec_lo, s29
	s_cbranch_execz .LBB126_20
; %bb.19:
	v_mad_i64_i32 v[15:16], null, v78, s28, 0
	s_add_i32 s30, s14, -1
	v_min_u32_e32 v17, s30, v14
	v_lshlrev_b64 v[14:15], 3, v[15:16]
	v_lshlrev_b32_e32 v16, 3, v17
	v_add_co_u32 v14, s6, s22, v14
	v_add_co_ci_u32_e64 v15, null, s23, v15, s6
	v_add_co_u32 v14, s6, v14, v16
	v_add_co_ci_u32_e64 v15, null, 0, v15, s6
	flat_load_dwordx2 v[14:15], v[14:15]
	s_waitcnt vmcnt(0) lgkmcnt(0)
	v_mul_f64 v[68:69], s[18:19], v[14:15]
.LBB126_20:
	s_or_saveexec_b32 s6, s29
	v_mov_b32_e32 v14, s30
	s_xor_b32 exec_lo, exec_lo, s6
; %bb.21:
	s_add_i32 s29, s14, -1
	v_cndmask_b32_e64 v69, 0, 0x7fefffff, s7
	v_cndmask_b32_e64 v68, 0, -1, s7
	v_mov_b32_e32 v14, s29
; %bb.22:
	s_or_b32 exec_lo, exec_lo, s6
	v_add_nc_u32_e32 v16, 4, v145
	v_min_i32_e32 v14, v16, v14
	v_cmp_le_i32_e64 s6, s14, v16
	v_mad_i64_i32 v[14:15], null, v14, s27, 0
	s_or_b32 s29, s0, s6
	v_cndmask_b32_e64 v71, 0, 0x7fefffff, s29
	v_cndmask_b32_e64 v70, 0, -1, s29
	v_lshlrev_b64 v[14:15], 3, v[14:15]
	v_add_co_u32 v14, s7, s20, v14
	v_add_co_ci_u32_e64 v15, null, s21, v15, s7
	s_nor_b32 s7, s25, s29
	s_and_saveexec_b32 s29, s7
	s_cbranch_execz .LBB126_24
; %bb.23:
	v_lshlrev_b64 v[16:17], 3, v[66:67]
	v_add_co_u32 v16, s7, v14, v16
	v_add_co_ci_u32_e64 v17, null, v15, v17, s7
	flat_load_dwordx2 v[16:17], v[16:17]
	s_waitcnt vmcnt(0) lgkmcnt(0)
	v_mul_f64 v[70:71], s[18:19], v[16:17]
.LBB126_24:
	s_or_b32 exec_lo, exec_lo, s29
	s_or_b32 s7, s1, s6
	v_cndmask_b32_e64 v73, 0, 0x7fefffff, s7
	v_cndmask_b32_e64 v72, 0, -1, s7
	s_nor_b32 s7, s25, s7
	s_and_saveexec_b32 s29, s7
	s_cbranch_execz .LBB126_26
; %bb.25:
	v_lshlrev_b64 v[16:17], 3, v[66:67]
	v_add_co_u32 v16, s7, v14, v16
	v_add_co_ci_u32_e64 v17, null, v15, v17, s7
	flat_load_dwordx2 v[16:17], v[16:17] offset:512
	s_waitcnt vmcnt(0) lgkmcnt(0)
	v_mul_f64 v[72:73], s[18:19], v[16:17]
.LBB126_26:
	s_or_b32 exec_lo, exec_lo, s29
	s_or_b32 s7, s2, s6
	v_cndmask_b32_e64 v75, 0, 0x7fefffff, s7
	v_cndmask_b32_e64 v74, 0, -1, s7
	s_nor_b32 s7, s25, s7
	s_and_saveexec_b32 s29, s7
	s_cbranch_execz .LBB126_28
; %bb.27:
	v_lshlrev_b64 v[16:17], 3, v[66:67]
	v_add_co_u32 v16, s7, v14, v16
	v_add_co_ci_u32_e64 v17, null, v15, v17, s7
	flat_load_dwordx2 v[16:17], v[16:17] offset:1024
	s_waitcnt vmcnt(0) lgkmcnt(0)
	v_mul_f64 v[74:75], s[18:19], v[16:17]
.LBB126_28:
	;; [unrolled: 15-line block ×3, first 2 shown]
	s_or_b32 exec_lo, exec_lo, s7
	v_lshlrev_b32_e32 v79, 3, v144
	v_lshlrev_b32_e32 v147, 5, v0
	s_load_dwordx2 s[8:9], s[8:9], 0x0
	v_lshlrev_b32_e32 v146, 5, v1
	s_cmp_lt_i32 s14, 9
	v_lshl_or_b32 v80, v12, 5, v79
	ds_write_b64 v80, v[2:3] offset:16384
	v_lshlrev_b32_e32 v2, 5, v13
	v_lshl_add_u32 v148, v145, 3, v2
	ds_write2st64_b64 v148, v[4:5], v[6:7] offset1:4
	ds_write2st64_b64 v148, v[8:9], v[10:11] offset0:8 offset1:12
	s_waitcnt lgkmcnt(0)
	s_barrier
	buffer_gl0_inv
	ds_read_b128 v[10:13], v147 offset:16640
	ds_read_b128 v[14:17], v147 offset:16896
	;; [unrolled: 1-line block ×16, first 2 shown]
	ds_read_b128 v[85:88], v146
	ds_read_b128 v[6:9], v146 offset:16
	s_waitcnt lgkmcnt(1)
	v_add_f64 v[89:90], v[83:84], v[87:88]
	v_add_f64 v[91:92], v[81:82], v[85:86]
	s_waitcnt lgkmcnt(0)
	v_add_f64 v[150:151], v[4:5], v[8:9]
	v_add_f64 v[152:153], v[2:3], v[6:7]
	v_cvt_f32_f64_e32 v89, v[89:90]
	v_cvt_f32_f64_e32 v91, v[91:92]
	v_cvt_f32_f64_e32 v150, v[150:151]
	v_cvt_f32_f64_e32 v152, v[152:153]
	v_min3_f32 v149, v91, v89, 0x7f800000
	v_add_f64 v[89:90], v[12:13], v[87:88]
	v_add_f64 v[91:92], v[10:11], v[85:86]
	v_min3_f32 v218, v152, v150, v149
	v_cvt_f32_f64_e32 v89, v[89:90]
	v_cvt_f32_f64_e32 v91, v[91:92]
	v_min3_f32 v143, v91, v89, 0x7f800000
	v_add_f64 v[89:90], v[16:17], v[87:88]
	v_add_f64 v[91:92], v[14:15], v[85:86]
	v_cvt_f32_f64_e32 v89, v[89:90]
	v_cvt_f32_f64_e32 v91, v[91:92]
	v_min3_f32 v142, v91, v89, 0x7f800000
	v_add_f64 v[89:90], v[20:21], v[87:88]
	v_add_f64 v[91:92], v[18:19], v[85:86]
	v_cvt_f32_f64_e32 v89, v[89:90]
	v_cvt_f32_f64_e32 v91, v[91:92]
	v_min3_f32 v141, v91, v89, 0x7f800000
	v_add_f64 v[89:90], v[24:25], v[87:88]
	v_add_f64 v[91:92], v[22:23], v[85:86]
	v_cvt_f32_f64_e32 v89, v[89:90]
	v_cvt_f32_f64_e32 v91, v[91:92]
	v_min3_f32 v140, v91, v89, 0x7f800000
	v_add_f64 v[89:90], v[28:29], v[87:88]
	v_add_f64 v[91:92], v[26:27], v[85:86]
	v_cvt_f32_f64_e32 v89, v[89:90]
	v_cvt_f32_f64_e32 v91, v[91:92]
	v_min3_f32 v139, v91, v89, 0x7f800000
	v_add_f64 v[89:90], v[32:33], v[87:88]
	v_add_f64 v[91:92], v[30:31], v[85:86]
	v_add_f64 v[87:88], v[36:37], v[87:88]
	v_add_f64 v[85:86], v[34:35], v[85:86]
	v_cvt_f32_f64_e32 v89, v[89:90]
	v_cvt_f32_f64_e32 v91, v[91:92]
	;; [unrolled: 1-line block ×4, first 2 shown]
	v_add_f64 v[87:88], v[81:82], v[38:39]
	v_min3_f32 v138, v91, v89, 0x7f800000
	v_min3_f32 v137, v85, v86, 0x7f800000
	v_add_f64 v[85:86], v[83:84], v[40:41]
	v_cvt_f32_f64_e32 v87, v[87:88]
	v_cvt_f32_f64_e32 v85, v[85:86]
	v_min3_f32 v136, v87, v85, 0x7f800000
	v_add_f64 v[85:86], v[12:13], v[40:41]
	v_add_f64 v[87:88], v[10:11], v[38:39]
	v_cvt_f32_f64_e32 v85, v[85:86]
	v_cvt_f32_f64_e32 v87, v[87:88]
	v_min3_f32 v135, v87, v85, 0x7f800000
	v_add_f64 v[85:86], v[16:17], v[40:41]
	v_add_f64 v[87:88], v[14:15], v[38:39]
	v_cvt_f32_f64_e32 v85, v[85:86]
	v_cvt_f32_f64_e32 v87, v[87:88]
	v_min3_f32 v134, v87, v85, 0x7f800000
	v_add_f64 v[85:86], v[20:21], v[40:41]
	v_add_f64 v[87:88], v[18:19], v[38:39]
	v_cvt_f32_f64_e32 v85, v[85:86]
	v_cvt_f32_f64_e32 v87, v[87:88]
	v_min3_f32 v133, v87, v85, 0x7f800000
	v_add_f64 v[85:86], v[24:25], v[40:41]
	v_add_f64 v[87:88], v[22:23], v[38:39]
	v_cvt_f32_f64_e32 v85, v[85:86]
	v_cvt_f32_f64_e32 v87, v[87:88]
	v_min3_f32 v132, v87, v85, 0x7f800000
	v_add_f64 v[85:86], v[28:29], v[40:41]
	v_add_f64 v[87:88], v[26:27], v[38:39]
	v_cvt_f32_f64_e32 v85, v[85:86]
	v_cvt_f32_f64_e32 v87, v[87:88]
	v_min3_f32 v131, v87, v85, 0x7f800000
	v_add_f64 v[85:86], v[32:33], v[40:41]
	v_add_f64 v[87:88], v[30:31], v[38:39]
	v_add_f64 v[40:41], v[36:37], v[40:41]
	;; [unrolled: 1-line block ×3, first 2 shown]
	v_cvt_f32_f64_e32 v85, v[85:86]
	v_cvt_f32_f64_e32 v87, v[87:88]
	v_cvt_f32_f64_e32 v38, v[38:39]
	v_cvt_f32_f64_e32 v39, v[40:41]
	v_add_f64 v[40:41], v[81:82], v[42:43]
	v_min3_f32 v130, v87, v85, 0x7f800000
	v_min3_f32 v129, v38, v39, 0x7f800000
	v_add_f64 v[38:39], v[83:84], v[44:45]
	v_cvt_f32_f64_e32 v40, v[40:41]
	v_cvt_f32_f64_e32 v38, v[38:39]
	v_min3_f32 v128, v40, v38, 0x7f800000
	v_add_f64 v[38:39], v[12:13], v[44:45]
	v_add_f64 v[40:41], v[10:11], v[42:43]
	v_cvt_f32_f64_e32 v38, v[38:39]
	v_cvt_f32_f64_e32 v40, v[40:41]
	v_min3_f32 v127, v40, v38, 0x7f800000
	v_add_f64 v[38:39], v[16:17], v[44:45]
	;; [unrolled: 5-line block ×33, first 2 shown]
	v_add_f64 v[40:41], v[10:11], v[58:59]
	v_add_f64 v[12:13], v[12:13], v[64:65]
	;; [unrolled: 1-line block ×3, first 2 shown]
	v_cvt_f32_f64_e32 v38, v[38:39]
	v_cvt_f32_f64_e32 v40, v[40:41]
	;; [unrolled: 1-line block ×4, first 2 shown]
	v_add_f64 v[12:13], v[14:15], v[62:63]
	v_min3_f32 v95, v40, v38, 0x7f800000
	v_add_f64 v[38:39], v[16:17], v[60:61]
	v_add_f64 v[40:41], v[14:15], v[58:59]
	v_min3_f32 v87, v10, v11, 0x7f800000
	v_add_f64 v[10:11], v[16:17], v[64:65]
	v_cvt_f32_f64_e32 v12, v[12:13]
	v_cvt_f32_f64_e32 v38, v[38:39]
	;; [unrolled: 1-line block ×4, first 2 shown]
	v_min3_f32 v94, v40, v38, 0x7f800000
	v_add_f64 v[38:39], v[20:21], v[60:61]
	v_add_f64 v[40:41], v[18:19], v[58:59]
	v_min3_f32 v86, v12, v10, 0x7f800000
	v_add_f64 v[10:11], v[20:21], v[64:65]
	v_add_f64 v[12:13], v[18:19], v[62:63]
	v_cvt_f32_f64_e32 v38, v[38:39]
	v_cvt_f32_f64_e32 v40, v[40:41]
	;; [unrolled: 1-line block ×4, first 2 shown]
	v_min3_f32 v93, v40, v38, 0x7f800000
	v_add_f64 v[38:39], v[24:25], v[60:61]
	v_add_f64 v[40:41], v[22:23], v[58:59]
	v_min3_f32 v85, v12, v10, 0x7f800000
	v_add_f64 v[10:11], v[24:25], v[64:65]
	v_add_f64 v[12:13], v[22:23], v[62:63]
	v_cvt_f32_f64_e32 v38, v[38:39]
	v_cvt_f32_f64_e32 v40, v[40:41]
	;; [unrolled: 1-line block ×4, first 2 shown]
	v_min3_f32 v92, v40, v38, 0x7f800000
	v_add_f64 v[38:39], v[28:29], v[60:61]
	v_add_f64 v[40:41], v[26:27], v[58:59]
	v_cvt_f32_f64_e32 v38, v[38:39]
	v_cvt_f32_f64_e32 v40, v[40:41]
	v_min3_f32 v91, v40, v38, 0x7f800000
	v_add_f64 v[38:39], v[32:33], v[60:61]
	v_add_f64 v[40:41], v[30:31], v[58:59]
	v_cvt_f32_f64_e32 v38, v[38:39]
	v_cvt_f32_f64_e32 v40, v[40:41]
	v_min3_f32 v90, v40, v38, 0x7f800000
	v_add_f64 v[38:39], v[36:37], v[60:61]
	v_add_f64 v[40:41], v[34:35], v[58:59]
	v_cvt_f32_f64_e32 v38, v[38:39]
	v_cvt_f32_f64_e32 v40, v[40:41]
	v_min3_f32 v89, v40, v38, 0x7f800000
	v_add_f64 v[38:39], v[83:84], v[64:65]
	v_min3_f32 v84, v12, v10, 0x7f800000
	v_add_f64 v[10:11], v[28:29], v[64:65]
	v_add_f64 v[12:13], v[26:27], v[62:63]
	;; [unrolled: 1-line block ×3, first 2 shown]
	v_cvt_f32_f64_e32 v38, v[38:39]
	v_cvt_f32_f64_e32 v10, v[10:11]
	;; [unrolled: 1-line block ×4, first 2 shown]
	v_min3_f32 v83, v12, v10, 0x7f800000
	v_add_f64 v[10:11], v[32:33], v[64:65]
	v_add_f64 v[12:13], v[30:31], v[62:63]
	v_min3_f32 v88, v40, v38, 0x7f800000
	v_cvt_f32_f64_e32 v10, v[10:11]
	v_cvt_f32_f64_e32 v12, v[12:13]
	v_min3_f32 v82, v12, v10, 0x7f800000
	v_add_f64 v[10:11], v[36:37], v[64:65]
	v_add_f64 v[12:13], v[34:35], v[62:63]
	v_cvt_f32_f64_e32 v10, v[10:11]
	v_cvt_f32_f64_e32 v12, v[12:13]
	v_min3_f32 v81, v12, v10, 0x7f800000
	ds_read_b128 v[34:37], v147 offset:16656
	ds_read_b128 v[30:33], v147 offset:16912
	;; [unrolled: 1-line block ×14, first 2 shown]
	ds_write_b64 v80, v[68:69] offset:18432
	ds_write2st64_b64 v148, v[70:71], v[72:73] offset0:16 offset1:20
	ds_write2st64_b64 v148, v[74:75], v[76:77] offset0:24 offset1:28
	s_waitcnt lgkmcnt(0)
	s_barrier
	buffer_gl0_inv
	v_add_f64 v[149:150], v[36:37], v[8:9]
	v_add_f64 v[151:152], v[34:35], v[6:7]
	v_cvt_f32_f64_e32 v149, v[149:150]
	v_cvt_f32_f64_e32 v151, v[151:152]
	v_min3_f32 v217, v151, v149, v143
	v_add_f64 v[149:150], v[32:33], v[8:9]
	v_add_f64 v[151:152], v[30:31], v[6:7]
	v_cvt_f32_f64_e32 v149, v[149:150]
	v_cvt_f32_f64_e32 v143, v[151:152]
	v_min3_f32 v216, v143, v149, v142
	;; [unrolled: 5-line block ×5, first 2 shown]
	v_add_f64 v[139:140], v[16:17], v[8:9]
	v_add_f64 v[141:142], v[14:15], v[6:7]
	;; [unrolled: 1-line block ×4, first 2 shown]
	v_cvt_f32_f64_e32 v139, v[139:140]
	v_cvt_f32_f64_e32 v141, v[141:142]
	;; [unrolled: 1-line block ×4, first 2 shown]
	v_add_f64 v[8:9], v[2:3], v[62:63]
	v_min3_f32 v212, v141, v139, v138
	v_min3_f32 v211, v6, v7, v137
	v_add_f64 v[6:7], v[4:5], v[64:65]
	v_cvt_f32_f64_e32 v8, v[8:9]
	v_cvt_f32_f64_e32 v6, v[6:7]
	v_min3_f32 v210, v8, v6, v136
	v_add_f64 v[6:7], v[36:37], v[64:65]
	v_add_f64 v[8:9], v[34:35], v[62:63]
	v_cvt_f32_f64_e32 v6, v[6:7]
	v_cvt_f32_f64_e32 v8, v[8:9]
	v_min3_f32 v209, v8, v6, v135
	v_add_f64 v[6:7], v[32:33], v[64:65]
	;; [unrolled: 5-line block ×40, first 2 shown]
	v_add_f64 v[8:9], v[2:3], v[42:43]
	v_add_f64 v[4:5], v[4:5], v[40:41]
	v_add_f64 v[2:3], v[2:3], v[38:39]
	v_cvt_f32_f64_e32 v6, v[6:7]
	v_cvt_f32_f64_e32 v8, v[8:9]
	;; [unrolled: 1-line block ×4, first 2 shown]
	v_add_f64 v[4:5], v[34:35], v[38:39]
	v_min3_f32 v164, v8, v6, v96
	v_add_f64 v[6:7], v[36:37], v[44:45]
	v_add_f64 v[8:9], v[34:35], v[42:43]
	v_min3_f32 v156, v2, v3, v88
	v_add_f64 v[2:3], v[36:37], v[40:41]
	v_cvt_f32_f64_e32 v4, v[4:5]
	v_cvt_f32_f64_e32 v6, v[6:7]
	v_cvt_f32_f64_e32 v8, v[8:9]
	v_cvt_f32_f64_e32 v2, v[2:3]
	v_min3_f32 v163, v8, v6, v95
	v_add_f64 v[6:7], v[32:33], v[44:45]
	v_add_f64 v[8:9], v[30:31], v[42:43]
	v_min3_f32 v155, v4, v2, v87
	v_add_f64 v[2:3], v[32:33], v[40:41]
	v_add_f64 v[4:5], v[30:31], v[38:39]
	v_cvt_f32_f64_e32 v6, v[6:7]
	v_cvt_f32_f64_e32 v8, v[8:9]
	v_cvt_f32_f64_e32 v2, v[2:3]
	v_cvt_f32_f64_e32 v4, v[4:5]
	v_min3_f32 v162, v8, v6, v94
	v_add_f64 v[6:7], v[28:29], v[44:45]
	v_add_f64 v[8:9], v[26:27], v[42:43]
	v_min3_f32 v154, v4, v2, v86
	v_add_f64 v[2:3], v[28:29], v[40:41]
	;; [unrolled: 10-line block ×6, first 2 shown]
	v_add_f64 v[4:5], v[10:11], v[38:39]
	v_cvt_f32_f64_e32 v6, v[6:7]
	v_cvt_f32_f64_e32 v8, v[8:9]
	;; [unrolled: 1-line block ×4, first 2 shown]
	v_min3_f32 v157, v8, v6, v89
	v_min3_f32 v149, v4, v2, v81
	s_cbranch_scc1 .LBB126_57
; %bb.31:
	v_mad_i64_i32 v[2:3], null, s28, v78, 0
	v_lshlrev_b64 v[130:131], 3, v[66:67]
	v_add_nc_u32_e32 v170, 0x4000, v80
	v_or_b32_e32 v171, 0x4000, v147
	v_add_nc_u32_e32 v172, 0x4800, v80
	v_add_nc_u32_e32 v173, 0x2000, v148
	v_lshl_add_u32 v174, v0, 5, 0x4800
	v_lshlrev_b64 v[2:3], 3, v[2:3]
	v_lshl_or_b32 v175, v1, 5, 0x2000
	s_mov_b32 s28, 0
	v_add_co_u32 v2, s6, v2, v79
	v_add_co_ci_u32_e64 v3, null, 0, v3, s6
	v_add_co_u32 v2, s6, s22, v2
	v_add_co_ci_u32_e64 v3, null, s23, v3, s6
	s_add_i32 s22, s14, -8
	v_add_co_u32 v132, s6, 0x60, v2
	v_add_co_ci_u32_e64 v133, null, 0, v3, s6
	s_add_i32 s23, s14, -1
	s_branch .LBB126_33
.LBB126_32:                             ;   in Loop: Header=BB126_33 Depth=1
	s_or_b32 exec_lo, exec_lo, s7
	v_add_f64 v[219:220], v[100:101], v[128:129]
	v_add_f64 v[221:222], v[98:99], v[126:127]
	v_add_co_u32 v132, s6, v132, 64
	v_add_co_ci_u32_e64 v133, null, 0, v133, s6
	s_add_i32 s28, s28, 8
	s_cmp_ge_i32 s28, s22
	v_cvt_f32_f64_e32 v219, v[219:220]
	v_cvt_f32_f64_e32 v221, v[221:222]
	v_min3_f32 v218, v221, v219, v218
	v_add_f64 v[219:220], v[96:97], v[128:129]
	v_add_f64 v[221:222], v[94:95], v[126:127]
	v_cvt_f32_f64_e32 v219, v[219:220]
	v_cvt_f32_f64_e32 v221, v[221:222]
	v_min3_f32 v217, v221, v219, v217
	v_add_f64 v[219:220], v[92:93], v[128:129]
	v_add_f64 v[221:222], v[90:91], v[126:127]
	;; [unrolled: 5-line block ×6, first 2 shown]
	v_add_f64 v[128:129], v[68:69], v[128:129]
	v_add_f64 v[126:127], v[66:67], v[126:127]
	v_cvt_f32_f64_e32 v219, v[219:220]
	v_cvt_f32_f64_e32 v221, v[221:222]
	;; [unrolled: 1-line block ×4, first 2 shown]
	v_add_f64 v[128:129], v[98:99], v[122:123]
	v_min3_f32 v212, v221, v219, v212
	v_min3_f32 v211, v126, v127, v211
	v_add_f64 v[126:127], v[100:101], v[124:125]
	v_cvt_f32_f64_e32 v128, v[128:129]
	v_cvt_f32_f64_e32 v126, v[126:127]
	v_min3_f32 v210, v128, v126, v210
	v_add_f64 v[126:127], v[96:97], v[124:125]
	v_add_f64 v[128:129], v[94:95], v[122:123]
	v_cvt_f32_f64_e32 v126, v[126:127]
	v_cvt_f32_f64_e32 v128, v[128:129]
	v_min3_f32 v209, v128, v126, v209
	v_add_f64 v[126:127], v[92:93], v[124:125]
	v_add_f64 v[128:129], v[90:91], v[122:123]
	v_cvt_f32_f64_e32 v126, v[126:127]
	v_cvt_f32_f64_e32 v128, v[128:129]
	v_min3_f32 v208, v128, v126, v208
	v_add_f64 v[126:127], v[88:89], v[124:125]
	v_add_f64 v[128:129], v[86:87], v[122:123]
	v_cvt_f32_f64_e32 v126, v[126:127]
	v_cvt_f32_f64_e32 v128, v[128:129]
	v_min3_f32 v207, v128, v126, v207
	v_add_f64 v[126:127], v[84:85], v[124:125]
	v_add_f64 v[128:129], v[82:83], v[122:123]
	v_cvt_f32_f64_e32 v126, v[126:127]
	v_cvt_f32_f64_e32 v128, v[128:129]
	v_min3_f32 v206, v128, v126, v206
	v_add_f64 v[126:127], v[80:81], v[124:125]
	v_add_f64 v[128:129], v[78:79], v[122:123]
	v_cvt_f32_f64_e32 v126, v[126:127]
	v_cvt_f32_f64_e32 v128, v[128:129]
	v_min3_f32 v205, v128, v126, v205
	v_add_f64 v[126:127], v[72:73], v[124:125]
	v_add_f64 v[128:129], v[70:71], v[122:123]
	v_add_f64 v[124:125], v[68:69], v[124:125]
	;; [unrolled: 1-line block ×3, first 2 shown]
	v_cvt_f32_f64_e32 v126, v[126:127]
	v_cvt_f32_f64_e32 v128, v[128:129]
	;; [unrolled: 1-line block ×4, first 2 shown]
	v_add_f64 v[124:125], v[98:99], v[118:119]
	v_min3_f32 v204, v128, v126, v204
	v_min3_f32 v203, v122, v123, v203
	v_add_f64 v[122:123], v[100:101], v[120:121]
	v_cvt_f32_f64_e32 v124, v[124:125]
	v_add_f64 v[125:126], v[94:95], v[118:119]
	v_cvt_f32_f64_e32 v122, v[122:123]
	v_cvt_f32_f64_e32 v125, v[125:126]
	v_min3_f32 v122, v124, v122, v202
	v_add_f64 v[123:124], v[96:97], v[120:121]
	v_cvt_f32_f64_e32 v123, v[123:124]
	v_min3_f32 v201, v125, v123, v201
	v_add_f64 v[123:124], v[92:93], v[120:121]
	v_add_f64 v[125:126], v[90:91], v[118:119]
	v_cvt_f32_f64_e32 v123, v[123:124]
	v_cvt_f32_f64_e32 v125, v[125:126]
	v_min3_f32 v200, v125, v123, v200
	v_add_f64 v[123:124], v[88:89], v[120:121]
	v_add_f64 v[125:126], v[86:87], v[118:119]
	v_cvt_f32_f64_e32 v123, v[123:124]
	;; [unrolled: 5-line block ×4, first 2 shown]
	v_cvt_f32_f64_e32 v125, v[125:126]
	v_min3_f32 v197, v125, v123, v197
	v_add_f64 v[123:124], v[72:73], v[120:121]
	v_add_f64 v[125:126], v[70:71], v[118:119]
	;; [unrolled: 1-line block ×4, first 2 shown]
	v_cvt_f32_f64_e32 v123, v[123:124]
	v_cvt_f32_f64_e32 v125, v[125:126]
	;; [unrolled: 1-line block ×4, first 2 shown]
	v_add_f64 v[120:121], v[98:99], v[114:115]
	v_min3_f32 v196, v125, v123, v196
	v_add_f64 v[123:124], v[82:83], v[114:115]
	v_add_f64 v[125:126], v[70:71], v[114:115]
	v_min3_f32 v195, v118, v119, v195
	v_add_f64 v[118:119], v[100:101], v[116:117]
	v_cvt_f32_f64_e32 v120, v[120:121]
	v_cvt_f32_f64_e32 v118, v[118:119]
	v_min3_f32 v194, v120, v118, v194
	v_add_f64 v[118:119], v[96:97], v[116:117]
	v_add_f64 v[120:121], v[94:95], v[114:115]
	v_cvt_f32_f64_e32 v118, v[118:119]
	v_cvt_f32_f64_e32 v120, v[120:121]
	v_min3_f32 v193, v120, v118, v193
	v_add_f64 v[118:119], v[92:93], v[116:117]
	;; [unrolled: 5-line block ×3, first 2 shown]
	v_add_f64 v[120:121], v[86:87], v[114:115]
	v_cvt_f32_f64_e32 v118, v[118:119]
	v_cvt_f32_f64_e32 v120, v[120:121]
	;; [unrolled: 1-line block ×3, first 2 shown]
	v_add_f64 v[123:124], v[78:79], v[114:115]
	v_add_f64 v[114:115], v[66:67], v[114:115]
	v_min3_f32 v118, v120, v118, v191
	v_add_f64 v[119:120], v[84:85], v[116:117]
	v_cvt_f32_f64_e32 v123, v[123:124]
	v_cvt_f32_f64_e32 v114, v[114:115]
	;; [unrolled: 1-line block ×3, first 2 shown]
	v_min3_f32 v119, v121, v119, v190
	v_add_f64 v[120:121], v[80:81], v[116:117]
	v_cvt_f32_f64_e32 v120, v[120:121]
	v_cvt_f32_f64_e32 v121, v[125:126]
	v_add_f64 v[125:126], v[90:91], v[110:111]
	v_min3_f32 v120, v123, v120, v189
	v_add_f64 v[123:124], v[72:73], v[116:117]
	v_add_f64 v[116:117], v[68:69], v[116:117]
	v_cvt_f32_f64_e32 v123, v[123:124]
	v_cvt_f32_f64_e32 v115, v[116:117]
	v_min3_f32 v121, v121, v123, v188
	v_min3_f32 v114, v114, v115, v187
	v_add_f64 v[115:116], v[100:101], v[112:113]
	v_add_f64 v[123:124], v[98:99], v[110:111]
	v_cvt_f32_f64_e32 v115, v[115:116]
	v_cvt_f32_f64_e32 v117, v[123:124]
	v_add_f64 v[123:124], v[94:95], v[110:111]
	v_min3_f32 v115, v117, v115, v186
	v_add_f64 v[116:117], v[96:97], v[112:113]
	v_cvt_f32_f64_e32 v123, v[123:124]
	v_cvt_f32_f64_e32 v116, v[116:117]
	;; [unrolled: 1-line block ×3, first 2 shown]
	v_add_f64 v[125:126], v[86:87], v[110:111]
	v_min3_f32 v116, v123, v116, v185
	v_add_f64 v[123:124], v[92:93], v[112:113]
	v_cvt_f32_f64_e32 v125, v[125:126]
	v_add_f64 v[126:127], v[82:83], v[110:111]
	v_cvt_f32_f64_e32 v123, v[123:124]
	v_cvt_f32_f64_e32 v126, v[126:127]
	v_add_f64 v[127:128], v[78:79], v[110:111]
	v_min3_f32 v117, v117, v123, v184
	v_add_f64 v[123:124], v[88:89], v[112:113]
	v_cvt_f32_f64_e32 v127, v[127:128]
	v_cvt_f32_f64_e32 v123, v[123:124]
	v_min3_f32 v123, v125, v123, v183
	v_add_f64 v[124:125], v[84:85], v[112:113]
	v_cvt_f32_f64_e32 v124, v[124:125]
	v_min3_f32 v124, v126, v124, v182
	v_add_f64 v[125:126], v[80:81], v[112:113]
	;; [unrolled: 3-line block ×3, first 2 shown]
	v_add_f64 v[127:128], v[70:71], v[110:111]
	v_add_f64 v[112:113], v[68:69], v[112:113]
	v_add_f64 v[110:111], v[66:67], v[110:111]
	v_cvt_f32_f64_e32 v125, v[125:126]
	v_cvt_f32_f64_e32 v127, v[127:128]
	;; [unrolled: 1-line block ×4, first 2 shown]
	v_min3_f32 v125, v127, v125, v180
	v_add_f64 v[126:127], v[98:99], v[106:107]
	v_min3_f32 v112, v110, v111, v179
	v_add_f64 v[110:111], v[100:101], v[108:109]
	v_cvt_f32_f64_e32 v113, v[126:127]
	v_add_f64 v[126:127], v[94:95], v[106:107]
	v_cvt_f32_f64_e32 v110, v[110:111]
	v_cvt_f32_f64_e32 v126, v[126:127]
	v_add_f64 v[127:128], v[90:91], v[106:107]
	v_min3_f32 v113, v113, v110, v178
	v_add_f64 v[110:111], v[96:97], v[108:109]
	v_cvt_f32_f64_e32 v127, v[127:128]
	v_add_f64 v[128:129], v[86:87], v[106:107]
	v_cvt_f32_f64_e32 v110, v[110:111]
	v_cvt_f32_f64_e32 v128, v[128:129]
	v_min3_f32 v126, v126, v110, v177
	v_add_f64 v[110:111], v[92:93], v[108:109]
	v_cvt_f32_f64_e32 v110, v[110:111]
	v_min3_f32 v127, v127, v110, v176
	v_add_f64 v[110:111], v[88:89], v[108:109]
	v_add_f64 v[176:177], v[82:83], v[106:107]
	v_cvt_f32_f64_e32 v110, v[110:111]
	v_cvt_f32_f64_e32 v129, v[176:177]
	v_min3_f32 v128, v128, v110, v169
	v_add_f64 v[110:111], v[84:85], v[108:109]
	v_cvt_f32_f64_e32 v110, v[110:111]
	v_min3_f32 v129, v129, v110, v168
	v_add_f64 v[110:111], v[80:81], v[108:109]
	v_add_f64 v[168:169], v[78:79], v[106:107]
	v_cvt_f32_f64_e32 v110, v[110:111]
	v_cvt_f32_f64_e32 v168, v[168:169]
	v_min3_f32 v167, v168, v110, v167
	v_add_f64 v[110:111], v[72:73], v[108:109]
	v_add_f64 v[168:169], v[70:71], v[106:107]
	;; [unrolled: 1-line block ×4, first 2 shown]
	v_cvt_f32_f64_e32 v110, v[110:111]
	v_cvt_f32_f64_e32 v168, v[168:169]
	;; [unrolled: 1-line block ×4, first 2 shown]
	v_add_f64 v[108:109], v[98:99], v[102:103]
	v_add_f64 v[98:99], v[98:99], v[74:75]
	v_min3_f32 v166, v168, v110, v166
	v_min3_f32 v165, v106, v107, v165
	v_add_f64 v[106:107], v[100:101], v[104:105]
	v_cvt_f32_f64_e32 v108, v[108:109]
	v_add_f64 v[100:101], v[100:101], v[76:77]
	v_cvt_f32_f64_e32 v98, v[98:99]
	v_cvt_f32_f64_e32 v106, v[106:107]
	;; [unrolled: 1-line block ×3, first 2 shown]
	v_min3_f32 v164, v108, v106, v164
	v_add_f64 v[106:107], v[96:97], v[104:105]
	v_add_f64 v[108:109], v[94:95], v[102:103]
	;; [unrolled: 1-line block ×4, first 2 shown]
	v_min3_f32 v98, v98, v99, v156
	v_add_f64 v[99:100], v[10:11], v[46:47]
	v_cvt_f32_f64_e32 v106, v[106:107]
	v_cvt_f32_f64_e32 v108, v[108:109]
	v_add_f64 v[109:110], v[90:91], v[102:103]
	v_add_f64 v[90:91], v[90:91], v[74:75]
	v_cvt_f32_f64_e32 v94, v[94:95]
	v_cvt_f32_f64_e32 v95, v[96:97]
	v_min3_f32 v106, v108, v106, v163
	v_add_f64 v[107:108], v[92:93], v[104:105]
	v_cvt_f32_f64_e32 v109, v[109:110]
	v_add_f64 v[110:111], v[86:87], v[102:103]
	v_add_f64 v[86:87], v[86:87], v[74:75]
	;; [unrolled: 1-line block ×3, first 2 shown]
	v_cvt_f32_f64_e32 v90, v[90:91]
	v_min3_f32 v94, v94, v95, v155
	v_add_f64 v[95:96], v[6:7], v[50:51]
	v_cvt_f32_f64_e32 v107, v[107:108]
	v_cvt_f32_f64_e32 v110, v[110:111]
	;; [unrolled: 1-line block ×4, first 2 shown]
	v_min3_f32 v107, v109, v107, v162
	v_add_f64 v[108:109], v[88:89], v[104:105]
	v_add_f64 v[88:89], v[88:89], v[76:77]
	v_min3_f32 v90, v90, v91, v154
	v_add_f64 v[91:92], v[26:27], v[50:51]
	v_cvt_f32_f64_e32 v108, v[108:109]
	v_cvt_f32_f64_e32 v87, v[88:89]
	v_min3_f32 v108, v110, v108, v161
	v_add_f64 v[109:110], v[84:85], v[104:105]
	v_add_f64 v[161:162], v[82:83], v[102:103]
	;; [unrolled: 1-line block ×4, first 2 shown]
	v_min3_f32 v86, v86, v87, v153
	v_add_f64 v[87:88], v[14:15], v[54:55]
	v_cvt_f32_f64_e32 v109, v[109:110]
	v_cvt_f32_f64_e32 v111, v[161:162]
	;; [unrolled: 1-line block ×4, first 2 shown]
	v_min3_f32 v109, v111, v109, v160
	v_add_f64 v[110:111], v[80:81], v[104:105]
	v_add_f64 v[160:161], v[78:79], v[102:103]
	v_add_f64 v[78:79], v[78:79], v[74:75]
	v_add_f64 v[80:81], v[80:81], v[76:77]
	v_min3_f32 v82, v82, v83, v152
	v_add_f64 v[83:84], v[10:11], v[58:59]
	v_cvt_f32_f64_e32 v110, v[110:111]
	v_cvt_f32_f64_e32 v160, v[160:161]
	v_add_f64 v[161:162], v[70:71], v[102:103]
	v_add_f64 v[102:103], v[66:67], v[102:103]
	;; [unrolled: 1-line block ×5, first 2 shown]
	v_cvt_f32_f64_e32 v78, v[78:79]
	v_cvt_f32_f64_e32 v79, v[80:81]
	v_min3_f32 v110, v160, v110, v159
	v_add_f64 v[159:160], v[72:73], v[104:105]
	v_add_f64 v[104:105], v[68:69], v[104:105]
	;; [unrolled: 1-line block ×4, first 2 shown]
	v_cvt_f32_f64_e32 v66, v[66:67]
	v_cvt_f32_f64_e32 v70, v[70:71]
	v_add_f64 v[76:77], v[14:15], v[62:63]
	v_min3_f32 v78, v78, v79, v151
	v_add_f64 v[79:80], v[26:27], v[58:59]
	v_cvt_f32_f64_e32 v102, v[102:103]
	v_cvt_f32_f64_e32 v111, v[161:162]
	;; [unrolled: 1-line block ×6, first 2 shown]
	v_add_f64 v[68:69], v[34:35], v[62:63]
	v_min3_f32 v111, v111, v159, v158
	v_min3_f32 v102, v102, v103, v157
	;; [unrolled: 1-line block ×3, first 2 shown]
	v_add_f64 v[66:67], v[36:37], v[64:65]
	v_cvt_f32_f64_e32 v68, v[68:69]
	v_min3_f32 v71, v70, v71, v150
	v_add_f64 v[69:70], v[30:31], v[62:63]
	v_cvt_f32_f64_e32 v66, v[66:67]
	v_cvt_f32_f64_e32 v69, v[69:70]
	;; [unrolled: 1-line block ×3, first 2 shown]
	v_add_f64 v[74:75], v[18:19], v[62:63]
	v_min3_f32 v66, v68, v66, v218
	v_add_f64 v[67:68], v[32:33], v[64:65]
	v_cvt_f32_f64_e32 v72, v[74:75]
	v_add_f64 v[74:75], v[16:17], v[64:65]
	v_cvt_f32_f64_e32 v67, v[67:68]
	v_min3_f32 v67, v69, v67, v217
	v_add_f64 v[68:69], v[28:29], v[64:65]
	v_cvt_f32_f64_e32 v68, v[68:69]
	v_min3_f32 v68, v70, v68, v216
	v_add_f64 v[69:70], v[20:21], v[64:65]
	v_cvt_f32_f64_e32 v69, v[69:70]
	v_cvt_f32_f64_e32 v70, v[76:77]
	v_add_f64 v[76:77], v[10:11], v[62:63]
	v_min3_f32 v69, v72, v69, v215
	v_cvt_f32_f64_e32 v72, v[74:75]
	v_add_f64 v[74:75], v[12:13], v[64:65]
	v_min3_f32 v70, v70, v72, v214
	v_cvt_f32_f64_e32 v72, v[76:77]
	v_cvt_f32_f64_e32 v74, v[74:75]
	v_add_f64 v[76:77], v[6:7], v[62:63]
	v_add_f64 v[62:63], v[2:3], v[62:63]
	v_min3_f32 v72, v72, v74, v213
	v_add_f64 v[74:75], v[8:9], v[64:65]
	v_add_f64 v[64:65], v[4:5], v[64:65]
	v_cvt_f32_f64_e32 v76, v[76:77]
	v_cvt_f32_f64_e32 v62, v[62:63]
	;; [unrolled: 1-line block ×4, first 2 shown]
	v_min3_f32 v74, v76, v74, v212
	v_min3_f32 v62, v62, v63, v211
	v_add_f64 v[63:64], v[36:37], v[60:61]
	v_add_f64 v[75:76], v[34:35], v[58:59]
	v_cvt_f32_f64_e32 v63, v[63:64]
	v_cvt_f32_f64_e32 v65, v[75:76]
	v_add_f64 v[75:76], v[30:31], v[58:59]
	v_min3_f32 v63, v65, v63, v210
	v_add_f64 v[64:65], v[32:33], v[60:61]
	v_cvt_f32_f64_e32 v75, v[75:76]
	v_cvt_f32_f64_e32 v64, v[64:65]
	;; [unrolled: 1-line block ×3, first 2 shown]
	v_add_f64 v[79:80], v[18:19], v[58:59]
	v_min3_f32 v64, v75, v64, v209
	v_add_f64 v[75:76], v[28:29], v[60:61]
	v_cvt_f32_f64_e32 v77, v[79:80]
	v_add_f64 v[79:80], v[14:15], v[58:59]
	v_cvt_f32_f64_e32 v75, v[75:76]
	v_cvt_f32_f64_e32 v79, v[79:80]
	v_min3_f32 v65, v65, v75, v208
	v_add_f64 v[75:76], v[20:21], v[60:61]
	v_cvt_f32_f64_e32 v75, v[75:76]
	v_min3_f32 v75, v77, v75, v207
	v_add_f64 v[76:77], v[16:17], v[60:61]
	v_cvt_f32_f64_e32 v76, v[76:77]
	v_cvt_f32_f64_e32 v77, v[83:84]
	v_add_f64 v[83:84], v[6:7], v[58:59]
	v_add_f64 v[58:59], v[2:3], v[58:59]
	v_min3_f32 v76, v79, v76, v206
	v_add_f64 v[79:80], v[12:13], v[60:61]
	v_cvt_f32_f64_e32 v81, v[83:84]
	v_cvt_f32_f64_e32 v58, v[58:59]
	v_add_f64 v[83:84], v[26:27], v[54:55]
	v_cvt_f32_f64_e32 v79, v[79:80]
	v_min3_f32 v77, v77, v79, v205
	v_add_f64 v[79:80], v[8:9], v[60:61]
	v_add_f64 v[60:61], v[4:5], v[60:61]
	v_cvt_f32_f64_e32 v79, v[79:80]
	v_cvt_f32_f64_e32 v59, v[60:61]
	v_min3_f32 v79, v81, v79, v204
	v_min3_f32 v58, v58, v59, v203
	v_add_f64 v[59:60], v[36:37], v[56:57]
	v_add_f64 v[80:81], v[34:35], v[54:55]
	v_cvt_f32_f64_e32 v59, v[59:60]
	v_cvt_f32_f64_e32 v61, v[80:81]
	v_add_f64 v[80:81], v[30:31], v[54:55]
	v_min3_f32 v59, v61, v59, v122
	v_add_f64 v[60:61], v[32:33], v[56:57]
	v_cvt_f32_f64_e32 v80, v[80:81]
	v_cvt_f32_f64_e32 v60, v[60:61]
	v_cvt_f32_f64_e32 v61, v[83:84]
	v_add_f64 v[83:84], v[18:19], v[54:55]
	v_min3_f32 v60, v80, v60, v201
	v_add_f64 v[80:81], v[28:29], v[56:57]
	v_cvt_f32_f64_e32 v83, v[83:84]
	v_cvt_f32_f64_e32 v80, v[80:81]
	v_min3_f32 v61, v61, v80, v200
	v_add_f64 v[80:81], v[20:21], v[56:57]
	v_cvt_f32_f64_e32 v80, v[80:81]
	v_cvt_f32_f64_e32 v81, v[87:88]
	v_add_f64 v[87:88], v[10:11], v[54:55]
	v_min3_f32 v80, v83, v80, v199
	v_add_f64 v[83:84], v[16:17], v[56:57]
	v_cvt_f32_f64_e32 v85, v[87:88]
	v_add_f64 v[87:88], v[6:7], v[54:55]
	v_add_f64 v[54:55], v[2:3], v[54:55]
	v_cvt_f32_f64_e32 v83, v[83:84]
	v_cvt_f32_f64_e32 v87, v[87:88]
	;; [unrolled: 1-line block ×3, first 2 shown]
	v_min3_f32 v81, v81, v83, v198
	v_add_f64 v[83:84], v[12:13], v[56:57]
	v_cvt_f32_f64_e32 v83, v[83:84]
	v_min3_f32 v83, v85, v83, v197
	v_add_f64 v[84:85], v[8:9], v[56:57]
	v_add_f64 v[56:57], v[4:5], v[56:57]
	v_cvt_f32_f64_e32 v84, v[84:85]
	v_cvt_f32_f64_e32 v55, v[56:57]
	v_min3_f32 v84, v87, v84, v196
	v_min3_f32 v54, v54, v55, v195
	v_add_f64 v[55:56], v[36:37], v[52:53]
	v_add_f64 v[87:88], v[34:35], v[50:51]
	v_cvt_f32_f64_e32 v55, v[55:56]
	v_cvt_f32_f64_e32 v57, v[87:88]
	v_add_f64 v[87:88], v[30:31], v[50:51]
	v_min3_f32 v55, v57, v55, v194
	v_add_f64 v[56:57], v[32:33], v[52:53]
	v_cvt_f32_f64_e32 v85, v[87:88]
	v_add_f64 v[87:88], v[28:29], v[52:53]
	v_cvt_f32_f64_e32 v56, v[56:57]
	v_cvt_f32_f64_e32 v57, v[91:92]
	v_add_f64 v[91:92], v[18:19], v[50:51]
	v_min3_f32 v56, v85, v56, v193
	v_cvt_f32_f64_e32 v85, v[87:88]
	v_add_f64 v[87:88], v[20:21], v[52:53]
	v_min3_f32 v57, v57, v85, v192
	v_cvt_f32_f64_e32 v85, v[91:92]
	v_cvt_f32_f64_e32 v87, v[87:88]
	v_add_f64 v[91:92], v[14:15], v[50:51]
	v_min3_f32 v85, v85, v87, v118
	v_add_f64 v[87:88], v[16:17], v[52:53]
	v_cvt_f32_f64_e32 v89, v[91:92]
	v_add_f64 v[91:92], v[10:11], v[50:51]
	v_add_f64 v[50:51], v[2:3], v[50:51]
	v_cvt_f32_f64_e32 v87, v[87:88]
	v_cvt_f32_f64_e32 v91, v[91:92]
	v_cvt_f32_f64_e32 v50, v[50:51]
	v_min3_f32 v87, v89, v87, v119
	v_add_f64 v[88:89], v[12:13], v[52:53]
	v_cvt_f32_f64_e32 v88, v[88:89]
	v_cvt_f32_f64_e32 v89, v[95:96]
	v_add_f64 v[95:96], v[26:27], v[46:47]
	v_min3_f32 v88, v91, v88, v120
	v_add_f64 v[91:92], v[8:9], v[52:53]
	v_add_f64 v[52:53], v[4:5], v[52:53]
	v_cvt_f32_f64_e32 v91, v[91:92]
	v_cvt_f32_f64_e32 v51, v[52:53]
	v_min3_f32 v89, v89, v91, v121
	v_min3_f32 v50, v50, v51, v114
	v_add_f64 v[51:52], v[36:37], v[48:49]
	v_add_f64 v[91:92], v[34:35], v[46:47]
	v_cvt_f32_f64_e32 v51, v[51:52]
	v_cvt_f32_f64_e32 v53, v[91:92]
	v_add_f64 v[91:92], v[30:31], v[46:47]
	v_min3_f32 v51, v53, v51, v115
	v_add_f64 v[52:53], v[32:33], v[48:49]
	v_cvt_f32_f64_e32 v91, v[91:92]
	v_cvt_f32_f64_e32 v52, v[52:53]
	;; [unrolled: 1-line block ×3, first 2 shown]
	v_add_f64 v[95:96], v[18:19], v[46:47]
	v_min3_f32 v52, v91, v52, v116
	v_add_f64 v[91:92], v[28:29], v[48:49]
	v_cvt_f32_f64_e32 v93, v[95:96]
	v_add_f64 v[95:96], v[14:15], v[46:47]
	v_cvt_f32_f64_e32 v91, v[91:92]
	v_cvt_f32_f64_e32 v95, v[95:96]
	v_min3_f32 v53, v53, v91, v117
	v_add_f64 v[91:92], v[20:21], v[48:49]
	v_cvt_f32_f64_e32 v91, v[91:92]
	v_min3_f32 v91, v93, v91, v123
	v_add_f64 v[92:93], v[16:17], v[48:49]
	v_cvt_f32_f64_e32 v92, v[92:93]
	v_cvt_f32_f64_e32 v93, v[99:100]
	v_add_f64 v[99:100], v[6:7], v[46:47]
	v_add_f64 v[46:47], v[2:3], v[46:47]
	v_min3_f32 v92, v95, v92, v124
	v_add_f64 v[95:96], v[12:13], v[48:49]
	v_cvt_f32_f64_e32 v46, v[46:47]
	v_cvt_f32_f64_e32 v95, v[95:96]
	v_min3_f32 v149, v93, v95, v181
	v_add_f64 v[95:96], v[8:9], v[48:49]
	v_add_f64 v[48:49], v[4:5], v[48:49]
	v_cvt_f32_f64_e32 v93, v[99:100]
	v_add_f64 v[99:100], v[26:27], v[42:43]
	v_cvt_f32_f64_e32 v95, v[95:96]
	v_cvt_f32_f64_e32 v47, v[48:49]
	v_min3_f32 v150, v93, v95, v125
	v_min3_f32 v46, v46, v47, v112
	v_add_f64 v[47:48], v[36:37], v[44:45]
	v_add_f64 v[95:96], v[34:35], v[42:43]
	v_cvt_f32_f64_e32 v47, v[47:48]
	v_cvt_f32_f64_e32 v49, v[95:96]
	v_add_f64 v[95:96], v[30:31], v[42:43]
	v_min3_f32 v47, v49, v47, v113
	v_add_f64 v[48:49], v[32:33], v[44:45]
	v_cvt_f32_f64_e32 v93, v[95:96]
	v_add_f64 v[95:96], v[28:29], v[44:45]
	v_cvt_f32_f64_e32 v48, v[48:49]
	v_cvt_f32_f64_e32 v49, v[99:100]
	v_add_f64 v[99:100], v[18:19], v[42:43]
	v_min3_f32 v48, v93, v48, v126
	v_cvt_f32_f64_e32 v93, v[95:96]
	v_add_f64 v[95:96], v[20:21], v[44:45]
	v_min3_f32 v49, v49, v93, v127
	v_cvt_f32_f64_e32 v93, v[99:100]
	v_cvt_f32_f64_e32 v95, v[95:96]
	v_add_f64 v[99:100], v[14:15], v[42:43]
	v_min3_f32 v151, v93, v95, v128
	v_add_f64 v[95:96], v[16:17], v[44:45]
	v_cvt_f32_f64_e32 v93, v[99:100]
	v_add_f64 v[99:100], v[10:11], v[42:43]
	v_cvt_f32_f64_e32 v95, v[95:96]
	v_min3_f32 v152, v93, v95, v129
	v_add_f64 v[95:96], v[12:13], v[44:45]
	v_cvt_f32_f64_e32 v93, v[99:100]
	v_add_f64 v[99:100], v[6:7], v[42:43]
	v_add_f64 v[42:43], v[2:3], v[42:43]
	v_cvt_f32_f64_e32 v95, v[95:96]
	v_cvt_f32_f64_e32 v42, v[42:43]
	v_min3_f32 v153, v93, v95, v167
	v_add_f64 v[95:96], v[8:9], v[44:45]
	v_add_f64 v[44:45], v[4:5], v[44:45]
	v_cvt_f32_f64_e32 v93, v[99:100]
	v_add_f64 v[99:100], v[26:27], v[38:39]
	v_add_f64 v[26:27], v[26:27], v[22:23]
	v_cvt_f32_f64_e32 v95, v[95:96]
	v_cvt_f32_f64_e32 v43, v[44:45]
	;; [unrolled: 1-line block ×3, first 2 shown]
	v_min3_f32 v154, v93, v95, v166
	v_min3_f32 v42, v42, v43, v165
	v_add_f64 v[43:44], v[36:37], v[40:41]
	v_add_f64 v[95:96], v[34:35], v[38:39]
	;; [unrolled: 1-line block ×4, first 2 shown]
	v_cvt_f32_f64_e32 v43, v[43:44]
	v_cvt_f32_f64_e32 v45, v[95:96]
	v_add_f64 v[95:96], v[30:31], v[38:39]
	v_add_f64 v[30:31], v[30:31], v[22:23]
	v_cvt_f32_f64_e32 v34, v[34:35]
	v_cvt_f32_f64_e32 v35, v[36:37]
	v_min3_f32 v43, v45, v43, v164
	v_add_f64 v[44:45], v[32:33], v[40:41]
	v_cvt_f32_f64_e32 v93, v[95:96]
	v_add_f64 v[95:96], v[28:29], v[40:41]
	v_add_f64 v[32:33], v[32:33], v[24:25]
	v_add_f64 v[28:29], v[28:29], v[24:25]
	v_cvt_f32_f64_e32 v30, v[30:31]
	v_min3_f32 v190, v34, v35, v98
	v_cvt_f32_f64_e32 v44, v[44:45]
	v_cvt_f32_f64_e32 v45, v[99:100]
	v_add_f64 v[99:100], v[18:19], v[38:39]
	v_add_f64 v[18:19], v[18:19], v[22:23]
	v_cvt_f32_f64_e32 v31, v[32:33]
	v_cvt_f32_f64_e32 v27, v[28:29]
	v_min3_f32 v44, v93, v44, v106
	v_cvt_f32_f64_e32 v93, v[95:96]
	v_add_f64 v[95:96], v[20:21], v[40:41]
	v_add_f64 v[20:21], v[20:21], v[24:25]
	v_cvt_f32_f64_e32 v18, v[18:19]
	v_min3_f32 v191, v30, v31, v94
	v_min3_f32 v192, v26, v27, v90
	;; [unrolled: 1-line block ×3, first 2 shown]
	v_cvt_f32_f64_e32 v93, v[99:100]
	v_cvt_f32_f64_e32 v95, v[95:96]
	v_add_f64 v[99:100], v[14:15], v[38:39]
	v_add_f64 v[14:15], v[14:15], v[22:23]
	v_cvt_f32_f64_e32 v19, v[20:21]
	v_min3_f32 v155, v93, v95, v108
	v_add_f64 v[95:96], v[16:17], v[40:41]
	v_cvt_f32_f64_e32 v93, v[99:100]
	v_add_f64 v[99:100], v[10:11], v[38:39]
	v_add_f64 v[16:17], v[16:17], v[24:25]
	;; [unrolled: 1-line block ×3, first 2 shown]
	v_cvt_f32_f64_e32 v14, v[14:15]
	v_min3_f32 v193, v18, v19, v86
	v_cvt_f32_f64_e32 v95, v[95:96]
	v_cvt_f32_f64_e32 v15, v[16:17]
	;; [unrolled: 1-line block ×3, first 2 shown]
	v_min3_f32 v156, v93, v95, v109
	v_add_f64 v[95:96], v[12:13], v[40:41]
	v_cvt_f32_f64_e32 v93, v[99:100]
	v_add_f64 v[99:100], v[6:7], v[38:39]
	v_add_f64 v[38:39], v[2:3], v[38:39]
	;; [unrolled: 1-line block ×5, first 2 shown]
	v_min3_f32 v194, v14, v15, v82
	v_cvt_f32_f64_e32 v95, v[95:96]
	v_cvt_f32_f64_e32 v38, v[38:39]
	;; [unrolled: 1-line block ×5, first 2 shown]
	v_min3_f32 v157, v93, v95, v110
	v_add_f64 v[95:96], v[8:9], v[40:41]
	v_add_f64 v[40:41], v[4:5], v[40:41]
	;; [unrolled: 1-line block ×4, first 2 shown]
	v_cvt_f32_f64_e32 v93, v[99:100]
	v_min3_f32 v195, v10, v11, v78
	v_cvt_f32_f64_e32 v95, v[95:96]
	v_cvt_f32_f64_e32 v39, v[40:41]
	;; [unrolled: 1-line block ×4, first 2 shown]
	v_min3_f32 v188, v93, v95, v111
	v_min3_f32 v189, v38, v39, v102
	;; [unrolled: 1-line block ×4, first 2 shown]
	ds_read_b128 v[6:9], v171 offset:256
	ds_read_b128 v[10:13], v171 offset:512
	;; [unrolled: 1-line block ×14, first 2 shown]
	ds_read_b128 v[97:100], v146
	ds_read_b128 v[34:37], v146 offset:16
	ds_read_b128 v[184:187], v171
	ds_read_b128 v[2:5], v171 offset:16
	s_waitcnt lgkmcnt(1)
	v_add_f64 v[101:102], v[186:187], v[99:100]
	v_add_f64 v[103:104], v[184:185], v[97:98]
	v_cvt_f32_f64_e32 v73, v[101:102]
	v_cvt_f32_f64_e32 v71, v[103:104]
	v_add_f64 v[101:102], v[8:9], v[99:100]
	v_add_f64 v[103:104], v[6:7], v[97:98]
	v_min3_f32 v129, v71, v73, v66
	v_cvt_f32_f64_e32 v71, v[101:102]
	v_cvt_f32_f64_e32 v66, v[103:104]
	v_add_f64 v[101:102], v[10:11], v[97:98]
	v_min3_f32 v128, v66, v71, v67
	v_add_f64 v[66:67], v[12:13], v[99:100]
	v_cvt_f32_f64_e32 v71, v[101:102]
	v_add_f64 v[101:102], v[14:15], v[97:98]
	v_cvt_f32_f64_e32 v66, v[66:67]
	v_min3_f32 v127, v71, v66, v68
	v_add_f64 v[66:67], v[16:17], v[99:100]
	v_cvt_f32_f64_e32 v68, v[101:102]
	v_cvt_f32_f64_e32 v66, v[66:67]
	v_min3_f32 v126, v68, v66, v69
	v_add_f64 v[66:67], v[20:21], v[99:100]
	v_add_f64 v[68:69], v[18:19], v[97:98]
	v_cvt_f32_f64_e32 v66, v[66:67]
	v_cvt_f32_f64_e32 v68, v[68:69]
	v_min3_f32 v125, v68, v66, v70
	v_add_f64 v[66:67], v[24:25], v[99:100]
	;; [unrolled: 5-line block ×11, first 2 shown]
	v_add_f64 v[64:65], v[26:27], v[38:39]
	v_add_f64 v[40:41], v[32:33], v[40:41]
	;; [unrolled: 1-line block ×3, first 2 shown]
	v_cvt_f32_f64_e32 v62, v[62:63]
	v_cvt_f32_f64_e32 v64, v[64:65]
	;; [unrolled: 1-line block ×4, first 2 shown]
	v_add_f64 v[40:41], v[184:185], v[93:94]
	v_min3_f32 v115, v64, v62, v79
	v_min3_f32 v114, v38, v39, v58
	v_add_f64 v[38:39], v[186:187], v[95:96]
	v_cvt_f32_f64_e32 v40, v[40:41]
	v_cvt_f32_f64_e32 v38, v[38:39]
	v_min3_f32 v113, v40, v38, v59
	v_add_f64 v[38:39], v[8:9], v[95:96]
	v_add_f64 v[40:41], v[6:7], v[93:94]
	v_cvt_f32_f64_e32 v38, v[38:39]
	v_cvt_f32_f64_e32 v40, v[40:41]
	v_min3_f32 v112, v40, v38, v60
	v_add_f64 v[38:39], v[12:13], v[95:96]
	v_add_f64 v[40:41], v[10:11], v[93:94]
	v_cvt_f32_f64_e32 v38, v[38:39]
	v_cvt_f32_f64_e32 v40, v[40:41]
	v_min3_f32 v111, v40, v38, v61
	v_add_f64 v[38:39], v[16:17], v[95:96]
	v_add_f64 v[40:41], v[14:15], v[93:94]
	v_cvt_f32_f64_e32 v38, v[38:39]
	v_cvt_f32_f64_e32 v40, v[40:41]
	v_min3_f32 v110, v40, v38, v80
	v_add_f64 v[38:39], v[20:21], v[95:96]
	v_add_f64 v[40:41], v[18:19], v[93:94]
	v_cvt_f32_f64_e32 v38, v[38:39]
	v_cvt_f32_f64_e32 v40, v[40:41]
	v_min3_f32 v109, v40, v38, v81
	v_add_f64 v[38:39], v[24:25], v[95:96]
	v_add_f64 v[40:41], v[22:23], v[93:94]
	v_cvt_f32_f64_e32 v38, v[38:39]
	v_cvt_f32_f64_e32 v40, v[40:41]
	v_min3_f32 v108, v40, v38, v83
	v_add_f64 v[38:39], v[28:29], v[95:96]
	v_add_f64 v[40:41], v[26:27], v[93:94]
	v_cvt_f32_f64_e32 v38, v[38:39]
	v_cvt_f32_f64_e32 v40, v[40:41]
	v_min3_f32 v107, v40, v38, v84
	v_add_f64 v[38:39], v[32:33], v[95:96]
	v_add_f64 v[40:41], v[30:31], v[93:94]
	v_cvt_f32_f64_e32 v38, v[38:39]
	v_cvt_f32_f64_e32 v40, v[40:41]
	v_min3_f32 v106, v40, v38, v54
	v_add_f64 v[38:39], v[186:187], v[160:161]
	v_add_f64 v[40:41], v[184:185], v[158:159]
	v_cvt_f32_f64_e32 v38, v[38:39]
	v_cvt_f32_f64_e32 v40, v[40:41]
	v_min3_f32 v105, v40, v38, v55
	v_add_f64 v[38:39], v[8:9], v[160:161]
	v_add_f64 v[40:41], v[6:7], v[158:159]
	v_cvt_f32_f64_e32 v38, v[38:39]
	v_cvt_f32_f64_e32 v40, v[40:41]
	v_min3_f32 v104, v40, v38, v56
	v_add_f64 v[38:39], v[12:13], v[160:161]
	v_add_f64 v[40:41], v[10:11], v[158:159]
	v_cvt_f32_f64_e32 v38, v[38:39]
	v_cvt_f32_f64_e32 v40, v[40:41]
	v_min3_f32 v103, v40, v38, v57
	v_add_f64 v[38:39], v[16:17], v[160:161]
	v_add_f64 v[40:41], v[14:15], v[158:159]
	v_cvt_f32_f64_e32 v38, v[38:39]
	v_cvt_f32_f64_e32 v40, v[40:41]
	v_min3_f32 v102, v40, v38, v85
	v_add_f64 v[38:39], v[20:21], v[160:161]
	v_add_f64 v[40:41], v[18:19], v[158:159]
	v_cvt_f32_f64_e32 v38, v[38:39]
	v_cvt_f32_f64_e32 v40, v[40:41]
	v_min3_f32 v101, v40, v38, v87
	v_add_f64 v[38:39], v[24:25], v[160:161]
	v_add_f64 v[40:41], v[22:23], v[158:159]
	v_cvt_f32_f64_e32 v38, v[38:39]
	v_cvt_f32_f64_e32 v40, v[40:41]
	v_min3_f32 v100, v40, v38, v88
	v_add_f64 v[38:39], v[28:29], v[160:161]
	v_add_f64 v[40:41], v[26:27], v[158:159]
	v_cvt_f32_f64_e32 v38, v[38:39]
	v_cvt_f32_f64_e32 v40, v[40:41]
	v_min3_f32 v99, v40, v38, v89
	v_add_f64 v[38:39], v[32:33], v[160:161]
	v_add_f64 v[40:41], v[30:31], v[158:159]
	v_cvt_f32_f64_e32 v38, v[38:39]
	v_cvt_f32_f64_e32 v40, v[40:41]
	v_min3_f32 v98, v40, v38, v50
	v_add_f64 v[38:39], v[186:187], v[164:165]
	v_add_f64 v[40:41], v[184:185], v[162:163]
	v_cvt_f32_f64_e32 v38, v[38:39]
	v_cvt_f32_f64_e32 v40, v[40:41]
	v_min3_f32 v97, v40, v38, v51
	v_add_f64 v[38:39], v[8:9], v[164:165]
	v_add_f64 v[40:41], v[6:7], v[162:163]
	v_cvt_f32_f64_e32 v38, v[38:39]
	v_cvt_f32_f64_e32 v40, v[40:41]
	v_min3_f32 v96, v40, v38, v52
	v_add_f64 v[38:39], v[12:13], v[164:165]
	v_add_f64 v[40:41], v[10:11], v[162:163]
	v_cvt_f32_f64_e32 v38, v[38:39]
	v_cvt_f32_f64_e32 v40, v[40:41]
	v_min3_f32 v95, v40, v38, v53
	v_add_f64 v[38:39], v[16:17], v[164:165]
	v_add_f64 v[40:41], v[14:15], v[162:163]
	v_cvt_f32_f64_e32 v38, v[38:39]
	v_cvt_f32_f64_e32 v40, v[40:41]
	v_min3_f32 v94, v40, v38, v91
	v_add_f64 v[38:39], v[20:21], v[164:165]
	v_add_f64 v[40:41], v[18:19], v[162:163]
	v_cvt_f32_f64_e32 v38, v[38:39]
	v_cvt_f32_f64_e32 v40, v[40:41]
	v_min3_f32 v93, v40, v38, v92
	v_add_f64 v[38:39], v[24:25], v[164:165]
	v_add_f64 v[40:41], v[22:23], v[162:163]
	v_cvt_f32_f64_e32 v38, v[38:39]
	v_cvt_f32_f64_e32 v40, v[40:41]
	v_min3_f32 v92, v40, v38, v149
	v_add_f64 v[38:39], v[28:29], v[164:165]
	v_add_f64 v[40:41], v[26:27], v[162:163]
	v_cvt_f32_f64_e32 v38, v[38:39]
	v_cvt_f32_f64_e32 v40, v[40:41]
	v_min3_f32 v91, v40, v38, v150
	v_add_f64 v[38:39], v[32:33], v[164:165]
	v_add_f64 v[40:41], v[30:31], v[162:163]
	s_waitcnt lgkmcnt(0)
	v_add_f64 v[149:150], v[4:5], v[36:37]
	v_cvt_f32_f64_e32 v38, v[38:39]
	v_cvt_f32_f64_e32 v40, v[40:41]
	;; [unrolled: 1-line block ×3, first 2 shown]
	v_min3_f32 v90, v40, v38, v46
	v_add_f64 v[38:39], v[186:187], v[168:169]
	v_add_f64 v[40:41], v[184:185], v[166:167]
	v_cvt_f32_f64_e32 v38, v[38:39]
	v_cvt_f32_f64_e32 v40, v[40:41]
	v_min3_f32 v89, v40, v38, v47
	v_add_f64 v[38:39], v[8:9], v[168:169]
	v_add_f64 v[40:41], v[6:7], v[166:167]
	v_cvt_f32_f64_e32 v38, v[38:39]
	v_cvt_f32_f64_e32 v40, v[40:41]
	;; [unrolled: 5-line block ×5, first 2 shown]
	v_min3_f32 v85, v40, v38, v152
	v_add_f64 v[38:39], v[24:25], v[168:169]
	v_add_f64 v[40:41], v[22:23], v[166:167]
	;; [unrolled: 1-line block ×3, first 2 shown]
	v_cvt_f32_f64_e32 v38, v[38:39]
	v_cvt_f32_f64_e32 v40, v[40:41]
	;; [unrolled: 1-line block ×3, first 2 shown]
	v_min3_f32 v84, v40, v38, v153
	v_add_f64 v[38:39], v[28:29], v[168:169]
	v_add_f64 v[40:41], v[26:27], v[166:167]
	v_min3_f32 v218, v151, v149, v129
	v_cvt_f32_f64_e32 v38, v[38:39]
	v_cvt_f32_f64_e32 v40, v[40:41]
	v_min3_f32 v83, v40, v38, v154
	v_add_f64 v[38:39], v[32:33], v[168:169]
	v_add_f64 v[40:41], v[30:31], v[166:167]
	v_cvt_f32_f64_e32 v38, v[38:39]
	v_cvt_f32_f64_e32 v40, v[40:41]
	v_min3_f32 v82, v40, v38, v42
	v_add_f64 v[38:39], v[186:187], v[178:179]
	v_add_f64 v[40:41], v[184:185], v[176:177]
	;; [unrolled: 5-line block ×3, first 2 shown]
	v_add_f64 v[8:9], v[8:9], v[182:183]
	v_add_f64 v[6:7], v[6:7], v[180:181]
	v_cvt_f32_f64_e32 v38, v[38:39]
	v_cvt_f32_f64_e32 v40, v[40:41]
	;; [unrolled: 1-line block ×4, first 2 shown]
	v_add_f64 v[8:9], v[10:11], v[180:181]
	v_min3_f32 v80, v40, v38, v44
	v_add_f64 v[38:39], v[12:13], v[178:179]
	v_add_f64 v[40:41], v[10:11], v[176:177]
	v_min3_f32 v72, v6, v7, v191
	v_add_f64 v[6:7], v[12:13], v[182:183]
	v_cvt_f32_f64_e32 v8, v[8:9]
	v_cvt_f32_f64_e32 v38, v[38:39]
	v_cvt_f32_f64_e32 v40, v[40:41]
	v_cvt_f32_f64_e32 v6, v[6:7]
	v_min3_f32 v79, v40, v38, v45
	v_add_f64 v[38:39], v[16:17], v[178:179]
	v_add_f64 v[40:41], v[14:15], v[176:177]
	v_min3_f32 v71, v8, v6, v192
	v_add_f64 v[6:7], v[16:17], v[182:183]
	v_add_f64 v[8:9], v[14:15], v[180:181]
	v_cvt_f32_f64_e32 v38, v[38:39]
	v_cvt_f32_f64_e32 v40, v[40:41]
	v_cvt_f32_f64_e32 v6, v[6:7]
	v_cvt_f32_f64_e32 v8, v[8:9]
	v_min3_f32 v78, v40, v38, v155
	v_add_f64 v[38:39], v[20:21], v[178:179]
	v_add_f64 v[40:41], v[18:19], v[176:177]
	v_min3_f32 v70, v8, v6, v193
	v_add_f64 v[6:7], v[20:21], v[182:183]
	;; [unrolled: 10-line block ×5, first 2 shown]
	v_add_f64 v[8:9], v[30:31], v[180:181]
	v_cvt_f32_f64_e32 v38, v[38:39]
	v_cvt_f32_f64_e32 v40, v[40:41]
	;; [unrolled: 1-line block ×4, first 2 shown]
	v_min3_f32 v74, v40, v38, v189
	v_add_f64 v[38:39], v[186:187], v[182:183]
	v_add_f64 v[40:41], v[184:185], v[180:181]
	v_min3_f32 v66, v8, v6, v197
	v_cvt_f32_f64_e32 v38, v[38:39]
	v_cvt_f32_f64_e32 v40, v[40:41]
	v_min3_f32 v73, v40, v38, v190
	ds_read_b128 v[22:25], v171 offset:272
	ds_read_b128 v[18:21], v171 offset:528
	;; [unrolled: 1-line block ×14, first 2 shown]
	ds_write_b64 v172, v[136:137]
	ds_write2st64_b64 v173, v[134:135], v[138:139] offset1:4
	ds_write2st64_b64 v173, v[140:141], v[142:143] offset0:8 offset1:12
	s_waitcnt lgkmcnt(0)
	s_barrier
	buffer_gl0_inv
	v_add_f64 v[149:150], v[24:25], v[36:37]
	v_add_f64 v[151:152], v[22:23], v[34:35]
	v_cvt_f32_f64_e32 v149, v[149:150]
	v_cvt_f32_f64_e32 v129, v[151:152]
	v_min3_f32 v217, v129, v149, v128
	v_add_f64 v[128:129], v[20:21], v[36:37]
	v_add_f64 v[149:150], v[18:19], v[34:35]
	v_cvt_f32_f64_e32 v128, v[128:129]
	v_cvt_f32_f64_e32 v149, v[149:150]
	v_min3_f32 v216, v149, v128, v127
	;; [unrolled: 5-line block ×5, first 2 shown]
	v_add_f64 v[124:125], v[32:33], v[36:37]
	v_add_f64 v[126:127], v[30:31], v[34:35]
	;; [unrolled: 1-line block ×4, first 2 shown]
	v_cvt_f32_f64_e32 v124, v[124:125]
	v_cvt_f32_f64_e32 v126, v[126:127]
	;; [unrolled: 1-line block ×4, first 2 shown]
	v_add_f64 v[36:37], v[2:3], v[62:63]
	v_min3_f32 v212, v126, v124, v123
	v_min3_f32 v211, v34, v35, v122
	v_add_f64 v[34:35], v[4:5], v[64:65]
	v_cvt_f32_f64_e32 v36, v[36:37]
	v_cvt_f32_f64_e32 v34, v[34:35]
	v_min3_f32 v210, v36, v34, v121
	v_add_f64 v[34:35], v[24:25], v[64:65]
	v_add_f64 v[36:37], v[22:23], v[62:63]
	v_cvt_f32_f64_e32 v34, v[34:35]
	v_cvt_f32_f64_e32 v36, v[36:37]
	v_min3_f32 v209, v36, v34, v120
	v_add_f64 v[34:35], v[20:21], v[64:65]
	;; [unrolled: 5-line block ×40, first 2 shown]
	v_add_f64 v[36:37], v[2:3], v[42:43]
	v_add_f64 v[4:5], v[4:5], v[40:41]
	;; [unrolled: 1-line block ×3, first 2 shown]
	v_cvt_f32_f64_e32 v34, v[34:35]
	v_cvt_f32_f64_e32 v36, v[36:37]
	;; [unrolled: 1-line block ×4, first 2 shown]
	v_add_f64 v[4:5], v[22:23], v[38:39]
	v_min3_f32 v164, v36, v34, v81
	v_add_f64 v[34:35], v[24:25], v[44:45]
	v_add_f64 v[36:37], v[22:23], v[42:43]
	v_min3_f32 v156, v2, v3, v73
	v_add_f64 v[2:3], v[24:25], v[40:41]
	v_cvt_f32_f64_e32 v4, v[4:5]
	v_cvt_f32_f64_e32 v34, v[34:35]
	v_cvt_f32_f64_e32 v36, v[36:37]
	v_cvt_f32_f64_e32 v2, v[2:3]
	v_min3_f32 v163, v36, v34, v80
	v_add_f64 v[34:35], v[20:21], v[44:45]
	v_add_f64 v[36:37], v[18:19], v[42:43]
	v_min3_f32 v155, v4, v2, v72
	v_add_f64 v[2:3], v[20:21], v[40:41]
	v_add_f64 v[4:5], v[18:19], v[38:39]
	v_cvt_f32_f64_e32 v34, v[34:35]
	v_cvt_f32_f64_e32 v36, v[36:37]
	v_cvt_f32_f64_e32 v2, v[2:3]
	v_cvt_f32_f64_e32 v4, v[4:5]
	v_min3_f32 v162, v36, v34, v79
	v_add_f64 v[34:35], v[16:17], v[44:45]
	v_add_f64 v[36:37], v[14:15], v[42:43]
	v_min3_f32 v154, v4, v2, v71
	v_add_f64 v[2:3], v[16:17], v[40:41]
	v_add_f64 v[4:5], v[14:15], v[38:39]
	v_cvt_f32_f64_e32 v34, v[34:35]
	v_cvt_f32_f64_e32 v36, v[36:37]
	v_cvt_f32_f64_e32 v2, v[2:3]
	v_cvt_f32_f64_e32 v4, v[4:5]
	v_min3_f32 v161, v36, v34, v78
	v_add_f64 v[34:35], v[12:13], v[44:45]
	v_add_f64 v[36:37], v[10:11], v[42:43]
	v_min3_f32 v153, v4, v2, v70
	v_add_f64 v[2:3], v[12:13], v[40:41]
	v_add_f64 v[4:5], v[10:11], v[38:39]
	v_cvt_f32_f64_e32 v34, v[34:35]
	v_cvt_f32_f64_e32 v36, v[36:37]
	v_cvt_f32_f64_e32 v2, v[2:3]
	v_cvt_f32_f64_e32 v4, v[4:5]
	v_min3_f32 v160, v36, v34, v77
	v_add_f64 v[34:35], v[8:9], v[44:45]
	v_add_f64 v[36:37], v[6:7], v[42:43]
	v_min3_f32 v152, v4, v2, v69
	v_add_f64 v[2:3], v[8:9], v[40:41]
	v_add_f64 v[4:5], v[6:7], v[38:39]
	v_cvt_f32_f64_e32 v34, v[34:35]
	v_cvt_f32_f64_e32 v36, v[36:37]
	v_cvt_f32_f64_e32 v2, v[2:3]
	v_cvt_f32_f64_e32 v4, v[4:5]
	v_min3_f32 v159, v36, v34, v76
	v_add_f64 v[34:35], v[32:33], v[44:45]
	v_add_f64 v[36:37], v[30:31], v[42:43]
	v_min3_f32 v151, v4, v2, v68
	v_add_f64 v[2:3], v[32:33], v[40:41]
	v_add_f64 v[4:5], v[30:31], v[38:39]
	v_cvt_f32_f64_e32 v34, v[34:35]
	v_cvt_f32_f64_e32 v36, v[36:37]
	v_cvt_f32_f64_e32 v2, v[2:3]
	v_cvt_f32_f64_e32 v4, v[4:5]
	v_min3_f32 v158, v36, v34, v75
	v_add_f64 v[34:35], v[28:29], v[44:45]
	v_add_f64 v[36:37], v[26:27], v[42:43]
	v_min3_f32 v150, v4, v2, v67
	v_add_f64 v[2:3], v[28:29], v[40:41]
	v_add_f64 v[4:5], v[26:27], v[38:39]
	v_cvt_f32_f64_e32 v34, v[34:35]
	v_cvt_f32_f64_e32 v36, v[36:37]
	;; [unrolled: 1-line block ×4, first 2 shown]
	v_min3_f32 v157, v36, v34, v74
	v_min3_f32 v149, v4, v2, v66
	s_cbranch_scc1 .LBB126_57
.LBB126_33:                             ; =>This Inner Loop Header: Depth=1
	v_add_nc_u32_e32 v220, s28, v144
                                        ; implicit-def: $vgpr134_vgpr135
	v_add_nc_u32_e32 v2, 8, v220
	v_cmp_le_i32_e64 s6, s14, v2
	s_or_b32 s7, s6, vcc_lo
	s_nor_b32 s6, s25, s7
	s_and_saveexec_b32 s29, s6
	s_xor_b32 s29, exec_lo, s29
	s_cbranch_execz .LBB126_35
; %bb.34:                               ;   in Loop: Header=BB126_33 Depth=1
	v_add_co_u32 v2, s6, 0xffffffe0, v132
	v_add_co_ci_u32_e64 v3, null, -1, v133, s6
	flat_load_dwordx2 v[2:3], v[2:3]
	s_waitcnt vmcnt(0) lgkmcnt(0)
	v_mul_f64 v[134:135], s[18:19], v[2:3]
.LBB126_35:                             ;   in Loop: Header=BB126_33 Depth=1
	s_andn2_saveexec_b32 s6, s29
; %bb.36:                               ;   in Loop: Header=BB126_33 Depth=1
	v_cndmask_b32_e64 v135, 0, 0x7fefffff, s7
	v_cndmask_b32_e64 v134, 0, -1, s7
; %bb.37:                               ;   in Loop: Header=BB126_33 Depth=1
	s_or_b32 exec_lo, exec_lo, s6
	v_add_nc_u32_e32 v219, s28, v145
	v_add_nc_u32_e32 v4, 8, v219
	v_min_i32_e32 v2, s23, v4
	v_cmp_le_i32_e64 s6, s14, v4
	v_mad_i64_i32 v[2:3], null, v2, s27, 0
	s_or_b32 s29, s0, s6
	v_cndmask_b32_e64 v137, 0, 0x7fefffff, s29
	v_cndmask_b32_e64 v136, 0, -1, s29
	v_lshlrev_b64 v[2:3], 3, v[2:3]
	v_add_co_u32 v2, s7, s20, v2
	v_add_co_ci_u32_e64 v3, null, s21, v3, s7
	s_nor_b32 s7, s25, s29
	s_and_saveexec_b32 s29, s7
	s_cbranch_execz .LBB126_39
; %bb.38:                               ;   in Loop: Header=BB126_33 Depth=1
	v_add_co_u32 v4, s7, v2, v130
	v_add_co_ci_u32_e64 v5, null, v3, v131, s7
	flat_load_dwordx2 v[4:5], v[4:5]
	s_waitcnt vmcnt(0) lgkmcnt(0)
	v_mul_f64 v[136:137], s[18:19], v[4:5]
.LBB126_39:                             ;   in Loop: Header=BB126_33 Depth=1
	s_or_b32 exec_lo, exec_lo, s29
	s_or_b32 s7, s1, s6
	v_cndmask_b32_e64 v139, 0, 0x7fefffff, s7
	v_cndmask_b32_e64 v138, 0, -1, s7
	s_nor_b32 s7, s25, s7
	s_and_saveexec_b32 s29, s7
	s_cbranch_execz .LBB126_41
; %bb.40:                               ;   in Loop: Header=BB126_33 Depth=1
	v_add_co_u32 v4, s7, v2, v130
	v_add_co_ci_u32_e64 v5, null, v3, v131, s7
	flat_load_dwordx2 v[4:5], v[4:5] offset:512
	s_waitcnt vmcnt(0) lgkmcnt(0)
	v_mul_f64 v[138:139], s[18:19], v[4:5]
.LBB126_41:                             ;   in Loop: Header=BB126_33 Depth=1
	s_or_b32 exec_lo, exec_lo, s29
	s_or_b32 s7, s2, s6
	v_cndmask_b32_e64 v141, 0, 0x7fefffff, s7
	v_cndmask_b32_e64 v140, 0, -1, s7
	s_nor_b32 s7, s25, s7
	s_and_saveexec_b32 s29, s7
	s_cbranch_execz .LBB126_43
; %bb.42:                               ;   in Loop: Header=BB126_33 Depth=1
	v_add_co_u32 v4, s7, v2, v130
	v_add_co_ci_u32_e64 v5, null, v3, v131, s7
	flat_load_dwordx2 v[4:5], v[4:5] offset:1024
	s_waitcnt vmcnt(0) lgkmcnt(0)
	v_mul_f64 v[140:141], s[18:19], v[4:5]
.LBB126_43:                             ;   in Loop: Header=BB126_33 Depth=1
	;; [unrolled: 14-line block ×3, first 2 shown]
	s_or_b32 exec_lo, exec_lo, s7
	ds_read_b128 v[126:129], v175
	ds_read_b128 v[62:65], v175 offset:16
	ds_read_b128 v[98:101], v174
	ds_read_b128 v[34:37], v174 offset:16
	ds_read_b128 v[94:97], v174 offset:256
	;; [unrolled: 1-line block ×29, first 2 shown]
	v_add_nc_u32_e32 v220, 12, v220
	ds_write_b64 v170, v[134:135]
	ds_write2st64_b64 v148, v[136:137], v[138:139] offset1:4
	ds_write2st64_b64 v148, v[140:141], v[142:143] offset0:8 offset1:12
	s_waitcnt lgkmcnt(0)
	s_barrier
	buffer_gl0_inv
	v_cmp_le_i32_e64 s6, s14, v220
                                        ; implicit-def: $vgpr136_vgpr137
	s_or_b32 s6, s6, vcc_lo
	s_nor_b32 s7, s25, s6
	s_and_saveexec_b32 s29, s7
	s_xor_b32 s7, exec_lo, s29
	s_cbranch_execz .LBB126_47
; %bb.46:                               ;   in Loop: Header=BB126_33 Depth=1
	flat_load_dwordx2 v[134:135], v[132:133]
	s_waitcnt vmcnt(0) lgkmcnt(0)
	v_mul_f64 v[136:137], s[18:19], v[134:135]
.LBB126_47:                             ;   in Loop: Header=BB126_33 Depth=1
	s_andn2_saveexec_b32 s7, s7
; %bb.48:                               ;   in Loop: Header=BB126_33 Depth=1
	v_cndmask_b32_e64 v137, 0, 0x7fefffff, s6
	v_cndmask_b32_e64 v136, 0, -1, s6
; %bb.49:                               ;   in Loop: Header=BB126_33 Depth=1
	s_or_b32 exec_lo, exec_lo, s7
	v_add_nc_u32_e32 v138, 12, v219
	v_min_i32_e32 v134, s23, v138
	v_cmp_le_i32_e64 s6, s14, v138
	v_mad_i64_i32 v[134:135], null, v134, s27, 0
	s_or_b32 s29, s0, s6
	v_lshlrev_b64 v[138:139], 3, v[134:135]
	v_cndmask_b32_e64 v135, 0, 0x7fefffff, s29
	v_cndmask_b32_e64 v134, 0, -1, s29
	v_add_co_u32 v219, s7, s20, v138
	v_add_co_ci_u32_e64 v220, null, s21, v139, s7
	s_nor_b32 s7, s25, s29
	s_and_saveexec_b32 s29, s7
	s_cbranch_execz .LBB126_51
; %bb.50:                               ;   in Loop: Header=BB126_33 Depth=1
	v_add_co_u32 v134, s7, v219, v130
	v_add_co_ci_u32_e64 v135, null, v220, v131, s7
	flat_load_dwordx2 v[134:135], v[134:135]
	s_waitcnt vmcnt(0) lgkmcnt(0)
	v_mul_f64 v[134:135], s[18:19], v[134:135]
.LBB126_51:                             ;   in Loop: Header=BB126_33 Depth=1
	s_or_b32 exec_lo, exec_lo, s29
	s_or_b32 s7, s1, s6
	v_cndmask_b32_e64 v139, 0, 0x7fefffff, s7
	v_cndmask_b32_e64 v138, 0, -1, s7
	s_nor_b32 s7, s25, s7
	s_and_saveexec_b32 s29, s7
	s_cbranch_execz .LBB126_53
; %bb.52:                               ;   in Loop: Header=BB126_33 Depth=1
	v_add_co_u32 v138, s7, v219, v130
	v_add_co_ci_u32_e64 v139, null, v220, v131, s7
	flat_load_dwordx2 v[138:139], v[138:139] offset:512
	s_waitcnt vmcnt(0) lgkmcnt(0)
	v_mul_f64 v[138:139], s[18:19], v[138:139]
.LBB126_53:                             ;   in Loop: Header=BB126_33 Depth=1
	s_or_b32 exec_lo, exec_lo, s29
	s_or_b32 s7, s2, s6
	v_cndmask_b32_e64 v141, 0, 0x7fefffff, s7
	v_cndmask_b32_e64 v140, 0, -1, s7
	s_nor_b32 s7, s25, s7
	s_and_saveexec_b32 s29, s7
	s_cbranch_execz .LBB126_55
; %bb.54:                               ;   in Loop: Header=BB126_33 Depth=1
	v_add_co_u32 v140, s7, v219, v130
	v_add_co_ci_u32_e64 v141, null, v220, v131, s7
	flat_load_dwordx2 v[140:141], v[140:141] offset:1024
	s_waitcnt vmcnt(0) lgkmcnt(0)
	v_mul_f64 v[140:141], s[18:19], v[140:141]
.LBB126_55:                             ;   in Loop: Header=BB126_33 Depth=1
	s_or_b32 exec_lo, exec_lo, s29
	s_or_b32 s6, s3, s6
	v_cndmask_b32_e64 v143, 0, 0x7fefffff, s6
	v_cndmask_b32_e64 v142, 0, -1, s6
	s_nor_b32 s6, s25, s6
	s_and_saveexec_b32 s7, s6
	s_cbranch_execz .LBB126_32
; %bb.56:                               ;   in Loop: Header=BB126_33 Depth=1
	v_add_co_u32 v142, s6, v219, v130
	v_add_co_ci_u32_e64 v143, null, v220, v131, s6
	flat_load_dwordx2 v[142:143], v[142:143] offset:1536
	s_waitcnt vmcnt(0) lgkmcnt(0)
	v_mul_f64 v[142:143], s[18:19], v[142:143]
	s_branch .LBB126_32
.LBB126_57:
	s_clause 0x2
	s_load_dwordx2 s[0:1], s[4:5], 0x78
	s_load_dword s18, s[4:5], 0x58
	s_load_dword s14, s[4:5], 0x70
	ds_read_b128 v[70:73], v147 offset:18432
	ds_read_b128 v[66:69], v147 offset:18448
	;; [unrolled: 1-line block ×17, first 2 shown]
	v_add_nc_u32_e32 v145, s24, v1
	ds_read_b128 v[2:5], v147 offset:20240
	ds_read_b128 v[118:121], v146 offset:9216
	;; [unrolled: 1-line block ×15, first 2 shown]
	v_add_nc_u32_e32 v0, s15, v0
	v_cndmask_b32_e64 v144, 0, 1, s26
	v_ashrrev_i32_e32 v1, 31, v0
	s_waitcnt lgkmcnt(0)
	s_lshl_b64 s[0:1], s[0:1], 3
	v_mad_i64_i32 v[130:131], null, v145, s18, 0
	v_mad_i64_i32 v[132:133], null, v145, s14, 0
	s_add_u32 s19, s8, s0
	s_addc_u32 s9, s9, s1
	v_cmp_gt_i32_e64 s0, s12, v0
	v_cmp_gt_i32_e64 s8, s13, v145
	v_lshlrev_b64 v[130:131], 3, v[130:131]
	v_lshlrev_b64 v[132:133], 3, v[132:133]
	s_and_b32 s2, s0, s8
	v_add_co_u32 v148, vcc_lo, s16, v130
	v_add_co_ci_u32_e64 v170, null, s17, v131, vcc_lo
	v_add_co_u32 v146, vcc_lo, s19, v132
	v_add_co_ci_u32_e64 v147, null, s9, v133, vcc_lo
	s_and_saveexec_b32 s1, s2
	s_cbranch_execz .LBB126_62
; %bb.58:
	s_andn2_b32 vcc_lo, exec_lo, s26
	s_cbranch_vccnz .LBB126_60
; %bb.59:
	v_lshlrev_b64 v[130:131], 3, v[0:1]
	v_add_co_u32 v130, vcc_lo, v148, v130
	v_add_co_ci_u32_e64 v131, null, v170, v131, vcc_lo
	flat_load_dwordx2 v[130:131], v[130:131]
	s_waitcnt vmcnt(0) lgkmcnt(0)
	v_mul_f64 v[130:131], s[10:11], v[130:131]
	v_cvt_f32_f64_e32 v130, v[130:131]
	s_branch .LBB126_61
.LBB126_60:
	v_mov_b32_e32 v130, 0
.LBB126_61:
	v_add_f64 v[131:132], v[70:71], v[126:127]
	v_add_f64 v[133:134], v[72:73], v[128:129]
	;; [unrolled: 1-line block ×4, first 2 shown]
	v_cvt_f32_f64_e32 v131, v[131:132]
	v_cvt_f32_f64_e32 v132, v[133:134]
	;; [unrolled: 1-line block ×4, first 2 shown]
	v_min3_f32 v131, v131, v132, v218
	v_min_f32_e32 v132, v133, v134
	v_min3_f32 v130, v130, v132, v131
	v_lshlrev_b64 v[132:133], 3, v[0:1]
	v_cvt_f64_f32_e32 v[130:131], v130
	v_add_co_u32 v132, vcc_lo, v146, v132
	v_add_co_ci_u32_e64 v133, null, v147, v133, vcc_lo
	flat_store_dwordx2 v[132:133], v[130:131]
.LBB126_62:
	s_or_b32 exec_lo, exec_lo, s1
	v_add_nc_u32_e32 v130, 8, v0
	v_cmp_gt_i32_e64 s1, s12, v130
	v_ashrrev_i32_e32 v131, 31, v130
	s_and_b32 s3, s1, s8
	s_and_saveexec_b32 s2, s3
	s_cbranch_execz .LBB126_67
; %bb.63:
	v_cmp_ne_u32_e32 vcc_lo, 1, v144
	s_cbranch_vccnz .LBB126_65
; %bb.64:
	v_lshlrev_b64 v[132:133], 3, v[130:131]
	v_add_co_u32 v132, vcc_lo, v148, v132
	v_add_co_ci_u32_e64 v133, null, v170, v133, vcc_lo
	flat_load_dwordx2 v[132:133], v[132:133]
	s_waitcnt vmcnt(0) lgkmcnt(0)
	v_mul_f64 v[132:133], s[10:11], v[132:133]
	v_cvt_f32_f64_e32 v132, v[132:133]
	s_branch .LBB126_66
.LBB126_65:
	v_mov_b32_e32 v132, 0
.LBB126_66:
	v_add_f64 v[133:134], v[62:63], v[126:127]
	v_add_f64 v[135:136], v[64:65], v[128:129]
	v_add_f64 v[137:138], v[58:59], v[122:123]
	v_add_f64 v[139:140], v[60:61], v[124:125]
	v_cvt_f32_f64_e32 v133, v[133:134]
	v_cvt_f32_f64_e32 v134, v[135:136]
	v_cvt_f32_f64_e32 v135, v[137:138]
	v_cvt_f32_f64_e32 v136, v[139:140]
	v_min3_f32 v133, v133, v134, v217
	v_min_f32_e32 v134, v135, v136
	v_min3_f32 v132, v132, v134, v133
	v_lshlrev_b64 v[134:135], 3, v[130:131]
	v_cvt_f64_f32_e32 v[132:133], v132
	v_add_co_u32 v134, vcc_lo, v146, v134
	v_add_co_ci_u32_e64 v135, null, v147, v135, vcc_lo
	flat_store_dwordx2 v[134:135], v[132:133]
.LBB126_67:
	s_or_b32 exec_lo, exec_lo, s2
	v_add_nc_u32_e32 v132, 16, v0
	v_cmp_gt_i32_e64 s2, s12, v132
	v_ashrrev_i32_e32 v133, 31, v132
	s_and_b32 s4, s2, s8
	s_and_saveexec_b32 s3, s4
	s_cbranch_execz .LBB126_72
; %bb.68:
	v_cmp_ne_u32_e32 vcc_lo, 1, v144
	s_cbranch_vccnz .LBB126_70
; %bb.69:
	v_lshlrev_b64 v[134:135], 3, v[132:133]
	v_add_co_u32 v134, vcc_lo, v148, v134
	v_add_co_ci_u32_e64 v135, null, v170, v135, vcc_lo
	flat_load_dwordx2 v[134:135], v[134:135]
	s_waitcnt vmcnt(0) lgkmcnt(0)
	v_mul_f64 v[134:135], s[10:11], v[134:135]
	v_cvt_f32_f64_e32 v134, v[134:135]
	s_branch .LBB126_71
.LBB126_70:
	v_mov_b32_e32 v134, 0
.LBB126_71:
	v_add_f64 v[135:136], v[54:55], v[126:127]
	v_add_f64 v[137:138], v[56:57], v[128:129]
	v_add_f64 v[139:140], v[50:51], v[122:123]
	v_add_f64 v[141:142], v[52:53], v[124:125]
	v_cvt_f32_f64_e32 v135, v[135:136]
	v_cvt_f32_f64_e32 v136, v[137:138]
	v_cvt_f32_f64_e32 v137, v[139:140]
	v_cvt_f32_f64_e32 v138, v[141:142]
	v_min3_f32 v135, v135, v136, v216
	v_min_f32_e32 v136, v137, v138
	v_min3_f32 v134, v134, v136, v135
	v_lshlrev_b64 v[136:137], 3, v[132:133]
	v_cvt_f64_f32_e32 v[134:135], v134
	v_add_co_u32 v136, vcc_lo, v146, v136
	v_add_co_ci_u32_e64 v137, null, v147, v137, vcc_lo
	flat_store_dwordx2 v[136:137], v[134:135]
.LBB126_72:
	;; [unrolled: 39-line block ×7, first 2 shown]
	s_or_b32 exec_lo, exec_lo, s8
	v_add_nc_u32_e32 v126, 32, v145
	v_mad_i64_i32 v[122:123], null, v126, s18, 0
	v_mad_i64_i32 v[124:125], null, v126, s14, 0
	v_cmp_gt_i32_e64 s8, s13, v126
	v_lshlrev_b64 v[122:123], 3, v[122:123]
	s_and_b32 s15, s0, s8
	v_lshlrev_b64 v[126:127], 3, v[124:125]
	v_add_co_u32 v124, vcc_lo, s16, v122
	v_add_co_ci_u32_e64 v125, null, s17, v123, vcc_lo
	v_add_co_u32 v122, vcc_lo, s19, v126
	v_add_co_ci_u32_e64 v123, null, s9, v127, vcc_lo
	s_and_saveexec_b32 s12, s15
	s_cbranch_execnz .LBB126_105
; %bb.98:
	s_or_b32 exec_lo, exec_lo, s12
	s_and_b32 s15, s1, s8
	s_and_saveexec_b32 s12, s15
	s_cbranch_execnz .LBB126_109
.LBB126_99:
	s_or_b32 exec_lo, exec_lo, s12
	s_and_b32 s15, s2, s8
	s_and_saveexec_b32 s12, s15
	s_cbranch_execnz .LBB126_113
.LBB126_100:
	s_or_b32 exec_lo, exec_lo, s12
	s_and_b32 s15, s3, s8
	s_and_saveexec_b32 s12, s15
	s_cbranch_execnz .LBB126_117
.LBB126_101:
	s_or_b32 exec_lo, exec_lo, s12
	s_and_b32 s15, s4, s8
	s_and_saveexec_b32 s12, s15
	s_cbranch_execnz .LBB126_121
.LBB126_102:
	s_or_b32 exec_lo, exec_lo, s12
	s_and_b32 s15, s5, s8
	s_and_saveexec_b32 s12, s15
	s_cbranch_execnz .LBB126_125
.LBB126_103:
	s_or_b32 exec_lo, exec_lo, s12
	s_and_b32 s15, s6, s8
	s_and_saveexec_b32 s12, s15
	s_cbranch_execnz .LBB126_129
.LBB126_104:
	s_or_b32 exec_lo, exec_lo, s12
	s_and_b32 s12, s7, s8
	s_and_saveexec_b32 s8, s12
	s_cbranch_execnz .LBB126_133
	s_branch .LBB126_137
.LBB126_105:
	v_cmp_ne_u32_e32 vcc_lo, 1, v144
	s_cbranch_vccnz .LBB126_107
; %bb.106:
	v_lshlrev_b64 v[126:127], 3, v[0:1]
	v_add_co_u32 v126, vcc_lo, v124, v126
	v_add_co_ci_u32_e64 v127, null, v125, v127, vcc_lo
	flat_load_dwordx2 v[126:127], v[126:127]
	s_waitcnt vmcnt(0) lgkmcnt(0)
	v_mul_f64 v[126:127], s[10:11], v[126:127]
	v_cvt_f32_f64_e32 v126, v[126:127]
	s_branch .LBB126_108
.LBB126_107:
	v_mov_b32_e32 v126, 0
.LBB126_108:
	v_add_f64 v[127:128], v[70:71], v[118:119]
	v_add_f64 v[146:147], v[72:73], v[120:121]
	;; [unrolled: 1-line block ×4, first 2 shown]
	v_cvt_f32_f64_e32 v127, v[127:128]
	v_cvt_f32_f64_e32 v128, v[146:147]
	;; [unrolled: 1-line block ×4, first 2 shown]
	v_min3_f32 v127, v127, v128, v210
	v_min_f32_e32 v128, v129, v146
	v_min3_f32 v126, v126, v128, v127
	v_lshlrev_b64 v[128:129], 3, v[0:1]
	v_cvt_f64_f32_e32 v[126:127], v126
	v_add_co_u32 v128, vcc_lo, v122, v128
	v_add_co_ci_u32_e64 v129, null, v123, v129, vcc_lo
	flat_store_dwordx2 v[128:129], v[126:127]
	s_or_b32 exec_lo, exec_lo, s12
	s_and_b32 s15, s1, s8
	s_and_saveexec_b32 s12, s15
	s_cbranch_execz .LBB126_99
.LBB126_109:
	v_cmp_ne_u32_e32 vcc_lo, 1, v144
	s_cbranch_vccnz .LBB126_111
; %bb.110:
	v_lshlrev_b64 v[126:127], 3, v[130:131]
	v_add_co_u32 v126, vcc_lo, v124, v126
	v_add_co_ci_u32_e64 v127, null, v125, v127, vcc_lo
	flat_load_dwordx2 v[126:127], v[126:127]
	s_waitcnt vmcnt(0) lgkmcnt(0)
	v_mul_f64 v[126:127], s[10:11], v[126:127]
	v_cvt_f32_f64_e32 v126, v[126:127]
	s_branch .LBB126_112
.LBB126_111:
	v_mov_b32_e32 v126, 0
.LBB126_112:
	v_add_f64 v[127:128], v[62:63], v[118:119]
	v_add_f64 v[146:147], v[64:65], v[120:121]
	;; [unrolled: 1-line block ×4, first 2 shown]
	v_cvt_f32_f64_e32 v127, v[127:128]
	v_cvt_f32_f64_e32 v128, v[146:147]
	;; [unrolled: 1-line block ×4, first 2 shown]
	v_min3_f32 v127, v127, v128, v209
	v_min_f32_e32 v128, v129, v146
	v_min3_f32 v126, v126, v128, v127
	v_lshlrev_b64 v[128:129], 3, v[130:131]
	v_cvt_f64_f32_e32 v[126:127], v126
	v_add_co_u32 v128, vcc_lo, v122, v128
	v_add_co_ci_u32_e64 v129, null, v123, v129, vcc_lo
	flat_store_dwordx2 v[128:129], v[126:127]
	s_or_b32 exec_lo, exec_lo, s12
	s_and_b32 s15, s2, s8
	s_and_saveexec_b32 s12, s15
	s_cbranch_execz .LBB126_100
.LBB126_113:
	v_cmp_ne_u32_e32 vcc_lo, 1, v144
	s_cbranch_vccnz .LBB126_115
; %bb.114:
	v_lshlrev_b64 v[126:127], 3, v[132:133]
	v_add_co_u32 v126, vcc_lo, v124, v126
	v_add_co_ci_u32_e64 v127, null, v125, v127, vcc_lo
	flat_load_dwordx2 v[126:127], v[126:127]
	s_waitcnt vmcnt(0) lgkmcnt(0)
	v_mul_f64 v[126:127], s[10:11], v[126:127]
	v_cvt_f32_f64_e32 v126, v[126:127]
	s_branch .LBB126_116
.LBB126_115:
	v_mov_b32_e32 v126, 0
.LBB126_116:
	v_add_f64 v[127:128], v[54:55], v[118:119]
	v_add_f64 v[146:147], v[56:57], v[120:121]
	;; [unrolled: 1-line block ×4, first 2 shown]
	v_cvt_f32_f64_e32 v127, v[127:128]
	v_cvt_f32_f64_e32 v128, v[146:147]
	;; [unrolled: 1-line block ×4, first 2 shown]
	v_min3_f32 v127, v127, v128, v208
	v_min_f32_e32 v128, v129, v146
	v_min3_f32 v126, v126, v128, v127
	v_lshlrev_b64 v[128:129], 3, v[132:133]
	v_cvt_f64_f32_e32 v[126:127], v126
	v_add_co_u32 v128, vcc_lo, v122, v128
	v_add_co_ci_u32_e64 v129, null, v123, v129, vcc_lo
	flat_store_dwordx2 v[128:129], v[126:127]
	s_or_b32 exec_lo, exec_lo, s12
	s_and_b32 s15, s3, s8
	s_and_saveexec_b32 s12, s15
	s_cbranch_execz .LBB126_101
.LBB126_117:
	v_cmp_ne_u32_e32 vcc_lo, 1, v144
	s_cbranch_vccnz .LBB126_119
; %bb.118:
	v_lshlrev_b64 v[126:127], 3, v[134:135]
	v_add_co_u32 v126, vcc_lo, v124, v126
	v_add_co_ci_u32_e64 v127, null, v125, v127, vcc_lo
	flat_load_dwordx2 v[126:127], v[126:127]
	s_waitcnt vmcnt(0) lgkmcnt(0)
	v_mul_f64 v[126:127], s[10:11], v[126:127]
	v_cvt_f32_f64_e32 v126, v[126:127]
	s_branch .LBB126_120
.LBB126_119:
	v_mov_b32_e32 v126, 0
.LBB126_120:
	v_add_f64 v[127:128], v[46:47], v[118:119]
	v_add_f64 v[146:147], v[48:49], v[120:121]
	;; [unrolled: 1-line block ×4, first 2 shown]
	v_cvt_f32_f64_e32 v127, v[127:128]
	v_cvt_f32_f64_e32 v128, v[146:147]
	;; [unrolled: 1-line block ×4, first 2 shown]
	v_min3_f32 v127, v127, v128, v207
	v_min_f32_e32 v128, v129, v146
	v_min3_f32 v126, v126, v128, v127
	v_lshlrev_b64 v[128:129], 3, v[134:135]
	v_cvt_f64_f32_e32 v[126:127], v126
	v_add_co_u32 v128, vcc_lo, v122, v128
	v_add_co_ci_u32_e64 v129, null, v123, v129, vcc_lo
	flat_store_dwordx2 v[128:129], v[126:127]
	s_or_b32 exec_lo, exec_lo, s12
	s_and_b32 s15, s4, s8
	s_and_saveexec_b32 s12, s15
	s_cbranch_execz .LBB126_102
.LBB126_121:
	v_cmp_ne_u32_e32 vcc_lo, 1, v144
	s_cbranch_vccnz .LBB126_123
; %bb.122:
	v_lshlrev_b64 v[126:127], 3, v[136:137]
	v_add_co_u32 v126, vcc_lo, v124, v126
	v_add_co_ci_u32_e64 v127, null, v125, v127, vcc_lo
	flat_load_dwordx2 v[126:127], v[126:127]
	s_waitcnt vmcnt(0) lgkmcnt(0)
	v_mul_f64 v[126:127], s[10:11], v[126:127]
	v_cvt_f32_f64_e32 v126, v[126:127]
	s_branch .LBB126_124
.LBB126_123:
	v_mov_b32_e32 v126, 0
.LBB126_124:
	v_add_f64 v[127:128], v[38:39], v[118:119]
	v_add_f64 v[146:147], v[40:41], v[120:121]
	;; [unrolled: 1-line block ×4, first 2 shown]
	v_cvt_f32_f64_e32 v127, v[127:128]
	v_cvt_f32_f64_e32 v128, v[146:147]
	v_cvt_f32_f64_e32 v129, v[170:171]
	v_cvt_f32_f64_e32 v146, v[172:173]
	v_min3_f32 v127, v127, v128, v206
	v_min_f32_e32 v128, v129, v146
	v_min3_f32 v126, v126, v128, v127
	v_lshlrev_b64 v[128:129], 3, v[136:137]
	v_cvt_f64_f32_e32 v[126:127], v126
	v_add_co_u32 v128, vcc_lo, v122, v128
	v_add_co_ci_u32_e64 v129, null, v123, v129, vcc_lo
	flat_store_dwordx2 v[128:129], v[126:127]
	s_or_b32 exec_lo, exec_lo, s12
	s_and_b32 s15, s5, s8
	s_and_saveexec_b32 s12, s15
	s_cbranch_execz .LBB126_103
.LBB126_125:
	v_cmp_ne_u32_e32 vcc_lo, 1, v144
	s_cbranch_vccnz .LBB126_127
; %bb.126:
	v_lshlrev_b64 v[126:127], 3, v[138:139]
	v_add_co_u32 v126, vcc_lo, v124, v126
	v_add_co_ci_u32_e64 v127, null, v125, v127, vcc_lo
	flat_load_dwordx2 v[126:127], v[126:127]
	s_waitcnt vmcnt(0) lgkmcnt(0)
	v_mul_f64 v[126:127], s[10:11], v[126:127]
	v_cvt_f32_f64_e32 v126, v[126:127]
	s_branch .LBB126_128
.LBB126_127:
	v_mov_b32_e32 v126, 0
.LBB126_128:
	v_add_f64 v[127:128], v[30:31], v[118:119]
	v_add_f64 v[146:147], v[32:33], v[120:121]
	;; [unrolled: 1-line block ×4, first 2 shown]
	v_cvt_f32_f64_e32 v127, v[127:128]
	v_cvt_f32_f64_e32 v128, v[146:147]
	;; [unrolled: 1-line block ×4, first 2 shown]
	v_min3_f32 v127, v127, v128, v205
	v_min_f32_e32 v128, v129, v146
	v_min3_f32 v126, v126, v128, v127
	v_lshlrev_b64 v[128:129], 3, v[138:139]
	v_cvt_f64_f32_e32 v[126:127], v126
	v_add_co_u32 v128, vcc_lo, v122, v128
	v_add_co_ci_u32_e64 v129, null, v123, v129, vcc_lo
	flat_store_dwordx2 v[128:129], v[126:127]
	s_or_b32 exec_lo, exec_lo, s12
	s_and_b32 s15, s6, s8
	s_and_saveexec_b32 s12, s15
	s_cbranch_execz .LBB126_104
.LBB126_129:
	v_cmp_ne_u32_e32 vcc_lo, 1, v144
	s_cbranch_vccnz .LBB126_131
; %bb.130:
	v_lshlrev_b64 v[126:127], 3, v[140:141]
	v_add_co_u32 v126, vcc_lo, v124, v126
	v_add_co_ci_u32_e64 v127, null, v125, v127, vcc_lo
	flat_load_dwordx2 v[126:127], v[126:127]
	s_waitcnt vmcnt(0) lgkmcnt(0)
	v_mul_f64 v[126:127], s[10:11], v[126:127]
	v_cvt_f32_f64_e32 v126, v[126:127]
	s_branch .LBB126_132
.LBB126_131:
	v_mov_b32_e32 v126, 0
.LBB126_132:
	v_add_f64 v[127:128], v[22:23], v[118:119]
	v_add_f64 v[146:147], v[24:25], v[120:121]
	;; [unrolled: 1-line block ×4, first 2 shown]
	v_cvt_f32_f64_e32 v127, v[127:128]
	v_cvt_f32_f64_e32 v128, v[146:147]
	;; [unrolled: 1-line block ×4, first 2 shown]
	v_min3_f32 v127, v127, v128, v204
	v_min_f32_e32 v128, v129, v146
	v_min3_f32 v126, v126, v128, v127
	v_lshlrev_b64 v[128:129], 3, v[140:141]
	v_cvt_f64_f32_e32 v[126:127], v126
	v_add_co_u32 v128, vcc_lo, v122, v128
	v_add_co_ci_u32_e64 v129, null, v123, v129, vcc_lo
	flat_store_dwordx2 v[128:129], v[126:127]
	s_or_b32 exec_lo, exec_lo, s12
	s_and_b32 s12, s7, s8
	s_and_saveexec_b32 s8, s12
	s_cbranch_execz .LBB126_137
.LBB126_133:
	v_cmp_ne_u32_e32 vcc_lo, 1, v144
	s_cbranch_vccnz .LBB126_135
; %bb.134:
	v_lshlrev_b64 v[126:127], 3, v[142:143]
	v_add_co_u32 v124, vcc_lo, v124, v126
	v_add_co_ci_u32_e64 v125, null, v125, v127, vcc_lo
	flat_load_dwordx2 v[124:125], v[124:125]
	s_waitcnt vmcnt(0) lgkmcnt(0)
	v_mul_f64 v[124:125], s[10:11], v[124:125]
	v_cvt_f32_f64_e32 v124, v[124:125]
	s_branch .LBB126_136
.LBB126_135:
	v_mov_b32_e32 v124, 0
.LBB126_136:
	v_add_f64 v[118:119], v[6:7], v[118:119]
	v_add_f64 v[120:121], v[8:9], v[120:121]
	v_add_f64 v[114:115], v[2:3], v[114:115]
	v_add_f64 v[116:117], v[4:5], v[116:117]
	v_cvt_f32_f64_e32 v118, v[118:119]
	v_cvt_f32_f64_e32 v119, v[120:121]
	;; [unrolled: 1-line block ×4, first 2 shown]
	v_min3_f32 v116, v118, v119, v203
	v_min_f32_e32 v114, v114, v115
	v_min3_f32 v114, v124, v114, v116
	v_lshlrev_b64 v[116:117], 3, v[142:143]
	v_cvt_f64_f32_e32 v[114:115], v114
	v_add_co_u32 v116, vcc_lo, v122, v116
	v_add_co_ci_u32_e64 v117, null, v123, v117, vcc_lo
	flat_store_dwordx2 v[116:117], v[114:115]
.LBB126_137:
	s_or_b32 exec_lo, exec_lo, s8
	v_add_nc_u32_e32 v118, 64, v145
	v_mad_i64_i32 v[114:115], null, v118, s18, 0
	v_mad_i64_i32 v[116:117], null, v118, s14, 0
	v_cmp_gt_i32_e64 s8, s13, v118
	v_lshlrev_b64 v[114:115], 3, v[114:115]
	s_and_b32 s15, s0, s8
	v_lshlrev_b64 v[118:119], 3, v[116:117]
	v_add_co_u32 v116, vcc_lo, s16, v114
	v_add_co_ci_u32_e64 v117, null, s17, v115, vcc_lo
	v_add_co_u32 v114, vcc_lo, s19, v118
	v_add_co_ci_u32_e64 v115, null, s9, v119, vcc_lo
	s_and_saveexec_b32 s12, s15
	s_cbranch_execnz .LBB126_145
; %bb.138:
	s_or_b32 exec_lo, exec_lo, s12
	s_and_b32 s15, s1, s8
	s_and_saveexec_b32 s12, s15
	s_cbranch_execnz .LBB126_149
.LBB126_139:
	s_or_b32 exec_lo, exec_lo, s12
	s_and_b32 s15, s2, s8
	s_and_saveexec_b32 s12, s15
	s_cbranch_execnz .LBB126_153
.LBB126_140:
	s_or_b32 exec_lo, exec_lo, s12
	s_and_b32 s15, s3, s8
	s_and_saveexec_b32 s12, s15
	s_cbranch_execnz .LBB126_157
.LBB126_141:
	s_or_b32 exec_lo, exec_lo, s12
	s_and_b32 s15, s4, s8
	s_and_saveexec_b32 s12, s15
	s_cbranch_execnz .LBB126_161
.LBB126_142:
	s_or_b32 exec_lo, exec_lo, s12
	s_and_b32 s15, s5, s8
	s_and_saveexec_b32 s12, s15
	s_cbranch_execnz .LBB126_165
.LBB126_143:
	s_or_b32 exec_lo, exec_lo, s12
	s_and_b32 s15, s6, s8
	s_and_saveexec_b32 s12, s15
	s_cbranch_execnz .LBB126_169
.LBB126_144:
	s_or_b32 exec_lo, exec_lo, s12
	s_and_b32 s12, s7, s8
	s_and_saveexec_b32 s8, s12
	s_cbranch_execnz .LBB126_173
	s_branch .LBB126_177
.LBB126_145:
	v_cmp_ne_u32_e32 vcc_lo, 1, v144
	s_cbranch_vccnz .LBB126_147
; %bb.146:
	v_lshlrev_b64 v[118:119], 3, v[0:1]
	v_add_co_u32 v118, vcc_lo, v116, v118
	v_add_co_ci_u32_e64 v119, null, v117, v119, vcc_lo
	flat_load_dwordx2 v[118:119], v[118:119]
	s_waitcnt vmcnt(0) lgkmcnt(0)
	v_mul_f64 v[118:119], s[10:11], v[118:119]
	v_cvt_f32_f64_e32 v118, v[118:119]
	s_branch .LBB126_148
.LBB126_147:
	v_mov_b32_e32 v118, 0
.LBB126_148:
	v_add_f64 v[119:120], v[70:71], v[110:111]
	v_add_f64 v[121:122], v[72:73], v[112:113]
	;; [unrolled: 1-line block ×4, first 2 shown]
	v_cvt_f32_f64_e32 v119, v[119:120]
	v_cvt_f32_f64_e32 v120, v[121:122]
	;; [unrolled: 1-line block ×4, first 2 shown]
	v_min3_f32 v119, v119, v120, v202
	v_min_f32_e32 v120, v121, v122
	v_min3_f32 v118, v118, v120, v119
	v_lshlrev_b64 v[120:121], 3, v[0:1]
	v_cvt_f64_f32_e32 v[118:119], v118
	v_add_co_u32 v120, vcc_lo, v114, v120
	v_add_co_ci_u32_e64 v121, null, v115, v121, vcc_lo
	flat_store_dwordx2 v[120:121], v[118:119]
	s_or_b32 exec_lo, exec_lo, s12
	s_and_b32 s15, s1, s8
	s_and_saveexec_b32 s12, s15
	s_cbranch_execz .LBB126_139
.LBB126_149:
	v_cmp_ne_u32_e32 vcc_lo, 1, v144
	s_cbranch_vccnz .LBB126_151
; %bb.150:
	v_lshlrev_b64 v[118:119], 3, v[130:131]
	v_add_co_u32 v118, vcc_lo, v116, v118
	v_add_co_ci_u32_e64 v119, null, v117, v119, vcc_lo
	flat_load_dwordx2 v[118:119], v[118:119]
	s_waitcnt vmcnt(0) lgkmcnt(0)
	v_mul_f64 v[118:119], s[10:11], v[118:119]
	v_cvt_f32_f64_e32 v118, v[118:119]
	s_branch .LBB126_152
.LBB126_151:
	v_mov_b32_e32 v118, 0
.LBB126_152:
	v_add_f64 v[119:120], v[62:63], v[110:111]
	v_add_f64 v[121:122], v[64:65], v[112:113]
	;; [unrolled: 1-line block ×4, first 2 shown]
	v_cvt_f32_f64_e32 v119, v[119:120]
	v_cvt_f32_f64_e32 v120, v[121:122]
	;; [unrolled: 1-line block ×4, first 2 shown]
	v_min3_f32 v119, v119, v120, v201
	v_min_f32_e32 v120, v121, v122
	v_min3_f32 v118, v118, v120, v119
	v_lshlrev_b64 v[120:121], 3, v[130:131]
	v_cvt_f64_f32_e32 v[118:119], v118
	v_add_co_u32 v120, vcc_lo, v114, v120
	v_add_co_ci_u32_e64 v121, null, v115, v121, vcc_lo
	flat_store_dwordx2 v[120:121], v[118:119]
	s_or_b32 exec_lo, exec_lo, s12
	s_and_b32 s15, s2, s8
	s_and_saveexec_b32 s12, s15
	s_cbranch_execz .LBB126_140
.LBB126_153:
	v_cmp_ne_u32_e32 vcc_lo, 1, v144
	s_cbranch_vccnz .LBB126_155
; %bb.154:
	v_lshlrev_b64 v[118:119], 3, v[132:133]
	v_add_co_u32 v118, vcc_lo, v116, v118
	v_add_co_ci_u32_e64 v119, null, v117, v119, vcc_lo
	flat_load_dwordx2 v[118:119], v[118:119]
	s_waitcnt vmcnt(0) lgkmcnt(0)
	v_mul_f64 v[118:119], s[10:11], v[118:119]
	v_cvt_f32_f64_e32 v118, v[118:119]
	s_branch .LBB126_156
.LBB126_155:
	v_mov_b32_e32 v118, 0
.LBB126_156:
	v_add_f64 v[119:120], v[54:55], v[110:111]
	v_add_f64 v[121:122], v[56:57], v[112:113]
	;; [unrolled: 1-line block ×4, first 2 shown]
	v_cvt_f32_f64_e32 v119, v[119:120]
	v_cvt_f32_f64_e32 v120, v[121:122]
	;; [unrolled: 1-line block ×4, first 2 shown]
	v_min3_f32 v119, v119, v120, v200
	v_min_f32_e32 v120, v121, v122
	v_min3_f32 v118, v118, v120, v119
	v_lshlrev_b64 v[120:121], 3, v[132:133]
	v_cvt_f64_f32_e32 v[118:119], v118
	v_add_co_u32 v120, vcc_lo, v114, v120
	v_add_co_ci_u32_e64 v121, null, v115, v121, vcc_lo
	flat_store_dwordx2 v[120:121], v[118:119]
	s_or_b32 exec_lo, exec_lo, s12
	s_and_b32 s15, s3, s8
	s_and_saveexec_b32 s12, s15
	s_cbranch_execz .LBB126_141
.LBB126_157:
	v_cmp_ne_u32_e32 vcc_lo, 1, v144
	s_cbranch_vccnz .LBB126_159
; %bb.158:
	v_lshlrev_b64 v[118:119], 3, v[134:135]
	v_add_co_u32 v118, vcc_lo, v116, v118
	v_add_co_ci_u32_e64 v119, null, v117, v119, vcc_lo
	flat_load_dwordx2 v[118:119], v[118:119]
	s_waitcnt vmcnt(0) lgkmcnt(0)
	v_mul_f64 v[118:119], s[10:11], v[118:119]
	v_cvt_f32_f64_e32 v118, v[118:119]
	s_branch .LBB126_160
.LBB126_159:
	v_mov_b32_e32 v118, 0
.LBB126_160:
	v_add_f64 v[119:120], v[46:47], v[110:111]
	v_add_f64 v[121:122], v[48:49], v[112:113]
	;; [unrolled: 1-line block ×4, first 2 shown]
	v_cvt_f32_f64_e32 v119, v[119:120]
	v_cvt_f32_f64_e32 v120, v[121:122]
	;; [unrolled: 1-line block ×4, first 2 shown]
	v_min3_f32 v119, v119, v120, v199
	v_min_f32_e32 v120, v121, v122
	v_min3_f32 v118, v118, v120, v119
	v_lshlrev_b64 v[120:121], 3, v[134:135]
	v_cvt_f64_f32_e32 v[118:119], v118
	v_add_co_u32 v120, vcc_lo, v114, v120
	v_add_co_ci_u32_e64 v121, null, v115, v121, vcc_lo
	flat_store_dwordx2 v[120:121], v[118:119]
	s_or_b32 exec_lo, exec_lo, s12
	s_and_b32 s15, s4, s8
	s_and_saveexec_b32 s12, s15
	s_cbranch_execz .LBB126_142
.LBB126_161:
	v_cmp_ne_u32_e32 vcc_lo, 1, v144
	s_cbranch_vccnz .LBB126_163
; %bb.162:
	v_lshlrev_b64 v[118:119], 3, v[136:137]
	v_add_co_u32 v118, vcc_lo, v116, v118
	v_add_co_ci_u32_e64 v119, null, v117, v119, vcc_lo
	flat_load_dwordx2 v[118:119], v[118:119]
	s_waitcnt vmcnt(0) lgkmcnt(0)
	v_mul_f64 v[118:119], s[10:11], v[118:119]
	v_cvt_f32_f64_e32 v118, v[118:119]
	s_branch .LBB126_164
.LBB126_163:
	v_mov_b32_e32 v118, 0
.LBB126_164:
	v_add_f64 v[119:120], v[38:39], v[110:111]
	v_add_f64 v[121:122], v[40:41], v[112:113]
	;; [unrolled: 1-line block ×4, first 2 shown]
	v_cvt_f32_f64_e32 v119, v[119:120]
	v_cvt_f32_f64_e32 v120, v[121:122]
	;; [unrolled: 1-line block ×4, first 2 shown]
	v_min3_f32 v119, v119, v120, v198
	v_min_f32_e32 v120, v121, v122
	v_min3_f32 v118, v118, v120, v119
	v_lshlrev_b64 v[120:121], 3, v[136:137]
	v_cvt_f64_f32_e32 v[118:119], v118
	v_add_co_u32 v120, vcc_lo, v114, v120
	v_add_co_ci_u32_e64 v121, null, v115, v121, vcc_lo
	flat_store_dwordx2 v[120:121], v[118:119]
	s_or_b32 exec_lo, exec_lo, s12
	s_and_b32 s15, s5, s8
	s_and_saveexec_b32 s12, s15
	s_cbranch_execz .LBB126_143
.LBB126_165:
	v_cmp_ne_u32_e32 vcc_lo, 1, v144
	s_cbranch_vccnz .LBB126_167
; %bb.166:
	v_lshlrev_b64 v[118:119], 3, v[138:139]
	v_add_co_u32 v118, vcc_lo, v116, v118
	v_add_co_ci_u32_e64 v119, null, v117, v119, vcc_lo
	flat_load_dwordx2 v[118:119], v[118:119]
	s_waitcnt vmcnt(0) lgkmcnt(0)
	v_mul_f64 v[118:119], s[10:11], v[118:119]
	v_cvt_f32_f64_e32 v118, v[118:119]
	s_branch .LBB126_168
.LBB126_167:
	v_mov_b32_e32 v118, 0
.LBB126_168:
	v_add_f64 v[119:120], v[30:31], v[110:111]
	v_add_f64 v[121:122], v[32:33], v[112:113]
	;; [unrolled: 1-line block ×4, first 2 shown]
	v_cvt_f32_f64_e32 v119, v[119:120]
	v_cvt_f32_f64_e32 v120, v[121:122]
	v_cvt_f32_f64_e32 v121, v[123:124]
	v_cvt_f32_f64_e32 v122, v[125:126]
	v_min3_f32 v119, v119, v120, v197
	v_min_f32_e32 v120, v121, v122
	v_min3_f32 v118, v118, v120, v119
	v_lshlrev_b64 v[120:121], 3, v[138:139]
	v_cvt_f64_f32_e32 v[118:119], v118
	v_add_co_u32 v120, vcc_lo, v114, v120
	v_add_co_ci_u32_e64 v121, null, v115, v121, vcc_lo
	flat_store_dwordx2 v[120:121], v[118:119]
	s_or_b32 exec_lo, exec_lo, s12
	s_and_b32 s15, s6, s8
	s_and_saveexec_b32 s12, s15
	s_cbranch_execz .LBB126_144
.LBB126_169:
	v_cmp_ne_u32_e32 vcc_lo, 1, v144
	s_cbranch_vccnz .LBB126_171
; %bb.170:
	v_lshlrev_b64 v[118:119], 3, v[140:141]
	v_add_co_u32 v118, vcc_lo, v116, v118
	v_add_co_ci_u32_e64 v119, null, v117, v119, vcc_lo
	flat_load_dwordx2 v[118:119], v[118:119]
	s_waitcnt vmcnt(0) lgkmcnt(0)
	v_mul_f64 v[118:119], s[10:11], v[118:119]
	v_cvt_f32_f64_e32 v118, v[118:119]
	s_branch .LBB126_172
.LBB126_171:
	v_mov_b32_e32 v118, 0
.LBB126_172:
	v_add_f64 v[119:120], v[22:23], v[110:111]
	v_add_f64 v[121:122], v[24:25], v[112:113]
	;; [unrolled: 1-line block ×4, first 2 shown]
	v_cvt_f32_f64_e32 v119, v[119:120]
	v_cvt_f32_f64_e32 v120, v[121:122]
	;; [unrolled: 1-line block ×4, first 2 shown]
	v_min3_f32 v119, v119, v120, v196
	v_min_f32_e32 v120, v121, v122
	v_min3_f32 v118, v118, v120, v119
	v_lshlrev_b64 v[120:121], 3, v[140:141]
	v_cvt_f64_f32_e32 v[118:119], v118
	v_add_co_u32 v120, vcc_lo, v114, v120
	v_add_co_ci_u32_e64 v121, null, v115, v121, vcc_lo
	flat_store_dwordx2 v[120:121], v[118:119]
	s_or_b32 exec_lo, exec_lo, s12
	s_and_b32 s12, s7, s8
	s_and_saveexec_b32 s8, s12
	s_cbranch_execz .LBB126_177
.LBB126_173:
	v_cmp_ne_u32_e32 vcc_lo, 1, v144
	s_cbranch_vccnz .LBB126_175
; %bb.174:
	v_lshlrev_b64 v[118:119], 3, v[142:143]
	v_add_co_u32 v116, vcc_lo, v116, v118
	v_add_co_ci_u32_e64 v117, null, v117, v119, vcc_lo
	flat_load_dwordx2 v[116:117], v[116:117]
	s_waitcnt vmcnt(0) lgkmcnt(0)
	v_mul_f64 v[116:117], s[10:11], v[116:117]
	v_cvt_f32_f64_e32 v116, v[116:117]
	s_branch .LBB126_176
.LBB126_175:
	v_mov_b32_e32 v116, 0
.LBB126_176:
	v_add_f64 v[110:111], v[6:7], v[110:111]
	v_add_f64 v[112:113], v[8:9], v[112:113]
	;; [unrolled: 1-line block ×4, first 2 shown]
	v_cvt_f32_f64_e32 v110, v[110:111]
	v_cvt_f32_f64_e32 v111, v[112:113]
	;; [unrolled: 1-line block ×4, first 2 shown]
	v_min3_f32 v108, v110, v111, v195
	v_min_f32_e32 v106, v106, v107
	v_min3_f32 v106, v116, v106, v108
	v_lshlrev_b64 v[108:109], 3, v[142:143]
	v_cvt_f64_f32_e32 v[106:107], v106
	v_add_co_u32 v108, vcc_lo, v114, v108
	v_add_co_ci_u32_e64 v109, null, v115, v109, vcc_lo
	flat_store_dwordx2 v[108:109], v[106:107]
.LBB126_177:
	s_or_b32 exec_lo, exec_lo, s8
	v_add_nc_u32_e32 v110, 0x60, v145
	v_mad_i64_i32 v[106:107], null, v110, s18, 0
	v_mad_i64_i32 v[108:109], null, v110, s14, 0
	v_cmp_gt_i32_e64 s8, s13, v110
	v_lshlrev_b64 v[106:107], 3, v[106:107]
	s_and_b32 s15, s0, s8
	v_lshlrev_b64 v[110:111], 3, v[108:109]
	v_add_co_u32 v108, vcc_lo, s16, v106
	v_add_co_ci_u32_e64 v109, null, s17, v107, vcc_lo
	v_add_co_u32 v106, vcc_lo, s19, v110
	v_add_co_ci_u32_e64 v107, null, s9, v111, vcc_lo
	s_and_saveexec_b32 s12, s15
	s_cbranch_execnz .LBB126_185
; %bb.178:
	s_or_b32 exec_lo, exec_lo, s12
	s_and_b32 s15, s1, s8
	s_and_saveexec_b32 s12, s15
	s_cbranch_execnz .LBB126_189
.LBB126_179:
	s_or_b32 exec_lo, exec_lo, s12
	s_and_b32 s15, s2, s8
	s_and_saveexec_b32 s12, s15
	s_cbranch_execnz .LBB126_193
.LBB126_180:
	s_or_b32 exec_lo, exec_lo, s12
	s_and_b32 s15, s3, s8
	s_and_saveexec_b32 s12, s15
	s_cbranch_execnz .LBB126_197
.LBB126_181:
	s_or_b32 exec_lo, exec_lo, s12
	s_and_b32 s15, s4, s8
	s_and_saveexec_b32 s12, s15
	s_cbranch_execnz .LBB126_201
.LBB126_182:
	s_or_b32 exec_lo, exec_lo, s12
	s_and_b32 s15, s5, s8
	s_and_saveexec_b32 s12, s15
	s_cbranch_execnz .LBB126_205
.LBB126_183:
	s_or_b32 exec_lo, exec_lo, s12
	s_and_b32 s15, s6, s8
	s_and_saveexec_b32 s12, s15
	s_cbranch_execnz .LBB126_209
.LBB126_184:
	s_or_b32 exec_lo, exec_lo, s12
	s_and_b32 s12, s7, s8
	s_and_saveexec_b32 s8, s12
	s_cbranch_execnz .LBB126_213
	s_branch .LBB126_217
.LBB126_185:
	v_cmp_ne_u32_e32 vcc_lo, 1, v144
	s_cbranch_vccnz .LBB126_187
; %bb.186:
	v_lshlrev_b64 v[110:111], 3, v[0:1]
	v_add_co_u32 v110, vcc_lo, v108, v110
	v_add_co_ci_u32_e64 v111, null, v109, v111, vcc_lo
	flat_load_dwordx2 v[110:111], v[110:111]
	s_waitcnt vmcnt(0) lgkmcnt(0)
	v_mul_f64 v[110:111], s[10:11], v[110:111]
	v_cvt_f32_f64_e32 v110, v[110:111]
	s_branch .LBB126_188
.LBB126_187:
	v_mov_b32_e32 v110, 0
.LBB126_188:
	v_add_f64 v[111:112], v[70:71], v[102:103]
	v_add_f64 v[113:114], v[72:73], v[104:105]
	;; [unrolled: 1-line block ×4, first 2 shown]
	v_cvt_f32_f64_e32 v111, v[111:112]
	v_cvt_f32_f64_e32 v112, v[113:114]
	;; [unrolled: 1-line block ×4, first 2 shown]
	v_min3_f32 v111, v111, v112, v194
	v_min_f32_e32 v112, v113, v114
	v_min3_f32 v110, v110, v112, v111
	v_lshlrev_b64 v[112:113], 3, v[0:1]
	v_cvt_f64_f32_e32 v[110:111], v110
	v_add_co_u32 v112, vcc_lo, v106, v112
	v_add_co_ci_u32_e64 v113, null, v107, v113, vcc_lo
	flat_store_dwordx2 v[112:113], v[110:111]
	s_or_b32 exec_lo, exec_lo, s12
	s_and_b32 s15, s1, s8
	s_and_saveexec_b32 s12, s15
	s_cbranch_execz .LBB126_179
.LBB126_189:
	v_cmp_ne_u32_e32 vcc_lo, 1, v144
	s_cbranch_vccnz .LBB126_191
; %bb.190:
	v_lshlrev_b64 v[110:111], 3, v[130:131]
	v_add_co_u32 v110, vcc_lo, v108, v110
	v_add_co_ci_u32_e64 v111, null, v109, v111, vcc_lo
	flat_load_dwordx2 v[110:111], v[110:111]
	s_waitcnt vmcnt(0) lgkmcnt(0)
	v_mul_f64 v[110:111], s[10:11], v[110:111]
	v_cvt_f32_f64_e32 v110, v[110:111]
	s_branch .LBB126_192
.LBB126_191:
	v_mov_b32_e32 v110, 0
.LBB126_192:
	v_add_f64 v[111:112], v[62:63], v[102:103]
	v_add_f64 v[113:114], v[64:65], v[104:105]
	;; [unrolled: 1-line block ×4, first 2 shown]
	v_cvt_f32_f64_e32 v111, v[111:112]
	v_cvt_f32_f64_e32 v112, v[113:114]
	;; [unrolled: 1-line block ×4, first 2 shown]
	v_min3_f32 v111, v111, v112, v193
	v_min_f32_e32 v112, v113, v114
	v_min3_f32 v110, v110, v112, v111
	v_lshlrev_b64 v[112:113], 3, v[130:131]
	v_cvt_f64_f32_e32 v[110:111], v110
	v_add_co_u32 v112, vcc_lo, v106, v112
	v_add_co_ci_u32_e64 v113, null, v107, v113, vcc_lo
	flat_store_dwordx2 v[112:113], v[110:111]
	s_or_b32 exec_lo, exec_lo, s12
	s_and_b32 s15, s2, s8
	s_and_saveexec_b32 s12, s15
	s_cbranch_execz .LBB126_180
.LBB126_193:
	v_cmp_ne_u32_e32 vcc_lo, 1, v144
	s_cbranch_vccnz .LBB126_195
; %bb.194:
	v_lshlrev_b64 v[110:111], 3, v[132:133]
	v_add_co_u32 v110, vcc_lo, v108, v110
	v_add_co_ci_u32_e64 v111, null, v109, v111, vcc_lo
	flat_load_dwordx2 v[110:111], v[110:111]
	s_waitcnt vmcnt(0) lgkmcnt(0)
	v_mul_f64 v[110:111], s[10:11], v[110:111]
	v_cvt_f32_f64_e32 v110, v[110:111]
	s_branch .LBB126_196
.LBB126_195:
	v_mov_b32_e32 v110, 0
.LBB126_196:
	v_add_f64 v[111:112], v[54:55], v[102:103]
	v_add_f64 v[113:114], v[56:57], v[104:105]
	;; [unrolled: 1-line block ×4, first 2 shown]
	v_cvt_f32_f64_e32 v111, v[111:112]
	v_cvt_f32_f64_e32 v112, v[113:114]
	;; [unrolled: 1-line block ×4, first 2 shown]
	v_min3_f32 v111, v111, v112, v192
	v_min_f32_e32 v112, v113, v114
	v_min3_f32 v110, v110, v112, v111
	v_lshlrev_b64 v[112:113], 3, v[132:133]
	v_cvt_f64_f32_e32 v[110:111], v110
	v_add_co_u32 v112, vcc_lo, v106, v112
	v_add_co_ci_u32_e64 v113, null, v107, v113, vcc_lo
	flat_store_dwordx2 v[112:113], v[110:111]
	s_or_b32 exec_lo, exec_lo, s12
	s_and_b32 s15, s3, s8
	s_and_saveexec_b32 s12, s15
	s_cbranch_execz .LBB126_181
.LBB126_197:
	v_cmp_ne_u32_e32 vcc_lo, 1, v144
	s_cbranch_vccnz .LBB126_199
; %bb.198:
	v_lshlrev_b64 v[110:111], 3, v[134:135]
	v_add_co_u32 v110, vcc_lo, v108, v110
	v_add_co_ci_u32_e64 v111, null, v109, v111, vcc_lo
	flat_load_dwordx2 v[110:111], v[110:111]
	s_waitcnt vmcnt(0) lgkmcnt(0)
	v_mul_f64 v[110:111], s[10:11], v[110:111]
	v_cvt_f32_f64_e32 v110, v[110:111]
	s_branch .LBB126_200
.LBB126_199:
	v_mov_b32_e32 v110, 0
.LBB126_200:
	v_add_f64 v[111:112], v[46:47], v[102:103]
	v_add_f64 v[113:114], v[48:49], v[104:105]
	;; [unrolled: 1-line block ×4, first 2 shown]
	v_cvt_f32_f64_e32 v111, v[111:112]
	v_cvt_f32_f64_e32 v112, v[113:114]
	;; [unrolled: 1-line block ×4, first 2 shown]
	v_min3_f32 v111, v111, v112, v191
	v_min_f32_e32 v112, v113, v114
	v_min3_f32 v110, v110, v112, v111
	v_lshlrev_b64 v[112:113], 3, v[134:135]
	v_cvt_f64_f32_e32 v[110:111], v110
	v_add_co_u32 v112, vcc_lo, v106, v112
	v_add_co_ci_u32_e64 v113, null, v107, v113, vcc_lo
	flat_store_dwordx2 v[112:113], v[110:111]
	s_or_b32 exec_lo, exec_lo, s12
	s_and_b32 s15, s4, s8
	s_and_saveexec_b32 s12, s15
	s_cbranch_execz .LBB126_182
.LBB126_201:
	v_cmp_ne_u32_e32 vcc_lo, 1, v144
	s_cbranch_vccnz .LBB126_203
; %bb.202:
	v_lshlrev_b64 v[110:111], 3, v[136:137]
	v_add_co_u32 v110, vcc_lo, v108, v110
	v_add_co_ci_u32_e64 v111, null, v109, v111, vcc_lo
	flat_load_dwordx2 v[110:111], v[110:111]
	s_waitcnt vmcnt(0) lgkmcnt(0)
	v_mul_f64 v[110:111], s[10:11], v[110:111]
	v_cvt_f32_f64_e32 v110, v[110:111]
	s_branch .LBB126_204
.LBB126_203:
	v_mov_b32_e32 v110, 0
.LBB126_204:
	v_add_f64 v[111:112], v[38:39], v[102:103]
	v_add_f64 v[113:114], v[40:41], v[104:105]
	;; [unrolled: 1-line block ×4, first 2 shown]
	v_cvt_f32_f64_e32 v111, v[111:112]
	v_cvt_f32_f64_e32 v112, v[113:114]
	;; [unrolled: 1-line block ×4, first 2 shown]
	v_min3_f32 v111, v111, v112, v190
	v_min_f32_e32 v112, v113, v114
	v_min3_f32 v110, v110, v112, v111
	v_lshlrev_b64 v[112:113], 3, v[136:137]
	v_cvt_f64_f32_e32 v[110:111], v110
	v_add_co_u32 v112, vcc_lo, v106, v112
	v_add_co_ci_u32_e64 v113, null, v107, v113, vcc_lo
	flat_store_dwordx2 v[112:113], v[110:111]
	s_or_b32 exec_lo, exec_lo, s12
	s_and_b32 s15, s5, s8
	s_and_saveexec_b32 s12, s15
	s_cbranch_execz .LBB126_183
.LBB126_205:
	v_cmp_ne_u32_e32 vcc_lo, 1, v144
	s_cbranch_vccnz .LBB126_207
; %bb.206:
	v_lshlrev_b64 v[110:111], 3, v[138:139]
	v_add_co_u32 v110, vcc_lo, v108, v110
	v_add_co_ci_u32_e64 v111, null, v109, v111, vcc_lo
	flat_load_dwordx2 v[110:111], v[110:111]
	s_waitcnt vmcnt(0) lgkmcnt(0)
	v_mul_f64 v[110:111], s[10:11], v[110:111]
	v_cvt_f32_f64_e32 v110, v[110:111]
	s_branch .LBB126_208
.LBB126_207:
	v_mov_b32_e32 v110, 0
.LBB126_208:
	v_add_f64 v[111:112], v[30:31], v[102:103]
	v_add_f64 v[113:114], v[32:33], v[104:105]
	;; [unrolled: 1-line block ×4, first 2 shown]
	v_cvt_f32_f64_e32 v111, v[111:112]
	v_cvt_f32_f64_e32 v112, v[113:114]
	;; [unrolled: 1-line block ×4, first 2 shown]
	v_min3_f32 v111, v111, v112, v189
	v_min_f32_e32 v112, v113, v114
	v_min3_f32 v110, v110, v112, v111
	v_lshlrev_b64 v[112:113], 3, v[138:139]
	v_cvt_f64_f32_e32 v[110:111], v110
	v_add_co_u32 v112, vcc_lo, v106, v112
	v_add_co_ci_u32_e64 v113, null, v107, v113, vcc_lo
	flat_store_dwordx2 v[112:113], v[110:111]
	s_or_b32 exec_lo, exec_lo, s12
	s_and_b32 s15, s6, s8
	s_and_saveexec_b32 s12, s15
	s_cbranch_execz .LBB126_184
.LBB126_209:
	v_cmp_ne_u32_e32 vcc_lo, 1, v144
	s_cbranch_vccnz .LBB126_211
; %bb.210:
	v_lshlrev_b64 v[110:111], 3, v[140:141]
	v_add_co_u32 v110, vcc_lo, v108, v110
	v_add_co_ci_u32_e64 v111, null, v109, v111, vcc_lo
	flat_load_dwordx2 v[110:111], v[110:111]
	s_waitcnt vmcnt(0) lgkmcnt(0)
	v_mul_f64 v[110:111], s[10:11], v[110:111]
	v_cvt_f32_f64_e32 v110, v[110:111]
	s_branch .LBB126_212
.LBB126_211:
	v_mov_b32_e32 v110, 0
.LBB126_212:
	v_add_f64 v[111:112], v[22:23], v[102:103]
	v_add_f64 v[113:114], v[24:25], v[104:105]
	;; [unrolled: 1-line block ×4, first 2 shown]
	v_cvt_f32_f64_e32 v111, v[111:112]
	v_cvt_f32_f64_e32 v112, v[113:114]
	;; [unrolled: 1-line block ×4, first 2 shown]
	v_min3_f32 v111, v111, v112, v188
	v_min_f32_e32 v112, v113, v114
	v_min3_f32 v110, v110, v112, v111
	v_lshlrev_b64 v[112:113], 3, v[140:141]
	v_cvt_f64_f32_e32 v[110:111], v110
	v_add_co_u32 v112, vcc_lo, v106, v112
	v_add_co_ci_u32_e64 v113, null, v107, v113, vcc_lo
	flat_store_dwordx2 v[112:113], v[110:111]
	s_or_b32 exec_lo, exec_lo, s12
	s_and_b32 s12, s7, s8
	s_and_saveexec_b32 s8, s12
	s_cbranch_execz .LBB126_217
.LBB126_213:
	v_cmp_ne_u32_e32 vcc_lo, 1, v144
	s_cbranch_vccnz .LBB126_215
; %bb.214:
	v_lshlrev_b64 v[110:111], 3, v[142:143]
	v_add_co_u32 v108, vcc_lo, v108, v110
	v_add_co_ci_u32_e64 v109, null, v109, v111, vcc_lo
	flat_load_dwordx2 v[108:109], v[108:109]
	s_waitcnt vmcnt(0) lgkmcnt(0)
	v_mul_f64 v[108:109], s[10:11], v[108:109]
	v_cvt_f32_f64_e32 v108, v[108:109]
	s_branch .LBB126_216
.LBB126_215:
	v_mov_b32_e32 v108, 0
.LBB126_216:
	v_add_f64 v[102:103], v[6:7], v[102:103]
	v_add_f64 v[104:105], v[8:9], v[104:105]
	;; [unrolled: 1-line block ×4, first 2 shown]
	v_cvt_f32_f64_e32 v102, v[102:103]
	v_cvt_f32_f64_e32 v103, v[104:105]
	;; [unrolled: 1-line block ×4, first 2 shown]
	v_min3_f32 v100, v102, v103, v187
	v_min_f32_e32 v98, v98, v99
	v_min3_f32 v98, v108, v98, v100
	v_lshlrev_b64 v[100:101], 3, v[142:143]
	v_cvt_f64_f32_e32 v[98:99], v98
	v_add_co_u32 v100, vcc_lo, v106, v100
	v_add_co_ci_u32_e64 v101, null, v107, v101, vcc_lo
	flat_store_dwordx2 v[100:101], v[98:99]
.LBB126_217:
	s_or_b32 exec_lo, exec_lo, s8
	v_add_nc_u32_e32 v102, 0x80, v145
	v_mad_i64_i32 v[98:99], null, v102, s18, 0
	v_mad_i64_i32 v[100:101], null, v102, s14, 0
	v_cmp_gt_i32_e64 s8, s13, v102
	v_lshlrev_b64 v[98:99], 3, v[98:99]
	s_and_b32 s15, s0, s8
	v_lshlrev_b64 v[102:103], 3, v[100:101]
	v_add_co_u32 v100, vcc_lo, s16, v98
	v_add_co_ci_u32_e64 v101, null, s17, v99, vcc_lo
	v_add_co_u32 v98, vcc_lo, s19, v102
	v_add_co_ci_u32_e64 v99, null, s9, v103, vcc_lo
	s_and_saveexec_b32 s12, s15
	s_cbranch_execnz .LBB126_225
; %bb.218:
	s_or_b32 exec_lo, exec_lo, s12
	s_and_b32 s15, s1, s8
	s_and_saveexec_b32 s12, s15
	s_cbranch_execnz .LBB126_229
.LBB126_219:
	s_or_b32 exec_lo, exec_lo, s12
	s_and_b32 s15, s2, s8
	s_and_saveexec_b32 s12, s15
	s_cbranch_execnz .LBB126_233
.LBB126_220:
	s_or_b32 exec_lo, exec_lo, s12
	s_and_b32 s15, s3, s8
	s_and_saveexec_b32 s12, s15
	s_cbranch_execnz .LBB126_237
.LBB126_221:
	s_or_b32 exec_lo, exec_lo, s12
	s_and_b32 s15, s4, s8
	s_and_saveexec_b32 s12, s15
	s_cbranch_execnz .LBB126_241
.LBB126_222:
	s_or_b32 exec_lo, exec_lo, s12
	s_and_b32 s15, s5, s8
	s_and_saveexec_b32 s12, s15
	s_cbranch_execnz .LBB126_245
.LBB126_223:
	s_or_b32 exec_lo, exec_lo, s12
	s_and_b32 s15, s6, s8
	s_and_saveexec_b32 s12, s15
	s_cbranch_execnz .LBB126_249
.LBB126_224:
	s_or_b32 exec_lo, exec_lo, s12
	s_and_b32 s12, s7, s8
	s_and_saveexec_b32 s8, s12
	s_cbranch_execnz .LBB126_253
	s_branch .LBB126_257
.LBB126_225:
	v_cmp_ne_u32_e32 vcc_lo, 1, v144
	s_cbranch_vccnz .LBB126_227
; %bb.226:
	v_lshlrev_b64 v[102:103], 3, v[0:1]
	v_add_co_u32 v102, vcc_lo, v100, v102
	v_add_co_ci_u32_e64 v103, null, v101, v103, vcc_lo
	flat_load_dwordx2 v[102:103], v[102:103]
	s_waitcnt vmcnt(0) lgkmcnt(0)
	v_mul_f64 v[102:103], s[10:11], v[102:103]
	v_cvt_f32_f64_e32 v102, v[102:103]
	s_branch .LBB126_228
.LBB126_227:
	v_mov_b32_e32 v102, 0
.LBB126_228:
	v_add_f64 v[103:104], v[70:71], v[94:95]
	v_add_f64 v[105:106], v[72:73], v[96:97]
	;; [unrolled: 1-line block ×4, first 2 shown]
	v_cvt_f32_f64_e32 v103, v[103:104]
	v_cvt_f32_f64_e32 v104, v[105:106]
	;; [unrolled: 1-line block ×4, first 2 shown]
	v_min3_f32 v103, v103, v104, v186
	v_min_f32_e32 v104, v105, v106
	v_min3_f32 v102, v102, v104, v103
	v_lshlrev_b64 v[104:105], 3, v[0:1]
	v_cvt_f64_f32_e32 v[102:103], v102
	v_add_co_u32 v104, vcc_lo, v98, v104
	v_add_co_ci_u32_e64 v105, null, v99, v105, vcc_lo
	flat_store_dwordx2 v[104:105], v[102:103]
	s_or_b32 exec_lo, exec_lo, s12
	s_and_b32 s15, s1, s8
	s_and_saveexec_b32 s12, s15
	s_cbranch_execz .LBB126_219
.LBB126_229:
	v_cmp_ne_u32_e32 vcc_lo, 1, v144
	s_cbranch_vccnz .LBB126_231
; %bb.230:
	v_lshlrev_b64 v[102:103], 3, v[130:131]
	v_add_co_u32 v102, vcc_lo, v100, v102
	v_add_co_ci_u32_e64 v103, null, v101, v103, vcc_lo
	flat_load_dwordx2 v[102:103], v[102:103]
	s_waitcnt vmcnt(0) lgkmcnt(0)
	v_mul_f64 v[102:103], s[10:11], v[102:103]
	v_cvt_f32_f64_e32 v102, v[102:103]
	s_branch .LBB126_232
.LBB126_231:
	v_mov_b32_e32 v102, 0
.LBB126_232:
	v_add_f64 v[103:104], v[62:63], v[94:95]
	v_add_f64 v[105:106], v[64:65], v[96:97]
	;; [unrolled: 1-line block ×4, first 2 shown]
	v_cvt_f32_f64_e32 v103, v[103:104]
	v_cvt_f32_f64_e32 v104, v[105:106]
	;; [unrolled: 1-line block ×4, first 2 shown]
	v_min3_f32 v103, v103, v104, v185
	v_min_f32_e32 v104, v105, v106
	v_min3_f32 v102, v102, v104, v103
	v_lshlrev_b64 v[104:105], 3, v[130:131]
	v_cvt_f64_f32_e32 v[102:103], v102
	v_add_co_u32 v104, vcc_lo, v98, v104
	v_add_co_ci_u32_e64 v105, null, v99, v105, vcc_lo
	flat_store_dwordx2 v[104:105], v[102:103]
	s_or_b32 exec_lo, exec_lo, s12
	s_and_b32 s15, s2, s8
	s_and_saveexec_b32 s12, s15
	s_cbranch_execz .LBB126_220
.LBB126_233:
	v_cmp_ne_u32_e32 vcc_lo, 1, v144
	s_cbranch_vccnz .LBB126_235
; %bb.234:
	v_lshlrev_b64 v[102:103], 3, v[132:133]
	v_add_co_u32 v102, vcc_lo, v100, v102
	v_add_co_ci_u32_e64 v103, null, v101, v103, vcc_lo
	flat_load_dwordx2 v[102:103], v[102:103]
	s_waitcnt vmcnt(0) lgkmcnt(0)
	v_mul_f64 v[102:103], s[10:11], v[102:103]
	v_cvt_f32_f64_e32 v102, v[102:103]
	s_branch .LBB126_236
.LBB126_235:
	v_mov_b32_e32 v102, 0
.LBB126_236:
	v_add_f64 v[103:104], v[54:55], v[94:95]
	v_add_f64 v[105:106], v[56:57], v[96:97]
	v_add_f64 v[107:108], v[50:51], v[90:91]
	v_add_f64 v[109:110], v[52:53], v[92:93]
	v_cvt_f32_f64_e32 v103, v[103:104]
	v_cvt_f32_f64_e32 v104, v[105:106]
	;; [unrolled: 1-line block ×4, first 2 shown]
	v_min3_f32 v103, v103, v104, v184
	v_min_f32_e32 v104, v105, v106
	v_min3_f32 v102, v102, v104, v103
	v_lshlrev_b64 v[104:105], 3, v[132:133]
	v_cvt_f64_f32_e32 v[102:103], v102
	v_add_co_u32 v104, vcc_lo, v98, v104
	v_add_co_ci_u32_e64 v105, null, v99, v105, vcc_lo
	flat_store_dwordx2 v[104:105], v[102:103]
	s_or_b32 exec_lo, exec_lo, s12
	s_and_b32 s15, s3, s8
	s_and_saveexec_b32 s12, s15
	s_cbranch_execz .LBB126_221
.LBB126_237:
	v_cmp_ne_u32_e32 vcc_lo, 1, v144
	s_cbranch_vccnz .LBB126_239
; %bb.238:
	v_lshlrev_b64 v[102:103], 3, v[134:135]
	v_add_co_u32 v102, vcc_lo, v100, v102
	v_add_co_ci_u32_e64 v103, null, v101, v103, vcc_lo
	flat_load_dwordx2 v[102:103], v[102:103]
	s_waitcnt vmcnt(0) lgkmcnt(0)
	v_mul_f64 v[102:103], s[10:11], v[102:103]
	v_cvt_f32_f64_e32 v102, v[102:103]
	s_branch .LBB126_240
.LBB126_239:
	v_mov_b32_e32 v102, 0
.LBB126_240:
	v_add_f64 v[103:104], v[46:47], v[94:95]
	v_add_f64 v[105:106], v[48:49], v[96:97]
	;; [unrolled: 1-line block ×4, first 2 shown]
	v_cvt_f32_f64_e32 v103, v[103:104]
	v_cvt_f32_f64_e32 v104, v[105:106]
	v_cvt_f32_f64_e32 v105, v[107:108]
	v_cvt_f32_f64_e32 v106, v[109:110]
	v_min3_f32 v103, v103, v104, v183
	v_min_f32_e32 v104, v105, v106
	v_min3_f32 v102, v102, v104, v103
	v_lshlrev_b64 v[104:105], 3, v[134:135]
	v_cvt_f64_f32_e32 v[102:103], v102
	v_add_co_u32 v104, vcc_lo, v98, v104
	v_add_co_ci_u32_e64 v105, null, v99, v105, vcc_lo
	flat_store_dwordx2 v[104:105], v[102:103]
	s_or_b32 exec_lo, exec_lo, s12
	s_and_b32 s15, s4, s8
	s_and_saveexec_b32 s12, s15
	s_cbranch_execz .LBB126_222
.LBB126_241:
	v_cmp_ne_u32_e32 vcc_lo, 1, v144
	s_cbranch_vccnz .LBB126_243
; %bb.242:
	v_lshlrev_b64 v[102:103], 3, v[136:137]
	v_add_co_u32 v102, vcc_lo, v100, v102
	v_add_co_ci_u32_e64 v103, null, v101, v103, vcc_lo
	flat_load_dwordx2 v[102:103], v[102:103]
	s_waitcnt vmcnt(0) lgkmcnt(0)
	v_mul_f64 v[102:103], s[10:11], v[102:103]
	v_cvt_f32_f64_e32 v102, v[102:103]
	s_branch .LBB126_244
.LBB126_243:
	v_mov_b32_e32 v102, 0
.LBB126_244:
	v_add_f64 v[103:104], v[38:39], v[94:95]
	v_add_f64 v[105:106], v[40:41], v[96:97]
	;; [unrolled: 1-line block ×4, first 2 shown]
	v_cvt_f32_f64_e32 v103, v[103:104]
	v_cvt_f32_f64_e32 v104, v[105:106]
	;; [unrolled: 1-line block ×4, first 2 shown]
	v_min3_f32 v103, v103, v104, v182
	v_min_f32_e32 v104, v105, v106
	v_min3_f32 v102, v102, v104, v103
	v_lshlrev_b64 v[104:105], 3, v[136:137]
	v_cvt_f64_f32_e32 v[102:103], v102
	v_add_co_u32 v104, vcc_lo, v98, v104
	v_add_co_ci_u32_e64 v105, null, v99, v105, vcc_lo
	flat_store_dwordx2 v[104:105], v[102:103]
	s_or_b32 exec_lo, exec_lo, s12
	s_and_b32 s15, s5, s8
	s_and_saveexec_b32 s12, s15
	s_cbranch_execz .LBB126_223
.LBB126_245:
	v_cmp_ne_u32_e32 vcc_lo, 1, v144
	s_cbranch_vccnz .LBB126_247
; %bb.246:
	v_lshlrev_b64 v[102:103], 3, v[138:139]
	v_add_co_u32 v102, vcc_lo, v100, v102
	v_add_co_ci_u32_e64 v103, null, v101, v103, vcc_lo
	flat_load_dwordx2 v[102:103], v[102:103]
	s_waitcnt vmcnt(0) lgkmcnt(0)
	v_mul_f64 v[102:103], s[10:11], v[102:103]
	v_cvt_f32_f64_e32 v102, v[102:103]
	s_branch .LBB126_248
.LBB126_247:
	v_mov_b32_e32 v102, 0
.LBB126_248:
	v_add_f64 v[103:104], v[30:31], v[94:95]
	v_add_f64 v[105:106], v[32:33], v[96:97]
	;; [unrolled: 1-line block ×4, first 2 shown]
	v_cvt_f32_f64_e32 v103, v[103:104]
	v_cvt_f32_f64_e32 v104, v[105:106]
	;; [unrolled: 1-line block ×4, first 2 shown]
	v_min3_f32 v103, v103, v104, v181
	v_min_f32_e32 v104, v105, v106
	v_min3_f32 v102, v102, v104, v103
	v_lshlrev_b64 v[104:105], 3, v[138:139]
	v_cvt_f64_f32_e32 v[102:103], v102
	v_add_co_u32 v104, vcc_lo, v98, v104
	v_add_co_ci_u32_e64 v105, null, v99, v105, vcc_lo
	flat_store_dwordx2 v[104:105], v[102:103]
	s_or_b32 exec_lo, exec_lo, s12
	s_and_b32 s15, s6, s8
	s_and_saveexec_b32 s12, s15
	s_cbranch_execz .LBB126_224
.LBB126_249:
	v_cmp_ne_u32_e32 vcc_lo, 1, v144
	s_cbranch_vccnz .LBB126_251
; %bb.250:
	v_lshlrev_b64 v[102:103], 3, v[140:141]
	v_add_co_u32 v102, vcc_lo, v100, v102
	v_add_co_ci_u32_e64 v103, null, v101, v103, vcc_lo
	flat_load_dwordx2 v[102:103], v[102:103]
	s_waitcnt vmcnt(0) lgkmcnt(0)
	v_mul_f64 v[102:103], s[10:11], v[102:103]
	v_cvt_f32_f64_e32 v102, v[102:103]
	s_branch .LBB126_252
.LBB126_251:
	v_mov_b32_e32 v102, 0
.LBB126_252:
	v_add_f64 v[103:104], v[22:23], v[94:95]
	v_add_f64 v[105:106], v[24:25], v[96:97]
	;; [unrolled: 1-line block ×4, first 2 shown]
	v_cvt_f32_f64_e32 v103, v[103:104]
	v_cvt_f32_f64_e32 v104, v[105:106]
	v_cvt_f32_f64_e32 v105, v[107:108]
	v_cvt_f32_f64_e32 v106, v[109:110]
	v_min3_f32 v103, v103, v104, v180
	v_min_f32_e32 v104, v105, v106
	v_min3_f32 v102, v102, v104, v103
	v_lshlrev_b64 v[104:105], 3, v[140:141]
	v_cvt_f64_f32_e32 v[102:103], v102
	v_add_co_u32 v104, vcc_lo, v98, v104
	v_add_co_ci_u32_e64 v105, null, v99, v105, vcc_lo
	flat_store_dwordx2 v[104:105], v[102:103]
	s_or_b32 exec_lo, exec_lo, s12
	s_and_b32 s12, s7, s8
	s_and_saveexec_b32 s8, s12
	s_cbranch_execz .LBB126_257
.LBB126_253:
	v_cmp_ne_u32_e32 vcc_lo, 1, v144
	s_cbranch_vccnz .LBB126_255
; %bb.254:
	v_lshlrev_b64 v[102:103], 3, v[142:143]
	v_add_co_u32 v100, vcc_lo, v100, v102
	v_add_co_ci_u32_e64 v101, null, v101, v103, vcc_lo
	flat_load_dwordx2 v[100:101], v[100:101]
	s_waitcnt vmcnt(0) lgkmcnt(0)
	v_mul_f64 v[100:101], s[10:11], v[100:101]
	v_cvt_f32_f64_e32 v100, v[100:101]
	s_branch .LBB126_256
.LBB126_255:
	v_mov_b32_e32 v100, 0
.LBB126_256:
	v_add_f64 v[94:95], v[6:7], v[94:95]
	v_add_f64 v[96:97], v[8:9], v[96:97]
	;; [unrolled: 1-line block ×4, first 2 shown]
	v_cvt_f32_f64_e32 v94, v[94:95]
	v_cvt_f32_f64_e32 v95, v[96:97]
	;; [unrolled: 1-line block ×4, first 2 shown]
	v_min3_f32 v92, v94, v95, v179
	v_min_f32_e32 v90, v90, v91
	v_min3_f32 v90, v100, v90, v92
	v_lshlrev_b64 v[92:93], 3, v[142:143]
	v_cvt_f64_f32_e32 v[90:91], v90
	v_add_co_u32 v92, vcc_lo, v98, v92
	v_add_co_ci_u32_e64 v93, null, v99, v93, vcc_lo
	flat_store_dwordx2 v[92:93], v[90:91]
.LBB126_257:
	s_or_b32 exec_lo, exec_lo, s8
	v_add_nc_u32_e32 v94, 0xa0, v145
	v_mad_i64_i32 v[90:91], null, v94, s18, 0
	v_mad_i64_i32 v[92:93], null, v94, s14, 0
	v_cmp_gt_i32_e64 s8, s13, v94
	v_lshlrev_b64 v[90:91], 3, v[90:91]
	s_and_b32 s15, s0, s8
	v_lshlrev_b64 v[94:95], 3, v[92:93]
	v_add_co_u32 v92, vcc_lo, s16, v90
	v_add_co_ci_u32_e64 v93, null, s17, v91, vcc_lo
	v_add_co_u32 v90, vcc_lo, s19, v94
	v_add_co_ci_u32_e64 v91, null, s9, v95, vcc_lo
	s_and_saveexec_b32 s12, s15
	s_cbranch_execnz .LBB126_265
; %bb.258:
	s_or_b32 exec_lo, exec_lo, s12
	s_and_b32 s15, s1, s8
	s_and_saveexec_b32 s12, s15
	s_cbranch_execnz .LBB126_269
.LBB126_259:
	s_or_b32 exec_lo, exec_lo, s12
	s_and_b32 s15, s2, s8
	s_and_saveexec_b32 s12, s15
	s_cbranch_execnz .LBB126_273
.LBB126_260:
	s_or_b32 exec_lo, exec_lo, s12
	s_and_b32 s15, s3, s8
	s_and_saveexec_b32 s12, s15
	s_cbranch_execnz .LBB126_277
.LBB126_261:
	s_or_b32 exec_lo, exec_lo, s12
	s_and_b32 s15, s4, s8
	s_and_saveexec_b32 s12, s15
	s_cbranch_execnz .LBB126_281
.LBB126_262:
	s_or_b32 exec_lo, exec_lo, s12
	s_and_b32 s15, s5, s8
	s_and_saveexec_b32 s12, s15
	s_cbranch_execnz .LBB126_285
.LBB126_263:
	s_or_b32 exec_lo, exec_lo, s12
	s_and_b32 s15, s6, s8
	s_and_saveexec_b32 s12, s15
	s_cbranch_execnz .LBB126_289
.LBB126_264:
	s_or_b32 exec_lo, exec_lo, s12
	s_and_b32 s12, s7, s8
	s_and_saveexec_b32 s8, s12
	s_cbranch_execnz .LBB126_293
	s_branch .LBB126_297
.LBB126_265:
	v_cmp_ne_u32_e32 vcc_lo, 1, v144
	s_cbranch_vccnz .LBB126_267
; %bb.266:
	v_lshlrev_b64 v[94:95], 3, v[0:1]
	v_add_co_u32 v94, vcc_lo, v92, v94
	v_add_co_ci_u32_e64 v95, null, v93, v95, vcc_lo
	flat_load_dwordx2 v[94:95], v[94:95]
	s_waitcnt vmcnt(0) lgkmcnt(0)
	v_mul_f64 v[94:95], s[10:11], v[94:95]
	v_cvt_f32_f64_e32 v94, v[94:95]
	s_branch .LBB126_268
.LBB126_267:
	v_mov_b32_e32 v94, 0
.LBB126_268:
	v_add_f64 v[95:96], v[70:71], v[86:87]
	v_add_f64 v[97:98], v[72:73], v[88:89]
	;; [unrolled: 1-line block ×4, first 2 shown]
	v_cvt_f32_f64_e32 v95, v[95:96]
	v_cvt_f32_f64_e32 v96, v[97:98]
	;; [unrolled: 1-line block ×4, first 2 shown]
	v_min3_f32 v95, v95, v96, v178
	v_min_f32_e32 v96, v97, v98
	v_min3_f32 v94, v94, v96, v95
	v_lshlrev_b64 v[96:97], 3, v[0:1]
	v_cvt_f64_f32_e32 v[94:95], v94
	v_add_co_u32 v96, vcc_lo, v90, v96
	v_add_co_ci_u32_e64 v97, null, v91, v97, vcc_lo
	flat_store_dwordx2 v[96:97], v[94:95]
	s_or_b32 exec_lo, exec_lo, s12
	s_and_b32 s15, s1, s8
	s_and_saveexec_b32 s12, s15
	s_cbranch_execz .LBB126_259
.LBB126_269:
	v_cmp_ne_u32_e32 vcc_lo, 1, v144
	s_cbranch_vccnz .LBB126_271
; %bb.270:
	v_lshlrev_b64 v[94:95], 3, v[130:131]
	v_add_co_u32 v94, vcc_lo, v92, v94
	v_add_co_ci_u32_e64 v95, null, v93, v95, vcc_lo
	flat_load_dwordx2 v[94:95], v[94:95]
	s_waitcnt vmcnt(0) lgkmcnt(0)
	v_mul_f64 v[94:95], s[10:11], v[94:95]
	v_cvt_f32_f64_e32 v94, v[94:95]
	s_branch .LBB126_272
.LBB126_271:
	v_mov_b32_e32 v94, 0
.LBB126_272:
	v_add_f64 v[95:96], v[62:63], v[86:87]
	v_add_f64 v[97:98], v[64:65], v[88:89]
	;; [unrolled: 1-line block ×4, first 2 shown]
	v_cvt_f32_f64_e32 v95, v[95:96]
	v_cvt_f32_f64_e32 v96, v[97:98]
	;; [unrolled: 1-line block ×4, first 2 shown]
	v_min3_f32 v95, v95, v96, v177
	v_min_f32_e32 v96, v97, v98
	v_min3_f32 v94, v94, v96, v95
	v_lshlrev_b64 v[96:97], 3, v[130:131]
	v_cvt_f64_f32_e32 v[94:95], v94
	v_add_co_u32 v96, vcc_lo, v90, v96
	v_add_co_ci_u32_e64 v97, null, v91, v97, vcc_lo
	flat_store_dwordx2 v[96:97], v[94:95]
	s_or_b32 exec_lo, exec_lo, s12
	s_and_b32 s15, s2, s8
	s_and_saveexec_b32 s12, s15
	s_cbranch_execz .LBB126_260
.LBB126_273:
	v_cmp_ne_u32_e32 vcc_lo, 1, v144
	s_cbranch_vccnz .LBB126_275
; %bb.274:
	v_lshlrev_b64 v[94:95], 3, v[132:133]
	v_add_co_u32 v94, vcc_lo, v92, v94
	v_add_co_ci_u32_e64 v95, null, v93, v95, vcc_lo
	flat_load_dwordx2 v[94:95], v[94:95]
	s_waitcnt vmcnt(0) lgkmcnt(0)
	v_mul_f64 v[94:95], s[10:11], v[94:95]
	v_cvt_f32_f64_e32 v94, v[94:95]
	s_branch .LBB126_276
.LBB126_275:
	v_mov_b32_e32 v94, 0
.LBB126_276:
	v_add_f64 v[95:96], v[54:55], v[86:87]
	v_add_f64 v[97:98], v[56:57], v[88:89]
	;; [unrolled: 1-line block ×4, first 2 shown]
	v_cvt_f32_f64_e32 v95, v[95:96]
	v_cvt_f32_f64_e32 v96, v[97:98]
	;; [unrolled: 1-line block ×4, first 2 shown]
	v_min3_f32 v95, v95, v96, v176
	v_min_f32_e32 v96, v97, v98
	v_min3_f32 v94, v94, v96, v95
	v_lshlrev_b64 v[96:97], 3, v[132:133]
	v_cvt_f64_f32_e32 v[94:95], v94
	v_add_co_u32 v96, vcc_lo, v90, v96
	v_add_co_ci_u32_e64 v97, null, v91, v97, vcc_lo
	flat_store_dwordx2 v[96:97], v[94:95]
	s_or_b32 exec_lo, exec_lo, s12
	s_and_b32 s15, s3, s8
	s_and_saveexec_b32 s12, s15
	s_cbranch_execz .LBB126_261
.LBB126_277:
	v_cmp_ne_u32_e32 vcc_lo, 1, v144
	s_cbranch_vccnz .LBB126_279
; %bb.278:
	v_lshlrev_b64 v[94:95], 3, v[134:135]
	v_add_co_u32 v94, vcc_lo, v92, v94
	v_add_co_ci_u32_e64 v95, null, v93, v95, vcc_lo
	flat_load_dwordx2 v[94:95], v[94:95]
	s_waitcnt vmcnt(0) lgkmcnt(0)
	v_mul_f64 v[94:95], s[10:11], v[94:95]
	v_cvt_f32_f64_e32 v94, v[94:95]
	s_branch .LBB126_280
.LBB126_279:
	v_mov_b32_e32 v94, 0
.LBB126_280:
	v_add_f64 v[95:96], v[46:47], v[86:87]
	v_add_f64 v[97:98], v[48:49], v[88:89]
	;; [unrolled: 1-line block ×4, first 2 shown]
	v_cvt_f32_f64_e32 v95, v[95:96]
	v_cvt_f32_f64_e32 v96, v[97:98]
	;; [unrolled: 1-line block ×4, first 2 shown]
	v_min3_f32 v95, v95, v96, v169
	v_min_f32_e32 v96, v97, v98
	v_min3_f32 v94, v94, v96, v95
	v_lshlrev_b64 v[96:97], 3, v[134:135]
	v_cvt_f64_f32_e32 v[94:95], v94
	v_add_co_u32 v96, vcc_lo, v90, v96
	v_add_co_ci_u32_e64 v97, null, v91, v97, vcc_lo
	flat_store_dwordx2 v[96:97], v[94:95]
	s_or_b32 exec_lo, exec_lo, s12
	s_and_b32 s15, s4, s8
	s_and_saveexec_b32 s12, s15
	s_cbranch_execz .LBB126_262
.LBB126_281:
	v_cmp_ne_u32_e32 vcc_lo, 1, v144
	s_cbranch_vccnz .LBB126_283
; %bb.282:
	v_lshlrev_b64 v[94:95], 3, v[136:137]
	v_add_co_u32 v94, vcc_lo, v92, v94
	v_add_co_ci_u32_e64 v95, null, v93, v95, vcc_lo
	flat_load_dwordx2 v[94:95], v[94:95]
	s_waitcnt vmcnt(0) lgkmcnt(0)
	v_mul_f64 v[94:95], s[10:11], v[94:95]
	v_cvt_f32_f64_e32 v94, v[94:95]
	s_branch .LBB126_284
.LBB126_283:
	v_mov_b32_e32 v94, 0
.LBB126_284:
	v_add_f64 v[95:96], v[38:39], v[86:87]
	v_add_f64 v[97:98], v[40:41], v[88:89]
	;; [unrolled: 1-line block ×4, first 2 shown]
	v_cvt_f32_f64_e32 v95, v[95:96]
	v_cvt_f32_f64_e32 v96, v[97:98]
	;; [unrolled: 1-line block ×4, first 2 shown]
	v_min3_f32 v95, v95, v96, v168
	v_min_f32_e32 v96, v97, v98
	v_min3_f32 v94, v94, v96, v95
	v_lshlrev_b64 v[96:97], 3, v[136:137]
	v_cvt_f64_f32_e32 v[94:95], v94
	v_add_co_u32 v96, vcc_lo, v90, v96
	v_add_co_ci_u32_e64 v97, null, v91, v97, vcc_lo
	flat_store_dwordx2 v[96:97], v[94:95]
	s_or_b32 exec_lo, exec_lo, s12
	s_and_b32 s15, s5, s8
	s_and_saveexec_b32 s12, s15
	s_cbranch_execz .LBB126_263
.LBB126_285:
	v_cmp_ne_u32_e32 vcc_lo, 1, v144
	s_cbranch_vccnz .LBB126_287
; %bb.286:
	v_lshlrev_b64 v[94:95], 3, v[138:139]
	v_add_co_u32 v94, vcc_lo, v92, v94
	v_add_co_ci_u32_e64 v95, null, v93, v95, vcc_lo
	flat_load_dwordx2 v[94:95], v[94:95]
	s_waitcnt vmcnt(0) lgkmcnt(0)
	v_mul_f64 v[94:95], s[10:11], v[94:95]
	v_cvt_f32_f64_e32 v94, v[94:95]
	s_branch .LBB126_288
.LBB126_287:
	v_mov_b32_e32 v94, 0
.LBB126_288:
	v_add_f64 v[95:96], v[30:31], v[86:87]
	v_add_f64 v[97:98], v[32:33], v[88:89]
	v_add_f64 v[99:100], v[26:27], v[82:83]
	v_add_f64 v[101:102], v[28:29], v[84:85]
	v_cvt_f32_f64_e32 v95, v[95:96]
	v_cvt_f32_f64_e32 v96, v[97:98]
	;; [unrolled: 1-line block ×4, first 2 shown]
	v_min3_f32 v95, v95, v96, v167
	v_min_f32_e32 v96, v97, v98
	v_min3_f32 v94, v94, v96, v95
	v_lshlrev_b64 v[96:97], 3, v[138:139]
	v_cvt_f64_f32_e32 v[94:95], v94
	v_add_co_u32 v96, vcc_lo, v90, v96
	v_add_co_ci_u32_e64 v97, null, v91, v97, vcc_lo
	flat_store_dwordx2 v[96:97], v[94:95]
	s_or_b32 exec_lo, exec_lo, s12
	s_and_b32 s15, s6, s8
	s_and_saveexec_b32 s12, s15
	s_cbranch_execz .LBB126_264
.LBB126_289:
	v_cmp_ne_u32_e32 vcc_lo, 1, v144
	s_cbranch_vccnz .LBB126_291
; %bb.290:
	v_lshlrev_b64 v[94:95], 3, v[140:141]
	v_add_co_u32 v94, vcc_lo, v92, v94
	v_add_co_ci_u32_e64 v95, null, v93, v95, vcc_lo
	flat_load_dwordx2 v[94:95], v[94:95]
	s_waitcnt vmcnt(0) lgkmcnt(0)
	v_mul_f64 v[94:95], s[10:11], v[94:95]
	v_cvt_f32_f64_e32 v94, v[94:95]
	s_branch .LBB126_292
.LBB126_291:
	v_mov_b32_e32 v94, 0
.LBB126_292:
	v_add_f64 v[95:96], v[22:23], v[86:87]
	v_add_f64 v[97:98], v[24:25], v[88:89]
	;; [unrolled: 1-line block ×4, first 2 shown]
	v_cvt_f32_f64_e32 v95, v[95:96]
	v_cvt_f32_f64_e32 v96, v[97:98]
	;; [unrolled: 1-line block ×4, first 2 shown]
	v_min3_f32 v95, v95, v96, v166
	v_min_f32_e32 v96, v97, v98
	v_min3_f32 v94, v94, v96, v95
	v_lshlrev_b64 v[96:97], 3, v[140:141]
	v_cvt_f64_f32_e32 v[94:95], v94
	v_add_co_u32 v96, vcc_lo, v90, v96
	v_add_co_ci_u32_e64 v97, null, v91, v97, vcc_lo
	flat_store_dwordx2 v[96:97], v[94:95]
	s_or_b32 exec_lo, exec_lo, s12
	s_and_b32 s12, s7, s8
	s_and_saveexec_b32 s8, s12
	s_cbranch_execz .LBB126_297
.LBB126_293:
	v_cmp_ne_u32_e32 vcc_lo, 1, v144
	s_cbranch_vccnz .LBB126_295
; %bb.294:
	v_lshlrev_b64 v[94:95], 3, v[142:143]
	v_add_co_u32 v92, vcc_lo, v92, v94
	v_add_co_ci_u32_e64 v93, null, v93, v95, vcc_lo
	flat_load_dwordx2 v[92:93], v[92:93]
	s_waitcnt vmcnt(0) lgkmcnt(0)
	v_mul_f64 v[92:93], s[10:11], v[92:93]
	v_cvt_f32_f64_e32 v92, v[92:93]
	s_branch .LBB126_296
.LBB126_295:
	v_mov_b32_e32 v92, 0
.LBB126_296:
	v_add_f64 v[86:87], v[6:7], v[86:87]
	v_add_f64 v[88:89], v[8:9], v[88:89]
	;; [unrolled: 1-line block ×4, first 2 shown]
	v_cvt_f32_f64_e32 v86, v[86:87]
	v_cvt_f32_f64_e32 v87, v[88:89]
	;; [unrolled: 1-line block ×4, first 2 shown]
	v_min3_f32 v84, v86, v87, v165
	v_min_f32_e32 v82, v82, v83
	v_min3_f32 v82, v92, v82, v84
	v_lshlrev_b64 v[84:85], 3, v[142:143]
	v_cvt_f64_f32_e32 v[82:83], v82
	v_add_co_u32 v84, vcc_lo, v90, v84
	v_add_co_ci_u32_e64 v85, null, v91, v85, vcc_lo
	flat_store_dwordx2 v[84:85], v[82:83]
.LBB126_297:
	s_or_b32 exec_lo, exec_lo, s8
	v_add_nc_u32_e32 v86, 0xc0, v145
	v_mad_i64_i32 v[82:83], null, v86, s18, 0
	v_mad_i64_i32 v[84:85], null, v86, s14, 0
	v_cmp_gt_i32_e64 s8, s13, v86
	v_lshlrev_b64 v[82:83], 3, v[82:83]
	s_and_b32 s15, s0, s8
	v_lshlrev_b64 v[86:87], 3, v[84:85]
	v_add_co_u32 v84, vcc_lo, s16, v82
	v_add_co_ci_u32_e64 v85, null, s17, v83, vcc_lo
	v_add_co_u32 v82, vcc_lo, s19, v86
	v_add_co_ci_u32_e64 v83, null, s9, v87, vcc_lo
	s_and_saveexec_b32 s12, s15
	s_cbranch_execnz .LBB126_305
; %bb.298:
	s_or_b32 exec_lo, exec_lo, s12
	s_and_b32 s15, s1, s8
	s_and_saveexec_b32 s12, s15
	s_cbranch_execnz .LBB126_309
.LBB126_299:
	s_or_b32 exec_lo, exec_lo, s12
	s_and_b32 s15, s2, s8
	s_and_saveexec_b32 s12, s15
	s_cbranch_execnz .LBB126_313
.LBB126_300:
	s_or_b32 exec_lo, exec_lo, s12
	s_and_b32 s15, s3, s8
	s_and_saveexec_b32 s12, s15
	s_cbranch_execnz .LBB126_317
.LBB126_301:
	s_or_b32 exec_lo, exec_lo, s12
	s_and_b32 s15, s4, s8
	s_and_saveexec_b32 s12, s15
	s_cbranch_execnz .LBB126_321
.LBB126_302:
	s_or_b32 exec_lo, exec_lo, s12
	s_and_b32 s15, s5, s8
	s_and_saveexec_b32 s12, s15
	s_cbranch_execnz .LBB126_325
.LBB126_303:
	s_or_b32 exec_lo, exec_lo, s12
	s_and_b32 s15, s6, s8
	s_and_saveexec_b32 s12, s15
	s_cbranch_execnz .LBB126_329
.LBB126_304:
	s_or_b32 exec_lo, exec_lo, s12
	s_and_b32 s12, s7, s8
	s_and_saveexec_b32 s8, s12
	s_cbranch_execnz .LBB126_333
	s_branch .LBB126_337
.LBB126_305:
	v_cmp_ne_u32_e32 vcc_lo, 1, v144
	s_cbranch_vccnz .LBB126_307
; %bb.306:
	v_lshlrev_b64 v[86:87], 3, v[0:1]
	v_add_co_u32 v86, vcc_lo, v84, v86
	v_add_co_ci_u32_e64 v87, null, v85, v87, vcc_lo
	flat_load_dwordx2 v[86:87], v[86:87]
	s_waitcnt vmcnt(0) lgkmcnt(0)
	v_mul_f64 v[86:87], s[10:11], v[86:87]
	v_cvt_f32_f64_e32 v86, v[86:87]
	s_branch .LBB126_308
.LBB126_307:
	v_mov_b32_e32 v86, 0
.LBB126_308:
	v_add_f64 v[87:88], v[70:71], v[78:79]
	v_add_f64 v[89:90], v[72:73], v[80:81]
	;; [unrolled: 1-line block ×4, first 2 shown]
	v_cvt_f32_f64_e32 v87, v[87:88]
	v_cvt_f32_f64_e32 v88, v[89:90]
	;; [unrolled: 1-line block ×4, first 2 shown]
	v_min3_f32 v87, v87, v88, v164
	v_min_f32_e32 v88, v89, v90
	v_min3_f32 v86, v86, v88, v87
	v_lshlrev_b64 v[88:89], 3, v[0:1]
	v_cvt_f64_f32_e32 v[86:87], v86
	v_add_co_u32 v88, vcc_lo, v82, v88
	v_add_co_ci_u32_e64 v89, null, v83, v89, vcc_lo
	flat_store_dwordx2 v[88:89], v[86:87]
	s_or_b32 exec_lo, exec_lo, s12
	s_and_b32 s15, s1, s8
	s_and_saveexec_b32 s12, s15
	s_cbranch_execz .LBB126_299
.LBB126_309:
	v_cmp_ne_u32_e32 vcc_lo, 1, v144
	s_cbranch_vccnz .LBB126_311
; %bb.310:
	v_lshlrev_b64 v[86:87], 3, v[130:131]
	v_add_co_u32 v86, vcc_lo, v84, v86
	v_add_co_ci_u32_e64 v87, null, v85, v87, vcc_lo
	flat_load_dwordx2 v[86:87], v[86:87]
	s_waitcnt vmcnt(0) lgkmcnt(0)
	v_mul_f64 v[86:87], s[10:11], v[86:87]
	v_cvt_f32_f64_e32 v86, v[86:87]
	s_branch .LBB126_312
.LBB126_311:
	v_mov_b32_e32 v86, 0
.LBB126_312:
	v_add_f64 v[87:88], v[62:63], v[78:79]
	v_add_f64 v[89:90], v[64:65], v[80:81]
	;; [unrolled: 1-line block ×4, first 2 shown]
	v_cvt_f32_f64_e32 v87, v[87:88]
	v_cvt_f32_f64_e32 v88, v[89:90]
	;; [unrolled: 1-line block ×4, first 2 shown]
	v_min3_f32 v87, v87, v88, v163
	v_min_f32_e32 v88, v89, v90
	v_min3_f32 v86, v86, v88, v87
	v_lshlrev_b64 v[88:89], 3, v[130:131]
	v_cvt_f64_f32_e32 v[86:87], v86
	v_add_co_u32 v88, vcc_lo, v82, v88
	v_add_co_ci_u32_e64 v89, null, v83, v89, vcc_lo
	flat_store_dwordx2 v[88:89], v[86:87]
	s_or_b32 exec_lo, exec_lo, s12
	s_and_b32 s15, s2, s8
	s_and_saveexec_b32 s12, s15
	s_cbranch_execz .LBB126_300
.LBB126_313:
	v_cmp_ne_u32_e32 vcc_lo, 1, v144
	s_cbranch_vccnz .LBB126_315
; %bb.314:
	v_lshlrev_b64 v[86:87], 3, v[132:133]
	v_add_co_u32 v86, vcc_lo, v84, v86
	v_add_co_ci_u32_e64 v87, null, v85, v87, vcc_lo
	flat_load_dwordx2 v[86:87], v[86:87]
	s_waitcnt vmcnt(0) lgkmcnt(0)
	v_mul_f64 v[86:87], s[10:11], v[86:87]
	v_cvt_f32_f64_e32 v86, v[86:87]
	s_branch .LBB126_316
.LBB126_315:
	v_mov_b32_e32 v86, 0
.LBB126_316:
	v_add_f64 v[87:88], v[54:55], v[78:79]
	v_add_f64 v[89:90], v[56:57], v[80:81]
	;; [unrolled: 1-line block ×4, first 2 shown]
	v_cvt_f32_f64_e32 v87, v[87:88]
	v_cvt_f32_f64_e32 v88, v[89:90]
	;; [unrolled: 1-line block ×4, first 2 shown]
	v_min3_f32 v87, v87, v88, v162
	v_min_f32_e32 v88, v89, v90
	v_min3_f32 v86, v86, v88, v87
	v_lshlrev_b64 v[88:89], 3, v[132:133]
	v_cvt_f64_f32_e32 v[86:87], v86
	v_add_co_u32 v88, vcc_lo, v82, v88
	v_add_co_ci_u32_e64 v89, null, v83, v89, vcc_lo
	flat_store_dwordx2 v[88:89], v[86:87]
	s_or_b32 exec_lo, exec_lo, s12
	s_and_b32 s15, s3, s8
	s_and_saveexec_b32 s12, s15
	s_cbranch_execz .LBB126_301
.LBB126_317:
	v_cmp_ne_u32_e32 vcc_lo, 1, v144
	s_cbranch_vccnz .LBB126_319
; %bb.318:
	v_lshlrev_b64 v[86:87], 3, v[134:135]
	v_add_co_u32 v86, vcc_lo, v84, v86
	v_add_co_ci_u32_e64 v87, null, v85, v87, vcc_lo
	flat_load_dwordx2 v[86:87], v[86:87]
	s_waitcnt vmcnt(0) lgkmcnt(0)
	v_mul_f64 v[86:87], s[10:11], v[86:87]
	v_cvt_f32_f64_e32 v86, v[86:87]
	s_branch .LBB126_320
.LBB126_319:
	v_mov_b32_e32 v86, 0
.LBB126_320:
	v_add_f64 v[87:88], v[46:47], v[78:79]
	v_add_f64 v[89:90], v[48:49], v[80:81]
	;; [unrolled: 1-line block ×4, first 2 shown]
	v_cvt_f32_f64_e32 v87, v[87:88]
	v_cvt_f32_f64_e32 v88, v[89:90]
	;; [unrolled: 1-line block ×4, first 2 shown]
	v_min3_f32 v87, v87, v88, v161
	v_min_f32_e32 v88, v89, v90
	v_min3_f32 v86, v86, v88, v87
	v_lshlrev_b64 v[88:89], 3, v[134:135]
	v_cvt_f64_f32_e32 v[86:87], v86
	v_add_co_u32 v88, vcc_lo, v82, v88
	v_add_co_ci_u32_e64 v89, null, v83, v89, vcc_lo
	flat_store_dwordx2 v[88:89], v[86:87]
	s_or_b32 exec_lo, exec_lo, s12
	s_and_b32 s15, s4, s8
	s_and_saveexec_b32 s12, s15
	s_cbranch_execz .LBB126_302
.LBB126_321:
	v_cmp_ne_u32_e32 vcc_lo, 1, v144
	s_cbranch_vccnz .LBB126_323
; %bb.322:
	v_lshlrev_b64 v[86:87], 3, v[136:137]
	v_add_co_u32 v86, vcc_lo, v84, v86
	v_add_co_ci_u32_e64 v87, null, v85, v87, vcc_lo
	flat_load_dwordx2 v[86:87], v[86:87]
	s_waitcnt vmcnt(0) lgkmcnt(0)
	v_mul_f64 v[86:87], s[10:11], v[86:87]
	v_cvt_f32_f64_e32 v86, v[86:87]
	s_branch .LBB126_324
.LBB126_323:
	v_mov_b32_e32 v86, 0
.LBB126_324:
	v_add_f64 v[87:88], v[38:39], v[78:79]
	v_add_f64 v[89:90], v[40:41], v[80:81]
	;; [unrolled: 1-line block ×4, first 2 shown]
	v_cvt_f32_f64_e32 v87, v[87:88]
	v_cvt_f32_f64_e32 v88, v[89:90]
	v_cvt_f32_f64_e32 v89, v[91:92]
	v_cvt_f32_f64_e32 v90, v[93:94]
	v_min3_f32 v87, v87, v88, v160
	v_min_f32_e32 v88, v89, v90
	v_min3_f32 v86, v86, v88, v87
	v_lshlrev_b64 v[88:89], 3, v[136:137]
	v_cvt_f64_f32_e32 v[86:87], v86
	v_add_co_u32 v88, vcc_lo, v82, v88
	v_add_co_ci_u32_e64 v89, null, v83, v89, vcc_lo
	flat_store_dwordx2 v[88:89], v[86:87]
	s_or_b32 exec_lo, exec_lo, s12
	s_and_b32 s15, s5, s8
	s_and_saveexec_b32 s12, s15
	s_cbranch_execz .LBB126_303
.LBB126_325:
	v_cmp_ne_u32_e32 vcc_lo, 1, v144
	s_cbranch_vccnz .LBB126_327
; %bb.326:
	v_lshlrev_b64 v[86:87], 3, v[138:139]
	v_add_co_u32 v86, vcc_lo, v84, v86
	v_add_co_ci_u32_e64 v87, null, v85, v87, vcc_lo
	flat_load_dwordx2 v[86:87], v[86:87]
	s_waitcnt vmcnt(0) lgkmcnt(0)
	v_mul_f64 v[86:87], s[10:11], v[86:87]
	v_cvt_f32_f64_e32 v86, v[86:87]
	s_branch .LBB126_328
.LBB126_327:
	v_mov_b32_e32 v86, 0
.LBB126_328:
	v_add_f64 v[87:88], v[30:31], v[78:79]
	v_add_f64 v[89:90], v[32:33], v[80:81]
	;; [unrolled: 1-line block ×4, first 2 shown]
	v_cvt_f32_f64_e32 v87, v[87:88]
	v_cvt_f32_f64_e32 v88, v[89:90]
	;; [unrolled: 1-line block ×4, first 2 shown]
	v_min3_f32 v87, v87, v88, v159
	v_min_f32_e32 v88, v89, v90
	v_min3_f32 v86, v86, v88, v87
	v_lshlrev_b64 v[88:89], 3, v[138:139]
	v_cvt_f64_f32_e32 v[86:87], v86
	v_add_co_u32 v88, vcc_lo, v82, v88
	v_add_co_ci_u32_e64 v89, null, v83, v89, vcc_lo
	flat_store_dwordx2 v[88:89], v[86:87]
	s_or_b32 exec_lo, exec_lo, s12
	s_and_b32 s15, s6, s8
	s_and_saveexec_b32 s12, s15
	s_cbranch_execz .LBB126_304
.LBB126_329:
	v_cmp_ne_u32_e32 vcc_lo, 1, v144
	s_cbranch_vccnz .LBB126_331
; %bb.330:
	v_lshlrev_b64 v[86:87], 3, v[140:141]
	v_add_co_u32 v86, vcc_lo, v84, v86
	v_add_co_ci_u32_e64 v87, null, v85, v87, vcc_lo
	flat_load_dwordx2 v[86:87], v[86:87]
	s_waitcnt vmcnt(0) lgkmcnt(0)
	v_mul_f64 v[86:87], s[10:11], v[86:87]
	v_cvt_f32_f64_e32 v86, v[86:87]
	s_branch .LBB126_332
.LBB126_331:
	v_mov_b32_e32 v86, 0
.LBB126_332:
	v_add_f64 v[87:88], v[22:23], v[78:79]
	v_add_f64 v[89:90], v[24:25], v[80:81]
	;; [unrolled: 1-line block ×4, first 2 shown]
	v_cvt_f32_f64_e32 v87, v[87:88]
	v_cvt_f32_f64_e32 v88, v[89:90]
	v_cvt_f32_f64_e32 v89, v[91:92]
	v_cvt_f32_f64_e32 v90, v[93:94]
	v_min3_f32 v87, v87, v88, v158
	v_min_f32_e32 v88, v89, v90
	v_min3_f32 v86, v86, v88, v87
	v_lshlrev_b64 v[88:89], 3, v[140:141]
	v_cvt_f64_f32_e32 v[86:87], v86
	v_add_co_u32 v88, vcc_lo, v82, v88
	v_add_co_ci_u32_e64 v89, null, v83, v89, vcc_lo
	flat_store_dwordx2 v[88:89], v[86:87]
	s_or_b32 exec_lo, exec_lo, s12
	s_and_b32 s12, s7, s8
	s_and_saveexec_b32 s8, s12
	s_cbranch_execz .LBB126_337
.LBB126_333:
	v_cmp_ne_u32_e32 vcc_lo, 1, v144
	s_cbranch_vccnz .LBB126_335
; %bb.334:
	v_lshlrev_b64 v[86:87], 3, v[142:143]
	v_add_co_u32 v84, vcc_lo, v84, v86
	v_add_co_ci_u32_e64 v85, null, v85, v87, vcc_lo
	flat_load_dwordx2 v[84:85], v[84:85]
	s_waitcnt vmcnt(0) lgkmcnt(0)
	v_mul_f64 v[84:85], s[10:11], v[84:85]
	v_cvt_f32_f64_e32 v84, v[84:85]
	s_branch .LBB126_336
.LBB126_335:
	v_mov_b32_e32 v84, 0
.LBB126_336:
	v_add_f64 v[78:79], v[6:7], v[78:79]
	v_add_f64 v[80:81], v[8:9], v[80:81]
	;; [unrolled: 1-line block ×4, first 2 shown]
	v_cvt_f32_f64_e32 v78, v[78:79]
	v_cvt_f32_f64_e32 v79, v[80:81]
	;; [unrolled: 1-line block ×4, first 2 shown]
	v_min3_f32 v76, v78, v79, v157
	v_min_f32_e32 v74, v74, v75
	v_min3_f32 v74, v84, v74, v76
	v_lshlrev_b64 v[76:77], 3, v[142:143]
	v_cvt_f64_f32_e32 v[74:75], v74
	v_add_co_u32 v76, vcc_lo, v82, v76
	v_add_co_ci_u32_e64 v77, null, v83, v77, vcc_lo
	flat_store_dwordx2 v[76:77], v[74:75]
.LBB126_337:
	s_or_b32 exec_lo, exec_lo, s8
	v_add_nc_u32_e32 v78, 0xe0, v145
	v_mad_i64_i32 v[74:75], null, v78, s18, 0
	v_mad_i64_i32 v[76:77], null, v78, s14, 0
	v_cmp_gt_i32_e64 s8, s13, v78
	v_lshlrev_b64 v[74:75], 3, v[74:75]
	v_lshlrev_b64 v[78:79], 3, v[76:77]
	v_add_co_u32 v76, vcc_lo, s16, v74
	v_add_co_ci_u32_e64 v77, null, s17, v75, vcc_lo
	v_add_co_u32 v74, vcc_lo, s19, v78
	v_add_co_ci_u32_e64 v75, null, s9, v79, vcc_lo
	s_and_b32 s9, s0, s8
	s_and_saveexec_b32 s0, s9
	s_cbranch_execnz .LBB126_346
; %bb.338:
	s_or_b32 exec_lo, exec_lo, s0
	s_and_b32 s1, s1, s8
	s_and_saveexec_b32 s0, s1
	s_cbranch_execnz .LBB126_350
.LBB126_339:
	s_or_b32 exec_lo, exec_lo, s0
	s_and_b32 s1, s2, s8
	s_and_saveexec_b32 s0, s1
	s_cbranch_execnz .LBB126_354
.LBB126_340:
	s_or_b32 exec_lo, exec_lo, s0
	s_and_b32 s1, s3, s8
	s_and_saveexec_b32 s0, s1
	s_cbranch_execnz .LBB126_358
.LBB126_341:
	s_or_b32 exec_lo, exec_lo, s0
	s_and_b32 s1, s4, s8
	s_and_saveexec_b32 s0, s1
	s_cbranch_execnz .LBB126_362
.LBB126_342:
	s_or_b32 exec_lo, exec_lo, s0
	s_and_b32 s1, s5, s8
	s_and_saveexec_b32 s0, s1
	s_cbranch_execnz .LBB126_366
.LBB126_343:
	s_or_b32 exec_lo, exec_lo, s0
	s_and_b32 s1, s6, s8
	s_and_saveexec_b32 s0, s1
	s_cbranch_execnz .LBB126_370
.LBB126_344:
	s_or_b32 exec_lo, exec_lo, s0
	s_and_b32 s0, s7, s8
	s_and_saveexec_b32 s1, s0
	s_cbranch_execnz .LBB126_374
.LBB126_345:
	s_endpgm
.LBB126_346:
	v_cmp_ne_u32_e32 vcc_lo, 1, v144
	v_lshlrev_b64 v[0:1], 3, v[0:1]
	s_cbranch_vccnz .LBB126_348
; %bb.347:
	v_add_co_u32 v78, vcc_lo, v76, v0
	v_add_co_ci_u32_e64 v79, null, v77, v1, vcc_lo
	flat_load_dwordx2 v[78:79], v[78:79]
	s_waitcnt vmcnt(0) lgkmcnt(0)
	v_mul_f64 v[78:79], s[10:11], v[78:79]
	v_cvt_f32_f64_e32 v78, v[78:79]
	s_branch .LBB126_349
.LBB126_348:
	v_mov_b32_e32 v78, 0
.LBB126_349:
	v_add_f64 v[70:71], v[70:71], v[14:15]
	v_add_f64 v[72:73], v[72:73], v[16:17]
	;; [unrolled: 1-line block ×4, first 2 shown]
	v_add_co_u32 v0, vcc_lo, v74, v0
	v_add_co_ci_u32_e64 v1, null, v75, v1, vcc_lo
	v_cvt_f32_f64_e32 v70, v[70:71]
	v_cvt_f32_f64_e32 v71, v[72:73]
	v_cvt_f32_f64_e32 v66, v[66:67]
	v_cvt_f32_f64_e32 v67, v[68:69]
	v_min3_f32 v68, v70, v71, v156
	v_min_f32_e32 v66, v66, v67
	v_min3_f32 v66, v78, v66, v68
	v_cvt_f64_f32_e32 v[66:67], v66
	flat_store_dwordx2 v[0:1], v[66:67]
	s_or_b32 exec_lo, exec_lo, s0
	s_and_b32 s1, s1, s8
	s_and_saveexec_b32 s0, s1
	s_cbranch_execz .LBB126_339
.LBB126_350:
	v_cmp_ne_u32_e32 vcc_lo, 1, v144
	v_lshlrev_b64 v[0:1], 3, v[130:131]
	s_cbranch_vccnz .LBB126_352
; %bb.351:
	v_add_co_u32 v66, vcc_lo, v76, v0
	v_add_co_ci_u32_e64 v67, null, v77, v1, vcc_lo
	flat_load_dwordx2 v[66:67], v[66:67]
	s_waitcnt vmcnt(0) lgkmcnt(0)
	v_mul_f64 v[66:67], s[10:11], v[66:67]
	v_cvt_f32_f64_e32 v66, v[66:67]
	s_branch .LBB126_353
.LBB126_352:
	v_mov_b32_e32 v66, 0
.LBB126_353:
	v_add_f64 v[62:63], v[62:63], v[14:15]
	v_add_f64 v[64:65], v[64:65], v[16:17]
	;; [unrolled: 1-line block ×4, first 2 shown]
	v_add_co_u32 v0, vcc_lo, v74, v0
	v_add_co_ci_u32_e64 v1, null, v75, v1, vcc_lo
	v_cvt_f32_f64_e32 v62, v[62:63]
	v_cvt_f32_f64_e32 v63, v[64:65]
	;; [unrolled: 1-line block ×4, first 2 shown]
	v_min3_f32 v60, v62, v63, v155
	v_min_f32_e32 v58, v58, v59
	v_min3_f32 v58, v66, v58, v60
	v_cvt_f64_f32_e32 v[58:59], v58
	flat_store_dwordx2 v[0:1], v[58:59]
	s_or_b32 exec_lo, exec_lo, s0
	s_and_b32 s1, s2, s8
	s_and_saveexec_b32 s0, s1
	s_cbranch_execz .LBB126_340
.LBB126_354:
	v_cmp_ne_u32_e32 vcc_lo, 1, v144
	v_lshlrev_b64 v[0:1], 3, v[132:133]
	s_cbranch_vccnz .LBB126_356
; %bb.355:
	v_add_co_u32 v58, vcc_lo, v76, v0
	v_add_co_ci_u32_e64 v59, null, v77, v1, vcc_lo
	flat_load_dwordx2 v[58:59], v[58:59]
	s_waitcnt vmcnt(0) lgkmcnt(0)
	v_mul_f64 v[58:59], s[10:11], v[58:59]
	v_cvt_f32_f64_e32 v58, v[58:59]
	s_branch .LBB126_357
.LBB126_356:
	v_mov_b32_e32 v58, 0
.LBB126_357:
	v_add_f64 v[54:55], v[54:55], v[14:15]
	v_add_f64 v[56:57], v[56:57], v[16:17]
	;; [unrolled: 1-line block ×4, first 2 shown]
	v_add_co_u32 v0, vcc_lo, v74, v0
	v_add_co_ci_u32_e64 v1, null, v75, v1, vcc_lo
	v_cvt_f32_f64_e32 v54, v[54:55]
	v_cvt_f32_f64_e32 v55, v[56:57]
	;; [unrolled: 1-line block ×4, first 2 shown]
	v_min3_f32 v52, v54, v55, v154
	v_min_f32_e32 v50, v50, v51
	v_min3_f32 v50, v58, v50, v52
	v_cvt_f64_f32_e32 v[50:51], v50
	flat_store_dwordx2 v[0:1], v[50:51]
	s_or_b32 exec_lo, exec_lo, s0
	s_and_b32 s1, s3, s8
	s_and_saveexec_b32 s0, s1
	s_cbranch_execz .LBB126_341
.LBB126_358:
	v_cmp_ne_u32_e32 vcc_lo, 1, v144
	v_lshlrev_b64 v[0:1], 3, v[134:135]
	s_cbranch_vccnz .LBB126_360
; %bb.359:
	v_add_co_u32 v50, vcc_lo, v76, v0
	v_add_co_ci_u32_e64 v51, null, v77, v1, vcc_lo
	flat_load_dwordx2 v[50:51], v[50:51]
	s_waitcnt vmcnt(0) lgkmcnt(0)
	v_mul_f64 v[50:51], s[10:11], v[50:51]
	v_cvt_f32_f64_e32 v50, v[50:51]
	s_branch .LBB126_361
.LBB126_360:
	v_mov_b32_e32 v50, 0
.LBB126_361:
	v_add_f64 v[46:47], v[46:47], v[14:15]
	v_add_f64 v[48:49], v[48:49], v[16:17]
	;; [unrolled: 1-line block ×4, first 2 shown]
	v_add_co_u32 v0, vcc_lo, v74, v0
	v_add_co_ci_u32_e64 v1, null, v75, v1, vcc_lo
	v_cvt_f32_f64_e32 v46, v[46:47]
	v_cvt_f32_f64_e32 v47, v[48:49]
	;; [unrolled: 1-line block ×4, first 2 shown]
	v_min3_f32 v44, v46, v47, v153
	v_min_f32_e32 v42, v42, v43
	v_min3_f32 v42, v50, v42, v44
	v_cvt_f64_f32_e32 v[42:43], v42
	flat_store_dwordx2 v[0:1], v[42:43]
	s_or_b32 exec_lo, exec_lo, s0
	s_and_b32 s1, s4, s8
	s_and_saveexec_b32 s0, s1
	s_cbranch_execz .LBB126_342
.LBB126_362:
	v_cmp_ne_u32_e32 vcc_lo, 1, v144
	v_lshlrev_b64 v[0:1], 3, v[136:137]
	s_cbranch_vccnz .LBB126_364
; %bb.363:
	v_add_co_u32 v42, vcc_lo, v76, v0
	v_add_co_ci_u32_e64 v43, null, v77, v1, vcc_lo
	flat_load_dwordx2 v[42:43], v[42:43]
	s_waitcnt vmcnt(0) lgkmcnt(0)
	v_mul_f64 v[42:43], s[10:11], v[42:43]
	v_cvt_f32_f64_e32 v42, v[42:43]
	s_branch .LBB126_365
.LBB126_364:
	v_mov_b32_e32 v42, 0
.LBB126_365:
	v_add_f64 v[38:39], v[38:39], v[14:15]
	v_add_f64 v[40:41], v[40:41], v[16:17]
	;; [unrolled: 1-line block ×4, first 2 shown]
	v_add_co_u32 v0, vcc_lo, v74, v0
	v_add_co_ci_u32_e64 v1, null, v75, v1, vcc_lo
	v_cvt_f32_f64_e32 v38, v[38:39]
	v_cvt_f32_f64_e32 v39, v[40:41]
	;; [unrolled: 1-line block ×4, first 2 shown]
	v_min3_f32 v36, v38, v39, v152
	v_min_f32_e32 v34, v34, v35
	v_min3_f32 v34, v42, v34, v36
	v_cvt_f64_f32_e32 v[34:35], v34
	flat_store_dwordx2 v[0:1], v[34:35]
	s_or_b32 exec_lo, exec_lo, s0
	s_and_b32 s1, s5, s8
	s_and_saveexec_b32 s0, s1
	s_cbranch_execz .LBB126_343
.LBB126_366:
	v_cmp_ne_u32_e32 vcc_lo, 1, v144
	v_lshlrev_b64 v[0:1], 3, v[138:139]
	s_cbranch_vccnz .LBB126_368
; %bb.367:
	v_add_co_u32 v34, vcc_lo, v76, v0
	v_add_co_ci_u32_e64 v35, null, v77, v1, vcc_lo
	flat_load_dwordx2 v[34:35], v[34:35]
	s_waitcnt vmcnt(0) lgkmcnt(0)
	v_mul_f64 v[34:35], s[10:11], v[34:35]
	v_cvt_f32_f64_e32 v34, v[34:35]
	s_branch .LBB126_369
.LBB126_368:
	v_mov_b32_e32 v34, 0
.LBB126_369:
	v_add_f64 v[30:31], v[30:31], v[14:15]
	v_add_f64 v[32:33], v[32:33], v[16:17]
	;; [unrolled: 1-line block ×4, first 2 shown]
	v_add_co_u32 v0, vcc_lo, v74, v0
	v_add_co_ci_u32_e64 v1, null, v75, v1, vcc_lo
	v_cvt_f32_f64_e32 v30, v[30:31]
	v_cvt_f32_f64_e32 v31, v[32:33]
	;; [unrolled: 1-line block ×4, first 2 shown]
	v_min3_f32 v28, v30, v31, v151
	v_min_f32_e32 v26, v26, v27
	v_min3_f32 v26, v34, v26, v28
	v_cvt_f64_f32_e32 v[26:27], v26
	flat_store_dwordx2 v[0:1], v[26:27]
	s_or_b32 exec_lo, exec_lo, s0
	s_and_b32 s1, s6, s8
	s_and_saveexec_b32 s0, s1
	s_cbranch_execz .LBB126_344
.LBB126_370:
	v_cmp_ne_u32_e32 vcc_lo, 1, v144
	v_lshlrev_b64 v[0:1], 3, v[140:141]
	s_cbranch_vccnz .LBB126_372
; %bb.371:
	v_add_co_u32 v26, vcc_lo, v76, v0
	v_add_co_ci_u32_e64 v27, null, v77, v1, vcc_lo
	flat_load_dwordx2 v[26:27], v[26:27]
	s_waitcnt vmcnt(0) lgkmcnt(0)
	v_mul_f64 v[26:27], s[10:11], v[26:27]
	v_cvt_f32_f64_e32 v26, v[26:27]
	s_branch .LBB126_373
.LBB126_372:
	v_mov_b32_e32 v26, 0
.LBB126_373:
	v_add_f64 v[22:23], v[22:23], v[14:15]
	v_add_f64 v[24:25], v[24:25], v[16:17]
	;; [unrolled: 1-line block ×4, first 2 shown]
	v_add_co_u32 v0, vcc_lo, v74, v0
	v_add_co_ci_u32_e64 v1, null, v75, v1, vcc_lo
	v_cvt_f32_f64_e32 v22, v[22:23]
	v_cvt_f32_f64_e32 v23, v[24:25]
	;; [unrolled: 1-line block ×4, first 2 shown]
	v_min3_f32 v20, v22, v23, v150
	v_min_f32_e32 v18, v18, v19
	v_min3_f32 v18, v26, v18, v20
	v_cvt_f64_f32_e32 v[18:19], v18
	flat_store_dwordx2 v[0:1], v[18:19]
	s_or_b32 exec_lo, exec_lo, s0
	s_and_b32 s0, s7, s8
	s_and_saveexec_b32 s1, s0
	s_cbranch_execz .LBB126_345
.LBB126_374:
	v_cmp_ne_u32_e32 vcc_lo, 1, v144
	v_lshlrev_b64 v[0:1], 3, v[142:143]
	s_cbranch_vccnz .LBB126_376
; %bb.375:
	v_add_co_u32 v18, vcc_lo, v76, v0
	v_add_co_ci_u32_e64 v19, null, v77, v1, vcc_lo
	flat_load_dwordx2 v[18:19], v[18:19]
	s_waitcnt vmcnt(0) lgkmcnt(0)
	v_mul_f64 v[18:19], s[10:11], v[18:19]
	v_cvt_f32_f64_e32 v18, v[18:19]
	s_branch .LBB126_377
.LBB126_376:
	v_mov_b32_e32 v18, 0
.LBB126_377:
	v_add_f64 v[6:7], v[6:7], v[14:15]
	v_add_f64 v[8:9], v[8:9], v[16:17]
	;; [unrolled: 1-line block ×4, first 2 shown]
	v_add_co_u32 v0, vcc_lo, v74, v0
	v_add_co_ci_u32_e64 v1, null, v75, v1, vcc_lo
	v_cvt_f32_f64_e32 v6, v[6:7]
	v_cvt_f32_f64_e32 v7, v[8:9]
	;; [unrolled: 1-line block ×4, first 2 shown]
	v_min3_f32 v4, v6, v7, v149
	v_min_f32_e32 v2, v2, v3
	v_min3_f32 v2, v18, v2, v4
	v_cvt_f64_f32_e32 v[2:3], v2
	flat_store_dwordx2 v[0:1], v[2:3]
	s_endpgm
	.section	.rodata,"a",@progbits
	.p2align	6, 0x0
	.amdhsa_kernel _ZN12_GLOBAL__N_120geam_min_plus_kernelId15HIP_vector_typeIdLj2EEdLi8ELi32ELi64ELi256ELi4ELi4ELi64ELi64ELi4ELc84ELc84ELb0ELb1ELb1EPKdKS4_KPdEEviiiT16_PT17_ilSA_ilS8_SA_ilPT18_ili26rocblas_geam_ex_operation_
		.amdhsa_group_segment_fixed_size 20480
		.amdhsa_private_segment_fixed_size 0
		.amdhsa_kernarg_size 136
		.amdhsa_user_sgpr_count 6
		.amdhsa_user_sgpr_private_segment_buffer 1
		.amdhsa_user_sgpr_dispatch_ptr 0
		.amdhsa_user_sgpr_queue_ptr 0
		.amdhsa_user_sgpr_kernarg_segment_ptr 1
		.amdhsa_user_sgpr_dispatch_id 0
		.amdhsa_user_sgpr_flat_scratch_init 0
		.amdhsa_user_sgpr_private_segment_size 0
		.amdhsa_wavefront_size32 1
		.amdhsa_uses_dynamic_stack 0
		.amdhsa_system_sgpr_private_segment_wavefront_offset 0
		.amdhsa_system_sgpr_workgroup_id_x 1
		.amdhsa_system_sgpr_workgroup_id_y 0
		.amdhsa_system_sgpr_workgroup_id_z 1
		.amdhsa_system_sgpr_workgroup_info 0
		.amdhsa_system_vgpr_workitem_id 1
		.amdhsa_next_free_vgpr 223
		.amdhsa_next_free_sgpr 31
		.amdhsa_reserve_vcc 1
		.amdhsa_reserve_flat_scratch 0
		.amdhsa_float_round_mode_32 0
		.amdhsa_float_round_mode_16_64 0
		.amdhsa_float_denorm_mode_32 3
		.amdhsa_float_denorm_mode_16_64 3
		.amdhsa_dx10_clamp 1
		.amdhsa_ieee_mode 1
		.amdhsa_fp16_overflow 0
		.amdhsa_workgroup_processor_mode 1
		.amdhsa_memory_ordered 1
		.amdhsa_forward_progress 1
		.amdhsa_shared_vgpr_count 0
		.amdhsa_exception_fp_ieee_invalid_op 0
		.amdhsa_exception_fp_denorm_src 0
		.amdhsa_exception_fp_ieee_div_zero 0
		.amdhsa_exception_fp_ieee_overflow 0
		.amdhsa_exception_fp_ieee_underflow 0
		.amdhsa_exception_fp_ieee_inexact 0
		.amdhsa_exception_int_div_zero 0
	.end_amdhsa_kernel
	.section	.text._ZN12_GLOBAL__N_120geam_min_plus_kernelId15HIP_vector_typeIdLj2EEdLi8ELi32ELi64ELi256ELi4ELi4ELi64ELi64ELi4ELc84ELc84ELb0ELb1ELb1EPKdKS4_KPdEEviiiT16_PT17_ilSA_ilS8_SA_ilPT18_ili26rocblas_geam_ex_operation_,"axG",@progbits,_ZN12_GLOBAL__N_120geam_min_plus_kernelId15HIP_vector_typeIdLj2EEdLi8ELi32ELi64ELi256ELi4ELi4ELi64ELi64ELi4ELc84ELc84ELb0ELb1ELb1EPKdKS4_KPdEEviiiT16_PT17_ilSA_ilS8_SA_ilPT18_ili26rocblas_geam_ex_operation_,comdat
.Lfunc_end126:
	.size	_ZN12_GLOBAL__N_120geam_min_plus_kernelId15HIP_vector_typeIdLj2EEdLi8ELi32ELi64ELi256ELi4ELi4ELi64ELi64ELi4ELc84ELc84ELb0ELb1ELb1EPKdKS4_KPdEEviiiT16_PT17_ilSA_ilS8_SA_ilPT18_ili26rocblas_geam_ex_operation_, .Lfunc_end126-_ZN12_GLOBAL__N_120geam_min_plus_kernelId15HIP_vector_typeIdLj2EEdLi8ELi32ELi64ELi256ELi4ELi4ELi64ELi64ELi4ELc84ELc84ELb0ELb1ELb1EPKdKS4_KPdEEviiiT16_PT17_ilSA_ilS8_SA_ilPT18_ili26rocblas_geam_ex_operation_
                                        ; -- End function
	.set _ZN12_GLOBAL__N_120geam_min_plus_kernelId15HIP_vector_typeIdLj2EEdLi8ELi32ELi64ELi256ELi4ELi4ELi64ELi64ELi4ELc84ELc84ELb0ELb1ELb1EPKdKS4_KPdEEviiiT16_PT17_ilSA_ilS8_SA_ilPT18_ili26rocblas_geam_ex_operation_.num_vgpr, 223
	.set _ZN12_GLOBAL__N_120geam_min_plus_kernelId15HIP_vector_typeIdLj2EEdLi8ELi32ELi64ELi256ELi4ELi4ELi64ELi64ELi4ELc84ELc84ELb0ELb1ELb1EPKdKS4_KPdEEviiiT16_PT17_ilSA_ilS8_SA_ilPT18_ili26rocblas_geam_ex_operation_.num_agpr, 0
	.set _ZN12_GLOBAL__N_120geam_min_plus_kernelId15HIP_vector_typeIdLj2EEdLi8ELi32ELi64ELi256ELi4ELi4ELi64ELi64ELi4ELc84ELc84ELb0ELb1ELb1EPKdKS4_KPdEEviiiT16_PT17_ilSA_ilS8_SA_ilPT18_ili26rocblas_geam_ex_operation_.numbered_sgpr, 31
	.set _ZN12_GLOBAL__N_120geam_min_plus_kernelId15HIP_vector_typeIdLj2EEdLi8ELi32ELi64ELi256ELi4ELi4ELi64ELi64ELi4ELc84ELc84ELb0ELb1ELb1EPKdKS4_KPdEEviiiT16_PT17_ilSA_ilS8_SA_ilPT18_ili26rocblas_geam_ex_operation_.num_named_barrier, 0
	.set _ZN12_GLOBAL__N_120geam_min_plus_kernelId15HIP_vector_typeIdLj2EEdLi8ELi32ELi64ELi256ELi4ELi4ELi64ELi64ELi4ELc84ELc84ELb0ELb1ELb1EPKdKS4_KPdEEviiiT16_PT17_ilSA_ilS8_SA_ilPT18_ili26rocblas_geam_ex_operation_.private_seg_size, 0
	.set _ZN12_GLOBAL__N_120geam_min_plus_kernelId15HIP_vector_typeIdLj2EEdLi8ELi32ELi64ELi256ELi4ELi4ELi64ELi64ELi4ELc84ELc84ELb0ELb1ELb1EPKdKS4_KPdEEviiiT16_PT17_ilSA_ilS8_SA_ilPT18_ili26rocblas_geam_ex_operation_.uses_vcc, 1
	.set _ZN12_GLOBAL__N_120geam_min_plus_kernelId15HIP_vector_typeIdLj2EEdLi8ELi32ELi64ELi256ELi4ELi4ELi64ELi64ELi4ELc84ELc84ELb0ELb1ELb1EPKdKS4_KPdEEviiiT16_PT17_ilSA_ilS8_SA_ilPT18_ili26rocblas_geam_ex_operation_.uses_flat_scratch, 0
	.set _ZN12_GLOBAL__N_120geam_min_plus_kernelId15HIP_vector_typeIdLj2EEdLi8ELi32ELi64ELi256ELi4ELi4ELi64ELi64ELi4ELc84ELc84ELb0ELb1ELb1EPKdKS4_KPdEEviiiT16_PT17_ilSA_ilS8_SA_ilPT18_ili26rocblas_geam_ex_operation_.has_dyn_sized_stack, 0
	.set _ZN12_GLOBAL__N_120geam_min_plus_kernelId15HIP_vector_typeIdLj2EEdLi8ELi32ELi64ELi256ELi4ELi4ELi64ELi64ELi4ELc84ELc84ELb0ELb1ELb1EPKdKS4_KPdEEviiiT16_PT17_ilSA_ilS8_SA_ilPT18_ili26rocblas_geam_ex_operation_.has_recursion, 0
	.set _ZN12_GLOBAL__N_120geam_min_plus_kernelId15HIP_vector_typeIdLj2EEdLi8ELi32ELi64ELi256ELi4ELi4ELi64ELi64ELi4ELc84ELc84ELb0ELb1ELb1EPKdKS4_KPdEEviiiT16_PT17_ilSA_ilS8_SA_ilPT18_ili26rocblas_geam_ex_operation_.has_indirect_call, 0
	.section	.AMDGPU.csdata,"",@progbits
; Kernel info:
; codeLenInByte = 29800
; TotalNumSgprs: 33
; NumVgprs: 223
; ScratchSize: 0
; MemoryBound: 1
; FloatMode: 240
; IeeeMode: 1
; LDSByteSize: 20480 bytes/workgroup (compile time only)
; SGPRBlocks: 0
; VGPRBlocks: 27
; NumSGPRsForWavesPerEU: 33
; NumVGPRsForWavesPerEU: 223
; Occupancy: 4
; WaveLimiterHint : 1
; COMPUTE_PGM_RSRC2:SCRATCH_EN: 0
; COMPUTE_PGM_RSRC2:USER_SGPR: 6
; COMPUTE_PGM_RSRC2:TRAP_HANDLER: 0
; COMPUTE_PGM_RSRC2:TGID_X_EN: 1
; COMPUTE_PGM_RSRC2:TGID_Y_EN: 0
; COMPUTE_PGM_RSRC2:TGID_Z_EN: 1
; COMPUTE_PGM_RSRC2:TIDIG_COMP_CNT: 1
	.section	.text._ZN12_GLOBAL__N_120geam_min_plus_kernelId15HIP_vector_typeIdLj2EEdLi8ELi32ELi64ELi256ELi4ELi4ELi64ELi64ELi4ELc84ELc84ELb1ELb1ELb1EdKPKdKPdEEviiiT16_PT17_ilSA_ilS8_SA_ilPT18_ili26rocblas_geam_ex_operation_,"axG",@progbits,_ZN12_GLOBAL__N_120geam_min_plus_kernelId15HIP_vector_typeIdLj2EEdLi8ELi32ELi64ELi256ELi4ELi4ELi64ELi64ELi4ELc84ELc84ELb1ELb1ELb1EdKPKdKPdEEviiiT16_PT17_ilSA_ilS8_SA_ilPT18_ili26rocblas_geam_ex_operation_,comdat
	.globl	_ZN12_GLOBAL__N_120geam_min_plus_kernelId15HIP_vector_typeIdLj2EEdLi8ELi32ELi64ELi256ELi4ELi4ELi64ELi64ELi4ELc84ELc84ELb1ELb1ELb1EdKPKdKPdEEviiiT16_PT17_ilSA_ilS8_SA_ilPT18_ili26rocblas_geam_ex_operation_ ; -- Begin function _ZN12_GLOBAL__N_120geam_min_plus_kernelId15HIP_vector_typeIdLj2EEdLi8ELi32ELi64ELi256ELi4ELi4ELi64ELi64ELi4ELc84ELc84ELb1ELb1ELb1EdKPKdKPdEEviiiT16_PT17_ilSA_ilS8_SA_ilPT18_ili26rocblas_geam_ex_operation_
	.p2align	8
	.type	_ZN12_GLOBAL__N_120geam_min_plus_kernelId15HIP_vector_typeIdLj2EEdLi8ELi32ELi64ELi256ELi4ELi4ELi64ELi64ELi4ELc84ELc84ELb1ELb1ELb1EdKPKdKPdEEviiiT16_PT17_ilSA_ilS8_SA_ilPT18_ili26rocblas_geam_ex_operation_,@function
_ZN12_GLOBAL__N_120geam_min_plus_kernelId15HIP_vector_typeIdLj2EEdLi8ELi32ELi64ELi256ELi4ELi4ELi64ELi64ELi4ELc84ELc84ELb1ELb1ELb1EdKPKdKPdEEviiiT16_PT17_ilSA_ilS8_SA_ilPT18_ili26rocblas_geam_ex_operation_: ; @_ZN12_GLOBAL__N_120geam_min_plus_kernelId15HIP_vector_typeIdLj2EEdLi8ELi32ELi64ELi256ELi4ELi4ELi64ELi64ELi4ELc84ELc84ELb1ELb1ELb1EdKPKdKPdEEviiiT16_PT17_ilSA_ilS8_SA_ilPT18_ili26rocblas_geam_ex_operation_
; %bb.0:
	s_clause 0x1
	s_load_dwordx4 s[8:11], s[4:5], 0x10
	s_load_dwordx4 s[0:3], s[4:5], 0x28
	s_mov_b32 s22, s7
	s_mov_b64 s[18:19], 0
	s_waitcnt lgkmcnt(0)
	v_cmp_eq_f64_e64 s7, s[8:9], 0
	s_and_b32 vcc_lo, exec_lo, s7
	s_cbranch_vccnz .LBB127_2
; %bb.1:
	s_mov_b32 s23, 0
	s_lshl_b64 s[8:9], s[22:23], 3
	s_add_u32 s8, s10, s8
	s_addc_u32 s9, s11, s9
	s_lshl_b64 s[0:1], s[0:1], 3
	s_load_dwordx2 s[8:9], s[8:9], 0x0
	s_waitcnt lgkmcnt(0)
	s_add_u32 s18, s8, s0
	s_addc_u32 s19, s9, s1
.LBB127_2:
	s_clause 0x1
	s_load_dwordx4 s[8:11], s[4:5], 0x40
	s_load_dwordx2 s[12:13], s[4:5], 0x50
	s_andn2_b32 vcc_lo, exec_lo, s7
	s_mov_b32 s23, 0
	s_cbranch_vccnz .LBB127_4
; %bb.3:
	s_mov_b32 s0, s23
	s_mov_b64 s[16:17], 0
	s_andn2_b32 vcc_lo, exec_lo, s0
	s_mov_b64 s[20:21], 0
	s_cbranch_vccz .LBB127_5
	s_branch .LBB127_6
.LBB127_4:
	s_mov_b64 s[16:17], 0
	s_mov_b64 s[20:21], 0
.LBB127_5:
	s_lshl_b64 s[0:1], s[22:23], 3
	s_add_u32 s0, s2, s0
	s_addc_u32 s1, s3, s1
	s_waitcnt lgkmcnt(0)
	s_lshl_b64 s[2:3], s[8:9], 3
	s_load_dwordx2 s[0:1], s[0:1], 0x0
	s_waitcnt lgkmcnt(0)
	s_add_u32 s20, s0, s2
	s_addc_u32 s21, s1, s3
.LBB127_6:
	s_waitcnt lgkmcnt(0)
	v_cmp_eq_f64_e64 s7, s[10:11], 0
	v_cmp_neq_f64_e64 s24, s[10:11], 0
	s_load_dwordx4 s[0:3], s[4:5], 0x60
	s_and_b32 vcc_lo, exec_lo, s7
	s_cbranch_vccnz .LBB127_8
; %bb.7:
	s_lshl_b64 s[8:9], s[22:23], 3
	s_add_u32 s8, s12, s8
	s_addc_u32 s9, s13, s9
	s_waitcnt lgkmcnt(0)
	s_lshl_b64 s[0:1], s[0:1], 3
	s_load_dwordx2 s[8:9], s[8:9], 0x0
	s_waitcnt lgkmcnt(0)
	s_add_u32 s16, s8, s0
	s_addc_u32 s17, s9, s1
.LBB127_8:
	s_clause 0x1
	s_load_dwordx4 s[12:15], s[4:5], 0x0
	s_load_dword s27, s[4:5], 0x20
	s_waitcnt lgkmcnt(0)
	s_lshl_b64 s[0:1], s[22:23], 3
	v_lshl_add_u32 v6, v1, 3, v0
	s_add_u32 s8, s2, s0
	s_addc_u32 s9, s3, s1
	v_and_b32_e32 v148, 3, v0
	v_mov_b32_e32 v3, 0x7fefffff
	v_lshrrev_b32_e32 v79, 2, v6
	v_lshlrev_b32_e32 v78, 3, v148
	s_add_i32 s0, s12, -1
	v_cmp_gt_i32_e32 vcc_lo, s14, v148
	s_ashr_i32 s1, s0, 31
	s_lshr_b32 s1, s1, 26
	s_add_i32 s0, s0, s1
	s_ashr_i32 s0, s0, 6
	s_add_i32 s2, s0, 1
	s_not_b32 s0, s0
	v_cvt_f32_u32_e32 v2, s2
	v_rcp_iflag_f32_e32 v2, v2
	v_mul_f32_e32 v2, 0x4f7ffffe, v2
	v_cvt_u32_f32_e32 v2, v2
	v_readfirstlane_b32 s1, v2
	v_mov_b32_e32 v2, -1
	v_mov_b32_e32 v5, v3
	s_mul_i32 s0, s0, s1
	v_mov_b32_e32 v4, v2
	s_mul_hi_u32 s0, s1, s0
	s_add_i32 s1, s1, s0
	s_mul_hi_u32 s0, s6, s1
	s_mul_i32 s1, s0, s2
	s_add_i32 s3, s0, 1
	s_sub_i32 s1, s6, s1
	s_sub_i32 s7, s1, s2
	s_cmp_ge_u32 s1, s2
	s_cselect_b32 s0, s3, s0
	s_cselect_b32 s1, s7, s1
	s_add_i32 s3, s0, 1
	s_cmp_ge_u32 s1, s2
	s_cselect_b32 s1, s3, s0
	s_mul_i32 s28, s1, s2
	s_sub_i32 s0, s6, s28
	s_lshl_b32 s15, s0, 6
	v_add_nc_u32_e32 v13, s15, v79
	v_cmp_gt_i32_e64 s0, s12, v13
	v_cmp_le_i32_e64 s3, s12, v13
	s_and_b32 s2, vcc_lo, s0
	s_and_saveexec_b32 s0, s2
	s_cbranch_execz .LBB127_10
; %bb.9:
	v_mad_i64_i32 v[4:5], null, v13, s27, 0
	v_lshlrev_b64 v[4:5], 3, v[4:5]
	v_add_co_u32 v4, vcc_lo, s18, v4
	v_add_co_ci_u32_e64 v5, null, s19, v5, vcc_lo
	v_add_co_u32 v4, vcc_lo, v4, v78
	v_add_co_ci_u32_e64 v5, null, 0, v5, vcc_lo
	flat_load_dwordx2 v[4:5], v[4:5]
.LBB127_10:
	s_or_b32 exec_lo, exec_lo, s0
	s_load_dword s22, s[4:5], 0x38
	v_lshrrev_b32_e32 v149, 6, v6
	v_and_b32_e32 v12, 63, v6
	s_lshl_b32 s25, s1, 8
	v_cmp_le_i32_e64 s7, s14, v149
	v_or_b32_e32 v66, s25, v12
	v_cmp_le_i32_e32 vcc_lo, s13, v66
	v_ashrrev_i32_e32 v67, 31, v66
	s_waitcnt lgkmcnt(0)
	v_mad_i64_i32 v[7:8], null, s22, v149, 0
	v_lshlrev_b64 v[6:7], 3, v[7:8]
	v_add_co_u32 v14, s0, s20, v6
	v_add_co_ci_u32_e64 v15, null, s21, v7, s0
	s_nor_b32 s0, vcc_lo, s7
	s_and_saveexec_b32 s1, s0
	s_cbranch_execz .LBB127_12
; %bb.11:
	v_lshlrev_b64 v[2:3], 3, v[66:67]
	v_add_co_u32 v2, s0, v14, v2
	v_add_co_ci_u32_e64 v3, null, v15, v3, s0
	flat_load_dwordx2 v[2:3], v[2:3]
.LBB127_12:
	s_or_b32 exec_lo, exec_lo, s1
	v_or_b32_e32 v8, 64, v66
	v_mov_b32_e32 v7, 0x7fefffff
	v_mov_b32_e32 v6, -1
	v_cmp_le_i32_e64 s0, s13, v8
	v_mov_b32_e32 v9, v7
	v_mov_b32_e32 v8, v6
	s_nor_b32 s1, s0, s7
	s_and_saveexec_b32 s2, s1
	s_cbranch_execz .LBB127_14
; %bb.13:
	v_lshlrev_b64 v[8:9], 3, v[66:67]
	v_add_co_u32 v8, s1, v14, v8
	v_add_co_ci_u32_e64 v9, null, v15, v9, s1
	flat_load_dwordx2 v[8:9], v[8:9] offset:512
.LBB127_14:
	s_or_b32 exec_lo, exec_lo, s2
	v_or_b32_e32 v10, 0x80, v66
	s_ashr_i32 s23, s22, 31
	v_cmp_le_i32_e64 s1, s13, v10
	s_nor_b32 s2, s1, s7
	s_and_saveexec_b32 s26, s2
	s_cbranch_execz .LBB127_16
; %bb.15:
	v_lshlrev_b64 v[6:7], 3, v[66:67]
	v_add_co_u32 v6, s2, v14, v6
	v_add_co_ci_u32_e64 v7, null, v15, v7, s2
	flat_load_dwordx2 v[6:7], v[6:7] offset:1024
.LBB127_16:
	s_or_b32 exec_lo, exec_lo, s26
	v_or_b32_e32 v10, 0xc0, v66
	v_mov_b32_e32 v68, -1
	v_mov_b32_e32 v69, 0x7fefffff
	v_cmp_le_i32_e64 s2, s13, v10
	v_mov_b32_e32 v10, v68
	v_mov_b32_e32 v11, v69
	s_nor_b32 s7, s2, s7
	s_and_saveexec_b32 s26, s7
	s_cbranch_execz .LBB127_18
; %bb.17:
	v_lshlrev_b64 v[10:11], 3, v[66:67]
	v_add_co_u32 v10, s7, v14, v10
	v_add_co_ci_u32_e64 v11, null, v15, v11, s7
	flat_load_dwordx2 v[10:11], v[10:11] offset:1536
.LBB127_18:
	s_or_b32 exec_lo, exec_lo, s26
	v_or_b32_e32 v14, 4, v148
	s_xor_b32 s26, s3, -1
	v_cmp_gt_i32_e64 s7, s14, v14
	s_and_b32 s3, s7, s26
	s_and_saveexec_b32 s7, s3
	s_cbranch_execz .LBB127_20
; %bb.19:
	v_mad_i64_i32 v[13:14], null, v13, s27, 0
	v_lshlrev_b64 v[13:14], 3, v[13:14]
	v_add_co_u32 v13, s3, s18, v13
	v_add_co_ci_u32_e64 v14, null, s19, v14, s3
	v_add_co_u32 v13, s3, v13, v78
	v_add_co_ci_u32_e64 v14, null, 0, v14, s3
	flat_load_dwordx2 v[68:69], v[13:14] offset:32
.LBB127_20:
	s_or_b32 exec_lo, exec_lo, s7
	v_add_nc_u32_e32 v16, 4, v149
	v_mov_b32_e32 v71, 0x7fefffff
	v_mov_b32_e32 v70, -1
	v_mad_u64_u32 v[13:14], null, s22, v16, 0
	v_cmp_le_i32_e64 s3, s14, v16
	v_mov_b32_e32 v73, v71
	v_mov_b32_e32 v72, v70
	v_mad_u64_u32 v[14:15], null, s23, v16, v[14:15]
	v_lshlrev_b64 v[13:14], 3, v[13:14]
	v_add_co_u32 v13, s7, s20, v13
	v_add_co_ci_u32_e64 v14, null, s21, v14, s7
	s_nor_b32 s7, vcc_lo, s3
	s_and_saveexec_b32 s29, s7
	s_cbranch_execz .LBB127_22
; %bb.21:
	v_lshlrev_b64 v[15:16], 3, v[66:67]
	v_add_co_u32 v15, s7, v13, v15
	v_add_co_ci_u32_e64 v16, null, v14, v16, s7
	flat_load_dwordx2 v[72:73], v[15:16]
.LBB127_22:
	s_or_b32 exec_lo, exec_lo, s29
	s_nor_b32 s7, s0, s3
	s_and_saveexec_b32 s29, s7
	s_cbranch_execz .LBB127_24
; %bb.23:
	v_lshlrev_b64 v[15:16], 3, v[66:67]
	v_add_co_u32 v15, s7, v13, v15
	v_add_co_ci_u32_e64 v16, null, v14, v16, s7
	flat_load_dwordx2 v[70:71], v[15:16] offset:512
.LBB127_24:
	s_or_b32 exec_lo, exec_lo, s29
	v_mov_b32_e32 v75, 0x7fefffff
	v_mov_b32_e32 v74, -1
	s_nor_b32 s7, s1, s3
	v_mov_b32_e32 v77, v75
	v_mov_b32_e32 v76, v74
	s_and_saveexec_b32 s29, s7
	s_cbranch_execz .LBB127_26
; %bb.25:
	v_lshlrev_b64 v[15:16], 3, v[66:67]
	v_add_co_u32 v15, s7, v13, v15
	v_add_co_ci_u32_e64 v16, null, v14, v16, s7
	flat_load_dwordx2 v[76:77], v[15:16] offset:1024
.LBB127_26:
	s_or_b32 exec_lo, exec_lo, s29
	s_nor_b32 s3, s2, s3
	s_and_saveexec_b32 s7, s3
	s_cbranch_execz .LBB127_28
; %bb.27:
	v_lshlrev_b64 v[15:16], 3, v[66:67]
	v_add_co_u32 v13, s3, v13, v15
	v_add_co_ci_u32_e64 v14, null, v14, v16, s3
	flat_load_dwordx2 v[74:75], v[13:14] offset:1536
.LBB127_28:
	s_or_b32 exec_lo, exec_lo, s7
	v_lshl_or_b32 v80, v79, 5, v78
	v_lshlrev_b32_e32 v151, 5, v0
	s_load_dwordx2 s[8:9], s[8:9], 0x0
	v_lshlrev_b32_e32 v150, 5, v1
	s_cmp_lt_i32 s14, 9
	s_waitcnt vmcnt(0)
	ds_write_b64 v80, v[4:5] offset:16384
	v_lshlrev_b32_e32 v4, 5, v12
	v_lshl_add_u32 v152, v149, 3, v4
	s_waitcnt lgkmcnt(0)
	ds_write2st64_b64 v152, v[2:3], v[8:9] offset1:4
	ds_write2st64_b64 v152, v[6:7], v[10:11] offset0:8 offset1:12
	s_waitcnt lgkmcnt(0)
	s_barrier
	buffer_gl0_inv
	ds_read_b128 v[10:13], v151 offset:16640
	ds_read_b128 v[14:17], v151 offset:16896
	;; [unrolled: 1-line block ×16, first 2 shown]
	ds_read_b128 v[85:88], v150
	ds_read_b128 v[6:9], v150 offset:16
	s_waitcnt lgkmcnt(1)
	v_add_f64 v[89:90], v[83:84], v[87:88]
	v_add_f64 v[91:92], v[81:82], v[85:86]
	s_waitcnt lgkmcnt(0)
	v_add_f64 v[145:146], v[4:5], v[8:9]
	v_add_f64 v[153:154], v[2:3], v[6:7]
	v_cvt_f32_f64_e32 v89, v[89:90]
	v_cvt_f32_f64_e32 v91, v[91:92]
	;; [unrolled: 1-line block ×4, first 2 shown]
	v_min3_f32 v144, v91, v89, 0x7f800000
	v_add_f64 v[89:90], v[12:13], v[87:88]
	v_add_f64 v[91:92], v[10:11], v[85:86]
	v_min3_f32 v224, v147, v145, v144
	v_cvt_f32_f64_e32 v89, v[89:90]
	v_cvt_f32_f64_e32 v91, v[91:92]
	v_min3_f32 v143, v91, v89, 0x7f800000
	v_add_f64 v[89:90], v[16:17], v[87:88]
	v_add_f64 v[91:92], v[14:15], v[85:86]
	v_cvt_f32_f64_e32 v89, v[89:90]
	v_cvt_f32_f64_e32 v91, v[91:92]
	v_min3_f32 v142, v91, v89, 0x7f800000
	v_add_f64 v[89:90], v[20:21], v[87:88]
	v_add_f64 v[91:92], v[18:19], v[85:86]
	;; [unrolled: 5-line block ×5, first 2 shown]
	v_add_f64 v[87:88], v[36:37], v[87:88]
	v_add_f64 v[85:86], v[34:35], v[85:86]
	v_cvt_f32_f64_e32 v89, v[89:90]
	v_cvt_f32_f64_e32 v91, v[91:92]
	;; [unrolled: 1-line block ×4, first 2 shown]
	v_add_f64 v[87:88], v[81:82], v[38:39]
	v_min3_f32 v138, v91, v89, 0x7f800000
	v_min3_f32 v137, v85, v86, 0x7f800000
	v_add_f64 v[85:86], v[83:84], v[40:41]
	v_cvt_f32_f64_e32 v87, v[87:88]
	v_cvt_f32_f64_e32 v85, v[85:86]
	v_min3_f32 v136, v87, v85, 0x7f800000
	v_add_f64 v[85:86], v[12:13], v[40:41]
	v_add_f64 v[87:88], v[10:11], v[38:39]
	v_cvt_f32_f64_e32 v85, v[85:86]
	v_cvt_f32_f64_e32 v87, v[87:88]
	v_min3_f32 v135, v87, v85, 0x7f800000
	v_add_f64 v[85:86], v[16:17], v[40:41]
	;; [unrolled: 5-line block ×6, first 2 shown]
	v_add_f64 v[87:88], v[30:31], v[38:39]
	v_add_f64 v[40:41], v[36:37], v[40:41]
	;; [unrolled: 1-line block ×3, first 2 shown]
	v_cvt_f32_f64_e32 v85, v[85:86]
	v_cvt_f32_f64_e32 v87, v[87:88]
	;; [unrolled: 1-line block ×4, first 2 shown]
	v_add_f64 v[40:41], v[81:82], v[42:43]
	v_min3_f32 v130, v87, v85, 0x7f800000
	v_min3_f32 v129, v38, v39, 0x7f800000
	v_add_f64 v[38:39], v[83:84], v[44:45]
	v_cvt_f32_f64_e32 v40, v[40:41]
	v_cvt_f32_f64_e32 v38, v[38:39]
	v_min3_f32 v128, v40, v38, 0x7f800000
	v_add_f64 v[38:39], v[12:13], v[44:45]
	v_add_f64 v[40:41], v[10:11], v[42:43]
	v_cvt_f32_f64_e32 v38, v[38:39]
	v_cvt_f32_f64_e32 v40, v[40:41]
	v_min3_f32 v127, v40, v38, 0x7f800000
	v_add_f64 v[38:39], v[16:17], v[44:45]
	;; [unrolled: 5-line block ×33, first 2 shown]
	v_add_f64 v[40:41], v[10:11], v[58:59]
	v_add_f64 v[12:13], v[12:13], v[64:65]
	;; [unrolled: 1-line block ×3, first 2 shown]
	v_cvt_f32_f64_e32 v38, v[38:39]
	v_cvt_f32_f64_e32 v40, v[40:41]
	;; [unrolled: 1-line block ×4, first 2 shown]
	v_add_f64 v[12:13], v[14:15], v[62:63]
	v_min3_f32 v95, v40, v38, 0x7f800000
	v_add_f64 v[38:39], v[16:17], v[60:61]
	v_add_f64 v[40:41], v[14:15], v[58:59]
	v_min3_f32 v87, v10, v11, 0x7f800000
	v_add_f64 v[10:11], v[16:17], v[64:65]
	v_cvt_f32_f64_e32 v12, v[12:13]
	v_cvt_f32_f64_e32 v38, v[38:39]
	v_cvt_f32_f64_e32 v40, v[40:41]
	v_cvt_f32_f64_e32 v10, v[10:11]
	v_min3_f32 v94, v40, v38, 0x7f800000
	v_add_f64 v[38:39], v[20:21], v[60:61]
	v_add_f64 v[40:41], v[18:19], v[58:59]
	v_min3_f32 v86, v12, v10, 0x7f800000
	v_add_f64 v[10:11], v[20:21], v[64:65]
	v_add_f64 v[12:13], v[18:19], v[62:63]
	v_cvt_f32_f64_e32 v38, v[38:39]
	v_cvt_f32_f64_e32 v40, v[40:41]
	;; [unrolled: 1-line block ×4, first 2 shown]
	v_min3_f32 v93, v40, v38, 0x7f800000
	v_add_f64 v[38:39], v[24:25], v[60:61]
	v_add_f64 v[40:41], v[22:23], v[58:59]
	v_min3_f32 v85, v12, v10, 0x7f800000
	v_add_f64 v[10:11], v[24:25], v[64:65]
	v_add_f64 v[12:13], v[22:23], v[62:63]
	v_cvt_f32_f64_e32 v38, v[38:39]
	v_cvt_f32_f64_e32 v40, v[40:41]
	;; [unrolled: 1-line block ×4, first 2 shown]
	v_min3_f32 v92, v40, v38, 0x7f800000
	v_add_f64 v[38:39], v[28:29], v[60:61]
	v_add_f64 v[40:41], v[26:27], v[58:59]
	v_cvt_f32_f64_e32 v38, v[38:39]
	v_cvt_f32_f64_e32 v40, v[40:41]
	v_min3_f32 v91, v40, v38, 0x7f800000
	v_add_f64 v[38:39], v[32:33], v[60:61]
	v_add_f64 v[40:41], v[30:31], v[58:59]
	v_cvt_f32_f64_e32 v38, v[38:39]
	v_cvt_f32_f64_e32 v40, v[40:41]
	;; [unrolled: 5-line block ×3, first 2 shown]
	v_min3_f32 v89, v40, v38, 0x7f800000
	v_add_f64 v[38:39], v[83:84], v[64:65]
	v_min3_f32 v84, v12, v10, 0x7f800000
	v_add_f64 v[10:11], v[28:29], v[64:65]
	v_add_f64 v[12:13], v[26:27], v[62:63]
	;; [unrolled: 1-line block ×3, first 2 shown]
	v_cvt_f32_f64_e32 v38, v[38:39]
	v_cvt_f32_f64_e32 v10, v[10:11]
	;; [unrolled: 1-line block ×4, first 2 shown]
	v_min3_f32 v83, v12, v10, 0x7f800000
	v_add_f64 v[10:11], v[32:33], v[64:65]
	v_add_f64 v[12:13], v[30:31], v[62:63]
	v_min3_f32 v88, v40, v38, 0x7f800000
	v_cvt_f32_f64_e32 v10, v[10:11]
	v_cvt_f32_f64_e32 v12, v[12:13]
	v_min3_f32 v82, v12, v10, 0x7f800000
	v_add_f64 v[10:11], v[36:37], v[64:65]
	v_add_f64 v[12:13], v[34:35], v[62:63]
	v_cvt_f32_f64_e32 v10, v[10:11]
	v_cvt_f32_f64_e32 v12, v[12:13]
	v_min3_f32 v81, v12, v10, 0x7f800000
	ds_read_b128 v[34:37], v151 offset:16656
	ds_read_b128 v[30:33], v151 offset:16912
	;; [unrolled: 1-line block ×14, first 2 shown]
	ds_write_b64 v80, v[68:69] offset:18432
	ds_write2st64_b64 v152, v[72:73], v[70:71] offset0:16 offset1:20
	ds_write2st64_b64 v152, v[76:77], v[74:75] offset0:24 offset1:28
	s_waitcnt lgkmcnt(0)
	s_barrier
	buffer_gl0_inv
	v_add_f64 v[144:145], v[36:37], v[8:9]
	v_add_f64 v[146:147], v[34:35], v[6:7]
	v_cvt_f32_f64_e32 v144, v[144:145]
	v_cvt_f32_f64_e32 v146, v[146:147]
	v_min3_f32 v223, v146, v144, v143
	v_add_f64 v[143:144], v[32:33], v[8:9]
	v_add_f64 v[145:146], v[30:31], v[6:7]
	v_cvt_f32_f64_e32 v143, v[143:144]
	v_cvt_f32_f64_e32 v145, v[145:146]
	v_min3_f32 v222, v145, v143, v142
	;; [unrolled: 5-line block ×5, first 2 shown]
	v_add_f64 v[139:140], v[16:17], v[8:9]
	v_add_f64 v[141:142], v[14:15], v[6:7]
	;; [unrolled: 1-line block ×4, first 2 shown]
	v_cvt_f32_f64_e32 v139, v[139:140]
	v_cvt_f32_f64_e32 v141, v[141:142]
	;; [unrolled: 1-line block ×4, first 2 shown]
	v_add_f64 v[8:9], v[2:3], v[62:63]
	v_min3_f32 v218, v141, v139, v138
	v_min3_f32 v217, v6, v7, v137
	v_add_f64 v[6:7], v[4:5], v[64:65]
	v_cvt_f32_f64_e32 v8, v[8:9]
	v_cvt_f32_f64_e32 v6, v[6:7]
	v_min3_f32 v216, v8, v6, v136
	v_add_f64 v[6:7], v[36:37], v[64:65]
	v_add_f64 v[8:9], v[34:35], v[62:63]
	v_cvt_f32_f64_e32 v6, v[6:7]
	v_cvt_f32_f64_e32 v8, v[8:9]
	v_min3_f32 v215, v8, v6, v135
	v_add_f64 v[6:7], v[32:33], v[64:65]
	;; [unrolled: 5-line block ×40, first 2 shown]
	v_add_f64 v[8:9], v[2:3], v[42:43]
	v_add_f64 v[4:5], v[4:5], v[40:41]
	;; [unrolled: 1-line block ×3, first 2 shown]
	v_cvt_f32_f64_e32 v6, v[6:7]
	v_cvt_f32_f64_e32 v8, v[8:9]
	;; [unrolled: 1-line block ×4, first 2 shown]
	v_add_f64 v[4:5], v[34:35], v[38:39]
	v_min3_f32 v168, v8, v6, v96
	v_add_f64 v[6:7], v[36:37], v[44:45]
	v_add_f64 v[8:9], v[34:35], v[42:43]
	v_min3_f32 v160, v2, v3, v88
	v_add_f64 v[2:3], v[36:37], v[40:41]
	v_cvt_f32_f64_e32 v4, v[4:5]
	v_cvt_f32_f64_e32 v6, v[6:7]
	v_cvt_f32_f64_e32 v8, v[8:9]
	v_cvt_f32_f64_e32 v2, v[2:3]
	v_min3_f32 v167, v8, v6, v95
	v_add_f64 v[6:7], v[32:33], v[44:45]
	v_add_f64 v[8:9], v[30:31], v[42:43]
	v_min3_f32 v159, v4, v2, v87
	v_add_f64 v[2:3], v[32:33], v[40:41]
	v_add_f64 v[4:5], v[30:31], v[38:39]
	v_cvt_f32_f64_e32 v6, v[6:7]
	v_cvt_f32_f64_e32 v8, v[8:9]
	v_cvt_f32_f64_e32 v2, v[2:3]
	v_cvt_f32_f64_e32 v4, v[4:5]
	v_min3_f32 v166, v8, v6, v94
	v_add_f64 v[6:7], v[28:29], v[44:45]
	v_add_f64 v[8:9], v[26:27], v[42:43]
	v_min3_f32 v158, v4, v2, v86
	v_add_f64 v[2:3], v[28:29], v[40:41]
	;; [unrolled: 10-line block ×6, first 2 shown]
	v_add_f64 v[4:5], v[10:11], v[38:39]
	v_cvt_f32_f64_e32 v6, v[6:7]
	v_cvt_f32_f64_e32 v8, v[8:9]
	;; [unrolled: 1-line block ×4, first 2 shown]
	v_min3_f32 v161, v8, v6, v89
	v_min3_f32 v153, v4, v2, v81
	s_cbranch_scc1 .LBB127_51
; %bb.29:
	v_lshl_add_u32 v2, s6, 6, v79
	s_lshl_b32 s3, s28, 6
	v_add_nc_u32_e32 v6, 8, v149
	v_add_nc_u32_e32 v8, 12, v149
	v_lshlrev_b64 v[4:5], 3, v[66:67]
	v_subrev_nc_u32_e32 v2, s3, v2
	v_add_nc_u32_e32 v174, 0x4000, v80
	v_mad_i64_i32 v[6:7], null, v6, s22, 0
	v_or_b32_e32 v175, 0x4000, v151
	v_mad_i64_i32 v[2:3], null, s27, v2, 0
	v_add_nc_u32_e32 v176, 0x4800, v80
	v_add_nc_u32_e32 v177, 0x2000, v152
	v_lshl_add_u32 v178, v0, 5, 0x4800
	v_lshlrev_b64 v[130:131], 3, v[6:7]
	v_lshl_or_b32 v179, v1, 5, 0x2000
	v_mov_b32_e32 v136, -1
	v_lshlrev_b64 v[2:3], 3, v[2:3]
	v_mov_b32_e32 v137, 0x7fefffff
	s_add_i32 s7, s14, -8
	v_add_co_u32 v9, s3, v2, v78
	v_add_co_ci_u32_e64 v10, null, 0, v3, s3
	v_mad_i64_i32 v[2:3], null, v8, s22, 0
	v_add_co_u32 v8, s3, s18, v9
	v_add_co_ci_u32_e64 v9, null, s19, v10, s3
	s_lshl_b64 s[18:19], s[22:23], 6
	v_add_co_u32 v132, s3, v8, 64
	v_add_co_ci_u32_e64 v133, null, 0, v9, s3
	v_add_co_u32 v182, s3, s20, v4
	v_lshlrev_b64 v[134:135], 3, v[2:3]
	v_add_co_ci_u32_e64 v183, null, s21, v5, s3
	s_mov_b32 s20, 0
	s_branch .LBB127_31
.LBB127_30:                             ;   in Loop: Header=BB127_31 Depth=1
	s_or_b32 exec_lo, exec_lo, s6
	v_add_f64 v[225:226], v[100:101], v[128:129]
	v_add_f64 v[227:228], v[98:99], v[126:127]
	v_add_co_u32 v132, s3, v132, 64
	v_add_co_ci_u32_e64 v133, null, 0, v133, s3
	v_add_co_u32 v182, s3, v182, s18
	v_add_co_ci_u32_e64 v183, null, s19, v183, s3
	s_add_i32 s20, s20, 8
	s_cmp_ge_i32 s20, s7
	v_cvt_f32_f64_e32 v225, v[225:226]
	v_cvt_f32_f64_e32 v227, v[227:228]
	v_min3_f32 v224, v227, v225, v224
	v_add_f64 v[225:226], v[96:97], v[128:129]
	v_add_f64 v[227:228], v[94:95], v[126:127]
	v_cvt_f32_f64_e32 v225, v[225:226]
	v_cvt_f32_f64_e32 v227, v[227:228]
	v_min3_f32 v223, v227, v225, v223
	v_add_f64 v[225:226], v[92:93], v[128:129]
	v_add_f64 v[227:228], v[90:91], v[126:127]
	v_cvt_f32_f64_e32 v225, v[225:226]
	v_cvt_f32_f64_e32 v227, v[227:228]
	v_min3_f32 v222, v227, v225, v222
	v_add_f64 v[225:226], v[88:89], v[128:129]
	v_add_f64 v[227:228], v[86:87], v[126:127]
	v_cvt_f32_f64_e32 v225, v[225:226]
	v_cvt_f32_f64_e32 v227, v[227:228]
	v_min3_f32 v221, v227, v225, v221
	v_add_f64 v[225:226], v[84:85], v[128:129]
	v_add_f64 v[227:228], v[82:83], v[126:127]
	v_cvt_f32_f64_e32 v225, v[225:226]
	v_cvt_f32_f64_e32 v227, v[227:228]
	v_min3_f32 v220, v227, v225, v220
	v_add_f64 v[225:226], v[80:81], v[128:129]
	v_add_f64 v[227:228], v[78:79], v[126:127]
	v_cvt_f32_f64_e32 v225, v[225:226]
	v_cvt_f32_f64_e32 v227, v[227:228]
	v_min3_f32 v219, v227, v225, v219
	v_add_f64 v[225:226], v[72:73], v[128:129]
	v_add_f64 v[227:228], v[70:71], v[126:127]
	v_add_f64 v[128:129], v[68:69], v[128:129]
	v_add_f64 v[126:127], v[66:67], v[126:127]
	v_cvt_f32_f64_e32 v225, v[225:226]
	v_cvt_f32_f64_e32 v227, v[227:228]
	v_cvt_f32_f64_e32 v126, v[126:127]
	v_cvt_f32_f64_e32 v127, v[128:129]
	v_add_f64 v[128:129], v[98:99], v[122:123]
	v_min3_f32 v218, v227, v225, v218
	v_min3_f32 v217, v126, v127, v217
	v_add_f64 v[126:127], v[100:101], v[124:125]
	v_cvt_f32_f64_e32 v128, v[128:129]
	v_cvt_f32_f64_e32 v126, v[126:127]
	v_min3_f32 v216, v128, v126, v216
	v_add_f64 v[126:127], v[96:97], v[124:125]
	v_add_f64 v[128:129], v[94:95], v[122:123]
	v_cvt_f32_f64_e32 v126, v[126:127]
	v_cvt_f32_f64_e32 v128, v[128:129]
	v_min3_f32 v215, v128, v126, v215
	v_add_f64 v[126:127], v[92:93], v[124:125]
	v_add_f64 v[128:129], v[90:91], v[122:123]
	v_cvt_f32_f64_e32 v126, v[126:127]
	v_cvt_f32_f64_e32 v128, v[128:129]
	v_min3_f32 v214, v128, v126, v214
	v_add_f64 v[126:127], v[88:89], v[124:125]
	v_add_f64 v[128:129], v[86:87], v[122:123]
	v_cvt_f32_f64_e32 v126, v[126:127]
	v_cvt_f32_f64_e32 v128, v[128:129]
	v_min3_f32 v213, v128, v126, v213
	v_add_f64 v[126:127], v[84:85], v[124:125]
	v_add_f64 v[128:129], v[82:83], v[122:123]
	v_cvt_f32_f64_e32 v126, v[126:127]
	v_cvt_f32_f64_e32 v128, v[128:129]
	v_min3_f32 v212, v128, v126, v212
	v_add_f64 v[126:127], v[80:81], v[124:125]
	v_add_f64 v[128:129], v[78:79], v[122:123]
	v_cvt_f32_f64_e32 v126, v[126:127]
	v_cvt_f32_f64_e32 v128, v[128:129]
	v_min3_f32 v211, v128, v126, v211
	v_add_f64 v[126:127], v[72:73], v[124:125]
	v_add_f64 v[128:129], v[70:71], v[122:123]
	v_add_f64 v[124:125], v[68:69], v[124:125]
	v_add_f64 v[122:123], v[66:67], v[122:123]
	v_cvt_f32_f64_e32 v126, v[126:127]
	v_cvt_f32_f64_e32 v128, v[128:129]
	v_cvt_f32_f64_e32 v122, v[122:123]
	v_cvt_f32_f64_e32 v123, v[124:125]
	v_add_f64 v[124:125], v[98:99], v[118:119]
	v_min3_f32 v210, v128, v126, v210
	v_min3_f32 v209, v122, v123, v209
	v_add_f64 v[122:123], v[100:101], v[120:121]
	;; [unrolled: 40-line block ×3, first 2 shown]
	v_cvt_f32_f64_e32 v120, v[120:121]
	v_cvt_f32_f64_e32 v118, v[118:119]
	v_min3_f32 v200, v120, v118, v200
	v_add_f64 v[118:119], v[96:97], v[116:117]
	v_add_f64 v[120:121], v[94:95], v[114:115]
	v_cvt_f32_f64_e32 v118, v[118:119]
	v_cvt_f32_f64_e32 v120, v[120:121]
	v_min3_f32 v199, v120, v118, v199
	v_add_f64 v[118:119], v[92:93], v[116:117]
	v_add_f64 v[120:121], v[90:91], v[114:115]
	;; [unrolled: 5-line block ×3, first 2 shown]
	v_cvt_f32_f64_e32 v118, v[118:119]
	v_cvt_f32_f64_e32 v120, v[120:121]
	v_add_f64 v[121:122], v[82:83], v[114:115]
	v_min3_f32 v118, v120, v118, v197
	v_add_f64 v[119:120], v[84:85], v[116:117]
	v_cvt_f32_f64_e32 v121, v[121:122]
	v_add_f64 v[122:123], v[78:79], v[114:115]
	v_cvt_f32_f64_e32 v119, v[119:120]
	v_cvt_f32_f64_e32 v122, v[122:123]
	v_add_f64 v[123:124], v[70:71], v[114:115]
	v_add_f64 v[114:115], v[66:67], v[114:115]
	v_min3_f32 v119, v121, v119, v196
	v_add_f64 v[120:121], v[80:81], v[116:117]
	v_cvt_f32_f64_e32 v123, v[123:124]
	v_cvt_f32_f64_e32 v114, v[114:115]
	v_add_f64 v[124:125], v[90:91], v[110:111]
	v_cvt_f32_f64_e32 v120, v[120:121]
	v_min3_f32 v120, v122, v120, v195
	v_add_f64 v[121:122], v[72:73], v[116:117]
	v_add_f64 v[116:117], v[68:69], v[116:117]
	v_cvt_f32_f64_e32 v121, v[121:122]
	v_cvt_f32_f64_e32 v115, v[116:117]
	v_min3_f32 v121, v123, v121, v194
	v_min3_f32 v114, v114, v115, v193
	v_add_f64 v[115:116], v[100:101], v[112:113]
	v_add_f64 v[122:123], v[98:99], v[110:111]
	v_cvt_f32_f64_e32 v115, v[115:116]
	v_cvt_f32_f64_e32 v117, v[122:123]
	v_add_f64 v[122:123], v[94:95], v[110:111]
	v_min3_f32 v115, v117, v115, v192
	v_add_f64 v[116:117], v[96:97], v[112:113]
	v_cvt_f32_f64_e32 v122, v[122:123]
	v_cvt_f32_f64_e32 v116, v[116:117]
	;; [unrolled: 1-line block ×3, first 2 shown]
	v_add_f64 v[124:125], v[86:87], v[110:111]
	v_min3_f32 v116, v122, v116, v191
	v_add_f64 v[122:123], v[92:93], v[112:113]
	v_cvt_f32_f64_e32 v124, v[124:125]
	v_add_f64 v[125:126], v[82:83], v[110:111]
	v_cvt_f32_f64_e32 v122, v[122:123]
	v_cvt_f32_f64_e32 v125, v[125:126]
	v_add_f64 v[126:127], v[78:79], v[110:111]
	v_min3_f32 v117, v117, v122, v190
	v_add_f64 v[122:123], v[88:89], v[112:113]
	v_cvt_f32_f64_e32 v126, v[126:127]
	v_add_f64 v[127:128], v[70:71], v[110:111]
	v_add_f64 v[110:111], v[66:67], v[110:111]
	v_cvt_f32_f64_e32 v122, v[122:123]
	v_cvt_f32_f64_e32 v127, v[127:128]
	;; [unrolled: 1-line block ×3, first 2 shown]
	v_min3_f32 v122, v124, v122, v189
	v_add_f64 v[123:124], v[84:85], v[112:113]
	v_cvt_f32_f64_e32 v123, v[123:124]
	v_min3_f32 v123, v125, v123, v188
	v_add_f64 v[124:125], v[80:81], v[112:113]
	v_cvt_f32_f64_e32 v124, v[124:125]
	v_min3_f32 v124, v126, v124, v187
	v_add_f64 v[125:126], v[72:73], v[112:113]
	v_add_f64 v[112:113], v[68:69], v[112:113]
	v_cvt_f32_f64_e32 v125, v[125:126]
	v_cvt_f32_f64_e32 v111, v[112:113]
	v_min3_f32 v125, v127, v125, v186
	v_min3_f32 v112, v110, v111, v185
	v_add_f64 v[110:111], v[100:101], v[108:109]
	v_add_f64 v[126:127], v[98:99], v[106:107]
	v_cvt_f32_f64_e32 v110, v[110:111]
	v_cvt_f32_f64_e32 v113, v[126:127]
	v_add_f64 v[126:127], v[94:95], v[106:107]
	v_min3_f32 v113, v113, v110, v184
	v_add_f64 v[110:111], v[96:97], v[108:109]
	v_cvt_f32_f64_e32 v126, v[126:127]
	v_add_f64 v[127:128], v[90:91], v[106:107]
	v_cvt_f32_f64_e32 v110, v[110:111]
	v_cvt_f32_f64_e32 v127, v[127:128]
	v_add_f64 v[128:129], v[86:87], v[106:107]
	v_min3_f32 v126, v126, v110, v181
	v_add_f64 v[110:111], v[92:93], v[108:109]
	v_cvt_f32_f64_e32 v128, v[128:129]
	v_cvt_f32_f64_e32 v110, v[110:111]
	v_min3_f32 v127, v127, v110, v180
	v_add_f64 v[110:111], v[88:89], v[108:109]
	v_add_f64 v[180:181], v[82:83], v[106:107]
	v_cvt_f32_f64_e32 v110, v[110:111]
	v_cvt_f32_f64_e32 v129, v[180:181]
	v_min3_f32 v128, v128, v110, v173
	v_add_f64 v[110:111], v[84:85], v[108:109]
	v_cvt_f32_f64_e32 v110, v[110:111]
	v_min3_f32 v129, v129, v110, v172
	v_add_f64 v[110:111], v[80:81], v[108:109]
	v_add_f64 v[172:173], v[78:79], v[106:107]
	v_cvt_f32_f64_e32 v110, v[110:111]
	v_cvt_f32_f64_e32 v172, v[172:173]
	v_min3_f32 v171, v172, v110, v171
	v_add_f64 v[110:111], v[72:73], v[108:109]
	v_add_f64 v[172:173], v[70:71], v[106:107]
	;; [unrolled: 1-line block ×4, first 2 shown]
	v_cvt_f32_f64_e32 v110, v[110:111]
	v_cvt_f32_f64_e32 v172, v[172:173]
	v_cvt_f32_f64_e32 v106, v[106:107]
	v_cvt_f32_f64_e32 v107, v[108:109]
	v_add_f64 v[108:109], v[98:99], v[102:103]
	v_add_f64 v[98:99], v[98:99], v[74:75]
	v_min3_f32 v170, v172, v110, v170
	v_min3_f32 v169, v106, v107, v169
	v_add_f64 v[106:107], v[100:101], v[104:105]
	v_cvt_f32_f64_e32 v108, v[108:109]
	v_add_f64 v[100:101], v[100:101], v[76:77]
	v_cvt_f32_f64_e32 v98, v[98:99]
	v_cvt_f32_f64_e32 v106, v[106:107]
	;; [unrolled: 1-line block ×3, first 2 shown]
	v_min3_f32 v168, v108, v106, v168
	v_add_f64 v[106:107], v[96:97], v[104:105]
	v_add_f64 v[108:109], v[94:95], v[102:103]
	;; [unrolled: 1-line block ×4, first 2 shown]
	v_min3_f32 v98, v98, v99, v160
	v_add_f64 v[99:100], v[10:11], v[46:47]
	v_cvt_f32_f64_e32 v106, v[106:107]
	v_cvt_f32_f64_e32 v108, v[108:109]
	v_add_f64 v[109:110], v[90:91], v[102:103]
	v_add_f64 v[90:91], v[90:91], v[74:75]
	v_cvt_f32_f64_e32 v94, v[94:95]
	v_cvt_f32_f64_e32 v95, v[96:97]
	v_min3_f32 v106, v108, v106, v167
	v_add_f64 v[107:108], v[92:93], v[104:105]
	v_cvt_f32_f64_e32 v109, v[109:110]
	v_add_f64 v[110:111], v[86:87], v[102:103]
	v_add_f64 v[86:87], v[86:87], v[74:75]
	;; [unrolled: 1-line block ×3, first 2 shown]
	v_cvt_f32_f64_e32 v90, v[90:91]
	v_min3_f32 v94, v94, v95, v159
	v_add_f64 v[95:96], v[6:7], v[50:51]
	v_cvt_f32_f64_e32 v107, v[107:108]
	v_cvt_f32_f64_e32 v110, v[110:111]
	;; [unrolled: 1-line block ×4, first 2 shown]
	v_min3_f32 v107, v109, v107, v166
	v_add_f64 v[108:109], v[88:89], v[104:105]
	v_add_f64 v[88:89], v[88:89], v[76:77]
	v_min3_f32 v90, v90, v91, v158
	v_add_f64 v[91:92], v[26:27], v[50:51]
	v_cvt_f32_f64_e32 v108, v[108:109]
	v_cvt_f32_f64_e32 v87, v[88:89]
	v_min3_f32 v108, v110, v108, v165
	v_add_f64 v[109:110], v[84:85], v[104:105]
	v_add_f64 v[165:166], v[82:83], v[102:103]
	;; [unrolled: 1-line block ×4, first 2 shown]
	v_min3_f32 v86, v86, v87, v157
	v_add_f64 v[87:88], v[14:15], v[54:55]
	v_cvt_f32_f64_e32 v109, v[109:110]
	v_cvt_f32_f64_e32 v111, v[165:166]
	;; [unrolled: 1-line block ×4, first 2 shown]
	v_min3_f32 v109, v111, v109, v164
	v_add_f64 v[110:111], v[80:81], v[104:105]
	v_add_f64 v[164:165], v[78:79], v[102:103]
	;; [unrolled: 1-line block ×4, first 2 shown]
	v_min3_f32 v82, v82, v83, v156
	v_add_f64 v[83:84], v[10:11], v[58:59]
	v_cvt_f32_f64_e32 v110, v[110:111]
	v_cvt_f32_f64_e32 v164, v[164:165]
	v_add_f64 v[165:166], v[70:71], v[102:103]
	v_add_f64 v[102:103], v[66:67], v[102:103]
	;; [unrolled: 1-line block ×5, first 2 shown]
	v_cvt_f32_f64_e32 v78, v[78:79]
	v_cvt_f32_f64_e32 v79, v[80:81]
	v_min3_f32 v110, v164, v110, v163
	v_add_f64 v[163:164], v[72:73], v[104:105]
	v_add_f64 v[104:105], v[68:69], v[104:105]
	;; [unrolled: 1-line block ×4, first 2 shown]
	v_cvt_f32_f64_e32 v66, v[66:67]
	v_cvt_f32_f64_e32 v70, v[70:71]
	v_add_f64 v[76:77], v[14:15], v[62:63]
	v_min3_f32 v78, v78, v79, v155
	v_add_f64 v[79:80], v[26:27], v[58:59]
	v_cvt_f32_f64_e32 v102, v[102:103]
	v_cvt_f32_f64_e32 v111, v[165:166]
	;; [unrolled: 1-line block ×6, first 2 shown]
	v_add_f64 v[68:69], v[34:35], v[62:63]
	v_min3_f32 v111, v111, v163, v162
	v_min3_f32 v102, v102, v103, v161
	;; [unrolled: 1-line block ×3, first 2 shown]
	v_add_f64 v[66:67], v[36:37], v[64:65]
	v_cvt_f32_f64_e32 v68, v[68:69]
	v_min3_f32 v71, v70, v71, v154
	v_add_f64 v[69:70], v[30:31], v[62:63]
	v_cvt_f32_f64_e32 v66, v[66:67]
	v_cvt_f32_f64_e32 v69, v[69:70]
	;; [unrolled: 1-line block ×3, first 2 shown]
	v_add_f64 v[74:75], v[18:19], v[62:63]
	v_min3_f32 v66, v68, v66, v224
	v_add_f64 v[67:68], v[32:33], v[64:65]
	v_cvt_f32_f64_e32 v72, v[74:75]
	v_add_f64 v[74:75], v[16:17], v[64:65]
	v_cvt_f32_f64_e32 v67, v[67:68]
	v_min3_f32 v67, v69, v67, v223
	v_add_f64 v[68:69], v[28:29], v[64:65]
	v_cvt_f32_f64_e32 v68, v[68:69]
	v_min3_f32 v68, v70, v68, v222
	v_add_f64 v[69:70], v[20:21], v[64:65]
	v_cvt_f32_f64_e32 v69, v[69:70]
	v_cvt_f32_f64_e32 v70, v[76:77]
	v_add_f64 v[76:77], v[10:11], v[62:63]
	v_min3_f32 v69, v72, v69, v221
	v_cvt_f32_f64_e32 v72, v[74:75]
	v_add_f64 v[74:75], v[12:13], v[64:65]
	v_min3_f32 v70, v70, v72, v220
	v_cvt_f32_f64_e32 v72, v[76:77]
	v_cvt_f32_f64_e32 v74, v[74:75]
	v_add_f64 v[76:77], v[6:7], v[62:63]
	v_add_f64 v[62:63], v[2:3], v[62:63]
	v_min3_f32 v72, v72, v74, v219
	v_add_f64 v[74:75], v[8:9], v[64:65]
	v_add_f64 v[64:65], v[4:5], v[64:65]
	v_cvt_f32_f64_e32 v76, v[76:77]
	v_cvt_f32_f64_e32 v62, v[62:63]
	;; [unrolled: 1-line block ×4, first 2 shown]
	v_min3_f32 v74, v76, v74, v218
	v_min3_f32 v62, v62, v63, v217
	v_add_f64 v[63:64], v[36:37], v[60:61]
	v_add_f64 v[75:76], v[34:35], v[58:59]
	v_cvt_f32_f64_e32 v63, v[63:64]
	v_cvt_f32_f64_e32 v65, v[75:76]
	v_add_f64 v[75:76], v[30:31], v[58:59]
	v_min3_f32 v63, v65, v63, v216
	v_add_f64 v[64:65], v[32:33], v[60:61]
	v_cvt_f32_f64_e32 v75, v[75:76]
	v_cvt_f32_f64_e32 v64, v[64:65]
	;; [unrolled: 1-line block ×3, first 2 shown]
	v_add_f64 v[79:80], v[18:19], v[58:59]
	v_min3_f32 v64, v75, v64, v215
	v_add_f64 v[75:76], v[28:29], v[60:61]
	v_cvt_f32_f64_e32 v77, v[79:80]
	v_add_f64 v[79:80], v[14:15], v[58:59]
	v_cvt_f32_f64_e32 v75, v[75:76]
	v_cvt_f32_f64_e32 v79, v[79:80]
	v_min3_f32 v65, v65, v75, v214
	v_add_f64 v[75:76], v[20:21], v[60:61]
	v_cvt_f32_f64_e32 v75, v[75:76]
	v_min3_f32 v75, v77, v75, v213
	v_add_f64 v[76:77], v[16:17], v[60:61]
	v_cvt_f32_f64_e32 v76, v[76:77]
	v_cvt_f32_f64_e32 v77, v[83:84]
	v_add_f64 v[83:84], v[6:7], v[58:59]
	v_add_f64 v[58:59], v[2:3], v[58:59]
	v_min3_f32 v76, v79, v76, v212
	v_add_f64 v[79:80], v[12:13], v[60:61]
	v_cvt_f32_f64_e32 v81, v[83:84]
	v_cvt_f32_f64_e32 v58, v[58:59]
	v_add_f64 v[83:84], v[26:27], v[54:55]
	v_cvt_f32_f64_e32 v79, v[79:80]
	v_min3_f32 v77, v77, v79, v211
	v_add_f64 v[79:80], v[8:9], v[60:61]
	v_add_f64 v[60:61], v[4:5], v[60:61]
	v_cvt_f32_f64_e32 v79, v[79:80]
	v_cvt_f32_f64_e32 v59, v[60:61]
	v_min3_f32 v79, v81, v79, v210
	v_min3_f32 v58, v58, v59, v209
	v_add_f64 v[59:60], v[36:37], v[56:57]
	v_add_f64 v[80:81], v[34:35], v[54:55]
	v_cvt_f32_f64_e32 v59, v[59:60]
	v_cvt_f32_f64_e32 v61, v[80:81]
	v_add_f64 v[80:81], v[30:31], v[54:55]
	v_min3_f32 v59, v61, v59, v208
	v_add_f64 v[60:61], v[32:33], v[56:57]
	v_cvt_f32_f64_e32 v80, v[80:81]
	v_cvt_f32_f64_e32 v60, v[60:61]
	;; [unrolled: 1-line block ×3, first 2 shown]
	v_add_f64 v[83:84], v[18:19], v[54:55]
	v_min3_f32 v60, v80, v60, v207
	v_add_f64 v[80:81], v[28:29], v[56:57]
	v_cvt_f32_f64_e32 v83, v[83:84]
	v_cvt_f32_f64_e32 v80, v[80:81]
	v_min3_f32 v61, v61, v80, v206
	v_add_f64 v[80:81], v[20:21], v[56:57]
	v_cvt_f32_f64_e32 v80, v[80:81]
	v_cvt_f32_f64_e32 v81, v[87:88]
	v_add_f64 v[87:88], v[10:11], v[54:55]
	v_min3_f32 v80, v83, v80, v205
	v_add_f64 v[83:84], v[16:17], v[56:57]
	v_cvt_f32_f64_e32 v85, v[87:88]
	v_add_f64 v[87:88], v[6:7], v[54:55]
	v_add_f64 v[54:55], v[2:3], v[54:55]
	v_cvt_f32_f64_e32 v83, v[83:84]
	v_cvt_f32_f64_e32 v87, v[87:88]
	;; [unrolled: 1-line block ×3, first 2 shown]
	v_min3_f32 v81, v81, v83, v204
	v_add_f64 v[83:84], v[12:13], v[56:57]
	v_cvt_f32_f64_e32 v83, v[83:84]
	v_min3_f32 v83, v85, v83, v203
	v_add_f64 v[84:85], v[8:9], v[56:57]
	v_add_f64 v[56:57], v[4:5], v[56:57]
	v_cvt_f32_f64_e32 v84, v[84:85]
	v_cvt_f32_f64_e32 v55, v[56:57]
	v_min3_f32 v84, v87, v84, v202
	v_min3_f32 v54, v54, v55, v201
	v_add_f64 v[55:56], v[36:37], v[52:53]
	v_add_f64 v[87:88], v[34:35], v[50:51]
	v_cvt_f32_f64_e32 v55, v[55:56]
	v_cvt_f32_f64_e32 v57, v[87:88]
	v_add_f64 v[87:88], v[30:31], v[50:51]
	v_min3_f32 v55, v57, v55, v200
	v_add_f64 v[56:57], v[32:33], v[52:53]
	v_cvt_f32_f64_e32 v85, v[87:88]
	v_add_f64 v[87:88], v[28:29], v[52:53]
	v_cvt_f32_f64_e32 v56, v[56:57]
	v_cvt_f32_f64_e32 v57, v[91:92]
	v_add_f64 v[91:92], v[18:19], v[50:51]
	v_min3_f32 v56, v85, v56, v199
	v_cvt_f32_f64_e32 v85, v[87:88]
	v_add_f64 v[87:88], v[20:21], v[52:53]
	v_min3_f32 v57, v57, v85, v198
	v_cvt_f32_f64_e32 v85, v[91:92]
	v_cvt_f32_f64_e32 v87, v[87:88]
	v_add_f64 v[91:92], v[14:15], v[50:51]
	v_min3_f32 v85, v85, v87, v118
	v_add_f64 v[87:88], v[16:17], v[52:53]
	v_cvt_f32_f64_e32 v89, v[91:92]
	v_add_f64 v[91:92], v[10:11], v[50:51]
	v_add_f64 v[50:51], v[2:3], v[50:51]
	v_cvt_f32_f64_e32 v87, v[87:88]
	v_cvt_f32_f64_e32 v91, v[91:92]
	;; [unrolled: 1-line block ×3, first 2 shown]
	v_min3_f32 v87, v89, v87, v119
	v_add_f64 v[88:89], v[12:13], v[52:53]
	v_cvt_f32_f64_e32 v88, v[88:89]
	v_cvt_f32_f64_e32 v89, v[95:96]
	v_add_f64 v[95:96], v[26:27], v[46:47]
	v_min3_f32 v88, v91, v88, v120
	v_add_f64 v[91:92], v[8:9], v[52:53]
	v_add_f64 v[52:53], v[4:5], v[52:53]
	v_cvt_f32_f64_e32 v91, v[91:92]
	v_cvt_f32_f64_e32 v51, v[52:53]
	v_min3_f32 v89, v89, v91, v121
	v_min3_f32 v50, v50, v51, v114
	v_add_f64 v[51:52], v[36:37], v[48:49]
	v_add_f64 v[91:92], v[34:35], v[46:47]
	v_cvt_f32_f64_e32 v51, v[51:52]
	v_cvt_f32_f64_e32 v53, v[91:92]
	v_add_f64 v[91:92], v[30:31], v[46:47]
	v_min3_f32 v51, v53, v51, v115
	v_add_f64 v[52:53], v[32:33], v[48:49]
	v_cvt_f32_f64_e32 v91, v[91:92]
	v_cvt_f32_f64_e32 v52, v[52:53]
	;; [unrolled: 1-line block ×3, first 2 shown]
	v_add_f64 v[95:96], v[18:19], v[46:47]
	v_min3_f32 v52, v91, v52, v116
	v_add_f64 v[91:92], v[28:29], v[48:49]
	v_cvt_f32_f64_e32 v93, v[95:96]
	v_add_f64 v[95:96], v[14:15], v[46:47]
	v_cvt_f32_f64_e32 v91, v[91:92]
	v_cvt_f32_f64_e32 v95, v[95:96]
	v_min3_f32 v53, v53, v91, v117
	v_add_f64 v[91:92], v[20:21], v[48:49]
	v_cvt_f32_f64_e32 v91, v[91:92]
	v_min3_f32 v91, v93, v91, v122
	v_add_f64 v[92:93], v[16:17], v[48:49]
	v_cvt_f32_f64_e32 v92, v[92:93]
	v_cvt_f32_f64_e32 v93, v[99:100]
	v_add_f64 v[99:100], v[6:7], v[46:47]
	v_add_f64 v[46:47], v[2:3], v[46:47]
	v_min3_f32 v92, v95, v92, v123
	v_add_f64 v[95:96], v[12:13], v[48:49]
	v_cvt_f32_f64_e32 v46, v[46:47]
	v_cvt_f32_f64_e32 v95, v[95:96]
	v_min3_f32 v153, v93, v95, v124
	v_add_f64 v[95:96], v[8:9], v[48:49]
	v_add_f64 v[48:49], v[4:5], v[48:49]
	v_cvt_f32_f64_e32 v93, v[99:100]
	v_add_f64 v[99:100], v[26:27], v[42:43]
	v_cvt_f32_f64_e32 v95, v[95:96]
	v_cvt_f32_f64_e32 v47, v[48:49]
	v_min3_f32 v154, v93, v95, v125
	v_min3_f32 v46, v46, v47, v112
	v_add_f64 v[47:48], v[36:37], v[44:45]
	v_add_f64 v[95:96], v[34:35], v[42:43]
	v_cvt_f32_f64_e32 v47, v[47:48]
	v_cvt_f32_f64_e32 v49, v[95:96]
	v_add_f64 v[95:96], v[30:31], v[42:43]
	v_min3_f32 v47, v49, v47, v113
	v_add_f64 v[48:49], v[32:33], v[44:45]
	v_cvt_f32_f64_e32 v93, v[95:96]
	v_add_f64 v[95:96], v[28:29], v[44:45]
	v_cvt_f32_f64_e32 v48, v[48:49]
	v_cvt_f32_f64_e32 v49, v[99:100]
	v_add_f64 v[99:100], v[18:19], v[42:43]
	v_min3_f32 v48, v93, v48, v126
	v_cvt_f32_f64_e32 v93, v[95:96]
	v_add_f64 v[95:96], v[20:21], v[44:45]
	v_min3_f32 v49, v49, v93, v127
	v_cvt_f32_f64_e32 v93, v[99:100]
	v_cvt_f32_f64_e32 v95, v[95:96]
	v_add_f64 v[99:100], v[14:15], v[42:43]
	v_min3_f32 v155, v93, v95, v128
	v_add_f64 v[95:96], v[16:17], v[44:45]
	v_cvt_f32_f64_e32 v93, v[99:100]
	v_add_f64 v[99:100], v[10:11], v[42:43]
	v_cvt_f32_f64_e32 v95, v[95:96]
	v_min3_f32 v156, v93, v95, v129
	v_add_f64 v[95:96], v[12:13], v[44:45]
	v_cvt_f32_f64_e32 v93, v[99:100]
	v_add_f64 v[99:100], v[6:7], v[42:43]
	v_add_f64 v[42:43], v[2:3], v[42:43]
	v_cvt_f32_f64_e32 v95, v[95:96]
	v_cvt_f32_f64_e32 v42, v[42:43]
	v_min3_f32 v157, v93, v95, v171
	v_add_f64 v[95:96], v[8:9], v[44:45]
	v_add_f64 v[44:45], v[4:5], v[44:45]
	v_cvt_f32_f64_e32 v93, v[99:100]
	v_add_f64 v[99:100], v[26:27], v[38:39]
	v_add_f64 v[26:27], v[26:27], v[22:23]
	v_cvt_f32_f64_e32 v95, v[95:96]
	v_cvt_f32_f64_e32 v43, v[44:45]
	;; [unrolled: 1-line block ×3, first 2 shown]
	v_min3_f32 v158, v93, v95, v170
	v_min3_f32 v42, v42, v43, v169
	v_add_f64 v[43:44], v[36:37], v[40:41]
	v_add_f64 v[95:96], v[34:35], v[38:39]
	;; [unrolled: 1-line block ×4, first 2 shown]
	v_cvt_f32_f64_e32 v43, v[43:44]
	v_cvt_f32_f64_e32 v45, v[95:96]
	v_add_f64 v[95:96], v[30:31], v[38:39]
	v_add_f64 v[30:31], v[30:31], v[22:23]
	v_cvt_f32_f64_e32 v34, v[34:35]
	v_cvt_f32_f64_e32 v35, v[36:37]
	v_min3_f32 v43, v45, v43, v168
	v_add_f64 v[44:45], v[32:33], v[40:41]
	v_cvt_f32_f64_e32 v93, v[95:96]
	v_add_f64 v[95:96], v[28:29], v[40:41]
	v_add_f64 v[32:33], v[32:33], v[24:25]
	v_add_f64 v[28:29], v[28:29], v[24:25]
	v_cvt_f32_f64_e32 v30, v[30:31]
	v_min3_f32 v196, v34, v35, v98
	v_cvt_f32_f64_e32 v44, v[44:45]
	v_cvt_f32_f64_e32 v45, v[99:100]
	v_add_f64 v[99:100], v[18:19], v[38:39]
	v_add_f64 v[18:19], v[18:19], v[22:23]
	v_cvt_f32_f64_e32 v31, v[32:33]
	v_cvt_f32_f64_e32 v27, v[28:29]
	v_min3_f32 v44, v93, v44, v106
	v_cvt_f32_f64_e32 v93, v[95:96]
	v_add_f64 v[95:96], v[20:21], v[40:41]
	v_add_f64 v[20:21], v[20:21], v[24:25]
	v_cvt_f32_f64_e32 v18, v[18:19]
	v_min3_f32 v197, v30, v31, v94
	v_min3_f32 v198, v26, v27, v90
	;; [unrolled: 1-line block ×3, first 2 shown]
	v_cvt_f32_f64_e32 v93, v[99:100]
	v_cvt_f32_f64_e32 v95, v[95:96]
	v_add_f64 v[99:100], v[14:15], v[38:39]
	v_add_f64 v[14:15], v[14:15], v[22:23]
	v_cvt_f32_f64_e32 v19, v[20:21]
	v_min3_f32 v159, v93, v95, v108
	v_add_f64 v[95:96], v[16:17], v[40:41]
	v_cvt_f32_f64_e32 v93, v[99:100]
	v_add_f64 v[99:100], v[10:11], v[38:39]
	v_add_f64 v[16:17], v[16:17], v[24:25]
	v_add_f64 v[10:11], v[10:11], v[22:23]
	v_cvt_f32_f64_e32 v14, v[14:15]
	v_min3_f32 v199, v18, v19, v86
	v_cvt_f32_f64_e32 v95, v[95:96]
	v_cvt_f32_f64_e32 v15, v[16:17]
	;; [unrolled: 1-line block ×3, first 2 shown]
	v_min3_f32 v160, v93, v95, v109
	v_add_f64 v[95:96], v[12:13], v[40:41]
	v_cvt_f32_f64_e32 v93, v[99:100]
	v_add_f64 v[99:100], v[6:7], v[38:39]
	v_add_f64 v[38:39], v[2:3], v[38:39]
	;; [unrolled: 1-line block ×5, first 2 shown]
	v_min3_f32 v200, v14, v15, v82
	v_cvt_f32_f64_e32 v95, v[95:96]
	v_cvt_f32_f64_e32 v38, v[38:39]
	v_cvt_f32_f64_e32 v11, v[12:13]
	v_cvt_f32_f64_e32 v6, v[6:7]
	v_cvt_f32_f64_e32 v2, v[2:3]
	v_min3_f32 v161, v93, v95, v110
	v_add_f64 v[95:96], v[8:9], v[40:41]
	v_add_f64 v[40:41], v[4:5], v[40:41]
	;; [unrolled: 1-line block ×4, first 2 shown]
	v_cvt_f32_f64_e32 v93, v[99:100]
	v_min3_f32 v201, v10, v11, v78
	v_cvt_f32_f64_e32 v95, v[95:96]
	v_cvt_f32_f64_e32 v39, v[40:41]
	v_cvt_f32_f64_e32 v7, v[8:9]
	v_cvt_f32_f64_e32 v3, v[4:5]
	v_min3_f32 v180, v93, v95, v111
	v_min3_f32 v181, v38, v39, v102
	;; [unrolled: 1-line block ×4, first 2 shown]
	ds_read_b128 v[6:9], v175 offset:256
	ds_read_b128 v[10:13], v175 offset:512
	;; [unrolled: 1-line block ×14, first 2 shown]
	ds_read_b128 v[97:100], v150
	ds_read_b128 v[34:37], v150 offset:16
	ds_read_b128 v[192:195], v175
	ds_read_b128 v[2:5], v175 offset:16
	s_waitcnt lgkmcnt(1)
	v_add_f64 v[101:102], v[194:195], v[99:100]
	v_add_f64 v[103:104], v[192:193], v[97:98]
	v_cvt_f32_f64_e32 v73, v[101:102]
	v_cvt_f32_f64_e32 v71, v[103:104]
	v_add_f64 v[101:102], v[8:9], v[99:100]
	v_add_f64 v[103:104], v[6:7], v[97:98]
	v_min3_f32 v129, v71, v73, v66
	v_cvt_f32_f64_e32 v71, v[101:102]
	v_cvt_f32_f64_e32 v66, v[103:104]
	v_add_f64 v[101:102], v[10:11], v[97:98]
	v_min3_f32 v128, v66, v71, v67
	v_add_f64 v[66:67], v[12:13], v[99:100]
	v_cvt_f32_f64_e32 v71, v[101:102]
	v_add_f64 v[101:102], v[14:15], v[97:98]
	v_cvt_f32_f64_e32 v66, v[66:67]
	v_min3_f32 v127, v71, v66, v68
	v_add_f64 v[66:67], v[16:17], v[99:100]
	v_cvt_f32_f64_e32 v68, v[101:102]
	v_cvt_f32_f64_e32 v66, v[66:67]
	v_min3_f32 v126, v68, v66, v69
	v_add_f64 v[66:67], v[20:21], v[99:100]
	v_add_f64 v[68:69], v[18:19], v[97:98]
	v_cvt_f32_f64_e32 v66, v[66:67]
	v_cvt_f32_f64_e32 v68, v[68:69]
	v_min3_f32 v125, v68, v66, v70
	v_add_f64 v[66:67], v[24:25], v[99:100]
	v_add_f64 v[68:69], v[22:23], v[97:98]
	v_cvt_f32_f64_e32 v66, v[66:67]
	v_cvt_f32_f64_e32 v68, v[68:69]
	v_min3_f32 v124, v68, v66, v72
	v_add_f64 v[66:67], v[28:29], v[99:100]
	v_add_f64 v[68:69], v[26:27], v[97:98]
	v_cvt_f32_f64_e32 v66, v[66:67]
	v_cvt_f32_f64_e32 v68, v[68:69]
	v_min3_f32 v123, v68, v66, v74
	v_add_f64 v[66:67], v[32:33], v[99:100]
	v_add_f64 v[68:69], v[30:31], v[97:98]
	v_cvt_f32_f64_e32 v66, v[66:67]
	v_cvt_f32_f64_e32 v68, v[68:69]
	v_min3_f32 v122, v68, v66, v62
	v_add_f64 v[66:67], v[194:195], v[40:41]
	v_add_f64 v[68:69], v[192:193], v[38:39]
	v_cvt_f32_f64_e32 v66, v[66:67]
	v_cvt_f32_f64_e32 v62, v[68:69]
	v_min3_f32 v121, v62, v66, v63
	v_add_f64 v[62:63], v[8:9], v[40:41]
	v_add_f64 v[66:67], v[6:7], v[38:39]
	v_cvt_f32_f64_e32 v62, v[62:63]
	v_cvt_f32_f64_e32 v66, v[66:67]
	v_min3_f32 v120, v66, v62, v64
	v_add_f64 v[62:63], v[12:13], v[40:41]
	v_add_f64 v[66:67], v[10:11], v[38:39]
	v_cvt_f32_f64_e32 v62, v[62:63]
	v_cvt_f32_f64_e32 v64, v[66:67]
	v_min3_f32 v119, v64, v62, v65
	v_add_f64 v[62:63], v[16:17], v[40:41]
	v_add_f64 v[64:65], v[14:15], v[38:39]
	v_cvt_f32_f64_e32 v62, v[62:63]
	v_cvt_f32_f64_e32 v64, v[64:65]
	v_min3_f32 v118, v64, v62, v75
	v_add_f64 v[62:63], v[20:21], v[40:41]
	v_add_f64 v[64:65], v[18:19], v[38:39]
	v_cvt_f32_f64_e32 v62, v[62:63]
	v_cvt_f32_f64_e32 v64, v[64:65]
	v_min3_f32 v117, v64, v62, v76
	v_add_f64 v[62:63], v[24:25], v[40:41]
	v_add_f64 v[64:65], v[22:23], v[38:39]
	v_cvt_f32_f64_e32 v62, v[62:63]
	v_cvt_f32_f64_e32 v64, v[64:65]
	v_min3_f32 v116, v64, v62, v77
	v_add_f64 v[62:63], v[28:29], v[40:41]
	v_add_f64 v[64:65], v[26:27], v[38:39]
	v_add_f64 v[40:41], v[32:33], v[40:41]
	;; [unrolled: 1-line block ×3, first 2 shown]
	v_cvt_f32_f64_e32 v62, v[62:63]
	v_cvt_f32_f64_e32 v64, v[64:65]
	;; [unrolled: 1-line block ×4, first 2 shown]
	v_add_f64 v[40:41], v[192:193], v[93:94]
	v_min3_f32 v115, v64, v62, v79
	v_min3_f32 v114, v38, v39, v58
	v_add_f64 v[38:39], v[194:195], v[95:96]
	v_cvt_f32_f64_e32 v40, v[40:41]
	v_cvt_f32_f64_e32 v38, v[38:39]
	v_min3_f32 v113, v40, v38, v59
	v_add_f64 v[38:39], v[8:9], v[95:96]
	v_add_f64 v[40:41], v[6:7], v[93:94]
	v_cvt_f32_f64_e32 v38, v[38:39]
	v_cvt_f32_f64_e32 v40, v[40:41]
	v_min3_f32 v112, v40, v38, v60
	v_add_f64 v[38:39], v[12:13], v[95:96]
	;; [unrolled: 5-line block ×23, first 2 shown]
	v_add_f64 v[40:41], v[30:31], v[166:167]
	s_waitcnt lgkmcnt(0)
	v_add_f64 v[153:154], v[4:5], v[36:37]
	v_cvt_f32_f64_e32 v38, v[38:39]
	v_cvt_f32_f64_e32 v40, v[40:41]
	;; [unrolled: 1-line block ×3, first 2 shown]
	v_min3_f32 v90, v40, v38, v46
	v_add_f64 v[38:39], v[194:195], v[172:173]
	v_add_f64 v[40:41], v[192:193], v[170:171]
	v_cvt_f32_f64_e32 v38, v[38:39]
	v_cvt_f32_f64_e32 v40, v[40:41]
	v_min3_f32 v89, v40, v38, v47
	v_add_f64 v[38:39], v[8:9], v[172:173]
	v_add_f64 v[40:41], v[6:7], v[170:171]
	v_cvt_f32_f64_e32 v38, v[38:39]
	v_cvt_f32_f64_e32 v40, v[40:41]
	;; [unrolled: 5-line block ×5, first 2 shown]
	v_min3_f32 v85, v40, v38, v156
	v_add_f64 v[38:39], v[24:25], v[172:173]
	v_add_f64 v[40:41], v[22:23], v[170:171]
	;; [unrolled: 1-line block ×3, first 2 shown]
	v_cvt_f32_f64_e32 v38, v[38:39]
	v_cvt_f32_f64_e32 v40, v[40:41]
	;; [unrolled: 1-line block ×3, first 2 shown]
	v_min3_f32 v84, v40, v38, v157
	v_add_f64 v[38:39], v[28:29], v[172:173]
	v_add_f64 v[40:41], v[26:27], v[170:171]
	v_min3_f32 v224, v155, v153, v129
	v_cvt_f32_f64_e32 v38, v[38:39]
	v_cvt_f32_f64_e32 v40, v[40:41]
	v_min3_f32 v83, v40, v38, v158
	v_add_f64 v[38:39], v[32:33], v[172:173]
	v_add_f64 v[40:41], v[30:31], v[170:171]
	v_cvt_f32_f64_e32 v38, v[38:39]
	v_cvt_f32_f64_e32 v40, v[40:41]
	v_min3_f32 v82, v40, v38, v42
	v_add_f64 v[38:39], v[194:195], v[186:187]
	v_add_f64 v[40:41], v[192:193], v[184:185]
	v_cvt_f32_f64_e32 v38, v[38:39]
	v_cvt_f32_f64_e32 v40, v[40:41]
	v_min3_f32 v81, v40, v38, v43
	v_add_f64 v[38:39], v[8:9], v[186:187]
	v_add_f64 v[40:41], v[6:7], v[184:185]
	v_add_f64 v[8:9], v[8:9], v[190:191]
	v_add_f64 v[6:7], v[6:7], v[188:189]
	v_cvt_f32_f64_e32 v38, v[38:39]
	v_cvt_f32_f64_e32 v40, v[40:41]
	;; [unrolled: 1-line block ×4, first 2 shown]
	v_add_f64 v[8:9], v[10:11], v[188:189]
	v_min3_f32 v80, v40, v38, v44
	v_add_f64 v[38:39], v[12:13], v[186:187]
	v_add_f64 v[40:41], v[10:11], v[184:185]
	v_min3_f32 v72, v6, v7, v197
	v_add_f64 v[6:7], v[12:13], v[190:191]
	v_cvt_f32_f64_e32 v8, v[8:9]
	v_cvt_f32_f64_e32 v38, v[38:39]
	v_cvt_f32_f64_e32 v40, v[40:41]
	v_cvt_f32_f64_e32 v6, v[6:7]
	v_min3_f32 v79, v40, v38, v45
	v_add_f64 v[38:39], v[16:17], v[186:187]
	v_add_f64 v[40:41], v[14:15], v[184:185]
	v_min3_f32 v71, v8, v6, v198
	v_add_f64 v[6:7], v[16:17], v[190:191]
	v_add_f64 v[8:9], v[14:15], v[188:189]
	v_cvt_f32_f64_e32 v38, v[38:39]
	v_cvt_f32_f64_e32 v40, v[40:41]
	v_cvt_f32_f64_e32 v6, v[6:7]
	v_cvt_f32_f64_e32 v8, v[8:9]
	v_min3_f32 v78, v40, v38, v159
	v_add_f64 v[38:39], v[20:21], v[186:187]
	v_add_f64 v[40:41], v[18:19], v[184:185]
	v_min3_f32 v70, v8, v6, v199
	v_add_f64 v[6:7], v[20:21], v[190:191]
	;; [unrolled: 10-line block ×5, first 2 shown]
	v_add_f64 v[8:9], v[30:31], v[188:189]
	v_cvt_f32_f64_e32 v38, v[38:39]
	v_cvt_f32_f64_e32 v40, v[40:41]
	;; [unrolled: 1-line block ×4, first 2 shown]
	v_min3_f32 v74, v40, v38, v181
	v_add_f64 v[38:39], v[194:195], v[190:191]
	v_add_f64 v[40:41], v[192:193], v[188:189]
	v_min3_f32 v66, v8, v6, v203
	v_cvt_f32_f64_e32 v38, v[38:39]
	v_cvt_f32_f64_e32 v40, v[40:41]
	v_min3_f32 v73, v40, v38, v196
	ds_read_b128 v[22:25], v175 offset:272
	ds_read_b128 v[18:21], v175 offset:528
	;; [unrolled: 1-line block ×14, first 2 shown]
	s_waitcnt vmcnt(0)
	ds_write_b64 v176, v[142:143]
	ds_write2st64_b64 v177, v[138:139], v[140:141] offset1:4
	ds_write2st64_b64 v177, v[144:145], v[146:147] offset0:8 offset1:12
	s_waitcnt lgkmcnt(0)
	s_barrier
	buffer_gl0_inv
	v_add_f64 v[153:154], v[24:25], v[36:37]
	v_add_f64 v[155:156], v[22:23], v[34:35]
	v_cvt_f32_f64_e32 v153, v[153:154]
	v_cvt_f32_f64_e32 v129, v[155:156]
	v_min3_f32 v223, v129, v153, v128
	v_add_f64 v[128:129], v[20:21], v[36:37]
	v_add_f64 v[153:154], v[18:19], v[34:35]
	v_cvt_f32_f64_e32 v128, v[128:129]
	v_cvt_f32_f64_e32 v153, v[153:154]
	v_min3_f32 v222, v153, v128, v127
	;; [unrolled: 5-line block ×5, first 2 shown]
	v_add_f64 v[124:125], v[32:33], v[36:37]
	v_add_f64 v[126:127], v[30:31], v[34:35]
	;; [unrolled: 1-line block ×4, first 2 shown]
	v_cvt_f32_f64_e32 v124, v[124:125]
	v_cvt_f32_f64_e32 v126, v[126:127]
	;; [unrolled: 1-line block ×4, first 2 shown]
	v_add_f64 v[36:37], v[2:3], v[62:63]
	v_min3_f32 v218, v126, v124, v123
	v_min3_f32 v217, v34, v35, v122
	v_add_f64 v[34:35], v[4:5], v[64:65]
	v_cvt_f32_f64_e32 v36, v[36:37]
	v_cvt_f32_f64_e32 v34, v[34:35]
	v_min3_f32 v216, v36, v34, v121
	v_add_f64 v[34:35], v[24:25], v[64:65]
	v_add_f64 v[36:37], v[22:23], v[62:63]
	v_cvt_f32_f64_e32 v34, v[34:35]
	v_cvt_f32_f64_e32 v36, v[36:37]
	v_min3_f32 v215, v36, v34, v120
	v_add_f64 v[34:35], v[20:21], v[64:65]
	;; [unrolled: 5-line block ×40, first 2 shown]
	v_add_f64 v[36:37], v[2:3], v[42:43]
	v_add_f64 v[4:5], v[4:5], v[40:41]
	;; [unrolled: 1-line block ×3, first 2 shown]
	v_cvt_f32_f64_e32 v34, v[34:35]
	v_cvt_f32_f64_e32 v36, v[36:37]
	;; [unrolled: 1-line block ×4, first 2 shown]
	v_add_f64 v[4:5], v[22:23], v[38:39]
	v_min3_f32 v168, v36, v34, v81
	v_add_f64 v[34:35], v[24:25], v[44:45]
	v_add_f64 v[36:37], v[22:23], v[42:43]
	v_min3_f32 v160, v2, v3, v73
	v_add_f64 v[2:3], v[24:25], v[40:41]
	v_cvt_f32_f64_e32 v4, v[4:5]
	v_cvt_f32_f64_e32 v34, v[34:35]
	v_cvt_f32_f64_e32 v36, v[36:37]
	v_cvt_f32_f64_e32 v2, v[2:3]
	v_min3_f32 v167, v36, v34, v80
	v_add_f64 v[34:35], v[20:21], v[44:45]
	v_add_f64 v[36:37], v[18:19], v[42:43]
	v_min3_f32 v159, v4, v2, v72
	v_add_f64 v[2:3], v[20:21], v[40:41]
	v_add_f64 v[4:5], v[18:19], v[38:39]
	v_cvt_f32_f64_e32 v34, v[34:35]
	v_cvt_f32_f64_e32 v36, v[36:37]
	v_cvt_f32_f64_e32 v2, v[2:3]
	v_cvt_f32_f64_e32 v4, v[4:5]
	v_min3_f32 v166, v36, v34, v79
	v_add_f64 v[34:35], v[16:17], v[44:45]
	v_add_f64 v[36:37], v[14:15], v[42:43]
	v_min3_f32 v158, v4, v2, v71
	v_add_f64 v[2:3], v[16:17], v[40:41]
	v_add_f64 v[4:5], v[14:15], v[38:39]
	v_cvt_f32_f64_e32 v34, v[34:35]
	v_cvt_f32_f64_e32 v36, v[36:37]
	v_cvt_f32_f64_e32 v2, v[2:3]
	v_cvt_f32_f64_e32 v4, v[4:5]
	v_min3_f32 v165, v36, v34, v78
	v_add_f64 v[34:35], v[12:13], v[44:45]
	v_add_f64 v[36:37], v[10:11], v[42:43]
	v_min3_f32 v157, v4, v2, v70
	v_add_f64 v[2:3], v[12:13], v[40:41]
	v_add_f64 v[4:5], v[10:11], v[38:39]
	v_cvt_f32_f64_e32 v34, v[34:35]
	v_cvt_f32_f64_e32 v36, v[36:37]
	v_cvt_f32_f64_e32 v2, v[2:3]
	v_cvt_f32_f64_e32 v4, v[4:5]
	v_min3_f32 v164, v36, v34, v77
	v_add_f64 v[34:35], v[8:9], v[44:45]
	v_add_f64 v[36:37], v[6:7], v[42:43]
	v_min3_f32 v156, v4, v2, v69
	v_add_f64 v[2:3], v[8:9], v[40:41]
	v_add_f64 v[4:5], v[6:7], v[38:39]
	v_cvt_f32_f64_e32 v34, v[34:35]
	v_cvt_f32_f64_e32 v36, v[36:37]
	v_cvt_f32_f64_e32 v2, v[2:3]
	v_cvt_f32_f64_e32 v4, v[4:5]
	v_min3_f32 v163, v36, v34, v76
	v_add_f64 v[34:35], v[32:33], v[44:45]
	v_add_f64 v[36:37], v[30:31], v[42:43]
	v_min3_f32 v155, v4, v2, v68
	v_add_f64 v[2:3], v[32:33], v[40:41]
	v_add_f64 v[4:5], v[30:31], v[38:39]
	v_cvt_f32_f64_e32 v34, v[34:35]
	v_cvt_f32_f64_e32 v36, v[36:37]
	v_cvt_f32_f64_e32 v2, v[2:3]
	v_cvt_f32_f64_e32 v4, v[4:5]
	v_min3_f32 v162, v36, v34, v75
	v_add_f64 v[34:35], v[28:29], v[44:45]
	v_add_f64 v[36:37], v[26:27], v[42:43]
	v_min3_f32 v154, v4, v2, v67
	v_add_f64 v[2:3], v[28:29], v[40:41]
	v_add_f64 v[4:5], v[26:27], v[38:39]
	v_cvt_f32_f64_e32 v34, v[34:35]
	v_cvt_f32_f64_e32 v36, v[36:37]
	;; [unrolled: 1-line block ×4, first 2 shown]
	v_min3_f32 v161, v36, v34, v74
	v_min3_f32 v153, v4, v2, v66
	s_cbranch_scc1 .LBB127_51
.LBB127_31:                             ; =>This Inner Loop Header: Depth=1
	v_add_nc_u32_e32 v226, s20, v148
	v_mov_b32_e32 v139, v137
	v_mov_b32_e32 v138, v136
	v_add_nc_u32_e32 v2, 8, v226
	v_cmp_gt_i32_e64 s3, s14, v2
	s_and_b32 s6, s3, s26
	s_and_saveexec_b32 s3, s6
	s_cbranch_execz .LBB127_33
; %bb.32:                               ;   in Loop: Header=BB127_31 Depth=1
	flat_load_dwordx2 v[138:139], v[132:133]
.LBB127_33:                             ;   in Loop: Header=BB127_31 Depth=1
	s_or_b32 exec_lo, exec_lo, s3
	v_add_nc_u32_e32 v225, s20, v149
	v_mov_b32_e32 v141, v137
	v_mov_b32_e32 v140, v136
	v_add_nc_u32_e32 v2, 8, v225
	v_cmp_le_i32_e64 s3, s14, v2
	s_nor_b32 s6, vcc_lo, s3
	s_and_saveexec_b32 s21, s6
	s_cbranch_execz .LBB127_35
; %bb.34:                               ;   in Loop: Header=BB127_31 Depth=1
	v_add_co_u32 v2, s6, v182, v130
	v_add_co_ci_u32_e64 v3, null, v183, v131, s6
	flat_load_dwordx2 v[140:141], v[2:3]
.LBB127_35:                             ;   in Loop: Header=BB127_31 Depth=1
	s_or_b32 exec_lo, exec_lo, s21
	v_mov_b32_e32 v143, v137
	v_mov_b32_e32 v142, v136
	s_nor_b32 s6, s0, s3
	s_and_saveexec_b32 s21, s6
	s_cbranch_execz .LBB127_37
; %bb.36:                               ;   in Loop: Header=BB127_31 Depth=1
	v_add_co_u32 v2, s6, v182, v130
	v_add_co_ci_u32_e64 v3, null, v183, v131, s6
	flat_load_dwordx2 v[142:143], v[2:3] offset:512
.LBB127_37:                             ;   in Loop: Header=BB127_31 Depth=1
	s_or_b32 exec_lo, exec_lo, s21
	v_mov_b32_e32 v145, v137
	v_mov_b32_e32 v144, v136
	s_nor_b32 s6, s1, s3
	s_and_saveexec_b32 s21, s6
	s_cbranch_execz .LBB127_39
; %bb.38:                               ;   in Loop: Header=BB127_31 Depth=1
	v_add_co_u32 v2, s6, v182, v130
	v_add_co_ci_u32_e64 v3, null, v183, v131, s6
	flat_load_dwordx2 v[144:145], v[2:3] offset:1024
.LBB127_39:                             ;   in Loop: Header=BB127_31 Depth=1
	;; [unrolled: 11-line block ×3, first 2 shown]
	s_or_b32 exec_lo, exec_lo, s6
	ds_read_b128 v[126:129], v179
	ds_read_b128 v[62:65], v179 offset:16
	ds_read_b128 v[98:101], v178
	ds_read_b128 v[34:37], v178 offset:16
	ds_read_b128 v[94:97], v178 offset:256
	;; [unrolled: 1-line block ×29, first 2 shown]
	v_add_nc_u32_e32 v226, 12, v226
	s_waitcnt vmcnt(0) lgkmcnt(32)
	ds_write_b64 v174, v[138:139]
	ds_write2st64_b64 v152, v[140:141], v[142:143] offset1:4
	v_mov_b32_e32 v143, v137
	v_mov_b32_e32 v142, v136
	ds_write2st64_b64 v152, v[144:145], v[146:147] offset0:8 offset1:12
	v_cmp_gt_i32_e64 s3, s14, v226
	s_waitcnt lgkmcnt(0)
	s_barrier
	buffer_gl0_inv
	s_and_b32 s6, s3, s26
	s_and_saveexec_b32 s3, s6
	s_cbranch_execz .LBB127_43
; %bb.42:                               ;   in Loop: Header=BB127_31 Depth=1
	flat_load_dwordx2 v[142:143], v[132:133] offset:32
.LBB127_43:                             ;   in Loop: Header=BB127_31 Depth=1
	s_or_b32 exec_lo, exec_lo, s3
	v_add_nc_u32_e32 v138, 12, v225
	v_cmp_le_i32_e64 s3, s14, v138
	v_mov_b32_e32 v139, v137
	v_mov_b32_e32 v138, v136
	s_nor_b32 s6, vcc_lo, s3
	s_and_saveexec_b32 s21, s6
	s_cbranch_execz .LBB127_45
; %bb.44:                               ;   in Loop: Header=BB127_31 Depth=1
	v_add_co_u32 v138, s6, v182, v134
	v_add_co_ci_u32_e64 v139, null, v183, v135, s6
	flat_load_dwordx2 v[138:139], v[138:139]
.LBB127_45:                             ;   in Loop: Header=BB127_31 Depth=1
	s_or_b32 exec_lo, exec_lo, s21
	v_mov_b32_e32 v141, v137
	v_mov_b32_e32 v140, v136
	s_nor_b32 s6, s0, s3
	s_and_saveexec_b32 s21, s6
	s_cbranch_execz .LBB127_47
; %bb.46:                               ;   in Loop: Header=BB127_31 Depth=1
	v_add_co_u32 v140, s6, v182, v134
	v_add_co_ci_u32_e64 v141, null, v183, v135, s6
	flat_load_dwordx2 v[140:141], v[140:141] offset:512
.LBB127_47:                             ;   in Loop: Header=BB127_31 Depth=1
	s_or_b32 exec_lo, exec_lo, s21
	v_mov_b32_e32 v145, v137
	v_mov_b32_e32 v144, v136
	s_nor_b32 s6, s1, s3
	s_and_saveexec_b32 s21, s6
	s_cbranch_execz .LBB127_49
; %bb.48:                               ;   in Loop: Header=BB127_31 Depth=1
	v_add_co_u32 v144, s6, v182, v134
	v_add_co_ci_u32_e64 v145, null, v183, v135, s6
	flat_load_dwordx2 v[144:145], v[144:145] offset:1024
.LBB127_49:                             ;   in Loop: Header=BB127_31 Depth=1
	s_or_b32 exec_lo, exec_lo, s21
	v_mov_b32_e32 v147, v137
	v_mov_b32_e32 v146, v136
	s_nor_b32 s3, s2, s3
	s_and_saveexec_b32 s6, s3
	s_cbranch_execz .LBB127_30
; %bb.50:                               ;   in Loop: Header=BB127_31 Depth=1
	v_add_co_u32 v146, s3, v182, v134
	v_add_co_ci_u32_e64 v147, null, v183, v135, s3
	flat_load_dwordx2 v[146:147], v[146:147] offset:1536
	s_branch .LBB127_30
.LBB127_51:
	s_clause 0x2
	s_load_dwordx2 s[0:1], s[4:5], 0x78
	s_load_dword s18, s[4:5], 0x58
	s_load_dword s14, s[4:5], 0x70
	ds_read_b128 v[70:73], v151 offset:18432
	ds_read_b128 v[66:69], v151 offset:18448
	ds_read_b128 v[126:129], v150 offset:8192
	ds_read_b128 v[122:125], v150 offset:8208
	ds_read_b128 v[62:65], v151 offset:18688
	ds_read_b128 v[58:61], v151 offset:18704
	ds_read_b128 v[54:57], v151 offset:18944
	ds_read_b128 v[50:53], v151 offset:18960
	ds_read_b128 v[46:49], v151 offset:19200
	ds_read_b128 v[42:45], v151 offset:19216
	ds_read_b128 v[38:41], v151 offset:19456
	ds_read_b128 v[34:37], v151 offset:19472
	ds_read_b128 v[30:33], v151 offset:19712
	ds_read_b128 v[26:29], v151 offset:19728
	ds_read_b128 v[22:25], v151 offset:19968
	ds_read_b128 v[18:21], v151 offset:19984
	ds_read_b128 v[6:9], v151 offset:20224
	v_add_nc_u32_e32 v145, s25, v1
	ds_read_b128 v[2:5], v151 offset:20240
	ds_read_b128 v[118:121], v150 offset:9216
	;; [unrolled: 1-line block ×15, first 2 shown]
	v_add_nc_u32_e32 v0, s15, v0
	v_cndmask_b32_e64 v144, 0, 1, s24
	v_ashrrev_i32_e32 v1, 31, v0
	s_waitcnt lgkmcnt(0)
	s_lshl_b64 s[0:1], s[0:1], 3
	v_mad_i64_i32 v[130:131], null, v145, s18, 0
	v_mad_i64_i32 v[132:133], null, v145, s14, 0
	s_add_u32 s19, s8, s0
	s_addc_u32 s9, s9, s1
	v_cmp_gt_i32_e64 s0, s12, v0
	v_cmp_gt_i32_e64 s8, s13, v145
	v_lshlrev_b64 v[130:131], 3, v[130:131]
	v_lshlrev_b64 v[132:133], 3, v[132:133]
	s_and_b32 s2, s0, s8
	v_add_co_u32 v148, vcc_lo, s16, v130
	v_add_co_ci_u32_e64 v149, null, s17, v131, vcc_lo
	v_add_co_u32 v146, vcc_lo, s19, v132
	v_add_co_ci_u32_e64 v147, null, s9, v133, vcc_lo
	s_and_saveexec_b32 s1, s2
	s_cbranch_execz .LBB127_56
; %bb.52:
	s_andn2_b32 vcc_lo, exec_lo, s24
	s_cbranch_vccnz .LBB127_54
; %bb.53:
	v_lshlrev_b64 v[130:131], 3, v[0:1]
	v_add_co_u32 v130, vcc_lo, v148, v130
	v_add_co_ci_u32_e64 v131, null, v149, v131, vcc_lo
	flat_load_dwordx2 v[130:131], v[130:131]
	s_waitcnt vmcnt(0) lgkmcnt(0)
	v_mul_f64 v[130:131], s[10:11], v[130:131]
	v_cvt_f32_f64_e32 v130, v[130:131]
	s_branch .LBB127_55
.LBB127_54:
	v_mov_b32_e32 v130, 0
.LBB127_55:
	v_add_f64 v[131:132], v[70:71], v[126:127]
	v_add_f64 v[133:134], v[72:73], v[128:129]
	;; [unrolled: 1-line block ×4, first 2 shown]
	v_cvt_f32_f64_e32 v131, v[131:132]
	v_cvt_f32_f64_e32 v132, v[133:134]
	;; [unrolled: 1-line block ×4, first 2 shown]
	v_min3_f32 v131, v131, v132, v224
	v_min_f32_e32 v132, v133, v134
	v_min3_f32 v130, v130, v132, v131
	v_lshlrev_b64 v[132:133], 3, v[0:1]
	v_cvt_f64_f32_e32 v[130:131], v130
	v_add_co_u32 v132, vcc_lo, v146, v132
	v_add_co_ci_u32_e64 v133, null, v147, v133, vcc_lo
	flat_store_dwordx2 v[132:133], v[130:131]
.LBB127_56:
	s_or_b32 exec_lo, exec_lo, s1
	v_add_nc_u32_e32 v130, 8, v0
	v_cmp_gt_i32_e64 s1, s12, v130
	v_ashrrev_i32_e32 v131, 31, v130
	s_and_b32 s3, s1, s8
	s_and_saveexec_b32 s2, s3
	s_cbranch_execz .LBB127_61
; %bb.57:
	v_cmp_ne_u32_e32 vcc_lo, 1, v144
	s_cbranch_vccnz .LBB127_59
; %bb.58:
	v_lshlrev_b64 v[132:133], 3, v[130:131]
	v_add_co_u32 v132, vcc_lo, v148, v132
	v_add_co_ci_u32_e64 v133, null, v149, v133, vcc_lo
	flat_load_dwordx2 v[132:133], v[132:133]
	s_waitcnt vmcnt(0) lgkmcnt(0)
	v_mul_f64 v[132:133], s[10:11], v[132:133]
	v_cvt_f32_f64_e32 v132, v[132:133]
	s_branch .LBB127_60
.LBB127_59:
	v_mov_b32_e32 v132, 0
.LBB127_60:
	v_add_f64 v[133:134], v[62:63], v[126:127]
	v_add_f64 v[135:136], v[64:65], v[128:129]
	v_add_f64 v[137:138], v[58:59], v[122:123]
	v_add_f64 v[139:140], v[60:61], v[124:125]
	v_cvt_f32_f64_e32 v133, v[133:134]
	v_cvt_f32_f64_e32 v134, v[135:136]
	v_cvt_f32_f64_e32 v135, v[137:138]
	v_cvt_f32_f64_e32 v136, v[139:140]
	v_min3_f32 v133, v133, v134, v223
	v_min_f32_e32 v134, v135, v136
	v_min3_f32 v132, v132, v134, v133
	v_lshlrev_b64 v[134:135], 3, v[130:131]
	v_cvt_f64_f32_e32 v[132:133], v132
	v_add_co_u32 v134, vcc_lo, v146, v134
	v_add_co_ci_u32_e64 v135, null, v147, v135, vcc_lo
	flat_store_dwordx2 v[134:135], v[132:133]
.LBB127_61:
	s_or_b32 exec_lo, exec_lo, s2
	v_add_nc_u32_e32 v132, 16, v0
	v_cmp_gt_i32_e64 s2, s12, v132
	v_ashrrev_i32_e32 v133, 31, v132
	s_and_b32 s4, s2, s8
	s_and_saveexec_b32 s3, s4
	s_cbranch_execz .LBB127_66
; %bb.62:
	v_cmp_ne_u32_e32 vcc_lo, 1, v144
	s_cbranch_vccnz .LBB127_64
; %bb.63:
	v_lshlrev_b64 v[134:135], 3, v[132:133]
	v_add_co_u32 v134, vcc_lo, v148, v134
	v_add_co_ci_u32_e64 v135, null, v149, v135, vcc_lo
	flat_load_dwordx2 v[134:135], v[134:135]
	s_waitcnt vmcnt(0) lgkmcnt(0)
	v_mul_f64 v[134:135], s[10:11], v[134:135]
	v_cvt_f32_f64_e32 v134, v[134:135]
	s_branch .LBB127_65
.LBB127_64:
	v_mov_b32_e32 v134, 0
.LBB127_65:
	v_add_f64 v[135:136], v[54:55], v[126:127]
	v_add_f64 v[137:138], v[56:57], v[128:129]
	v_add_f64 v[139:140], v[50:51], v[122:123]
	v_add_f64 v[141:142], v[52:53], v[124:125]
	v_cvt_f32_f64_e32 v135, v[135:136]
	v_cvt_f32_f64_e32 v136, v[137:138]
	v_cvt_f32_f64_e32 v137, v[139:140]
	v_cvt_f32_f64_e32 v138, v[141:142]
	v_min3_f32 v135, v135, v136, v222
	v_min_f32_e32 v136, v137, v138
	v_min3_f32 v134, v134, v136, v135
	v_lshlrev_b64 v[136:137], 3, v[132:133]
	v_cvt_f64_f32_e32 v[134:135], v134
	v_add_co_u32 v136, vcc_lo, v146, v136
	v_add_co_ci_u32_e64 v137, null, v147, v137, vcc_lo
	flat_store_dwordx2 v[136:137], v[134:135]
.LBB127_66:
	;; [unrolled: 39-line block ×7, first 2 shown]
	s_or_b32 exec_lo, exec_lo, s8
	v_add_nc_u32_e32 v126, 32, v145
	v_mad_i64_i32 v[122:123], null, v126, s18, 0
	v_mad_i64_i32 v[124:125], null, v126, s14, 0
	v_cmp_gt_i32_e64 s8, s13, v126
	v_lshlrev_b64 v[122:123], 3, v[122:123]
	s_and_b32 s15, s0, s8
	v_lshlrev_b64 v[126:127], 3, v[124:125]
	v_add_co_u32 v124, vcc_lo, s16, v122
	v_add_co_ci_u32_e64 v125, null, s17, v123, vcc_lo
	v_add_co_u32 v122, vcc_lo, s19, v126
	v_add_co_ci_u32_e64 v123, null, s9, v127, vcc_lo
	s_and_saveexec_b32 s12, s15
	s_cbranch_execnz .LBB127_99
; %bb.92:
	s_or_b32 exec_lo, exec_lo, s12
	s_and_b32 s15, s1, s8
	s_and_saveexec_b32 s12, s15
	s_cbranch_execnz .LBB127_103
.LBB127_93:
	s_or_b32 exec_lo, exec_lo, s12
	s_and_b32 s15, s2, s8
	s_and_saveexec_b32 s12, s15
	s_cbranch_execnz .LBB127_107
.LBB127_94:
	s_or_b32 exec_lo, exec_lo, s12
	s_and_b32 s15, s3, s8
	s_and_saveexec_b32 s12, s15
	s_cbranch_execnz .LBB127_111
.LBB127_95:
	s_or_b32 exec_lo, exec_lo, s12
	s_and_b32 s15, s4, s8
	s_and_saveexec_b32 s12, s15
	s_cbranch_execnz .LBB127_115
.LBB127_96:
	s_or_b32 exec_lo, exec_lo, s12
	s_and_b32 s15, s5, s8
	s_and_saveexec_b32 s12, s15
	s_cbranch_execnz .LBB127_119
.LBB127_97:
	s_or_b32 exec_lo, exec_lo, s12
	s_and_b32 s15, s6, s8
	s_and_saveexec_b32 s12, s15
	s_cbranch_execnz .LBB127_123
.LBB127_98:
	s_or_b32 exec_lo, exec_lo, s12
	s_and_b32 s12, s7, s8
	s_and_saveexec_b32 s8, s12
	s_cbranch_execnz .LBB127_127
	s_branch .LBB127_131
.LBB127_99:
	v_cmp_ne_u32_e32 vcc_lo, 1, v144
	s_cbranch_vccnz .LBB127_101
; %bb.100:
	v_lshlrev_b64 v[126:127], 3, v[0:1]
	v_add_co_u32 v126, vcc_lo, v124, v126
	v_add_co_ci_u32_e64 v127, null, v125, v127, vcc_lo
	flat_load_dwordx2 v[126:127], v[126:127]
	s_waitcnt vmcnt(0) lgkmcnt(0)
	v_mul_f64 v[126:127], s[10:11], v[126:127]
	v_cvt_f32_f64_e32 v126, v[126:127]
	s_branch .LBB127_102
.LBB127_101:
	v_mov_b32_e32 v126, 0
.LBB127_102:
	v_add_f64 v[127:128], v[70:71], v[118:119]
	v_add_f64 v[146:147], v[72:73], v[120:121]
	;; [unrolled: 1-line block ×4, first 2 shown]
	v_cvt_f32_f64_e32 v127, v[127:128]
	v_cvt_f32_f64_e32 v128, v[146:147]
	;; [unrolled: 1-line block ×4, first 2 shown]
	v_min3_f32 v127, v127, v128, v216
	v_min_f32_e32 v128, v129, v146
	v_min3_f32 v126, v126, v128, v127
	v_lshlrev_b64 v[128:129], 3, v[0:1]
	v_cvt_f64_f32_e32 v[126:127], v126
	v_add_co_u32 v128, vcc_lo, v122, v128
	v_add_co_ci_u32_e64 v129, null, v123, v129, vcc_lo
	flat_store_dwordx2 v[128:129], v[126:127]
	s_or_b32 exec_lo, exec_lo, s12
	s_and_b32 s15, s1, s8
	s_and_saveexec_b32 s12, s15
	s_cbranch_execz .LBB127_93
.LBB127_103:
	v_cmp_ne_u32_e32 vcc_lo, 1, v144
	s_cbranch_vccnz .LBB127_105
; %bb.104:
	v_lshlrev_b64 v[126:127], 3, v[130:131]
	v_add_co_u32 v126, vcc_lo, v124, v126
	v_add_co_ci_u32_e64 v127, null, v125, v127, vcc_lo
	flat_load_dwordx2 v[126:127], v[126:127]
	s_waitcnt vmcnt(0) lgkmcnt(0)
	v_mul_f64 v[126:127], s[10:11], v[126:127]
	v_cvt_f32_f64_e32 v126, v[126:127]
	s_branch .LBB127_106
.LBB127_105:
	v_mov_b32_e32 v126, 0
.LBB127_106:
	v_add_f64 v[127:128], v[62:63], v[118:119]
	v_add_f64 v[146:147], v[64:65], v[120:121]
	;; [unrolled: 1-line block ×4, first 2 shown]
	v_cvt_f32_f64_e32 v127, v[127:128]
	v_cvt_f32_f64_e32 v128, v[146:147]
	;; [unrolled: 1-line block ×4, first 2 shown]
	v_min3_f32 v127, v127, v128, v215
	v_min_f32_e32 v128, v129, v146
	v_min3_f32 v126, v126, v128, v127
	v_lshlrev_b64 v[128:129], 3, v[130:131]
	v_cvt_f64_f32_e32 v[126:127], v126
	v_add_co_u32 v128, vcc_lo, v122, v128
	v_add_co_ci_u32_e64 v129, null, v123, v129, vcc_lo
	flat_store_dwordx2 v[128:129], v[126:127]
	s_or_b32 exec_lo, exec_lo, s12
	s_and_b32 s15, s2, s8
	s_and_saveexec_b32 s12, s15
	s_cbranch_execz .LBB127_94
.LBB127_107:
	v_cmp_ne_u32_e32 vcc_lo, 1, v144
	s_cbranch_vccnz .LBB127_109
; %bb.108:
	v_lshlrev_b64 v[126:127], 3, v[132:133]
	v_add_co_u32 v126, vcc_lo, v124, v126
	v_add_co_ci_u32_e64 v127, null, v125, v127, vcc_lo
	flat_load_dwordx2 v[126:127], v[126:127]
	s_waitcnt vmcnt(0) lgkmcnt(0)
	v_mul_f64 v[126:127], s[10:11], v[126:127]
	v_cvt_f32_f64_e32 v126, v[126:127]
	s_branch .LBB127_110
.LBB127_109:
	v_mov_b32_e32 v126, 0
.LBB127_110:
	v_add_f64 v[127:128], v[54:55], v[118:119]
	v_add_f64 v[146:147], v[56:57], v[120:121]
	;; [unrolled: 1-line block ×4, first 2 shown]
	v_cvt_f32_f64_e32 v127, v[127:128]
	v_cvt_f32_f64_e32 v128, v[146:147]
	;; [unrolled: 1-line block ×4, first 2 shown]
	v_min3_f32 v127, v127, v128, v214
	v_min_f32_e32 v128, v129, v146
	v_min3_f32 v126, v126, v128, v127
	v_lshlrev_b64 v[128:129], 3, v[132:133]
	v_cvt_f64_f32_e32 v[126:127], v126
	v_add_co_u32 v128, vcc_lo, v122, v128
	v_add_co_ci_u32_e64 v129, null, v123, v129, vcc_lo
	flat_store_dwordx2 v[128:129], v[126:127]
	s_or_b32 exec_lo, exec_lo, s12
	s_and_b32 s15, s3, s8
	s_and_saveexec_b32 s12, s15
	s_cbranch_execz .LBB127_95
.LBB127_111:
	v_cmp_ne_u32_e32 vcc_lo, 1, v144
	s_cbranch_vccnz .LBB127_113
; %bb.112:
	v_lshlrev_b64 v[126:127], 3, v[134:135]
	v_add_co_u32 v126, vcc_lo, v124, v126
	v_add_co_ci_u32_e64 v127, null, v125, v127, vcc_lo
	flat_load_dwordx2 v[126:127], v[126:127]
	s_waitcnt vmcnt(0) lgkmcnt(0)
	v_mul_f64 v[126:127], s[10:11], v[126:127]
	v_cvt_f32_f64_e32 v126, v[126:127]
	s_branch .LBB127_114
.LBB127_113:
	v_mov_b32_e32 v126, 0
.LBB127_114:
	v_add_f64 v[127:128], v[46:47], v[118:119]
	v_add_f64 v[146:147], v[48:49], v[120:121]
	;; [unrolled: 1-line block ×4, first 2 shown]
	v_cvt_f32_f64_e32 v127, v[127:128]
	v_cvt_f32_f64_e32 v128, v[146:147]
	;; [unrolled: 1-line block ×4, first 2 shown]
	v_min3_f32 v127, v127, v128, v213
	v_min_f32_e32 v128, v129, v146
	v_min3_f32 v126, v126, v128, v127
	v_lshlrev_b64 v[128:129], 3, v[134:135]
	v_cvt_f64_f32_e32 v[126:127], v126
	v_add_co_u32 v128, vcc_lo, v122, v128
	v_add_co_ci_u32_e64 v129, null, v123, v129, vcc_lo
	flat_store_dwordx2 v[128:129], v[126:127]
	s_or_b32 exec_lo, exec_lo, s12
	s_and_b32 s15, s4, s8
	s_and_saveexec_b32 s12, s15
	s_cbranch_execz .LBB127_96
.LBB127_115:
	v_cmp_ne_u32_e32 vcc_lo, 1, v144
	s_cbranch_vccnz .LBB127_117
; %bb.116:
	v_lshlrev_b64 v[126:127], 3, v[136:137]
	v_add_co_u32 v126, vcc_lo, v124, v126
	v_add_co_ci_u32_e64 v127, null, v125, v127, vcc_lo
	flat_load_dwordx2 v[126:127], v[126:127]
	s_waitcnt vmcnt(0) lgkmcnt(0)
	v_mul_f64 v[126:127], s[10:11], v[126:127]
	v_cvt_f32_f64_e32 v126, v[126:127]
	s_branch .LBB127_118
.LBB127_117:
	v_mov_b32_e32 v126, 0
.LBB127_118:
	v_add_f64 v[127:128], v[38:39], v[118:119]
	v_add_f64 v[146:147], v[40:41], v[120:121]
	;; [unrolled: 1-line block ×4, first 2 shown]
	v_cvt_f32_f64_e32 v127, v[127:128]
	v_cvt_f32_f64_e32 v128, v[146:147]
	;; [unrolled: 1-line block ×4, first 2 shown]
	v_min3_f32 v127, v127, v128, v212
	v_min_f32_e32 v128, v129, v146
	v_min3_f32 v126, v126, v128, v127
	v_lshlrev_b64 v[128:129], 3, v[136:137]
	v_cvt_f64_f32_e32 v[126:127], v126
	v_add_co_u32 v128, vcc_lo, v122, v128
	v_add_co_ci_u32_e64 v129, null, v123, v129, vcc_lo
	flat_store_dwordx2 v[128:129], v[126:127]
	s_or_b32 exec_lo, exec_lo, s12
	s_and_b32 s15, s5, s8
	s_and_saveexec_b32 s12, s15
	s_cbranch_execz .LBB127_97
.LBB127_119:
	v_cmp_ne_u32_e32 vcc_lo, 1, v144
	s_cbranch_vccnz .LBB127_121
; %bb.120:
	v_lshlrev_b64 v[126:127], 3, v[138:139]
	v_add_co_u32 v126, vcc_lo, v124, v126
	v_add_co_ci_u32_e64 v127, null, v125, v127, vcc_lo
	flat_load_dwordx2 v[126:127], v[126:127]
	s_waitcnt vmcnt(0) lgkmcnt(0)
	v_mul_f64 v[126:127], s[10:11], v[126:127]
	v_cvt_f32_f64_e32 v126, v[126:127]
	s_branch .LBB127_122
.LBB127_121:
	v_mov_b32_e32 v126, 0
.LBB127_122:
	v_add_f64 v[127:128], v[30:31], v[118:119]
	v_add_f64 v[146:147], v[32:33], v[120:121]
	;; [unrolled: 1-line block ×4, first 2 shown]
	v_cvt_f32_f64_e32 v127, v[127:128]
	v_cvt_f32_f64_e32 v128, v[146:147]
	;; [unrolled: 1-line block ×4, first 2 shown]
	v_min3_f32 v127, v127, v128, v211
	v_min_f32_e32 v128, v129, v146
	v_min3_f32 v126, v126, v128, v127
	v_lshlrev_b64 v[128:129], 3, v[138:139]
	v_cvt_f64_f32_e32 v[126:127], v126
	v_add_co_u32 v128, vcc_lo, v122, v128
	v_add_co_ci_u32_e64 v129, null, v123, v129, vcc_lo
	flat_store_dwordx2 v[128:129], v[126:127]
	s_or_b32 exec_lo, exec_lo, s12
	s_and_b32 s15, s6, s8
	s_and_saveexec_b32 s12, s15
	s_cbranch_execz .LBB127_98
.LBB127_123:
	v_cmp_ne_u32_e32 vcc_lo, 1, v144
	s_cbranch_vccnz .LBB127_125
; %bb.124:
	v_lshlrev_b64 v[126:127], 3, v[140:141]
	v_add_co_u32 v126, vcc_lo, v124, v126
	v_add_co_ci_u32_e64 v127, null, v125, v127, vcc_lo
	flat_load_dwordx2 v[126:127], v[126:127]
	s_waitcnt vmcnt(0) lgkmcnt(0)
	v_mul_f64 v[126:127], s[10:11], v[126:127]
	v_cvt_f32_f64_e32 v126, v[126:127]
	s_branch .LBB127_126
.LBB127_125:
	v_mov_b32_e32 v126, 0
.LBB127_126:
	v_add_f64 v[127:128], v[22:23], v[118:119]
	v_add_f64 v[146:147], v[24:25], v[120:121]
	;; [unrolled: 1-line block ×4, first 2 shown]
	v_cvt_f32_f64_e32 v127, v[127:128]
	v_cvt_f32_f64_e32 v128, v[146:147]
	;; [unrolled: 1-line block ×4, first 2 shown]
	v_min3_f32 v127, v127, v128, v210
	v_min_f32_e32 v128, v129, v146
	v_min3_f32 v126, v126, v128, v127
	v_lshlrev_b64 v[128:129], 3, v[140:141]
	v_cvt_f64_f32_e32 v[126:127], v126
	v_add_co_u32 v128, vcc_lo, v122, v128
	v_add_co_ci_u32_e64 v129, null, v123, v129, vcc_lo
	flat_store_dwordx2 v[128:129], v[126:127]
	s_or_b32 exec_lo, exec_lo, s12
	s_and_b32 s12, s7, s8
	s_and_saveexec_b32 s8, s12
	s_cbranch_execz .LBB127_131
.LBB127_127:
	v_cmp_ne_u32_e32 vcc_lo, 1, v144
	s_cbranch_vccnz .LBB127_129
; %bb.128:
	v_lshlrev_b64 v[126:127], 3, v[142:143]
	v_add_co_u32 v124, vcc_lo, v124, v126
	v_add_co_ci_u32_e64 v125, null, v125, v127, vcc_lo
	flat_load_dwordx2 v[124:125], v[124:125]
	s_waitcnt vmcnt(0) lgkmcnt(0)
	v_mul_f64 v[124:125], s[10:11], v[124:125]
	v_cvt_f32_f64_e32 v124, v[124:125]
	s_branch .LBB127_130
.LBB127_129:
	v_mov_b32_e32 v124, 0
.LBB127_130:
	v_add_f64 v[118:119], v[6:7], v[118:119]
	v_add_f64 v[120:121], v[8:9], v[120:121]
	v_add_f64 v[114:115], v[2:3], v[114:115]
	v_add_f64 v[116:117], v[4:5], v[116:117]
	v_cvt_f32_f64_e32 v118, v[118:119]
	v_cvt_f32_f64_e32 v119, v[120:121]
	;; [unrolled: 1-line block ×4, first 2 shown]
	v_min3_f32 v116, v118, v119, v209
	v_min_f32_e32 v114, v114, v115
	v_min3_f32 v114, v124, v114, v116
	v_lshlrev_b64 v[116:117], 3, v[142:143]
	v_cvt_f64_f32_e32 v[114:115], v114
	v_add_co_u32 v116, vcc_lo, v122, v116
	v_add_co_ci_u32_e64 v117, null, v123, v117, vcc_lo
	flat_store_dwordx2 v[116:117], v[114:115]
.LBB127_131:
	s_or_b32 exec_lo, exec_lo, s8
	v_add_nc_u32_e32 v118, 64, v145
	v_mad_i64_i32 v[114:115], null, v118, s18, 0
	v_mad_i64_i32 v[116:117], null, v118, s14, 0
	v_cmp_gt_i32_e64 s8, s13, v118
	v_lshlrev_b64 v[114:115], 3, v[114:115]
	s_and_b32 s15, s0, s8
	v_lshlrev_b64 v[118:119], 3, v[116:117]
	v_add_co_u32 v116, vcc_lo, s16, v114
	v_add_co_ci_u32_e64 v117, null, s17, v115, vcc_lo
	v_add_co_u32 v114, vcc_lo, s19, v118
	v_add_co_ci_u32_e64 v115, null, s9, v119, vcc_lo
	s_and_saveexec_b32 s12, s15
	s_cbranch_execnz .LBB127_139
; %bb.132:
	s_or_b32 exec_lo, exec_lo, s12
	s_and_b32 s15, s1, s8
	s_and_saveexec_b32 s12, s15
	s_cbranch_execnz .LBB127_143
.LBB127_133:
	s_or_b32 exec_lo, exec_lo, s12
	s_and_b32 s15, s2, s8
	s_and_saveexec_b32 s12, s15
	s_cbranch_execnz .LBB127_147
.LBB127_134:
	s_or_b32 exec_lo, exec_lo, s12
	s_and_b32 s15, s3, s8
	s_and_saveexec_b32 s12, s15
	s_cbranch_execnz .LBB127_151
.LBB127_135:
	s_or_b32 exec_lo, exec_lo, s12
	s_and_b32 s15, s4, s8
	s_and_saveexec_b32 s12, s15
	s_cbranch_execnz .LBB127_155
.LBB127_136:
	s_or_b32 exec_lo, exec_lo, s12
	s_and_b32 s15, s5, s8
	s_and_saveexec_b32 s12, s15
	s_cbranch_execnz .LBB127_159
.LBB127_137:
	s_or_b32 exec_lo, exec_lo, s12
	s_and_b32 s15, s6, s8
	s_and_saveexec_b32 s12, s15
	s_cbranch_execnz .LBB127_163
.LBB127_138:
	s_or_b32 exec_lo, exec_lo, s12
	s_and_b32 s12, s7, s8
	s_and_saveexec_b32 s8, s12
	s_cbranch_execnz .LBB127_167
	s_branch .LBB127_171
.LBB127_139:
	v_cmp_ne_u32_e32 vcc_lo, 1, v144
	s_cbranch_vccnz .LBB127_141
; %bb.140:
	v_lshlrev_b64 v[118:119], 3, v[0:1]
	v_add_co_u32 v118, vcc_lo, v116, v118
	v_add_co_ci_u32_e64 v119, null, v117, v119, vcc_lo
	flat_load_dwordx2 v[118:119], v[118:119]
	s_waitcnt vmcnt(0) lgkmcnt(0)
	v_mul_f64 v[118:119], s[10:11], v[118:119]
	v_cvt_f32_f64_e32 v118, v[118:119]
	s_branch .LBB127_142
.LBB127_141:
	v_mov_b32_e32 v118, 0
.LBB127_142:
	v_add_f64 v[119:120], v[70:71], v[110:111]
	v_add_f64 v[121:122], v[72:73], v[112:113]
	;; [unrolled: 1-line block ×4, first 2 shown]
	v_cvt_f32_f64_e32 v119, v[119:120]
	v_cvt_f32_f64_e32 v120, v[121:122]
	;; [unrolled: 1-line block ×4, first 2 shown]
	v_min3_f32 v119, v119, v120, v208
	v_min_f32_e32 v120, v121, v122
	v_min3_f32 v118, v118, v120, v119
	v_lshlrev_b64 v[120:121], 3, v[0:1]
	v_cvt_f64_f32_e32 v[118:119], v118
	v_add_co_u32 v120, vcc_lo, v114, v120
	v_add_co_ci_u32_e64 v121, null, v115, v121, vcc_lo
	flat_store_dwordx2 v[120:121], v[118:119]
	s_or_b32 exec_lo, exec_lo, s12
	s_and_b32 s15, s1, s8
	s_and_saveexec_b32 s12, s15
	s_cbranch_execz .LBB127_133
.LBB127_143:
	v_cmp_ne_u32_e32 vcc_lo, 1, v144
	s_cbranch_vccnz .LBB127_145
; %bb.144:
	v_lshlrev_b64 v[118:119], 3, v[130:131]
	v_add_co_u32 v118, vcc_lo, v116, v118
	v_add_co_ci_u32_e64 v119, null, v117, v119, vcc_lo
	flat_load_dwordx2 v[118:119], v[118:119]
	s_waitcnt vmcnt(0) lgkmcnt(0)
	v_mul_f64 v[118:119], s[10:11], v[118:119]
	v_cvt_f32_f64_e32 v118, v[118:119]
	s_branch .LBB127_146
.LBB127_145:
	v_mov_b32_e32 v118, 0
.LBB127_146:
	v_add_f64 v[119:120], v[62:63], v[110:111]
	v_add_f64 v[121:122], v[64:65], v[112:113]
	;; [unrolled: 1-line block ×4, first 2 shown]
	v_cvt_f32_f64_e32 v119, v[119:120]
	v_cvt_f32_f64_e32 v120, v[121:122]
	;; [unrolled: 1-line block ×4, first 2 shown]
	v_min3_f32 v119, v119, v120, v207
	v_min_f32_e32 v120, v121, v122
	v_min3_f32 v118, v118, v120, v119
	v_lshlrev_b64 v[120:121], 3, v[130:131]
	v_cvt_f64_f32_e32 v[118:119], v118
	v_add_co_u32 v120, vcc_lo, v114, v120
	v_add_co_ci_u32_e64 v121, null, v115, v121, vcc_lo
	flat_store_dwordx2 v[120:121], v[118:119]
	s_or_b32 exec_lo, exec_lo, s12
	s_and_b32 s15, s2, s8
	s_and_saveexec_b32 s12, s15
	s_cbranch_execz .LBB127_134
.LBB127_147:
	v_cmp_ne_u32_e32 vcc_lo, 1, v144
	s_cbranch_vccnz .LBB127_149
; %bb.148:
	v_lshlrev_b64 v[118:119], 3, v[132:133]
	v_add_co_u32 v118, vcc_lo, v116, v118
	v_add_co_ci_u32_e64 v119, null, v117, v119, vcc_lo
	flat_load_dwordx2 v[118:119], v[118:119]
	s_waitcnt vmcnt(0) lgkmcnt(0)
	v_mul_f64 v[118:119], s[10:11], v[118:119]
	v_cvt_f32_f64_e32 v118, v[118:119]
	s_branch .LBB127_150
.LBB127_149:
	v_mov_b32_e32 v118, 0
.LBB127_150:
	v_add_f64 v[119:120], v[54:55], v[110:111]
	v_add_f64 v[121:122], v[56:57], v[112:113]
	;; [unrolled: 1-line block ×4, first 2 shown]
	v_cvt_f32_f64_e32 v119, v[119:120]
	v_cvt_f32_f64_e32 v120, v[121:122]
	;; [unrolled: 1-line block ×4, first 2 shown]
	v_min3_f32 v119, v119, v120, v206
	v_min_f32_e32 v120, v121, v122
	v_min3_f32 v118, v118, v120, v119
	v_lshlrev_b64 v[120:121], 3, v[132:133]
	v_cvt_f64_f32_e32 v[118:119], v118
	v_add_co_u32 v120, vcc_lo, v114, v120
	v_add_co_ci_u32_e64 v121, null, v115, v121, vcc_lo
	flat_store_dwordx2 v[120:121], v[118:119]
	s_or_b32 exec_lo, exec_lo, s12
	s_and_b32 s15, s3, s8
	s_and_saveexec_b32 s12, s15
	s_cbranch_execz .LBB127_135
.LBB127_151:
	v_cmp_ne_u32_e32 vcc_lo, 1, v144
	s_cbranch_vccnz .LBB127_153
; %bb.152:
	v_lshlrev_b64 v[118:119], 3, v[134:135]
	v_add_co_u32 v118, vcc_lo, v116, v118
	v_add_co_ci_u32_e64 v119, null, v117, v119, vcc_lo
	flat_load_dwordx2 v[118:119], v[118:119]
	s_waitcnt vmcnt(0) lgkmcnt(0)
	v_mul_f64 v[118:119], s[10:11], v[118:119]
	v_cvt_f32_f64_e32 v118, v[118:119]
	s_branch .LBB127_154
.LBB127_153:
	v_mov_b32_e32 v118, 0
.LBB127_154:
	v_add_f64 v[119:120], v[46:47], v[110:111]
	v_add_f64 v[121:122], v[48:49], v[112:113]
	;; [unrolled: 1-line block ×4, first 2 shown]
	v_cvt_f32_f64_e32 v119, v[119:120]
	v_cvt_f32_f64_e32 v120, v[121:122]
	;; [unrolled: 1-line block ×4, first 2 shown]
	v_min3_f32 v119, v119, v120, v205
	v_min_f32_e32 v120, v121, v122
	v_min3_f32 v118, v118, v120, v119
	v_lshlrev_b64 v[120:121], 3, v[134:135]
	v_cvt_f64_f32_e32 v[118:119], v118
	v_add_co_u32 v120, vcc_lo, v114, v120
	v_add_co_ci_u32_e64 v121, null, v115, v121, vcc_lo
	flat_store_dwordx2 v[120:121], v[118:119]
	s_or_b32 exec_lo, exec_lo, s12
	s_and_b32 s15, s4, s8
	s_and_saveexec_b32 s12, s15
	s_cbranch_execz .LBB127_136
.LBB127_155:
	v_cmp_ne_u32_e32 vcc_lo, 1, v144
	s_cbranch_vccnz .LBB127_157
; %bb.156:
	v_lshlrev_b64 v[118:119], 3, v[136:137]
	v_add_co_u32 v118, vcc_lo, v116, v118
	v_add_co_ci_u32_e64 v119, null, v117, v119, vcc_lo
	flat_load_dwordx2 v[118:119], v[118:119]
	s_waitcnt vmcnt(0) lgkmcnt(0)
	v_mul_f64 v[118:119], s[10:11], v[118:119]
	v_cvt_f32_f64_e32 v118, v[118:119]
	s_branch .LBB127_158
.LBB127_157:
	v_mov_b32_e32 v118, 0
.LBB127_158:
	v_add_f64 v[119:120], v[38:39], v[110:111]
	v_add_f64 v[121:122], v[40:41], v[112:113]
	;; [unrolled: 1-line block ×4, first 2 shown]
	v_cvt_f32_f64_e32 v119, v[119:120]
	v_cvt_f32_f64_e32 v120, v[121:122]
	v_cvt_f32_f64_e32 v121, v[123:124]
	v_cvt_f32_f64_e32 v122, v[125:126]
	v_min3_f32 v119, v119, v120, v204
	v_min_f32_e32 v120, v121, v122
	v_min3_f32 v118, v118, v120, v119
	v_lshlrev_b64 v[120:121], 3, v[136:137]
	v_cvt_f64_f32_e32 v[118:119], v118
	v_add_co_u32 v120, vcc_lo, v114, v120
	v_add_co_ci_u32_e64 v121, null, v115, v121, vcc_lo
	flat_store_dwordx2 v[120:121], v[118:119]
	s_or_b32 exec_lo, exec_lo, s12
	s_and_b32 s15, s5, s8
	s_and_saveexec_b32 s12, s15
	s_cbranch_execz .LBB127_137
.LBB127_159:
	v_cmp_ne_u32_e32 vcc_lo, 1, v144
	s_cbranch_vccnz .LBB127_161
; %bb.160:
	v_lshlrev_b64 v[118:119], 3, v[138:139]
	v_add_co_u32 v118, vcc_lo, v116, v118
	v_add_co_ci_u32_e64 v119, null, v117, v119, vcc_lo
	flat_load_dwordx2 v[118:119], v[118:119]
	s_waitcnt vmcnt(0) lgkmcnt(0)
	v_mul_f64 v[118:119], s[10:11], v[118:119]
	v_cvt_f32_f64_e32 v118, v[118:119]
	s_branch .LBB127_162
.LBB127_161:
	v_mov_b32_e32 v118, 0
.LBB127_162:
	v_add_f64 v[119:120], v[30:31], v[110:111]
	v_add_f64 v[121:122], v[32:33], v[112:113]
	;; [unrolled: 1-line block ×4, first 2 shown]
	v_cvt_f32_f64_e32 v119, v[119:120]
	v_cvt_f32_f64_e32 v120, v[121:122]
	;; [unrolled: 1-line block ×4, first 2 shown]
	v_min3_f32 v119, v119, v120, v203
	v_min_f32_e32 v120, v121, v122
	v_min3_f32 v118, v118, v120, v119
	v_lshlrev_b64 v[120:121], 3, v[138:139]
	v_cvt_f64_f32_e32 v[118:119], v118
	v_add_co_u32 v120, vcc_lo, v114, v120
	v_add_co_ci_u32_e64 v121, null, v115, v121, vcc_lo
	flat_store_dwordx2 v[120:121], v[118:119]
	s_or_b32 exec_lo, exec_lo, s12
	s_and_b32 s15, s6, s8
	s_and_saveexec_b32 s12, s15
	s_cbranch_execz .LBB127_138
.LBB127_163:
	v_cmp_ne_u32_e32 vcc_lo, 1, v144
	s_cbranch_vccnz .LBB127_165
; %bb.164:
	v_lshlrev_b64 v[118:119], 3, v[140:141]
	v_add_co_u32 v118, vcc_lo, v116, v118
	v_add_co_ci_u32_e64 v119, null, v117, v119, vcc_lo
	flat_load_dwordx2 v[118:119], v[118:119]
	s_waitcnt vmcnt(0) lgkmcnt(0)
	v_mul_f64 v[118:119], s[10:11], v[118:119]
	v_cvt_f32_f64_e32 v118, v[118:119]
	s_branch .LBB127_166
.LBB127_165:
	v_mov_b32_e32 v118, 0
.LBB127_166:
	v_add_f64 v[119:120], v[22:23], v[110:111]
	v_add_f64 v[121:122], v[24:25], v[112:113]
	;; [unrolled: 1-line block ×4, first 2 shown]
	v_cvt_f32_f64_e32 v119, v[119:120]
	v_cvt_f32_f64_e32 v120, v[121:122]
	;; [unrolled: 1-line block ×4, first 2 shown]
	v_min3_f32 v119, v119, v120, v202
	v_min_f32_e32 v120, v121, v122
	v_min3_f32 v118, v118, v120, v119
	v_lshlrev_b64 v[120:121], 3, v[140:141]
	v_cvt_f64_f32_e32 v[118:119], v118
	v_add_co_u32 v120, vcc_lo, v114, v120
	v_add_co_ci_u32_e64 v121, null, v115, v121, vcc_lo
	flat_store_dwordx2 v[120:121], v[118:119]
	s_or_b32 exec_lo, exec_lo, s12
	s_and_b32 s12, s7, s8
	s_and_saveexec_b32 s8, s12
	s_cbranch_execz .LBB127_171
.LBB127_167:
	v_cmp_ne_u32_e32 vcc_lo, 1, v144
	s_cbranch_vccnz .LBB127_169
; %bb.168:
	v_lshlrev_b64 v[118:119], 3, v[142:143]
	v_add_co_u32 v116, vcc_lo, v116, v118
	v_add_co_ci_u32_e64 v117, null, v117, v119, vcc_lo
	flat_load_dwordx2 v[116:117], v[116:117]
	s_waitcnt vmcnt(0) lgkmcnt(0)
	v_mul_f64 v[116:117], s[10:11], v[116:117]
	v_cvt_f32_f64_e32 v116, v[116:117]
	s_branch .LBB127_170
.LBB127_169:
	v_mov_b32_e32 v116, 0
.LBB127_170:
	v_add_f64 v[110:111], v[6:7], v[110:111]
	v_add_f64 v[112:113], v[8:9], v[112:113]
	;; [unrolled: 1-line block ×4, first 2 shown]
	v_cvt_f32_f64_e32 v110, v[110:111]
	v_cvt_f32_f64_e32 v111, v[112:113]
	;; [unrolled: 1-line block ×4, first 2 shown]
	v_min3_f32 v108, v110, v111, v201
	v_min_f32_e32 v106, v106, v107
	v_min3_f32 v106, v116, v106, v108
	v_lshlrev_b64 v[108:109], 3, v[142:143]
	v_cvt_f64_f32_e32 v[106:107], v106
	v_add_co_u32 v108, vcc_lo, v114, v108
	v_add_co_ci_u32_e64 v109, null, v115, v109, vcc_lo
	flat_store_dwordx2 v[108:109], v[106:107]
.LBB127_171:
	s_or_b32 exec_lo, exec_lo, s8
	v_add_nc_u32_e32 v110, 0x60, v145
	v_mad_i64_i32 v[106:107], null, v110, s18, 0
	v_mad_i64_i32 v[108:109], null, v110, s14, 0
	v_cmp_gt_i32_e64 s8, s13, v110
	v_lshlrev_b64 v[106:107], 3, v[106:107]
	s_and_b32 s15, s0, s8
	v_lshlrev_b64 v[110:111], 3, v[108:109]
	v_add_co_u32 v108, vcc_lo, s16, v106
	v_add_co_ci_u32_e64 v109, null, s17, v107, vcc_lo
	v_add_co_u32 v106, vcc_lo, s19, v110
	v_add_co_ci_u32_e64 v107, null, s9, v111, vcc_lo
	s_and_saveexec_b32 s12, s15
	s_cbranch_execnz .LBB127_179
; %bb.172:
	s_or_b32 exec_lo, exec_lo, s12
	s_and_b32 s15, s1, s8
	s_and_saveexec_b32 s12, s15
	s_cbranch_execnz .LBB127_183
.LBB127_173:
	s_or_b32 exec_lo, exec_lo, s12
	s_and_b32 s15, s2, s8
	s_and_saveexec_b32 s12, s15
	s_cbranch_execnz .LBB127_187
.LBB127_174:
	s_or_b32 exec_lo, exec_lo, s12
	s_and_b32 s15, s3, s8
	s_and_saveexec_b32 s12, s15
	s_cbranch_execnz .LBB127_191
.LBB127_175:
	s_or_b32 exec_lo, exec_lo, s12
	s_and_b32 s15, s4, s8
	s_and_saveexec_b32 s12, s15
	s_cbranch_execnz .LBB127_195
.LBB127_176:
	s_or_b32 exec_lo, exec_lo, s12
	s_and_b32 s15, s5, s8
	s_and_saveexec_b32 s12, s15
	s_cbranch_execnz .LBB127_199
.LBB127_177:
	s_or_b32 exec_lo, exec_lo, s12
	s_and_b32 s15, s6, s8
	s_and_saveexec_b32 s12, s15
	s_cbranch_execnz .LBB127_203
.LBB127_178:
	s_or_b32 exec_lo, exec_lo, s12
	s_and_b32 s12, s7, s8
	s_and_saveexec_b32 s8, s12
	s_cbranch_execnz .LBB127_207
	s_branch .LBB127_211
.LBB127_179:
	v_cmp_ne_u32_e32 vcc_lo, 1, v144
	s_cbranch_vccnz .LBB127_181
; %bb.180:
	v_lshlrev_b64 v[110:111], 3, v[0:1]
	v_add_co_u32 v110, vcc_lo, v108, v110
	v_add_co_ci_u32_e64 v111, null, v109, v111, vcc_lo
	flat_load_dwordx2 v[110:111], v[110:111]
	s_waitcnt vmcnt(0) lgkmcnt(0)
	v_mul_f64 v[110:111], s[10:11], v[110:111]
	v_cvt_f32_f64_e32 v110, v[110:111]
	s_branch .LBB127_182
.LBB127_181:
	v_mov_b32_e32 v110, 0
.LBB127_182:
	v_add_f64 v[111:112], v[70:71], v[102:103]
	v_add_f64 v[113:114], v[72:73], v[104:105]
	;; [unrolled: 1-line block ×4, first 2 shown]
	v_cvt_f32_f64_e32 v111, v[111:112]
	v_cvt_f32_f64_e32 v112, v[113:114]
	v_cvt_f32_f64_e32 v113, v[115:116]
	v_cvt_f32_f64_e32 v114, v[117:118]
	v_min3_f32 v111, v111, v112, v200
	v_min_f32_e32 v112, v113, v114
	v_min3_f32 v110, v110, v112, v111
	v_lshlrev_b64 v[112:113], 3, v[0:1]
	v_cvt_f64_f32_e32 v[110:111], v110
	v_add_co_u32 v112, vcc_lo, v106, v112
	v_add_co_ci_u32_e64 v113, null, v107, v113, vcc_lo
	flat_store_dwordx2 v[112:113], v[110:111]
	s_or_b32 exec_lo, exec_lo, s12
	s_and_b32 s15, s1, s8
	s_and_saveexec_b32 s12, s15
	s_cbranch_execz .LBB127_173
.LBB127_183:
	v_cmp_ne_u32_e32 vcc_lo, 1, v144
	s_cbranch_vccnz .LBB127_185
; %bb.184:
	v_lshlrev_b64 v[110:111], 3, v[130:131]
	v_add_co_u32 v110, vcc_lo, v108, v110
	v_add_co_ci_u32_e64 v111, null, v109, v111, vcc_lo
	flat_load_dwordx2 v[110:111], v[110:111]
	s_waitcnt vmcnt(0) lgkmcnt(0)
	v_mul_f64 v[110:111], s[10:11], v[110:111]
	v_cvt_f32_f64_e32 v110, v[110:111]
	s_branch .LBB127_186
.LBB127_185:
	v_mov_b32_e32 v110, 0
.LBB127_186:
	v_add_f64 v[111:112], v[62:63], v[102:103]
	v_add_f64 v[113:114], v[64:65], v[104:105]
	;; [unrolled: 1-line block ×4, first 2 shown]
	v_cvt_f32_f64_e32 v111, v[111:112]
	v_cvt_f32_f64_e32 v112, v[113:114]
	;; [unrolled: 1-line block ×4, first 2 shown]
	v_min3_f32 v111, v111, v112, v199
	v_min_f32_e32 v112, v113, v114
	v_min3_f32 v110, v110, v112, v111
	v_lshlrev_b64 v[112:113], 3, v[130:131]
	v_cvt_f64_f32_e32 v[110:111], v110
	v_add_co_u32 v112, vcc_lo, v106, v112
	v_add_co_ci_u32_e64 v113, null, v107, v113, vcc_lo
	flat_store_dwordx2 v[112:113], v[110:111]
	s_or_b32 exec_lo, exec_lo, s12
	s_and_b32 s15, s2, s8
	s_and_saveexec_b32 s12, s15
	s_cbranch_execz .LBB127_174
.LBB127_187:
	v_cmp_ne_u32_e32 vcc_lo, 1, v144
	s_cbranch_vccnz .LBB127_189
; %bb.188:
	v_lshlrev_b64 v[110:111], 3, v[132:133]
	v_add_co_u32 v110, vcc_lo, v108, v110
	v_add_co_ci_u32_e64 v111, null, v109, v111, vcc_lo
	flat_load_dwordx2 v[110:111], v[110:111]
	s_waitcnt vmcnt(0) lgkmcnt(0)
	v_mul_f64 v[110:111], s[10:11], v[110:111]
	v_cvt_f32_f64_e32 v110, v[110:111]
	s_branch .LBB127_190
.LBB127_189:
	v_mov_b32_e32 v110, 0
.LBB127_190:
	v_add_f64 v[111:112], v[54:55], v[102:103]
	v_add_f64 v[113:114], v[56:57], v[104:105]
	;; [unrolled: 1-line block ×4, first 2 shown]
	v_cvt_f32_f64_e32 v111, v[111:112]
	v_cvt_f32_f64_e32 v112, v[113:114]
	;; [unrolled: 1-line block ×4, first 2 shown]
	v_min3_f32 v111, v111, v112, v198
	v_min_f32_e32 v112, v113, v114
	v_min3_f32 v110, v110, v112, v111
	v_lshlrev_b64 v[112:113], 3, v[132:133]
	v_cvt_f64_f32_e32 v[110:111], v110
	v_add_co_u32 v112, vcc_lo, v106, v112
	v_add_co_ci_u32_e64 v113, null, v107, v113, vcc_lo
	flat_store_dwordx2 v[112:113], v[110:111]
	s_or_b32 exec_lo, exec_lo, s12
	s_and_b32 s15, s3, s8
	s_and_saveexec_b32 s12, s15
	s_cbranch_execz .LBB127_175
.LBB127_191:
	v_cmp_ne_u32_e32 vcc_lo, 1, v144
	s_cbranch_vccnz .LBB127_193
; %bb.192:
	v_lshlrev_b64 v[110:111], 3, v[134:135]
	v_add_co_u32 v110, vcc_lo, v108, v110
	v_add_co_ci_u32_e64 v111, null, v109, v111, vcc_lo
	flat_load_dwordx2 v[110:111], v[110:111]
	s_waitcnt vmcnt(0) lgkmcnt(0)
	v_mul_f64 v[110:111], s[10:11], v[110:111]
	v_cvt_f32_f64_e32 v110, v[110:111]
	s_branch .LBB127_194
.LBB127_193:
	v_mov_b32_e32 v110, 0
.LBB127_194:
	v_add_f64 v[111:112], v[46:47], v[102:103]
	v_add_f64 v[113:114], v[48:49], v[104:105]
	;; [unrolled: 1-line block ×4, first 2 shown]
	v_cvt_f32_f64_e32 v111, v[111:112]
	v_cvt_f32_f64_e32 v112, v[113:114]
	;; [unrolled: 1-line block ×4, first 2 shown]
	v_min3_f32 v111, v111, v112, v197
	v_min_f32_e32 v112, v113, v114
	v_min3_f32 v110, v110, v112, v111
	v_lshlrev_b64 v[112:113], 3, v[134:135]
	v_cvt_f64_f32_e32 v[110:111], v110
	v_add_co_u32 v112, vcc_lo, v106, v112
	v_add_co_ci_u32_e64 v113, null, v107, v113, vcc_lo
	flat_store_dwordx2 v[112:113], v[110:111]
	s_or_b32 exec_lo, exec_lo, s12
	s_and_b32 s15, s4, s8
	s_and_saveexec_b32 s12, s15
	s_cbranch_execz .LBB127_176
.LBB127_195:
	v_cmp_ne_u32_e32 vcc_lo, 1, v144
	s_cbranch_vccnz .LBB127_197
; %bb.196:
	v_lshlrev_b64 v[110:111], 3, v[136:137]
	v_add_co_u32 v110, vcc_lo, v108, v110
	v_add_co_ci_u32_e64 v111, null, v109, v111, vcc_lo
	flat_load_dwordx2 v[110:111], v[110:111]
	s_waitcnt vmcnt(0) lgkmcnt(0)
	v_mul_f64 v[110:111], s[10:11], v[110:111]
	v_cvt_f32_f64_e32 v110, v[110:111]
	s_branch .LBB127_198
.LBB127_197:
	v_mov_b32_e32 v110, 0
.LBB127_198:
	v_add_f64 v[111:112], v[38:39], v[102:103]
	v_add_f64 v[113:114], v[40:41], v[104:105]
	v_add_f64 v[115:116], v[34:35], v[98:99]
	v_add_f64 v[117:118], v[36:37], v[100:101]
	v_cvt_f32_f64_e32 v111, v[111:112]
	v_cvt_f32_f64_e32 v112, v[113:114]
	;; [unrolled: 1-line block ×4, first 2 shown]
	v_min3_f32 v111, v111, v112, v196
	v_min_f32_e32 v112, v113, v114
	v_min3_f32 v110, v110, v112, v111
	v_lshlrev_b64 v[112:113], 3, v[136:137]
	v_cvt_f64_f32_e32 v[110:111], v110
	v_add_co_u32 v112, vcc_lo, v106, v112
	v_add_co_ci_u32_e64 v113, null, v107, v113, vcc_lo
	flat_store_dwordx2 v[112:113], v[110:111]
	s_or_b32 exec_lo, exec_lo, s12
	s_and_b32 s15, s5, s8
	s_and_saveexec_b32 s12, s15
	s_cbranch_execz .LBB127_177
.LBB127_199:
	v_cmp_ne_u32_e32 vcc_lo, 1, v144
	s_cbranch_vccnz .LBB127_201
; %bb.200:
	v_lshlrev_b64 v[110:111], 3, v[138:139]
	v_add_co_u32 v110, vcc_lo, v108, v110
	v_add_co_ci_u32_e64 v111, null, v109, v111, vcc_lo
	flat_load_dwordx2 v[110:111], v[110:111]
	s_waitcnt vmcnt(0) lgkmcnt(0)
	v_mul_f64 v[110:111], s[10:11], v[110:111]
	v_cvt_f32_f64_e32 v110, v[110:111]
	s_branch .LBB127_202
.LBB127_201:
	v_mov_b32_e32 v110, 0
.LBB127_202:
	v_add_f64 v[111:112], v[30:31], v[102:103]
	v_add_f64 v[113:114], v[32:33], v[104:105]
	;; [unrolled: 1-line block ×4, first 2 shown]
	v_cvt_f32_f64_e32 v111, v[111:112]
	v_cvt_f32_f64_e32 v112, v[113:114]
	;; [unrolled: 1-line block ×4, first 2 shown]
	v_min3_f32 v111, v111, v112, v195
	v_min_f32_e32 v112, v113, v114
	v_min3_f32 v110, v110, v112, v111
	v_lshlrev_b64 v[112:113], 3, v[138:139]
	v_cvt_f64_f32_e32 v[110:111], v110
	v_add_co_u32 v112, vcc_lo, v106, v112
	v_add_co_ci_u32_e64 v113, null, v107, v113, vcc_lo
	flat_store_dwordx2 v[112:113], v[110:111]
	s_or_b32 exec_lo, exec_lo, s12
	s_and_b32 s15, s6, s8
	s_and_saveexec_b32 s12, s15
	s_cbranch_execz .LBB127_178
.LBB127_203:
	v_cmp_ne_u32_e32 vcc_lo, 1, v144
	s_cbranch_vccnz .LBB127_205
; %bb.204:
	v_lshlrev_b64 v[110:111], 3, v[140:141]
	v_add_co_u32 v110, vcc_lo, v108, v110
	v_add_co_ci_u32_e64 v111, null, v109, v111, vcc_lo
	flat_load_dwordx2 v[110:111], v[110:111]
	s_waitcnt vmcnt(0) lgkmcnt(0)
	v_mul_f64 v[110:111], s[10:11], v[110:111]
	v_cvt_f32_f64_e32 v110, v[110:111]
	s_branch .LBB127_206
.LBB127_205:
	v_mov_b32_e32 v110, 0
.LBB127_206:
	v_add_f64 v[111:112], v[22:23], v[102:103]
	v_add_f64 v[113:114], v[24:25], v[104:105]
	;; [unrolled: 1-line block ×4, first 2 shown]
	v_cvt_f32_f64_e32 v111, v[111:112]
	v_cvt_f32_f64_e32 v112, v[113:114]
	;; [unrolled: 1-line block ×4, first 2 shown]
	v_min3_f32 v111, v111, v112, v194
	v_min_f32_e32 v112, v113, v114
	v_min3_f32 v110, v110, v112, v111
	v_lshlrev_b64 v[112:113], 3, v[140:141]
	v_cvt_f64_f32_e32 v[110:111], v110
	v_add_co_u32 v112, vcc_lo, v106, v112
	v_add_co_ci_u32_e64 v113, null, v107, v113, vcc_lo
	flat_store_dwordx2 v[112:113], v[110:111]
	s_or_b32 exec_lo, exec_lo, s12
	s_and_b32 s12, s7, s8
	s_and_saveexec_b32 s8, s12
	s_cbranch_execz .LBB127_211
.LBB127_207:
	v_cmp_ne_u32_e32 vcc_lo, 1, v144
	s_cbranch_vccnz .LBB127_209
; %bb.208:
	v_lshlrev_b64 v[110:111], 3, v[142:143]
	v_add_co_u32 v108, vcc_lo, v108, v110
	v_add_co_ci_u32_e64 v109, null, v109, v111, vcc_lo
	flat_load_dwordx2 v[108:109], v[108:109]
	s_waitcnt vmcnt(0) lgkmcnt(0)
	v_mul_f64 v[108:109], s[10:11], v[108:109]
	v_cvt_f32_f64_e32 v108, v[108:109]
	s_branch .LBB127_210
.LBB127_209:
	v_mov_b32_e32 v108, 0
.LBB127_210:
	v_add_f64 v[102:103], v[6:7], v[102:103]
	v_add_f64 v[104:105], v[8:9], v[104:105]
	;; [unrolled: 1-line block ×4, first 2 shown]
	v_cvt_f32_f64_e32 v102, v[102:103]
	v_cvt_f32_f64_e32 v103, v[104:105]
	;; [unrolled: 1-line block ×4, first 2 shown]
	v_min3_f32 v100, v102, v103, v193
	v_min_f32_e32 v98, v98, v99
	v_min3_f32 v98, v108, v98, v100
	v_lshlrev_b64 v[100:101], 3, v[142:143]
	v_cvt_f64_f32_e32 v[98:99], v98
	v_add_co_u32 v100, vcc_lo, v106, v100
	v_add_co_ci_u32_e64 v101, null, v107, v101, vcc_lo
	flat_store_dwordx2 v[100:101], v[98:99]
.LBB127_211:
	s_or_b32 exec_lo, exec_lo, s8
	v_add_nc_u32_e32 v102, 0x80, v145
	v_mad_i64_i32 v[98:99], null, v102, s18, 0
	v_mad_i64_i32 v[100:101], null, v102, s14, 0
	v_cmp_gt_i32_e64 s8, s13, v102
	v_lshlrev_b64 v[98:99], 3, v[98:99]
	s_and_b32 s15, s0, s8
	v_lshlrev_b64 v[102:103], 3, v[100:101]
	v_add_co_u32 v100, vcc_lo, s16, v98
	v_add_co_ci_u32_e64 v101, null, s17, v99, vcc_lo
	v_add_co_u32 v98, vcc_lo, s19, v102
	v_add_co_ci_u32_e64 v99, null, s9, v103, vcc_lo
	s_and_saveexec_b32 s12, s15
	s_cbranch_execnz .LBB127_219
; %bb.212:
	s_or_b32 exec_lo, exec_lo, s12
	s_and_b32 s15, s1, s8
	s_and_saveexec_b32 s12, s15
	s_cbranch_execnz .LBB127_223
.LBB127_213:
	s_or_b32 exec_lo, exec_lo, s12
	s_and_b32 s15, s2, s8
	s_and_saveexec_b32 s12, s15
	s_cbranch_execnz .LBB127_227
.LBB127_214:
	s_or_b32 exec_lo, exec_lo, s12
	s_and_b32 s15, s3, s8
	s_and_saveexec_b32 s12, s15
	s_cbranch_execnz .LBB127_231
.LBB127_215:
	s_or_b32 exec_lo, exec_lo, s12
	s_and_b32 s15, s4, s8
	s_and_saveexec_b32 s12, s15
	s_cbranch_execnz .LBB127_235
.LBB127_216:
	s_or_b32 exec_lo, exec_lo, s12
	s_and_b32 s15, s5, s8
	s_and_saveexec_b32 s12, s15
	s_cbranch_execnz .LBB127_239
.LBB127_217:
	s_or_b32 exec_lo, exec_lo, s12
	s_and_b32 s15, s6, s8
	s_and_saveexec_b32 s12, s15
	s_cbranch_execnz .LBB127_243
.LBB127_218:
	s_or_b32 exec_lo, exec_lo, s12
	s_and_b32 s12, s7, s8
	s_and_saveexec_b32 s8, s12
	s_cbranch_execnz .LBB127_247
	s_branch .LBB127_251
.LBB127_219:
	v_cmp_ne_u32_e32 vcc_lo, 1, v144
	s_cbranch_vccnz .LBB127_221
; %bb.220:
	v_lshlrev_b64 v[102:103], 3, v[0:1]
	v_add_co_u32 v102, vcc_lo, v100, v102
	v_add_co_ci_u32_e64 v103, null, v101, v103, vcc_lo
	flat_load_dwordx2 v[102:103], v[102:103]
	s_waitcnt vmcnt(0) lgkmcnt(0)
	v_mul_f64 v[102:103], s[10:11], v[102:103]
	v_cvt_f32_f64_e32 v102, v[102:103]
	s_branch .LBB127_222
.LBB127_221:
	v_mov_b32_e32 v102, 0
.LBB127_222:
	v_add_f64 v[103:104], v[70:71], v[94:95]
	v_add_f64 v[105:106], v[72:73], v[96:97]
	;; [unrolled: 1-line block ×4, first 2 shown]
	v_cvt_f32_f64_e32 v103, v[103:104]
	v_cvt_f32_f64_e32 v104, v[105:106]
	;; [unrolled: 1-line block ×4, first 2 shown]
	v_min3_f32 v103, v103, v104, v192
	v_min_f32_e32 v104, v105, v106
	v_min3_f32 v102, v102, v104, v103
	v_lshlrev_b64 v[104:105], 3, v[0:1]
	v_cvt_f64_f32_e32 v[102:103], v102
	v_add_co_u32 v104, vcc_lo, v98, v104
	v_add_co_ci_u32_e64 v105, null, v99, v105, vcc_lo
	flat_store_dwordx2 v[104:105], v[102:103]
	s_or_b32 exec_lo, exec_lo, s12
	s_and_b32 s15, s1, s8
	s_and_saveexec_b32 s12, s15
	s_cbranch_execz .LBB127_213
.LBB127_223:
	v_cmp_ne_u32_e32 vcc_lo, 1, v144
	s_cbranch_vccnz .LBB127_225
; %bb.224:
	v_lshlrev_b64 v[102:103], 3, v[130:131]
	v_add_co_u32 v102, vcc_lo, v100, v102
	v_add_co_ci_u32_e64 v103, null, v101, v103, vcc_lo
	flat_load_dwordx2 v[102:103], v[102:103]
	s_waitcnt vmcnt(0) lgkmcnt(0)
	v_mul_f64 v[102:103], s[10:11], v[102:103]
	v_cvt_f32_f64_e32 v102, v[102:103]
	s_branch .LBB127_226
.LBB127_225:
	v_mov_b32_e32 v102, 0
.LBB127_226:
	v_add_f64 v[103:104], v[62:63], v[94:95]
	v_add_f64 v[105:106], v[64:65], v[96:97]
	;; [unrolled: 1-line block ×4, first 2 shown]
	v_cvt_f32_f64_e32 v103, v[103:104]
	v_cvt_f32_f64_e32 v104, v[105:106]
	;; [unrolled: 1-line block ×4, first 2 shown]
	v_min3_f32 v103, v103, v104, v191
	v_min_f32_e32 v104, v105, v106
	v_min3_f32 v102, v102, v104, v103
	v_lshlrev_b64 v[104:105], 3, v[130:131]
	v_cvt_f64_f32_e32 v[102:103], v102
	v_add_co_u32 v104, vcc_lo, v98, v104
	v_add_co_ci_u32_e64 v105, null, v99, v105, vcc_lo
	flat_store_dwordx2 v[104:105], v[102:103]
	s_or_b32 exec_lo, exec_lo, s12
	s_and_b32 s15, s2, s8
	s_and_saveexec_b32 s12, s15
	s_cbranch_execz .LBB127_214
.LBB127_227:
	v_cmp_ne_u32_e32 vcc_lo, 1, v144
	s_cbranch_vccnz .LBB127_229
; %bb.228:
	v_lshlrev_b64 v[102:103], 3, v[132:133]
	v_add_co_u32 v102, vcc_lo, v100, v102
	v_add_co_ci_u32_e64 v103, null, v101, v103, vcc_lo
	flat_load_dwordx2 v[102:103], v[102:103]
	s_waitcnt vmcnt(0) lgkmcnt(0)
	v_mul_f64 v[102:103], s[10:11], v[102:103]
	v_cvt_f32_f64_e32 v102, v[102:103]
	s_branch .LBB127_230
.LBB127_229:
	v_mov_b32_e32 v102, 0
.LBB127_230:
	v_add_f64 v[103:104], v[54:55], v[94:95]
	v_add_f64 v[105:106], v[56:57], v[96:97]
	;; [unrolled: 1-line block ×4, first 2 shown]
	v_cvt_f32_f64_e32 v103, v[103:104]
	v_cvt_f32_f64_e32 v104, v[105:106]
	;; [unrolled: 1-line block ×4, first 2 shown]
	v_min3_f32 v103, v103, v104, v190
	v_min_f32_e32 v104, v105, v106
	v_min3_f32 v102, v102, v104, v103
	v_lshlrev_b64 v[104:105], 3, v[132:133]
	v_cvt_f64_f32_e32 v[102:103], v102
	v_add_co_u32 v104, vcc_lo, v98, v104
	v_add_co_ci_u32_e64 v105, null, v99, v105, vcc_lo
	flat_store_dwordx2 v[104:105], v[102:103]
	s_or_b32 exec_lo, exec_lo, s12
	s_and_b32 s15, s3, s8
	s_and_saveexec_b32 s12, s15
	s_cbranch_execz .LBB127_215
.LBB127_231:
	v_cmp_ne_u32_e32 vcc_lo, 1, v144
	s_cbranch_vccnz .LBB127_233
; %bb.232:
	v_lshlrev_b64 v[102:103], 3, v[134:135]
	v_add_co_u32 v102, vcc_lo, v100, v102
	v_add_co_ci_u32_e64 v103, null, v101, v103, vcc_lo
	flat_load_dwordx2 v[102:103], v[102:103]
	s_waitcnt vmcnt(0) lgkmcnt(0)
	v_mul_f64 v[102:103], s[10:11], v[102:103]
	v_cvt_f32_f64_e32 v102, v[102:103]
	s_branch .LBB127_234
.LBB127_233:
	v_mov_b32_e32 v102, 0
.LBB127_234:
	v_add_f64 v[103:104], v[46:47], v[94:95]
	v_add_f64 v[105:106], v[48:49], v[96:97]
	;; [unrolled: 1-line block ×4, first 2 shown]
	v_cvt_f32_f64_e32 v103, v[103:104]
	v_cvt_f32_f64_e32 v104, v[105:106]
	;; [unrolled: 1-line block ×4, first 2 shown]
	v_min3_f32 v103, v103, v104, v189
	v_min_f32_e32 v104, v105, v106
	v_min3_f32 v102, v102, v104, v103
	v_lshlrev_b64 v[104:105], 3, v[134:135]
	v_cvt_f64_f32_e32 v[102:103], v102
	v_add_co_u32 v104, vcc_lo, v98, v104
	v_add_co_ci_u32_e64 v105, null, v99, v105, vcc_lo
	flat_store_dwordx2 v[104:105], v[102:103]
	s_or_b32 exec_lo, exec_lo, s12
	s_and_b32 s15, s4, s8
	s_and_saveexec_b32 s12, s15
	s_cbranch_execz .LBB127_216
.LBB127_235:
	v_cmp_ne_u32_e32 vcc_lo, 1, v144
	s_cbranch_vccnz .LBB127_237
; %bb.236:
	v_lshlrev_b64 v[102:103], 3, v[136:137]
	v_add_co_u32 v102, vcc_lo, v100, v102
	v_add_co_ci_u32_e64 v103, null, v101, v103, vcc_lo
	flat_load_dwordx2 v[102:103], v[102:103]
	s_waitcnt vmcnt(0) lgkmcnt(0)
	v_mul_f64 v[102:103], s[10:11], v[102:103]
	v_cvt_f32_f64_e32 v102, v[102:103]
	s_branch .LBB127_238
.LBB127_237:
	v_mov_b32_e32 v102, 0
.LBB127_238:
	v_add_f64 v[103:104], v[38:39], v[94:95]
	v_add_f64 v[105:106], v[40:41], v[96:97]
	v_add_f64 v[107:108], v[34:35], v[90:91]
	v_add_f64 v[109:110], v[36:37], v[92:93]
	v_cvt_f32_f64_e32 v103, v[103:104]
	v_cvt_f32_f64_e32 v104, v[105:106]
	;; [unrolled: 1-line block ×4, first 2 shown]
	v_min3_f32 v103, v103, v104, v188
	v_min_f32_e32 v104, v105, v106
	v_min3_f32 v102, v102, v104, v103
	v_lshlrev_b64 v[104:105], 3, v[136:137]
	v_cvt_f64_f32_e32 v[102:103], v102
	v_add_co_u32 v104, vcc_lo, v98, v104
	v_add_co_ci_u32_e64 v105, null, v99, v105, vcc_lo
	flat_store_dwordx2 v[104:105], v[102:103]
	s_or_b32 exec_lo, exec_lo, s12
	s_and_b32 s15, s5, s8
	s_and_saveexec_b32 s12, s15
	s_cbranch_execz .LBB127_217
.LBB127_239:
	v_cmp_ne_u32_e32 vcc_lo, 1, v144
	s_cbranch_vccnz .LBB127_241
; %bb.240:
	v_lshlrev_b64 v[102:103], 3, v[138:139]
	v_add_co_u32 v102, vcc_lo, v100, v102
	v_add_co_ci_u32_e64 v103, null, v101, v103, vcc_lo
	flat_load_dwordx2 v[102:103], v[102:103]
	s_waitcnt vmcnt(0) lgkmcnt(0)
	v_mul_f64 v[102:103], s[10:11], v[102:103]
	v_cvt_f32_f64_e32 v102, v[102:103]
	s_branch .LBB127_242
.LBB127_241:
	v_mov_b32_e32 v102, 0
.LBB127_242:
	v_add_f64 v[103:104], v[30:31], v[94:95]
	v_add_f64 v[105:106], v[32:33], v[96:97]
	;; [unrolled: 1-line block ×4, first 2 shown]
	v_cvt_f32_f64_e32 v103, v[103:104]
	v_cvt_f32_f64_e32 v104, v[105:106]
	;; [unrolled: 1-line block ×4, first 2 shown]
	v_min3_f32 v103, v103, v104, v187
	v_min_f32_e32 v104, v105, v106
	v_min3_f32 v102, v102, v104, v103
	v_lshlrev_b64 v[104:105], 3, v[138:139]
	v_cvt_f64_f32_e32 v[102:103], v102
	v_add_co_u32 v104, vcc_lo, v98, v104
	v_add_co_ci_u32_e64 v105, null, v99, v105, vcc_lo
	flat_store_dwordx2 v[104:105], v[102:103]
	s_or_b32 exec_lo, exec_lo, s12
	s_and_b32 s15, s6, s8
	s_and_saveexec_b32 s12, s15
	s_cbranch_execz .LBB127_218
.LBB127_243:
	v_cmp_ne_u32_e32 vcc_lo, 1, v144
	s_cbranch_vccnz .LBB127_245
; %bb.244:
	v_lshlrev_b64 v[102:103], 3, v[140:141]
	v_add_co_u32 v102, vcc_lo, v100, v102
	v_add_co_ci_u32_e64 v103, null, v101, v103, vcc_lo
	flat_load_dwordx2 v[102:103], v[102:103]
	s_waitcnt vmcnt(0) lgkmcnt(0)
	v_mul_f64 v[102:103], s[10:11], v[102:103]
	v_cvt_f32_f64_e32 v102, v[102:103]
	s_branch .LBB127_246
.LBB127_245:
	v_mov_b32_e32 v102, 0
.LBB127_246:
	v_add_f64 v[103:104], v[22:23], v[94:95]
	v_add_f64 v[105:106], v[24:25], v[96:97]
	;; [unrolled: 1-line block ×4, first 2 shown]
	v_cvt_f32_f64_e32 v103, v[103:104]
	v_cvt_f32_f64_e32 v104, v[105:106]
	v_cvt_f32_f64_e32 v105, v[107:108]
	v_cvt_f32_f64_e32 v106, v[109:110]
	v_min3_f32 v103, v103, v104, v186
	v_min_f32_e32 v104, v105, v106
	v_min3_f32 v102, v102, v104, v103
	v_lshlrev_b64 v[104:105], 3, v[140:141]
	v_cvt_f64_f32_e32 v[102:103], v102
	v_add_co_u32 v104, vcc_lo, v98, v104
	v_add_co_ci_u32_e64 v105, null, v99, v105, vcc_lo
	flat_store_dwordx2 v[104:105], v[102:103]
	s_or_b32 exec_lo, exec_lo, s12
	s_and_b32 s12, s7, s8
	s_and_saveexec_b32 s8, s12
	s_cbranch_execz .LBB127_251
.LBB127_247:
	v_cmp_ne_u32_e32 vcc_lo, 1, v144
	s_cbranch_vccnz .LBB127_249
; %bb.248:
	v_lshlrev_b64 v[102:103], 3, v[142:143]
	v_add_co_u32 v100, vcc_lo, v100, v102
	v_add_co_ci_u32_e64 v101, null, v101, v103, vcc_lo
	flat_load_dwordx2 v[100:101], v[100:101]
	s_waitcnt vmcnt(0) lgkmcnt(0)
	v_mul_f64 v[100:101], s[10:11], v[100:101]
	v_cvt_f32_f64_e32 v100, v[100:101]
	s_branch .LBB127_250
.LBB127_249:
	v_mov_b32_e32 v100, 0
.LBB127_250:
	v_add_f64 v[94:95], v[6:7], v[94:95]
	v_add_f64 v[96:97], v[8:9], v[96:97]
	;; [unrolled: 1-line block ×4, first 2 shown]
	v_cvt_f32_f64_e32 v94, v[94:95]
	v_cvt_f32_f64_e32 v95, v[96:97]
	v_cvt_f32_f64_e32 v90, v[90:91]
	v_cvt_f32_f64_e32 v91, v[92:93]
	v_min3_f32 v92, v94, v95, v185
	v_min_f32_e32 v90, v90, v91
	v_min3_f32 v90, v100, v90, v92
	v_lshlrev_b64 v[92:93], 3, v[142:143]
	v_cvt_f64_f32_e32 v[90:91], v90
	v_add_co_u32 v92, vcc_lo, v98, v92
	v_add_co_ci_u32_e64 v93, null, v99, v93, vcc_lo
	flat_store_dwordx2 v[92:93], v[90:91]
.LBB127_251:
	s_or_b32 exec_lo, exec_lo, s8
	v_add_nc_u32_e32 v94, 0xa0, v145
	v_mad_i64_i32 v[90:91], null, v94, s18, 0
	v_mad_i64_i32 v[92:93], null, v94, s14, 0
	v_cmp_gt_i32_e64 s8, s13, v94
	v_lshlrev_b64 v[90:91], 3, v[90:91]
	s_and_b32 s15, s0, s8
	v_lshlrev_b64 v[94:95], 3, v[92:93]
	v_add_co_u32 v92, vcc_lo, s16, v90
	v_add_co_ci_u32_e64 v93, null, s17, v91, vcc_lo
	v_add_co_u32 v90, vcc_lo, s19, v94
	v_add_co_ci_u32_e64 v91, null, s9, v95, vcc_lo
	s_and_saveexec_b32 s12, s15
	s_cbranch_execnz .LBB127_259
; %bb.252:
	s_or_b32 exec_lo, exec_lo, s12
	s_and_b32 s15, s1, s8
	s_and_saveexec_b32 s12, s15
	s_cbranch_execnz .LBB127_263
.LBB127_253:
	s_or_b32 exec_lo, exec_lo, s12
	s_and_b32 s15, s2, s8
	s_and_saveexec_b32 s12, s15
	s_cbranch_execnz .LBB127_267
.LBB127_254:
	s_or_b32 exec_lo, exec_lo, s12
	s_and_b32 s15, s3, s8
	s_and_saveexec_b32 s12, s15
	s_cbranch_execnz .LBB127_271
.LBB127_255:
	s_or_b32 exec_lo, exec_lo, s12
	s_and_b32 s15, s4, s8
	s_and_saveexec_b32 s12, s15
	s_cbranch_execnz .LBB127_275
.LBB127_256:
	s_or_b32 exec_lo, exec_lo, s12
	s_and_b32 s15, s5, s8
	s_and_saveexec_b32 s12, s15
	s_cbranch_execnz .LBB127_279
.LBB127_257:
	s_or_b32 exec_lo, exec_lo, s12
	s_and_b32 s15, s6, s8
	s_and_saveexec_b32 s12, s15
	s_cbranch_execnz .LBB127_283
.LBB127_258:
	s_or_b32 exec_lo, exec_lo, s12
	s_and_b32 s12, s7, s8
	s_and_saveexec_b32 s8, s12
	s_cbranch_execnz .LBB127_287
	s_branch .LBB127_291
.LBB127_259:
	v_cmp_ne_u32_e32 vcc_lo, 1, v144
	s_cbranch_vccnz .LBB127_261
; %bb.260:
	v_lshlrev_b64 v[94:95], 3, v[0:1]
	v_add_co_u32 v94, vcc_lo, v92, v94
	v_add_co_ci_u32_e64 v95, null, v93, v95, vcc_lo
	flat_load_dwordx2 v[94:95], v[94:95]
	s_waitcnt vmcnt(0) lgkmcnt(0)
	v_mul_f64 v[94:95], s[10:11], v[94:95]
	v_cvt_f32_f64_e32 v94, v[94:95]
	s_branch .LBB127_262
.LBB127_261:
	v_mov_b32_e32 v94, 0
.LBB127_262:
	v_add_f64 v[95:96], v[70:71], v[86:87]
	v_add_f64 v[97:98], v[72:73], v[88:89]
	;; [unrolled: 1-line block ×4, first 2 shown]
	v_cvt_f32_f64_e32 v95, v[95:96]
	v_cvt_f32_f64_e32 v96, v[97:98]
	;; [unrolled: 1-line block ×4, first 2 shown]
	v_min3_f32 v95, v95, v96, v184
	v_min_f32_e32 v96, v97, v98
	v_min3_f32 v94, v94, v96, v95
	v_lshlrev_b64 v[96:97], 3, v[0:1]
	v_cvt_f64_f32_e32 v[94:95], v94
	v_add_co_u32 v96, vcc_lo, v90, v96
	v_add_co_ci_u32_e64 v97, null, v91, v97, vcc_lo
	flat_store_dwordx2 v[96:97], v[94:95]
	s_or_b32 exec_lo, exec_lo, s12
	s_and_b32 s15, s1, s8
	s_and_saveexec_b32 s12, s15
	s_cbranch_execz .LBB127_253
.LBB127_263:
	v_cmp_ne_u32_e32 vcc_lo, 1, v144
	s_cbranch_vccnz .LBB127_265
; %bb.264:
	v_lshlrev_b64 v[94:95], 3, v[130:131]
	v_add_co_u32 v94, vcc_lo, v92, v94
	v_add_co_ci_u32_e64 v95, null, v93, v95, vcc_lo
	flat_load_dwordx2 v[94:95], v[94:95]
	s_waitcnt vmcnt(0) lgkmcnt(0)
	v_mul_f64 v[94:95], s[10:11], v[94:95]
	v_cvt_f32_f64_e32 v94, v[94:95]
	s_branch .LBB127_266
.LBB127_265:
	v_mov_b32_e32 v94, 0
.LBB127_266:
	v_add_f64 v[95:96], v[62:63], v[86:87]
	v_add_f64 v[97:98], v[64:65], v[88:89]
	;; [unrolled: 1-line block ×4, first 2 shown]
	v_cvt_f32_f64_e32 v95, v[95:96]
	v_cvt_f32_f64_e32 v96, v[97:98]
	;; [unrolled: 1-line block ×4, first 2 shown]
	v_min3_f32 v95, v95, v96, v181
	v_min_f32_e32 v96, v97, v98
	v_min3_f32 v94, v94, v96, v95
	v_lshlrev_b64 v[96:97], 3, v[130:131]
	v_cvt_f64_f32_e32 v[94:95], v94
	v_add_co_u32 v96, vcc_lo, v90, v96
	v_add_co_ci_u32_e64 v97, null, v91, v97, vcc_lo
	flat_store_dwordx2 v[96:97], v[94:95]
	s_or_b32 exec_lo, exec_lo, s12
	s_and_b32 s15, s2, s8
	s_and_saveexec_b32 s12, s15
	s_cbranch_execz .LBB127_254
.LBB127_267:
	v_cmp_ne_u32_e32 vcc_lo, 1, v144
	s_cbranch_vccnz .LBB127_269
; %bb.268:
	v_lshlrev_b64 v[94:95], 3, v[132:133]
	v_add_co_u32 v94, vcc_lo, v92, v94
	v_add_co_ci_u32_e64 v95, null, v93, v95, vcc_lo
	flat_load_dwordx2 v[94:95], v[94:95]
	s_waitcnt vmcnt(0) lgkmcnt(0)
	v_mul_f64 v[94:95], s[10:11], v[94:95]
	v_cvt_f32_f64_e32 v94, v[94:95]
	s_branch .LBB127_270
.LBB127_269:
	v_mov_b32_e32 v94, 0
.LBB127_270:
	v_add_f64 v[95:96], v[54:55], v[86:87]
	v_add_f64 v[97:98], v[56:57], v[88:89]
	v_add_f64 v[99:100], v[50:51], v[82:83]
	v_add_f64 v[101:102], v[52:53], v[84:85]
	v_cvt_f32_f64_e32 v95, v[95:96]
	v_cvt_f32_f64_e32 v96, v[97:98]
	;; [unrolled: 1-line block ×4, first 2 shown]
	v_min3_f32 v95, v95, v96, v180
	v_min_f32_e32 v96, v97, v98
	v_min3_f32 v94, v94, v96, v95
	v_lshlrev_b64 v[96:97], 3, v[132:133]
	v_cvt_f64_f32_e32 v[94:95], v94
	v_add_co_u32 v96, vcc_lo, v90, v96
	v_add_co_ci_u32_e64 v97, null, v91, v97, vcc_lo
	flat_store_dwordx2 v[96:97], v[94:95]
	s_or_b32 exec_lo, exec_lo, s12
	s_and_b32 s15, s3, s8
	s_and_saveexec_b32 s12, s15
	s_cbranch_execz .LBB127_255
.LBB127_271:
	v_cmp_ne_u32_e32 vcc_lo, 1, v144
	s_cbranch_vccnz .LBB127_273
; %bb.272:
	v_lshlrev_b64 v[94:95], 3, v[134:135]
	v_add_co_u32 v94, vcc_lo, v92, v94
	v_add_co_ci_u32_e64 v95, null, v93, v95, vcc_lo
	flat_load_dwordx2 v[94:95], v[94:95]
	s_waitcnt vmcnt(0) lgkmcnt(0)
	v_mul_f64 v[94:95], s[10:11], v[94:95]
	v_cvt_f32_f64_e32 v94, v[94:95]
	s_branch .LBB127_274
.LBB127_273:
	v_mov_b32_e32 v94, 0
.LBB127_274:
	v_add_f64 v[95:96], v[46:47], v[86:87]
	v_add_f64 v[97:98], v[48:49], v[88:89]
	;; [unrolled: 1-line block ×4, first 2 shown]
	v_cvt_f32_f64_e32 v95, v[95:96]
	v_cvt_f32_f64_e32 v96, v[97:98]
	;; [unrolled: 1-line block ×4, first 2 shown]
	v_min3_f32 v95, v95, v96, v173
	v_min_f32_e32 v96, v97, v98
	v_min3_f32 v94, v94, v96, v95
	v_lshlrev_b64 v[96:97], 3, v[134:135]
	v_cvt_f64_f32_e32 v[94:95], v94
	v_add_co_u32 v96, vcc_lo, v90, v96
	v_add_co_ci_u32_e64 v97, null, v91, v97, vcc_lo
	flat_store_dwordx2 v[96:97], v[94:95]
	s_or_b32 exec_lo, exec_lo, s12
	s_and_b32 s15, s4, s8
	s_and_saveexec_b32 s12, s15
	s_cbranch_execz .LBB127_256
.LBB127_275:
	v_cmp_ne_u32_e32 vcc_lo, 1, v144
	s_cbranch_vccnz .LBB127_277
; %bb.276:
	v_lshlrev_b64 v[94:95], 3, v[136:137]
	v_add_co_u32 v94, vcc_lo, v92, v94
	v_add_co_ci_u32_e64 v95, null, v93, v95, vcc_lo
	flat_load_dwordx2 v[94:95], v[94:95]
	s_waitcnt vmcnt(0) lgkmcnt(0)
	v_mul_f64 v[94:95], s[10:11], v[94:95]
	v_cvt_f32_f64_e32 v94, v[94:95]
	s_branch .LBB127_278
.LBB127_277:
	v_mov_b32_e32 v94, 0
.LBB127_278:
	v_add_f64 v[95:96], v[38:39], v[86:87]
	v_add_f64 v[97:98], v[40:41], v[88:89]
	;; [unrolled: 1-line block ×4, first 2 shown]
	v_cvt_f32_f64_e32 v95, v[95:96]
	v_cvt_f32_f64_e32 v96, v[97:98]
	;; [unrolled: 1-line block ×4, first 2 shown]
	v_min3_f32 v95, v95, v96, v172
	v_min_f32_e32 v96, v97, v98
	v_min3_f32 v94, v94, v96, v95
	v_lshlrev_b64 v[96:97], 3, v[136:137]
	v_cvt_f64_f32_e32 v[94:95], v94
	v_add_co_u32 v96, vcc_lo, v90, v96
	v_add_co_ci_u32_e64 v97, null, v91, v97, vcc_lo
	flat_store_dwordx2 v[96:97], v[94:95]
	s_or_b32 exec_lo, exec_lo, s12
	s_and_b32 s15, s5, s8
	s_and_saveexec_b32 s12, s15
	s_cbranch_execz .LBB127_257
.LBB127_279:
	v_cmp_ne_u32_e32 vcc_lo, 1, v144
	s_cbranch_vccnz .LBB127_281
; %bb.280:
	v_lshlrev_b64 v[94:95], 3, v[138:139]
	v_add_co_u32 v94, vcc_lo, v92, v94
	v_add_co_ci_u32_e64 v95, null, v93, v95, vcc_lo
	flat_load_dwordx2 v[94:95], v[94:95]
	s_waitcnt vmcnt(0) lgkmcnt(0)
	v_mul_f64 v[94:95], s[10:11], v[94:95]
	v_cvt_f32_f64_e32 v94, v[94:95]
	s_branch .LBB127_282
.LBB127_281:
	v_mov_b32_e32 v94, 0
.LBB127_282:
	v_add_f64 v[95:96], v[30:31], v[86:87]
	v_add_f64 v[97:98], v[32:33], v[88:89]
	;; [unrolled: 1-line block ×4, first 2 shown]
	v_cvt_f32_f64_e32 v95, v[95:96]
	v_cvt_f32_f64_e32 v96, v[97:98]
	;; [unrolled: 1-line block ×4, first 2 shown]
	v_min3_f32 v95, v95, v96, v171
	v_min_f32_e32 v96, v97, v98
	v_min3_f32 v94, v94, v96, v95
	v_lshlrev_b64 v[96:97], 3, v[138:139]
	v_cvt_f64_f32_e32 v[94:95], v94
	v_add_co_u32 v96, vcc_lo, v90, v96
	v_add_co_ci_u32_e64 v97, null, v91, v97, vcc_lo
	flat_store_dwordx2 v[96:97], v[94:95]
	s_or_b32 exec_lo, exec_lo, s12
	s_and_b32 s15, s6, s8
	s_and_saveexec_b32 s12, s15
	s_cbranch_execz .LBB127_258
.LBB127_283:
	v_cmp_ne_u32_e32 vcc_lo, 1, v144
	s_cbranch_vccnz .LBB127_285
; %bb.284:
	v_lshlrev_b64 v[94:95], 3, v[140:141]
	v_add_co_u32 v94, vcc_lo, v92, v94
	v_add_co_ci_u32_e64 v95, null, v93, v95, vcc_lo
	flat_load_dwordx2 v[94:95], v[94:95]
	s_waitcnt vmcnt(0) lgkmcnt(0)
	v_mul_f64 v[94:95], s[10:11], v[94:95]
	v_cvt_f32_f64_e32 v94, v[94:95]
	s_branch .LBB127_286
.LBB127_285:
	v_mov_b32_e32 v94, 0
.LBB127_286:
	v_add_f64 v[95:96], v[22:23], v[86:87]
	v_add_f64 v[97:98], v[24:25], v[88:89]
	;; [unrolled: 1-line block ×4, first 2 shown]
	v_cvt_f32_f64_e32 v95, v[95:96]
	v_cvt_f32_f64_e32 v96, v[97:98]
	;; [unrolled: 1-line block ×4, first 2 shown]
	v_min3_f32 v95, v95, v96, v170
	v_min_f32_e32 v96, v97, v98
	v_min3_f32 v94, v94, v96, v95
	v_lshlrev_b64 v[96:97], 3, v[140:141]
	v_cvt_f64_f32_e32 v[94:95], v94
	v_add_co_u32 v96, vcc_lo, v90, v96
	v_add_co_ci_u32_e64 v97, null, v91, v97, vcc_lo
	flat_store_dwordx2 v[96:97], v[94:95]
	s_or_b32 exec_lo, exec_lo, s12
	s_and_b32 s12, s7, s8
	s_and_saveexec_b32 s8, s12
	s_cbranch_execz .LBB127_291
.LBB127_287:
	v_cmp_ne_u32_e32 vcc_lo, 1, v144
	s_cbranch_vccnz .LBB127_289
; %bb.288:
	v_lshlrev_b64 v[94:95], 3, v[142:143]
	v_add_co_u32 v92, vcc_lo, v92, v94
	v_add_co_ci_u32_e64 v93, null, v93, v95, vcc_lo
	flat_load_dwordx2 v[92:93], v[92:93]
	s_waitcnt vmcnt(0) lgkmcnt(0)
	v_mul_f64 v[92:93], s[10:11], v[92:93]
	v_cvt_f32_f64_e32 v92, v[92:93]
	s_branch .LBB127_290
.LBB127_289:
	v_mov_b32_e32 v92, 0
.LBB127_290:
	v_add_f64 v[86:87], v[6:7], v[86:87]
	v_add_f64 v[88:89], v[8:9], v[88:89]
	v_add_f64 v[82:83], v[2:3], v[82:83]
	v_add_f64 v[84:85], v[4:5], v[84:85]
	v_cvt_f32_f64_e32 v86, v[86:87]
	v_cvt_f32_f64_e32 v87, v[88:89]
	;; [unrolled: 1-line block ×4, first 2 shown]
	v_min3_f32 v84, v86, v87, v169
	v_min_f32_e32 v82, v82, v83
	v_min3_f32 v82, v92, v82, v84
	v_lshlrev_b64 v[84:85], 3, v[142:143]
	v_cvt_f64_f32_e32 v[82:83], v82
	v_add_co_u32 v84, vcc_lo, v90, v84
	v_add_co_ci_u32_e64 v85, null, v91, v85, vcc_lo
	flat_store_dwordx2 v[84:85], v[82:83]
.LBB127_291:
	s_or_b32 exec_lo, exec_lo, s8
	v_add_nc_u32_e32 v86, 0xc0, v145
	v_mad_i64_i32 v[82:83], null, v86, s18, 0
	v_mad_i64_i32 v[84:85], null, v86, s14, 0
	v_cmp_gt_i32_e64 s8, s13, v86
	v_lshlrev_b64 v[82:83], 3, v[82:83]
	s_and_b32 s15, s0, s8
	v_lshlrev_b64 v[86:87], 3, v[84:85]
	v_add_co_u32 v84, vcc_lo, s16, v82
	v_add_co_ci_u32_e64 v85, null, s17, v83, vcc_lo
	v_add_co_u32 v82, vcc_lo, s19, v86
	v_add_co_ci_u32_e64 v83, null, s9, v87, vcc_lo
	s_and_saveexec_b32 s12, s15
	s_cbranch_execnz .LBB127_299
; %bb.292:
	s_or_b32 exec_lo, exec_lo, s12
	s_and_b32 s15, s1, s8
	s_and_saveexec_b32 s12, s15
	s_cbranch_execnz .LBB127_303
.LBB127_293:
	s_or_b32 exec_lo, exec_lo, s12
	s_and_b32 s15, s2, s8
	s_and_saveexec_b32 s12, s15
	s_cbranch_execnz .LBB127_307
.LBB127_294:
	s_or_b32 exec_lo, exec_lo, s12
	s_and_b32 s15, s3, s8
	s_and_saveexec_b32 s12, s15
	s_cbranch_execnz .LBB127_311
.LBB127_295:
	s_or_b32 exec_lo, exec_lo, s12
	s_and_b32 s15, s4, s8
	s_and_saveexec_b32 s12, s15
	s_cbranch_execnz .LBB127_315
.LBB127_296:
	s_or_b32 exec_lo, exec_lo, s12
	s_and_b32 s15, s5, s8
	s_and_saveexec_b32 s12, s15
	s_cbranch_execnz .LBB127_319
.LBB127_297:
	s_or_b32 exec_lo, exec_lo, s12
	s_and_b32 s15, s6, s8
	s_and_saveexec_b32 s12, s15
	s_cbranch_execnz .LBB127_323
.LBB127_298:
	s_or_b32 exec_lo, exec_lo, s12
	s_and_b32 s12, s7, s8
	s_and_saveexec_b32 s8, s12
	s_cbranch_execnz .LBB127_327
	s_branch .LBB127_331
.LBB127_299:
	v_cmp_ne_u32_e32 vcc_lo, 1, v144
	s_cbranch_vccnz .LBB127_301
; %bb.300:
	v_lshlrev_b64 v[86:87], 3, v[0:1]
	v_add_co_u32 v86, vcc_lo, v84, v86
	v_add_co_ci_u32_e64 v87, null, v85, v87, vcc_lo
	flat_load_dwordx2 v[86:87], v[86:87]
	s_waitcnt vmcnt(0) lgkmcnt(0)
	v_mul_f64 v[86:87], s[10:11], v[86:87]
	v_cvt_f32_f64_e32 v86, v[86:87]
	s_branch .LBB127_302
.LBB127_301:
	v_mov_b32_e32 v86, 0
.LBB127_302:
	v_add_f64 v[87:88], v[70:71], v[78:79]
	v_add_f64 v[89:90], v[72:73], v[80:81]
	;; [unrolled: 1-line block ×4, first 2 shown]
	v_cvt_f32_f64_e32 v87, v[87:88]
	v_cvt_f32_f64_e32 v88, v[89:90]
	;; [unrolled: 1-line block ×4, first 2 shown]
	v_min3_f32 v87, v87, v88, v168
	v_min_f32_e32 v88, v89, v90
	v_min3_f32 v86, v86, v88, v87
	v_lshlrev_b64 v[88:89], 3, v[0:1]
	v_cvt_f64_f32_e32 v[86:87], v86
	v_add_co_u32 v88, vcc_lo, v82, v88
	v_add_co_ci_u32_e64 v89, null, v83, v89, vcc_lo
	flat_store_dwordx2 v[88:89], v[86:87]
	s_or_b32 exec_lo, exec_lo, s12
	s_and_b32 s15, s1, s8
	s_and_saveexec_b32 s12, s15
	s_cbranch_execz .LBB127_293
.LBB127_303:
	v_cmp_ne_u32_e32 vcc_lo, 1, v144
	s_cbranch_vccnz .LBB127_305
; %bb.304:
	v_lshlrev_b64 v[86:87], 3, v[130:131]
	v_add_co_u32 v86, vcc_lo, v84, v86
	v_add_co_ci_u32_e64 v87, null, v85, v87, vcc_lo
	flat_load_dwordx2 v[86:87], v[86:87]
	s_waitcnt vmcnt(0) lgkmcnt(0)
	v_mul_f64 v[86:87], s[10:11], v[86:87]
	v_cvt_f32_f64_e32 v86, v[86:87]
	s_branch .LBB127_306
.LBB127_305:
	v_mov_b32_e32 v86, 0
.LBB127_306:
	v_add_f64 v[87:88], v[62:63], v[78:79]
	v_add_f64 v[89:90], v[64:65], v[80:81]
	;; [unrolled: 1-line block ×4, first 2 shown]
	v_cvt_f32_f64_e32 v87, v[87:88]
	v_cvt_f32_f64_e32 v88, v[89:90]
	;; [unrolled: 1-line block ×4, first 2 shown]
	v_min3_f32 v87, v87, v88, v167
	v_min_f32_e32 v88, v89, v90
	v_min3_f32 v86, v86, v88, v87
	v_lshlrev_b64 v[88:89], 3, v[130:131]
	v_cvt_f64_f32_e32 v[86:87], v86
	v_add_co_u32 v88, vcc_lo, v82, v88
	v_add_co_ci_u32_e64 v89, null, v83, v89, vcc_lo
	flat_store_dwordx2 v[88:89], v[86:87]
	s_or_b32 exec_lo, exec_lo, s12
	s_and_b32 s15, s2, s8
	s_and_saveexec_b32 s12, s15
	s_cbranch_execz .LBB127_294
.LBB127_307:
	v_cmp_ne_u32_e32 vcc_lo, 1, v144
	s_cbranch_vccnz .LBB127_309
; %bb.308:
	v_lshlrev_b64 v[86:87], 3, v[132:133]
	v_add_co_u32 v86, vcc_lo, v84, v86
	v_add_co_ci_u32_e64 v87, null, v85, v87, vcc_lo
	flat_load_dwordx2 v[86:87], v[86:87]
	s_waitcnt vmcnt(0) lgkmcnt(0)
	v_mul_f64 v[86:87], s[10:11], v[86:87]
	v_cvt_f32_f64_e32 v86, v[86:87]
	s_branch .LBB127_310
.LBB127_309:
	v_mov_b32_e32 v86, 0
.LBB127_310:
	v_add_f64 v[87:88], v[54:55], v[78:79]
	v_add_f64 v[89:90], v[56:57], v[80:81]
	;; [unrolled: 1-line block ×4, first 2 shown]
	v_cvt_f32_f64_e32 v87, v[87:88]
	v_cvt_f32_f64_e32 v88, v[89:90]
	;; [unrolled: 1-line block ×4, first 2 shown]
	v_min3_f32 v87, v87, v88, v166
	v_min_f32_e32 v88, v89, v90
	v_min3_f32 v86, v86, v88, v87
	v_lshlrev_b64 v[88:89], 3, v[132:133]
	v_cvt_f64_f32_e32 v[86:87], v86
	v_add_co_u32 v88, vcc_lo, v82, v88
	v_add_co_ci_u32_e64 v89, null, v83, v89, vcc_lo
	flat_store_dwordx2 v[88:89], v[86:87]
	s_or_b32 exec_lo, exec_lo, s12
	s_and_b32 s15, s3, s8
	s_and_saveexec_b32 s12, s15
	s_cbranch_execz .LBB127_295
.LBB127_311:
	v_cmp_ne_u32_e32 vcc_lo, 1, v144
	s_cbranch_vccnz .LBB127_313
; %bb.312:
	v_lshlrev_b64 v[86:87], 3, v[134:135]
	v_add_co_u32 v86, vcc_lo, v84, v86
	v_add_co_ci_u32_e64 v87, null, v85, v87, vcc_lo
	flat_load_dwordx2 v[86:87], v[86:87]
	s_waitcnt vmcnt(0) lgkmcnt(0)
	v_mul_f64 v[86:87], s[10:11], v[86:87]
	v_cvt_f32_f64_e32 v86, v[86:87]
	s_branch .LBB127_314
.LBB127_313:
	v_mov_b32_e32 v86, 0
.LBB127_314:
	v_add_f64 v[87:88], v[46:47], v[78:79]
	v_add_f64 v[89:90], v[48:49], v[80:81]
	;; [unrolled: 1-line block ×4, first 2 shown]
	v_cvt_f32_f64_e32 v87, v[87:88]
	v_cvt_f32_f64_e32 v88, v[89:90]
	;; [unrolled: 1-line block ×4, first 2 shown]
	v_min3_f32 v87, v87, v88, v165
	v_min_f32_e32 v88, v89, v90
	v_min3_f32 v86, v86, v88, v87
	v_lshlrev_b64 v[88:89], 3, v[134:135]
	v_cvt_f64_f32_e32 v[86:87], v86
	v_add_co_u32 v88, vcc_lo, v82, v88
	v_add_co_ci_u32_e64 v89, null, v83, v89, vcc_lo
	flat_store_dwordx2 v[88:89], v[86:87]
	s_or_b32 exec_lo, exec_lo, s12
	s_and_b32 s15, s4, s8
	s_and_saveexec_b32 s12, s15
	s_cbranch_execz .LBB127_296
.LBB127_315:
	v_cmp_ne_u32_e32 vcc_lo, 1, v144
	s_cbranch_vccnz .LBB127_317
; %bb.316:
	v_lshlrev_b64 v[86:87], 3, v[136:137]
	v_add_co_u32 v86, vcc_lo, v84, v86
	v_add_co_ci_u32_e64 v87, null, v85, v87, vcc_lo
	flat_load_dwordx2 v[86:87], v[86:87]
	s_waitcnt vmcnt(0) lgkmcnt(0)
	v_mul_f64 v[86:87], s[10:11], v[86:87]
	v_cvt_f32_f64_e32 v86, v[86:87]
	s_branch .LBB127_318
.LBB127_317:
	v_mov_b32_e32 v86, 0
.LBB127_318:
	v_add_f64 v[87:88], v[38:39], v[78:79]
	v_add_f64 v[89:90], v[40:41], v[80:81]
	;; [unrolled: 1-line block ×4, first 2 shown]
	v_cvt_f32_f64_e32 v87, v[87:88]
	v_cvt_f32_f64_e32 v88, v[89:90]
	;; [unrolled: 1-line block ×4, first 2 shown]
	v_min3_f32 v87, v87, v88, v164
	v_min_f32_e32 v88, v89, v90
	v_min3_f32 v86, v86, v88, v87
	v_lshlrev_b64 v[88:89], 3, v[136:137]
	v_cvt_f64_f32_e32 v[86:87], v86
	v_add_co_u32 v88, vcc_lo, v82, v88
	v_add_co_ci_u32_e64 v89, null, v83, v89, vcc_lo
	flat_store_dwordx2 v[88:89], v[86:87]
	s_or_b32 exec_lo, exec_lo, s12
	s_and_b32 s15, s5, s8
	s_and_saveexec_b32 s12, s15
	s_cbranch_execz .LBB127_297
.LBB127_319:
	v_cmp_ne_u32_e32 vcc_lo, 1, v144
	s_cbranch_vccnz .LBB127_321
; %bb.320:
	v_lshlrev_b64 v[86:87], 3, v[138:139]
	v_add_co_u32 v86, vcc_lo, v84, v86
	v_add_co_ci_u32_e64 v87, null, v85, v87, vcc_lo
	flat_load_dwordx2 v[86:87], v[86:87]
	s_waitcnt vmcnt(0) lgkmcnt(0)
	v_mul_f64 v[86:87], s[10:11], v[86:87]
	v_cvt_f32_f64_e32 v86, v[86:87]
	s_branch .LBB127_322
.LBB127_321:
	v_mov_b32_e32 v86, 0
.LBB127_322:
	v_add_f64 v[87:88], v[30:31], v[78:79]
	v_add_f64 v[89:90], v[32:33], v[80:81]
	v_add_f64 v[91:92], v[26:27], v[74:75]
	v_add_f64 v[93:94], v[28:29], v[76:77]
	v_cvt_f32_f64_e32 v87, v[87:88]
	v_cvt_f32_f64_e32 v88, v[89:90]
	v_cvt_f32_f64_e32 v89, v[91:92]
	v_cvt_f32_f64_e32 v90, v[93:94]
	v_min3_f32 v87, v87, v88, v163
	v_min_f32_e32 v88, v89, v90
	v_min3_f32 v86, v86, v88, v87
	v_lshlrev_b64 v[88:89], 3, v[138:139]
	v_cvt_f64_f32_e32 v[86:87], v86
	v_add_co_u32 v88, vcc_lo, v82, v88
	v_add_co_ci_u32_e64 v89, null, v83, v89, vcc_lo
	flat_store_dwordx2 v[88:89], v[86:87]
	s_or_b32 exec_lo, exec_lo, s12
	s_and_b32 s15, s6, s8
	s_and_saveexec_b32 s12, s15
	s_cbranch_execz .LBB127_298
.LBB127_323:
	v_cmp_ne_u32_e32 vcc_lo, 1, v144
	s_cbranch_vccnz .LBB127_325
; %bb.324:
	v_lshlrev_b64 v[86:87], 3, v[140:141]
	v_add_co_u32 v86, vcc_lo, v84, v86
	v_add_co_ci_u32_e64 v87, null, v85, v87, vcc_lo
	flat_load_dwordx2 v[86:87], v[86:87]
	s_waitcnt vmcnt(0) lgkmcnt(0)
	v_mul_f64 v[86:87], s[10:11], v[86:87]
	v_cvt_f32_f64_e32 v86, v[86:87]
	s_branch .LBB127_326
.LBB127_325:
	v_mov_b32_e32 v86, 0
.LBB127_326:
	v_add_f64 v[87:88], v[22:23], v[78:79]
	v_add_f64 v[89:90], v[24:25], v[80:81]
	;; [unrolled: 1-line block ×4, first 2 shown]
	v_cvt_f32_f64_e32 v87, v[87:88]
	v_cvt_f32_f64_e32 v88, v[89:90]
	;; [unrolled: 1-line block ×4, first 2 shown]
	v_min3_f32 v87, v87, v88, v162
	v_min_f32_e32 v88, v89, v90
	v_min3_f32 v86, v86, v88, v87
	v_lshlrev_b64 v[88:89], 3, v[140:141]
	v_cvt_f64_f32_e32 v[86:87], v86
	v_add_co_u32 v88, vcc_lo, v82, v88
	v_add_co_ci_u32_e64 v89, null, v83, v89, vcc_lo
	flat_store_dwordx2 v[88:89], v[86:87]
	s_or_b32 exec_lo, exec_lo, s12
	s_and_b32 s12, s7, s8
	s_and_saveexec_b32 s8, s12
	s_cbranch_execz .LBB127_331
.LBB127_327:
	v_cmp_ne_u32_e32 vcc_lo, 1, v144
	s_cbranch_vccnz .LBB127_329
; %bb.328:
	v_lshlrev_b64 v[86:87], 3, v[142:143]
	v_add_co_u32 v84, vcc_lo, v84, v86
	v_add_co_ci_u32_e64 v85, null, v85, v87, vcc_lo
	flat_load_dwordx2 v[84:85], v[84:85]
	s_waitcnt vmcnt(0) lgkmcnt(0)
	v_mul_f64 v[84:85], s[10:11], v[84:85]
	v_cvt_f32_f64_e32 v84, v[84:85]
	s_branch .LBB127_330
.LBB127_329:
	v_mov_b32_e32 v84, 0
.LBB127_330:
	v_add_f64 v[78:79], v[6:7], v[78:79]
	v_add_f64 v[80:81], v[8:9], v[80:81]
	v_add_f64 v[74:75], v[2:3], v[74:75]
	v_add_f64 v[76:77], v[4:5], v[76:77]
	v_cvt_f32_f64_e32 v78, v[78:79]
	v_cvt_f32_f64_e32 v79, v[80:81]
	v_cvt_f32_f64_e32 v74, v[74:75]
	v_cvt_f32_f64_e32 v75, v[76:77]
	v_min3_f32 v76, v78, v79, v161
	v_min_f32_e32 v74, v74, v75
	v_min3_f32 v74, v84, v74, v76
	v_lshlrev_b64 v[76:77], 3, v[142:143]
	v_cvt_f64_f32_e32 v[74:75], v74
	v_add_co_u32 v76, vcc_lo, v82, v76
	v_add_co_ci_u32_e64 v77, null, v83, v77, vcc_lo
	flat_store_dwordx2 v[76:77], v[74:75]
.LBB127_331:
	s_or_b32 exec_lo, exec_lo, s8
	v_add_nc_u32_e32 v78, 0xe0, v145
	v_mad_i64_i32 v[74:75], null, v78, s18, 0
	v_mad_i64_i32 v[76:77], null, v78, s14, 0
	v_cmp_gt_i32_e64 s8, s13, v78
	v_lshlrev_b64 v[74:75], 3, v[74:75]
	v_lshlrev_b64 v[78:79], 3, v[76:77]
	v_add_co_u32 v76, vcc_lo, s16, v74
	v_add_co_ci_u32_e64 v77, null, s17, v75, vcc_lo
	v_add_co_u32 v74, vcc_lo, s19, v78
	v_add_co_ci_u32_e64 v75, null, s9, v79, vcc_lo
	s_and_b32 s9, s0, s8
	s_and_saveexec_b32 s0, s9
	s_cbranch_execnz .LBB127_340
; %bb.332:
	s_or_b32 exec_lo, exec_lo, s0
	s_and_b32 s1, s1, s8
	s_and_saveexec_b32 s0, s1
	s_cbranch_execnz .LBB127_344
.LBB127_333:
	s_or_b32 exec_lo, exec_lo, s0
	s_and_b32 s1, s2, s8
	s_and_saveexec_b32 s0, s1
	s_cbranch_execnz .LBB127_348
.LBB127_334:
	s_or_b32 exec_lo, exec_lo, s0
	s_and_b32 s1, s3, s8
	s_and_saveexec_b32 s0, s1
	s_cbranch_execnz .LBB127_352
.LBB127_335:
	s_or_b32 exec_lo, exec_lo, s0
	s_and_b32 s1, s4, s8
	s_and_saveexec_b32 s0, s1
	s_cbranch_execnz .LBB127_356
.LBB127_336:
	s_or_b32 exec_lo, exec_lo, s0
	s_and_b32 s1, s5, s8
	s_and_saveexec_b32 s0, s1
	s_cbranch_execnz .LBB127_360
.LBB127_337:
	s_or_b32 exec_lo, exec_lo, s0
	s_and_b32 s1, s6, s8
	s_and_saveexec_b32 s0, s1
	s_cbranch_execnz .LBB127_364
.LBB127_338:
	s_or_b32 exec_lo, exec_lo, s0
	s_and_b32 s0, s7, s8
	s_and_saveexec_b32 s1, s0
	s_cbranch_execnz .LBB127_368
.LBB127_339:
	s_endpgm
.LBB127_340:
	v_cmp_ne_u32_e32 vcc_lo, 1, v144
	v_lshlrev_b64 v[0:1], 3, v[0:1]
	s_cbranch_vccnz .LBB127_342
; %bb.341:
	v_add_co_u32 v78, vcc_lo, v76, v0
	v_add_co_ci_u32_e64 v79, null, v77, v1, vcc_lo
	flat_load_dwordx2 v[78:79], v[78:79]
	s_waitcnt vmcnt(0) lgkmcnt(0)
	v_mul_f64 v[78:79], s[10:11], v[78:79]
	v_cvt_f32_f64_e32 v78, v[78:79]
	s_branch .LBB127_343
.LBB127_342:
	v_mov_b32_e32 v78, 0
.LBB127_343:
	v_add_f64 v[70:71], v[70:71], v[14:15]
	v_add_f64 v[72:73], v[72:73], v[16:17]
	;; [unrolled: 1-line block ×4, first 2 shown]
	v_add_co_u32 v0, vcc_lo, v74, v0
	v_add_co_ci_u32_e64 v1, null, v75, v1, vcc_lo
	v_cvt_f32_f64_e32 v70, v[70:71]
	v_cvt_f32_f64_e32 v71, v[72:73]
	;; [unrolled: 1-line block ×4, first 2 shown]
	v_min3_f32 v68, v70, v71, v160
	v_min_f32_e32 v66, v66, v67
	v_min3_f32 v66, v78, v66, v68
	v_cvt_f64_f32_e32 v[66:67], v66
	flat_store_dwordx2 v[0:1], v[66:67]
	s_or_b32 exec_lo, exec_lo, s0
	s_and_b32 s1, s1, s8
	s_and_saveexec_b32 s0, s1
	s_cbranch_execz .LBB127_333
.LBB127_344:
	v_cmp_ne_u32_e32 vcc_lo, 1, v144
	v_lshlrev_b64 v[0:1], 3, v[130:131]
	s_cbranch_vccnz .LBB127_346
; %bb.345:
	v_add_co_u32 v66, vcc_lo, v76, v0
	v_add_co_ci_u32_e64 v67, null, v77, v1, vcc_lo
	flat_load_dwordx2 v[66:67], v[66:67]
	s_waitcnt vmcnt(0) lgkmcnt(0)
	v_mul_f64 v[66:67], s[10:11], v[66:67]
	v_cvt_f32_f64_e32 v66, v[66:67]
	s_branch .LBB127_347
.LBB127_346:
	v_mov_b32_e32 v66, 0
.LBB127_347:
	v_add_f64 v[62:63], v[62:63], v[14:15]
	v_add_f64 v[64:65], v[64:65], v[16:17]
	;; [unrolled: 1-line block ×4, first 2 shown]
	v_add_co_u32 v0, vcc_lo, v74, v0
	v_add_co_ci_u32_e64 v1, null, v75, v1, vcc_lo
	v_cvt_f32_f64_e32 v62, v[62:63]
	v_cvt_f32_f64_e32 v63, v[64:65]
	;; [unrolled: 1-line block ×4, first 2 shown]
	v_min3_f32 v60, v62, v63, v159
	v_min_f32_e32 v58, v58, v59
	v_min3_f32 v58, v66, v58, v60
	v_cvt_f64_f32_e32 v[58:59], v58
	flat_store_dwordx2 v[0:1], v[58:59]
	s_or_b32 exec_lo, exec_lo, s0
	s_and_b32 s1, s2, s8
	s_and_saveexec_b32 s0, s1
	s_cbranch_execz .LBB127_334
.LBB127_348:
	v_cmp_ne_u32_e32 vcc_lo, 1, v144
	v_lshlrev_b64 v[0:1], 3, v[132:133]
	s_cbranch_vccnz .LBB127_350
; %bb.349:
	v_add_co_u32 v58, vcc_lo, v76, v0
	v_add_co_ci_u32_e64 v59, null, v77, v1, vcc_lo
	flat_load_dwordx2 v[58:59], v[58:59]
	s_waitcnt vmcnt(0) lgkmcnt(0)
	v_mul_f64 v[58:59], s[10:11], v[58:59]
	v_cvt_f32_f64_e32 v58, v[58:59]
	s_branch .LBB127_351
.LBB127_350:
	v_mov_b32_e32 v58, 0
.LBB127_351:
	v_add_f64 v[54:55], v[54:55], v[14:15]
	v_add_f64 v[56:57], v[56:57], v[16:17]
	;; [unrolled: 1-line block ×4, first 2 shown]
	v_add_co_u32 v0, vcc_lo, v74, v0
	v_add_co_ci_u32_e64 v1, null, v75, v1, vcc_lo
	v_cvt_f32_f64_e32 v54, v[54:55]
	v_cvt_f32_f64_e32 v55, v[56:57]
	;; [unrolled: 1-line block ×4, first 2 shown]
	v_min3_f32 v52, v54, v55, v158
	v_min_f32_e32 v50, v50, v51
	v_min3_f32 v50, v58, v50, v52
	v_cvt_f64_f32_e32 v[50:51], v50
	flat_store_dwordx2 v[0:1], v[50:51]
	s_or_b32 exec_lo, exec_lo, s0
	s_and_b32 s1, s3, s8
	s_and_saveexec_b32 s0, s1
	s_cbranch_execz .LBB127_335
.LBB127_352:
	v_cmp_ne_u32_e32 vcc_lo, 1, v144
	v_lshlrev_b64 v[0:1], 3, v[134:135]
	s_cbranch_vccnz .LBB127_354
; %bb.353:
	v_add_co_u32 v50, vcc_lo, v76, v0
	v_add_co_ci_u32_e64 v51, null, v77, v1, vcc_lo
	flat_load_dwordx2 v[50:51], v[50:51]
	s_waitcnt vmcnt(0) lgkmcnt(0)
	v_mul_f64 v[50:51], s[10:11], v[50:51]
	v_cvt_f32_f64_e32 v50, v[50:51]
	s_branch .LBB127_355
.LBB127_354:
	v_mov_b32_e32 v50, 0
.LBB127_355:
	v_add_f64 v[46:47], v[46:47], v[14:15]
	v_add_f64 v[48:49], v[48:49], v[16:17]
	;; [unrolled: 1-line block ×4, first 2 shown]
	v_add_co_u32 v0, vcc_lo, v74, v0
	v_add_co_ci_u32_e64 v1, null, v75, v1, vcc_lo
	v_cvt_f32_f64_e32 v46, v[46:47]
	v_cvt_f32_f64_e32 v47, v[48:49]
	;; [unrolled: 1-line block ×4, first 2 shown]
	v_min3_f32 v44, v46, v47, v157
	v_min_f32_e32 v42, v42, v43
	v_min3_f32 v42, v50, v42, v44
	v_cvt_f64_f32_e32 v[42:43], v42
	flat_store_dwordx2 v[0:1], v[42:43]
	s_or_b32 exec_lo, exec_lo, s0
	s_and_b32 s1, s4, s8
	s_and_saveexec_b32 s0, s1
	s_cbranch_execz .LBB127_336
.LBB127_356:
	v_cmp_ne_u32_e32 vcc_lo, 1, v144
	v_lshlrev_b64 v[0:1], 3, v[136:137]
	s_cbranch_vccnz .LBB127_358
; %bb.357:
	v_add_co_u32 v42, vcc_lo, v76, v0
	v_add_co_ci_u32_e64 v43, null, v77, v1, vcc_lo
	flat_load_dwordx2 v[42:43], v[42:43]
	s_waitcnt vmcnt(0) lgkmcnt(0)
	v_mul_f64 v[42:43], s[10:11], v[42:43]
	v_cvt_f32_f64_e32 v42, v[42:43]
	s_branch .LBB127_359
.LBB127_358:
	v_mov_b32_e32 v42, 0
.LBB127_359:
	v_add_f64 v[38:39], v[38:39], v[14:15]
	v_add_f64 v[40:41], v[40:41], v[16:17]
	;; [unrolled: 1-line block ×4, first 2 shown]
	v_add_co_u32 v0, vcc_lo, v74, v0
	v_add_co_ci_u32_e64 v1, null, v75, v1, vcc_lo
	v_cvt_f32_f64_e32 v38, v[38:39]
	v_cvt_f32_f64_e32 v39, v[40:41]
	;; [unrolled: 1-line block ×4, first 2 shown]
	v_min3_f32 v36, v38, v39, v156
	v_min_f32_e32 v34, v34, v35
	v_min3_f32 v34, v42, v34, v36
	v_cvt_f64_f32_e32 v[34:35], v34
	flat_store_dwordx2 v[0:1], v[34:35]
	s_or_b32 exec_lo, exec_lo, s0
	s_and_b32 s1, s5, s8
	s_and_saveexec_b32 s0, s1
	s_cbranch_execz .LBB127_337
.LBB127_360:
	v_cmp_ne_u32_e32 vcc_lo, 1, v144
	v_lshlrev_b64 v[0:1], 3, v[138:139]
	s_cbranch_vccnz .LBB127_362
; %bb.361:
	v_add_co_u32 v34, vcc_lo, v76, v0
	v_add_co_ci_u32_e64 v35, null, v77, v1, vcc_lo
	flat_load_dwordx2 v[34:35], v[34:35]
	s_waitcnt vmcnt(0) lgkmcnt(0)
	v_mul_f64 v[34:35], s[10:11], v[34:35]
	v_cvt_f32_f64_e32 v34, v[34:35]
	s_branch .LBB127_363
.LBB127_362:
	v_mov_b32_e32 v34, 0
.LBB127_363:
	v_add_f64 v[30:31], v[30:31], v[14:15]
	v_add_f64 v[32:33], v[32:33], v[16:17]
	v_add_f64 v[26:27], v[26:27], v[10:11]
	v_add_f64 v[28:29], v[28:29], v[12:13]
	v_add_co_u32 v0, vcc_lo, v74, v0
	v_add_co_ci_u32_e64 v1, null, v75, v1, vcc_lo
	v_cvt_f32_f64_e32 v30, v[30:31]
	v_cvt_f32_f64_e32 v31, v[32:33]
	;; [unrolled: 1-line block ×4, first 2 shown]
	v_min3_f32 v28, v30, v31, v155
	v_min_f32_e32 v26, v26, v27
	v_min3_f32 v26, v34, v26, v28
	v_cvt_f64_f32_e32 v[26:27], v26
	flat_store_dwordx2 v[0:1], v[26:27]
	s_or_b32 exec_lo, exec_lo, s0
	s_and_b32 s1, s6, s8
	s_and_saveexec_b32 s0, s1
	s_cbranch_execz .LBB127_338
.LBB127_364:
	v_cmp_ne_u32_e32 vcc_lo, 1, v144
	v_lshlrev_b64 v[0:1], 3, v[140:141]
	s_cbranch_vccnz .LBB127_366
; %bb.365:
	v_add_co_u32 v26, vcc_lo, v76, v0
	v_add_co_ci_u32_e64 v27, null, v77, v1, vcc_lo
	flat_load_dwordx2 v[26:27], v[26:27]
	s_waitcnt vmcnt(0) lgkmcnt(0)
	v_mul_f64 v[26:27], s[10:11], v[26:27]
	v_cvt_f32_f64_e32 v26, v[26:27]
	s_branch .LBB127_367
.LBB127_366:
	v_mov_b32_e32 v26, 0
.LBB127_367:
	v_add_f64 v[22:23], v[22:23], v[14:15]
	v_add_f64 v[24:25], v[24:25], v[16:17]
	;; [unrolled: 1-line block ×4, first 2 shown]
	v_add_co_u32 v0, vcc_lo, v74, v0
	v_add_co_ci_u32_e64 v1, null, v75, v1, vcc_lo
	v_cvt_f32_f64_e32 v22, v[22:23]
	v_cvt_f32_f64_e32 v23, v[24:25]
	;; [unrolled: 1-line block ×4, first 2 shown]
	v_min3_f32 v20, v22, v23, v154
	v_min_f32_e32 v18, v18, v19
	v_min3_f32 v18, v26, v18, v20
	v_cvt_f64_f32_e32 v[18:19], v18
	flat_store_dwordx2 v[0:1], v[18:19]
	s_or_b32 exec_lo, exec_lo, s0
	s_and_b32 s0, s7, s8
	s_and_saveexec_b32 s1, s0
	s_cbranch_execz .LBB127_339
.LBB127_368:
	v_cmp_ne_u32_e32 vcc_lo, 1, v144
	v_lshlrev_b64 v[0:1], 3, v[142:143]
	s_cbranch_vccnz .LBB127_370
; %bb.369:
	v_add_co_u32 v18, vcc_lo, v76, v0
	v_add_co_ci_u32_e64 v19, null, v77, v1, vcc_lo
	flat_load_dwordx2 v[18:19], v[18:19]
	s_waitcnt vmcnt(0) lgkmcnt(0)
	v_mul_f64 v[18:19], s[10:11], v[18:19]
	v_cvt_f32_f64_e32 v18, v[18:19]
	s_branch .LBB127_371
.LBB127_370:
	v_mov_b32_e32 v18, 0
.LBB127_371:
	v_add_f64 v[6:7], v[6:7], v[14:15]
	v_add_f64 v[8:9], v[8:9], v[16:17]
	;; [unrolled: 1-line block ×4, first 2 shown]
	v_add_co_u32 v0, vcc_lo, v74, v0
	v_add_co_ci_u32_e64 v1, null, v75, v1, vcc_lo
	v_cvt_f32_f64_e32 v6, v[6:7]
	v_cvt_f32_f64_e32 v7, v[8:9]
	;; [unrolled: 1-line block ×4, first 2 shown]
	v_min3_f32 v4, v6, v7, v153
	v_min_f32_e32 v2, v2, v3
	v_min3_f32 v2, v18, v2, v4
	v_cvt_f64_f32_e32 v[2:3], v2
	flat_store_dwordx2 v[0:1], v[2:3]
	s_endpgm
	.section	.rodata,"a",@progbits
	.p2align	6, 0x0
	.amdhsa_kernel _ZN12_GLOBAL__N_120geam_min_plus_kernelId15HIP_vector_typeIdLj2EEdLi8ELi32ELi64ELi256ELi4ELi4ELi64ELi64ELi4ELc84ELc84ELb1ELb1ELb1EdKPKdKPdEEviiiT16_PT17_ilSA_ilS8_SA_ilPT18_ili26rocblas_geam_ex_operation_
		.amdhsa_group_segment_fixed_size 20480
		.amdhsa_private_segment_fixed_size 0
		.amdhsa_kernarg_size 136
		.amdhsa_user_sgpr_count 6
		.amdhsa_user_sgpr_private_segment_buffer 1
		.amdhsa_user_sgpr_dispatch_ptr 0
		.amdhsa_user_sgpr_queue_ptr 0
		.amdhsa_user_sgpr_kernarg_segment_ptr 1
		.amdhsa_user_sgpr_dispatch_id 0
		.amdhsa_user_sgpr_flat_scratch_init 0
		.amdhsa_user_sgpr_private_segment_size 0
		.amdhsa_wavefront_size32 1
		.amdhsa_uses_dynamic_stack 0
		.amdhsa_system_sgpr_private_segment_wavefront_offset 0
		.amdhsa_system_sgpr_workgroup_id_x 1
		.amdhsa_system_sgpr_workgroup_id_y 0
		.amdhsa_system_sgpr_workgroup_id_z 1
		.amdhsa_system_sgpr_workgroup_info 0
		.amdhsa_system_vgpr_workitem_id 1
		.amdhsa_next_free_vgpr 229
		.amdhsa_next_free_sgpr 30
		.amdhsa_reserve_vcc 1
		.amdhsa_reserve_flat_scratch 0
		.amdhsa_float_round_mode_32 0
		.amdhsa_float_round_mode_16_64 0
		.amdhsa_float_denorm_mode_32 3
		.amdhsa_float_denorm_mode_16_64 3
		.amdhsa_dx10_clamp 1
		.amdhsa_ieee_mode 1
		.amdhsa_fp16_overflow 0
		.amdhsa_workgroup_processor_mode 1
		.amdhsa_memory_ordered 1
		.amdhsa_forward_progress 1
		.amdhsa_shared_vgpr_count 0
		.amdhsa_exception_fp_ieee_invalid_op 0
		.amdhsa_exception_fp_denorm_src 0
		.amdhsa_exception_fp_ieee_div_zero 0
		.amdhsa_exception_fp_ieee_overflow 0
		.amdhsa_exception_fp_ieee_underflow 0
		.amdhsa_exception_fp_ieee_inexact 0
		.amdhsa_exception_int_div_zero 0
	.end_amdhsa_kernel
	.section	.text._ZN12_GLOBAL__N_120geam_min_plus_kernelId15HIP_vector_typeIdLj2EEdLi8ELi32ELi64ELi256ELi4ELi4ELi64ELi64ELi4ELc84ELc84ELb1ELb1ELb1EdKPKdKPdEEviiiT16_PT17_ilSA_ilS8_SA_ilPT18_ili26rocblas_geam_ex_operation_,"axG",@progbits,_ZN12_GLOBAL__N_120geam_min_plus_kernelId15HIP_vector_typeIdLj2EEdLi8ELi32ELi64ELi256ELi4ELi4ELi64ELi64ELi4ELc84ELc84ELb1ELb1ELb1EdKPKdKPdEEviiiT16_PT17_ilSA_ilS8_SA_ilPT18_ili26rocblas_geam_ex_operation_,comdat
.Lfunc_end127:
	.size	_ZN12_GLOBAL__N_120geam_min_plus_kernelId15HIP_vector_typeIdLj2EEdLi8ELi32ELi64ELi256ELi4ELi4ELi64ELi64ELi4ELc84ELc84ELb1ELb1ELb1EdKPKdKPdEEviiiT16_PT17_ilSA_ilS8_SA_ilPT18_ili26rocblas_geam_ex_operation_, .Lfunc_end127-_ZN12_GLOBAL__N_120geam_min_plus_kernelId15HIP_vector_typeIdLj2EEdLi8ELi32ELi64ELi256ELi4ELi4ELi64ELi64ELi4ELc84ELc84ELb1ELb1ELb1EdKPKdKPdEEviiiT16_PT17_ilSA_ilS8_SA_ilPT18_ili26rocblas_geam_ex_operation_
                                        ; -- End function
	.set _ZN12_GLOBAL__N_120geam_min_plus_kernelId15HIP_vector_typeIdLj2EEdLi8ELi32ELi64ELi256ELi4ELi4ELi64ELi64ELi4ELc84ELc84ELb1ELb1ELb1EdKPKdKPdEEviiiT16_PT17_ilSA_ilS8_SA_ilPT18_ili26rocblas_geam_ex_operation_.num_vgpr, 229
	.set _ZN12_GLOBAL__N_120geam_min_plus_kernelId15HIP_vector_typeIdLj2EEdLi8ELi32ELi64ELi256ELi4ELi4ELi64ELi64ELi4ELc84ELc84ELb1ELb1ELb1EdKPKdKPdEEviiiT16_PT17_ilSA_ilS8_SA_ilPT18_ili26rocblas_geam_ex_operation_.num_agpr, 0
	.set _ZN12_GLOBAL__N_120geam_min_plus_kernelId15HIP_vector_typeIdLj2EEdLi8ELi32ELi64ELi256ELi4ELi4ELi64ELi64ELi4ELc84ELc84ELb1ELb1ELb1EdKPKdKPdEEviiiT16_PT17_ilSA_ilS8_SA_ilPT18_ili26rocblas_geam_ex_operation_.numbered_sgpr, 30
	.set _ZN12_GLOBAL__N_120geam_min_plus_kernelId15HIP_vector_typeIdLj2EEdLi8ELi32ELi64ELi256ELi4ELi4ELi64ELi64ELi4ELc84ELc84ELb1ELb1ELb1EdKPKdKPdEEviiiT16_PT17_ilSA_ilS8_SA_ilPT18_ili26rocblas_geam_ex_operation_.num_named_barrier, 0
	.set _ZN12_GLOBAL__N_120geam_min_plus_kernelId15HIP_vector_typeIdLj2EEdLi8ELi32ELi64ELi256ELi4ELi4ELi64ELi64ELi4ELc84ELc84ELb1ELb1ELb1EdKPKdKPdEEviiiT16_PT17_ilSA_ilS8_SA_ilPT18_ili26rocblas_geam_ex_operation_.private_seg_size, 0
	.set _ZN12_GLOBAL__N_120geam_min_plus_kernelId15HIP_vector_typeIdLj2EEdLi8ELi32ELi64ELi256ELi4ELi4ELi64ELi64ELi4ELc84ELc84ELb1ELb1ELb1EdKPKdKPdEEviiiT16_PT17_ilSA_ilS8_SA_ilPT18_ili26rocblas_geam_ex_operation_.uses_vcc, 1
	.set _ZN12_GLOBAL__N_120geam_min_plus_kernelId15HIP_vector_typeIdLj2EEdLi8ELi32ELi64ELi256ELi4ELi4ELi64ELi64ELi4ELc84ELc84ELb1ELb1ELb1EdKPKdKPdEEviiiT16_PT17_ilSA_ilS8_SA_ilPT18_ili26rocblas_geam_ex_operation_.uses_flat_scratch, 0
	.set _ZN12_GLOBAL__N_120geam_min_plus_kernelId15HIP_vector_typeIdLj2EEdLi8ELi32ELi64ELi256ELi4ELi4ELi64ELi64ELi4ELc84ELc84ELb1ELb1ELb1EdKPKdKPdEEviiiT16_PT17_ilSA_ilS8_SA_ilPT18_ili26rocblas_geam_ex_operation_.has_dyn_sized_stack, 0
	.set _ZN12_GLOBAL__N_120geam_min_plus_kernelId15HIP_vector_typeIdLj2EEdLi8ELi32ELi64ELi256ELi4ELi4ELi64ELi64ELi4ELc84ELc84ELb1ELb1ELb1EdKPKdKPdEEviiiT16_PT17_ilSA_ilS8_SA_ilPT18_ili26rocblas_geam_ex_operation_.has_recursion, 0
	.set _ZN12_GLOBAL__N_120geam_min_plus_kernelId15HIP_vector_typeIdLj2EEdLi8ELi32ELi64ELi256ELi4ELi4ELi64ELi64ELi4ELc84ELc84ELb1ELb1ELb1EdKPKdKPdEEviiiT16_PT17_ilSA_ilS8_SA_ilPT18_ili26rocblas_geam_ex_operation_.has_indirect_call, 0
	.section	.AMDGPU.csdata,"",@progbits
; Kernel info:
; codeLenInByte = 29204
; TotalNumSgprs: 32
; NumVgprs: 229
; ScratchSize: 0
; MemoryBound: 0
; FloatMode: 240
; IeeeMode: 1
; LDSByteSize: 20480 bytes/workgroup (compile time only)
; SGPRBlocks: 0
; VGPRBlocks: 28
; NumSGPRsForWavesPerEU: 32
; NumVGPRsForWavesPerEU: 229
; Occupancy: 4
; WaveLimiterHint : 1
; COMPUTE_PGM_RSRC2:SCRATCH_EN: 0
; COMPUTE_PGM_RSRC2:USER_SGPR: 6
; COMPUTE_PGM_RSRC2:TRAP_HANDLER: 0
; COMPUTE_PGM_RSRC2:TGID_X_EN: 1
; COMPUTE_PGM_RSRC2:TGID_Y_EN: 0
; COMPUTE_PGM_RSRC2:TGID_Z_EN: 1
; COMPUTE_PGM_RSRC2:TIDIG_COMP_CNT: 1
	.section	.text._ZN12_GLOBAL__N_120geam_min_plus_kernelId15HIP_vector_typeIdLj2EEdLi8ELi32ELi64ELi256ELi4ELi4ELi64ELi64ELi4ELc84ELc84ELb0ELb1ELb1EdKPKdKPdEEviiiT16_PT17_ilSA_ilS8_SA_ilPT18_ili26rocblas_geam_ex_operation_,"axG",@progbits,_ZN12_GLOBAL__N_120geam_min_plus_kernelId15HIP_vector_typeIdLj2EEdLi8ELi32ELi64ELi256ELi4ELi4ELi64ELi64ELi4ELc84ELc84ELb0ELb1ELb1EdKPKdKPdEEviiiT16_PT17_ilSA_ilS8_SA_ilPT18_ili26rocblas_geam_ex_operation_,comdat
	.globl	_ZN12_GLOBAL__N_120geam_min_plus_kernelId15HIP_vector_typeIdLj2EEdLi8ELi32ELi64ELi256ELi4ELi4ELi64ELi64ELi4ELc84ELc84ELb0ELb1ELb1EdKPKdKPdEEviiiT16_PT17_ilSA_ilS8_SA_ilPT18_ili26rocblas_geam_ex_operation_ ; -- Begin function _ZN12_GLOBAL__N_120geam_min_plus_kernelId15HIP_vector_typeIdLj2EEdLi8ELi32ELi64ELi256ELi4ELi4ELi64ELi64ELi4ELc84ELc84ELb0ELb1ELb1EdKPKdKPdEEviiiT16_PT17_ilSA_ilS8_SA_ilPT18_ili26rocblas_geam_ex_operation_
	.p2align	8
	.type	_ZN12_GLOBAL__N_120geam_min_plus_kernelId15HIP_vector_typeIdLj2EEdLi8ELi32ELi64ELi256ELi4ELi4ELi64ELi64ELi4ELc84ELc84ELb0ELb1ELb1EdKPKdKPdEEviiiT16_PT17_ilSA_ilS8_SA_ilPT18_ili26rocblas_geam_ex_operation_,@function
_ZN12_GLOBAL__N_120geam_min_plus_kernelId15HIP_vector_typeIdLj2EEdLi8ELi32ELi64ELi256ELi4ELi4ELi64ELi64ELi4ELc84ELc84ELb0ELb1ELb1EdKPKdKPdEEviiiT16_PT17_ilSA_ilS8_SA_ilPT18_ili26rocblas_geam_ex_operation_: ; @_ZN12_GLOBAL__N_120geam_min_plus_kernelId15HIP_vector_typeIdLj2EEdLi8ELi32ELi64ELi256ELi4ELi4ELi64ELi64ELi4ELc84ELc84ELb0ELb1ELb1EdKPKdKPdEEviiiT16_PT17_ilSA_ilS8_SA_ilPT18_ili26rocblas_geam_ex_operation_
; %bb.0:
	s_clause 0x1
	s_load_dwordx4 s[16:19], s[4:5], 0x10
	s_load_dwordx4 s[0:3], s[4:5], 0x28
	s_mov_b32 s24, s7
	s_mov_b64 s[22:23], 0
	s_waitcnt lgkmcnt(0)
	v_cmp_eq_f64_e64 s7, s[16:17], 0
	s_and_b32 vcc_lo, exec_lo, s7
	s_cbranch_vccnz .LBB128_2
; %bb.1:
	s_mov_b32 s25, 0
	s_lshl_b64 s[8:9], s[24:25], 3
	s_add_u32 s8, s18, s8
	s_addc_u32 s9, s19, s9
	s_lshl_b64 s[0:1], s[0:1], 3
	s_load_dwordx2 s[8:9], s[8:9], 0x0
	s_waitcnt lgkmcnt(0)
	s_add_u32 s22, s8, s0
	s_addc_u32 s23, s9, s1
.LBB128_2:
	s_clause 0x1
	s_load_dwordx4 s[8:11], s[4:5], 0x40
	s_load_dwordx2 s[12:13], s[4:5], 0x50
	s_andn2_b32 vcc_lo, exec_lo, s7
	s_mov_b32 s25, 0
	s_cbranch_vccnz .LBB128_4
; %bb.3:
	s_mov_b32 s0, s25
	s_mov_b64 s[18:19], 0
	s_andn2_b32 vcc_lo, exec_lo, s0
	s_mov_b64 s[20:21], 0
	s_cbranch_vccz .LBB128_5
	s_branch .LBB128_6
.LBB128_4:
	s_mov_b64 s[18:19], 0
	s_mov_b64 s[20:21], 0
.LBB128_5:
	s_lshl_b64 s[0:1], s[24:25], 3
	s_add_u32 s0, s2, s0
	s_addc_u32 s1, s3, s1
	s_waitcnt lgkmcnt(0)
	s_lshl_b64 s[2:3], s[8:9], 3
	s_load_dwordx2 s[0:1], s[0:1], 0x0
	s_waitcnt lgkmcnt(0)
	s_add_u32 s20, s0, s2
	s_addc_u32 s21, s1, s3
.LBB128_6:
	s_waitcnt lgkmcnt(0)
	v_cmp_eq_f64_e64 s7, s[10:11], 0
	v_cmp_neq_f64_e64 s26, s[10:11], 0
	s_load_dwordx4 s[0:3], s[4:5], 0x60
	s_and_b32 vcc_lo, exec_lo, s7
	s_cbranch_vccnz .LBB128_8
; %bb.7:
	s_lshl_b64 s[8:9], s[24:25], 3
	s_add_u32 s8, s12, s8
	s_addc_u32 s9, s13, s9
	s_waitcnt lgkmcnt(0)
	s_lshl_b64 s[0:1], s[0:1], 3
	s_load_dwordx2 s[8:9], s[8:9], 0x0
	s_waitcnt lgkmcnt(0)
	s_add_u32 s18, s8, s0
	s_addc_u32 s19, s9, s1
.LBB128_8:
	s_clause 0x1
	s_load_dwordx4 s[12:15], s[4:5], 0x0
	s_load_dword s28, s[4:5], 0x20
	s_waitcnt lgkmcnt(0)
	s_lshl_b64 s[0:1], s[24:25], 3
	v_lshl_add_u32 v4, v1, 3, v0
	s_add_u32 s8, s2, s0
	s_addc_u32 s9, s3, s1
	v_cmp_eq_f64_e64 s25, s[16:17], 0
	v_and_b32_e32 v144, 3, v0
	v_lshrrev_b32_e32 v12, 2, v4
	s_add_i32 s0, s12, -1
	s_ashr_i32 s1, s0, 31
	s_lshr_b32 s1, s1, 26
	s_add_i32 s0, s0, s1
	s_ashr_i32 s0, s0, 6
	s_add_i32 s2, s0, 1
	s_not_b32 s0, s0
	v_cvt_f32_u32_e32 v2, s2
	v_rcp_iflag_f32_e32 v2, v2
	v_mul_f32_e32 v2, 0x4f7ffffe, v2
	v_cvt_u32_f32_e32 v2, v2
	v_readfirstlane_b32 s1, v2
                                        ; implicit-def: $vgpr2_vgpr3
	s_mul_i32 s0, s0, s1
	s_mul_hi_u32 s0, s1, s0
	s_add_i32 s1, s1, s0
	s_mul_hi_u32 s0, s6, s1
	s_mul_i32 s1, s0, s2
	s_add_i32 s3, s0, 1
	s_sub_i32 s1, s6, s1
	s_sub_i32 s7, s1, s2
	s_cmp_ge_u32 s1, s2
	s_cselect_b32 s0, s3, s0
	s_cselect_b32 s1, s7, s1
	s_add_i32 s3, s0, 1
	s_cmp_ge_u32 s1, s2
	s_cselect_b32 s1, s3, s0
	s_mul_i32 s0, s1, s2
	s_sub_i32 s0, s6, s0
                                        ; implicit-def: $sgpr6
	s_lshl_b32 s15, s0, 6
	v_cmp_le_i32_e64 s0, s14, v144
	v_add_nc_u32_e32 v78, s15, v12
	v_cmp_le_i32_e32 vcc_lo, s12, v78
	s_or_b32 s2, s0, vcc_lo
	s_nor_b32 s0, s25, s2
	s_and_saveexec_b32 s3, s0
	s_xor_b32 s3, exec_lo, s3
	s_cbranch_execz .LBB128_10
; %bb.9:
	v_mad_i64_i32 v[2:3], null, v78, s28, 0
	s_add_i32 s6, s14, -1
	v_min_u32_e32 v5, s6, v144
	v_lshlrev_b64 v[2:3], 3, v[2:3]
	v_lshlrev_b32_e32 v5, 3, v5
	v_add_co_u32 v2, s0, s22, v2
	v_add_co_ci_u32_e64 v3, null, s23, v3, s0
	v_add_co_u32 v2, s0, v2, v5
	v_add_co_ci_u32_e64 v3, null, 0, v3, s0
	flat_load_dwordx2 v[2:3], v[2:3]
	s_waitcnt vmcnt(0) lgkmcnt(0)
	v_mul_f64 v[2:3], s[16:17], v[2:3]
.LBB128_10:
	s_or_saveexec_b32 s0, s3
	v_mov_b32_e32 v5, s6
	s_xor_b32 exec_lo, exec_lo, s0
; %bb.11:
	s_add_i32 s3, s14, -1
	v_cndmask_b32_e64 v3, 0, 0x7fefffff, s2
	v_cndmask_b32_e64 v2, 0, -1, s2
	v_mov_b32_e32 v5, s3
; %bb.12:
	s_or_b32 exec_lo, exec_lo, s0
	s_load_dword s27, s[4:5], 0x38
	v_lshrrev_b32_e32 v145, 6, v4
	v_and_b32_e32 v13, 63, v4
	s_lshl_b32 s24, s1, 8
	v_min_i32_e32 v4, v145, v5
	v_or_b32_e32 v66, s24, v13
	v_cmp_le_i32_e64 s6, s14, v145
	v_cmp_le_i32_e64 s0, s13, v66
	v_ashrrev_i32_e32 v67, 31, v66
	s_or_b32 s2, s0, s6
	s_waitcnt lgkmcnt(0)
	v_mad_i64_i32 v[4:5], null, v4, s27, 0
	v_lshlrev_b64 v[6:7], 3, v[4:5]
	v_cndmask_b32_e64 v5, 0, 0x7fefffff, s2
	v_cndmask_b32_e64 v4, 0, -1, s2
	v_add_co_u32 v14, s1, s20, v6
	v_add_co_ci_u32_e64 v15, null, s21, v7, s1
	s_nor_b32 s1, s25, s2
	s_and_saveexec_b32 s2, s1
	s_cbranch_execz .LBB128_14
; %bb.13:
	v_lshlrev_b64 v[4:5], 3, v[66:67]
	v_add_co_u32 v4, s1, v14, v4
	v_add_co_ci_u32_e64 v5, null, v15, v5, s1
	flat_load_dwordx2 v[4:5], v[4:5]
	s_waitcnt vmcnt(0) lgkmcnt(0)
	v_mul_f64 v[4:5], s[16:17], v[4:5]
.LBB128_14:
	s_or_b32 exec_lo, exec_lo, s2
	v_or_b32_e32 v6, 64, v66
	v_cmp_le_i32_e64 s1, s13, v6
	s_or_b32 s2, s1, s6
	v_cndmask_b32_e64 v7, 0, 0x7fefffff, s2
	v_cndmask_b32_e64 v6, 0, -1, s2
	s_nor_b32 s2, s25, s2
	s_and_saveexec_b32 s3, s2
	s_cbranch_execz .LBB128_16
; %bb.15:
	v_lshlrev_b64 v[6:7], 3, v[66:67]
	v_add_co_u32 v6, s2, v14, v6
	v_add_co_ci_u32_e64 v7, null, v15, v7, s2
	flat_load_dwordx2 v[6:7], v[6:7] offset:512
	s_waitcnt vmcnt(0) lgkmcnt(0)
	v_mul_f64 v[6:7], s[16:17], v[6:7]
.LBB128_16:
	s_or_b32 exec_lo, exec_lo, s3
	v_or_b32_e32 v8, 0x80, v66
	v_cmp_le_i32_e64 s2, s13, v8
	s_or_b32 s3, s2, s6
	v_cndmask_b32_e64 v9, 0, 0x7fefffff, s3
	v_cndmask_b32_e64 v8, 0, -1, s3
	s_nor_b32 s3, s25, s3
	s_and_saveexec_b32 s7, s3
	s_cbranch_execz .LBB128_18
; %bb.17:
	v_lshlrev_b64 v[8:9], 3, v[66:67]
	v_add_co_u32 v8, s3, v14, v8
	v_add_co_ci_u32_e64 v9, null, v15, v9, s3
	flat_load_dwordx2 v[8:9], v[8:9] offset:1024
	s_waitcnt vmcnt(0) lgkmcnt(0)
	v_mul_f64 v[8:9], s[16:17], v[8:9]
.LBB128_18:
	;; [unrolled: 17-line block ×3, first 2 shown]
	s_or_b32 exec_lo, exec_lo, s7
	v_or_b32_e32 v14, 4, v144
                                        ; implicit-def: $vgpr68_vgpr69
                                        ; implicit-def: $sgpr30
	v_cmp_le_i32_e64 s6, s14, v14
	s_or_b32 s7, s6, vcc_lo
	s_nor_b32 s6, s25, s7
	s_and_saveexec_b32 s29, s6
	s_xor_b32 s29, exec_lo, s29
	s_cbranch_execz .LBB128_22
; %bb.21:
	v_mad_i64_i32 v[15:16], null, v78, s28, 0
	s_add_i32 s30, s14, -1
	v_min_u32_e32 v17, s30, v14
	v_lshlrev_b64 v[14:15], 3, v[15:16]
	v_lshlrev_b32_e32 v16, 3, v17
	v_add_co_u32 v14, s6, s22, v14
	v_add_co_ci_u32_e64 v15, null, s23, v15, s6
	v_add_co_u32 v14, s6, v14, v16
	v_add_co_ci_u32_e64 v15, null, 0, v15, s6
	flat_load_dwordx2 v[14:15], v[14:15]
	s_waitcnt vmcnt(0) lgkmcnt(0)
	v_mul_f64 v[68:69], s[16:17], v[14:15]
.LBB128_22:
	s_or_saveexec_b32 s6, s29
	v_mov_b32_e32 v14, s30
	s_xor_b32 exec_lo, exec_lo, s6
; %bb.23:
	s_add_i32 s29, s14, -1
	v_cndmask_b32_e64 v69, 0, 0x7fefffff, s7
	v_cndmask_b32_e64 v68, 0, -1, s7
	v_mov_b32_e32 v14, s29
; %bb.24:
	s_or_b32 exec_lo, exec_lo, s6
	v_add_nc_u32_e32 v16, 4, v145
	v_min_i32_e32 v14, v16, v14
	v_cmp_le_i32_e64 s6, s14, v16
	v_mad_i64_i32 v[14:15], null, v14, s27, 0
	s_or_b32 s29, s0, s6
	v_cndmask_b32_e64 v71, 0, 0x7fefffff, s29
	v_cndmask_b32_e64 v70, 0, -1, s29
	v_lshlrev_b64 v[14:15], 3, v[14:15]
	v_add_co_u32 v14, s7, s20, v14
	v_add_co_ci_u32_e64 v15, null, s21, v15, s7
	s_nor_b32 s7, s25, s29
	s_and_saveexec_b32 s29, s7
	s_cbranch_execz .LBB128_26
; %bb.25:
	v_lshlrev_b64 v[16:17], 3, v[66:67]
	v_add_co_u32 v16, s7, v14, v16
	v_add_co_ci_u32_e64 v17, null, v15, v17, s7
	flat_load_dwordx2 v[16:17], v[16:17]
	s_waitcnt vmcnt(0) lgkmcnt(0)
	v_mul_f64 v[70:71], s[16:17], v[16:17]
.LBB128_26:
	s_or_b32 exec_lo, exec_lo, s29
	s_or_b32 s7, s1, s6
	v_cndmask_b32_e64 v73, 0, 0x7fefffff, s7
	v_cndmask_b32_e64 v72, 0, -1, s7
	s_nor_b32 s7, s25, s7
	s_and_saveexec_b32 s29, s7
	s_cbranch_execz .LBB128_28
; %bb.27:
	v_lshlrev_b64 v[16:17], 3, v[66:67]
	v_add_co_u32 v16, s7, v14, v16
	v_add_co_ci_u32_e64 v17, null, v15, v17, s7
	flat_load_dwordx2 v[16:17], v[16:17] offset:512
	s_waitcnt vmcnt(0) lgkmcnt(0)
	v_mul_f64 v[72:73], s[16:17], v[16:17]
.LBB128_28:
	s_or_b32 exec_lo, exec_lo, s29
	s_or_b32 s7, s2, s6
	v_cndmask_b32_e64 v75, 0, 0x7fefffff, s7
	v_cndmask_b32_e64 v74, 0, -1, s7
	s_nor_b32 s7, s25, s7
	s_and_saveexec_b32 s29, s7
	s_cbranch_execz .LBB128_30
; %bb.29:
	v_lshlrev_b64 v[16:17], 3, v[66:67]
	v_add_co_u32 v16, s7, v14, v16
	v_add_co_ci_u32_e64 v17, null, v15, v17, s7
	flat_load_dwordx2 v[16:17], v[16:17] offset:1024
	s_waitcnt vmcnt(0) lgkmcnt(0)
	v_mul_f64 v[74:75], s[16:17], v[16:17]
.LBB128_30:
	;; [unrolled: 15-line block ×3, first 2 shown]
	s_or_b32 exec_lo, exec_lo, s7
	v_lshlrev_b32_e32 v79, 3, v144
	v_lshlrev_b32_e32 v147, 5, v0
	s_load_dwordx2 s[8:9], s[8:9], 0x0
	v_lshlrev_b32_e32 v146, 5, v1
	s_cmp_lt_i32 s14, 9
	v_lshl_or_b32 v80, v12, 5, v79
	ds_write_b64 v80, v[2:3] offset:16384
	v_lshlrev_b32_e32 v2, 5, v13
	v_lshl_add_u32 v148, v145, 3, v2
	ds_write2st64_b64 v148, v[4:5], v[6:7] offset1:4
	ds_write2st64_b64 v148, v[8:9], v[10:11] offset0:8 offset1:12
	s_waitcnt lgkmcnt(0)
	s_barrier
	buffer_gl0_inv
	ds_read_b128 v[10:13], v147 offset:16640
	ds_read_b128 v[14:17], v147 offset:16896
	;; [unrolled: 1-line block ×16, first 2 shown]
	ds_read_b128 v[85:88], v146
	ds_read_b128 v[6:9], v146 offset:16
	s_waitcnt lgkmcnt(1)
	v_add_f64 v[89:90], v[83:84], v[87:88]
	v_add_f64 v[91:92], v[81:82], v[85:86]
	s_waitcnt lgkmcnt(0)
	v_add_f64 v[150:151], v[4:5], v[8:9]
	v_add_f64 v[152:153], v[2:3], v[6:7]
	v_cvt_f32_f64_e32 v89, v[89:90]
	v_cvt_f32_f64_e32 v91, v[91:92]
	;; [unrolled: 1-line block ×4, first 2 shown]
	v_min3_f32 v149, v91, v89, 0x7f800000
	v_add_f64 v[89:90], v[12:13], v[87:88]
	v_add_f64 v[91:92], v[10:11], v[85:86]
	v_min3_f32 v218, v152, v150, v149
	v_cvt_f32_f64_e32 v89, v[89:90]
	v_cvt_f32_f64_e32 v91, v[91:92]
	v_min3_f32 v143, v91, v89, 0x7f800000
	v_add_f64 v[89:90], v[16:17], v[87:88]
	v_add_f64 v[91:92], v[14:15], v[85:86]
	v_cvt_f32_f64_e32 v89, v[89:90]
	v_cvt_f32_f64_e32 v91, v[91:92]
	v_min3_f32 v142, v91, v89, 0x7f800000
	v_add_f64 v[89:90], v[20:21], v[87:88]
	v_add_f64 v[91:92], v[18:19], v[85:86]
	;; [unrolled: 5-line block ×5, first 2 shown]
	v_add_f64 v[87:88], v[36:37], v[87:88]
	v_add_f64 v[85:86], v[34:35], v[85:86]
	v_cvt_f32_f64_e32 v89, v[89:90]
	v_cvt_f32_f64_e32 v91, v[91:92]
	;; [unrolled: 1-line block ×4, first 2 shown]
	v_add_f64 v[87:88], v[81:82], v[38:39]
	v_min3_f32 v138, v91, v89, 0x7f800000
	v_min3_f32 v137, v85, v86, 0x7f800000
	v_add_f64 v[85:86], v[83:84], v[40:41]
	v_cvt_f32_f64_e32 v87, v[87:88]
	v_cvt_f32_f64_e32 v85, v[85:86]
	v_min3_f32 v136, v87, v85, 0x7f800000
	v_add_f64 v[85:86], v[12:13], v[40:41]
	v_add_f64 v[87:88], v[10:11], v[38:39]
	v_cvt_f32_f64_e32 v85, v[85:86]
	v_cvt_f32_f64_e32 v87, v[87:88]
	v_min3_f32 v135, v87, v85, 0x7f800000
	v_add_f64 v[85:86], v[16:17], v[40:41]
	;; [unrolled: 5-line block ×6, first 2 shown]
	v_add_f64 v[87:88], v[30:31], v[38:39]
	v_add_f64 v[40:41], v[36:37], v[40:41]
	;; [unrolled: 1-line block ×3, first 2 shown]
	v_cvt_f32_f64_e32 v85, v[85:86]
	v_cvt_f32_f64_e32 v87, v[87:88]
	;; [unrolled: 1-line block ×4, first 2 shown]
	v_add_f64 v[40:41], v[81:82], v[42:43]
	v_min3_f32 v130, v87, v85, 0x7f800000
	v_min3_f32 v129, v38, v39, 0x7f800000
	v_add_f64 v[38:39], v[83:84], v[44:45]
	v_cvt_f32_f64_e32 v40, v[40:41]
	v_cvt_f32_f64_e32 v38, v[38:39]
	v_min3_f32 v128, v40, v38, 0x7f800000
	v_add_f64 v[38:39], v[12:13], v[44:45]
	v_add_f64 v[40:41], v[10:11], v[42:43]
	v_cvt_f32_f64_e32 v38, v[38:39]
	v_cvt_f32_f64_e32 v40, v[40:41]
	v_min3_f32 v127, v40, v38, 0x7f800000
	v_add_f64 v[38:39], v[16:17], v[44:45]
	;; [unrolled: 5-line block ×33, first 2 shown]
	v_add_f64 v[40:41], v[10:11], v[58:59]
	v_add_f64 v[12:13], v[12:13], v[64:65]
	;; [unrolled: 1-line block ×3, first 2 shown]
	v_cvt_f32_f64_e32 v38, v[38:39]
	v_cvt_f32_f64_e32 v40, v[40:41]
	;; [unrolled: 1-line block ×4, first 2 shown]
	v_add_f64 v[12:13], v[14:15], v[62:63]
	v_min3_f32 v95, v40, v38, 0x7f800000
	v_add_f64 v[38:39], v[16:17], v[60:61]
	v_add_f64 v[40:41], v[14:15], v[58:59]
	v_min3_f32 v87, v10, v11, 0x7f800000
	v_add_f64 v[10:11], v[16:17], v[64:65]
	v_cvt_f32_f64_e32 v12, v[12:13]
	v_cvt_f32_f64_e32 v38, v[38:39]
	;; [unrolled: 1-line block ×4, first 2 shown]
	v_min3_f32 v94, v40, v38, 0x7f800000
	v_add_f64 v[38:39], v[20:21], v[60:61]
	v_add_f64 v[40:41], v[18:19], v[58:59]
	v_min3_f32 v86, v12, v10, 0x7f800000
	v_add_f64 v[10:11], v[20:21], v[64:65]
	v_add_f64 v[12:13], v[18:19], v[62:63]
	v_cvt_f32_f64_e32 v38, v[38:39]
	v_cvt_f32_f64_e32 v40, v[40:41]
	v_cvt_f32_f64_e32 v10, v[10:11]
	v_cvt_f32_f64_e32 v12, v[12:13]
	v_min3_f32 v93, v40, v38, 0x7f800000
	v_add_f64 v[38:39], v[24:25], v[60:61]
	v_add_f64 v[40:41], v[22:23], v[58:59]
	v_min3_f32 v85, v12, v10, 0x7f800000
	v_add_f64 v[10:11], v[24:25], v[64:65]
	v_add_f64 v[12:13], v[22:23], v[62:63]
	v_cvt_f32_f64_e32 v38, v[38:39]
	v_cvt_f32_f64_e32 v40, v[40:41]
	;; [unrolled: 1-line block ×4, first 2 shown]
	v_min3_f32 v92, v40, v38, 0x7f800000
	v_add_f64 v[38:39], v[28:29], v[60:61]
	v_add_f64 v[40:41], v[26:27], v[58:59]
	v_cvt_f32_f64_e32 v38, v[38:39]
	v_cvt_f32_f64_e32 v40, v[40:41]
	v_min3_f32 v91, v40, v38, 0x7f800000
	v_add_f64 v[38:39], v[32:33], v[60:61]
	v_add_f64 v[40:41], v[30:31], v[58:59]
	v_cvt_f32_f64_e32 v38, v[38:39]
	v_cvt_f32_f64_e32 v40, v[40:41]
	;; [unrolled: 5-line block ×3, first 2 shown]
	v_min3_f32 v89, v40, v38, 0x7f800000
	v_add_f64 v[38:39], v[83:84], v[64:65]
	v_min3_f32 v84, v12, v10, 0x7f800000
	v_add_f64 v[10:11], v[28:29], v[64:65]
	v_add_f64 v[12:13], v[26:27], v[62:63]
	;; [unrolled: 1-line block ×3, first 2 shown]
	v_cvt_f32_f64_e32 v38, v[38:39]
	v_cvt_f32_f64_e32 v10, v[10:11]
	;; [unrolled: 1-line block ×4, first 2 shown]
	v_min3_f32 v83, v12, v10, 0x7f800000
	v_add_f64 v[10:11], v[32:33], v[64:65]
	v_add_f64 v[12:13], v[30:31], v[62:63]
	v_min3_f32 v88, v40, v38, 0x7f800000
	v_cvt_f32_f64_e32 v10, v[10:11]
	v_cvt_f32_f64_e32 v12, v[12:13]
	v_min3_f32 v82, v12, v10, 0x7f800000
	v_add_f64 v[10:11], v[36:37], v[64:65]
	v_add_f64 v[12:13], v[34:35], v[62:63]
	v_cvt_f32_f64_e32 v10, v[10:11]
	v_cvt_f32_f64_e32 v12, v[12:13]
	v_min3_f32 v81, v12, v10, 0x7f800000
	ds_read_b128 v[34:37], v147 offset:16656
	ds_read_b128 v[30:33], v147 offset:16912
	;; [unrolled: 1-line block ×14, first 2 shown]
	ds_write_b64 v80, v[68:69] offset:18432
	ds_write2st64_b64 v148, v[70:71], v[72:73] offset0:16 offset1:20
	ds_write2st64_b64 v148, v[74:75], v[76:77] offset0:24 offset1:28
	s_waitcnt lgkmcnt(0)
	s_barrier
	buffer_gl0_inv
	v_add_f64 v[149:150], v[36:37], v[8:9]
	v_add_f64 v[151:152], v[34:35], v[6:7]
	v_cvt_f32_f64_e32 v149, v[149:150]
	v_cvt_f32_f64_e32 v151, v[151:152]
	v_min3_f32 v217, v151, v149, v143
	v_add_f64 v[149:150], v[32:33], v[8:9]
	v_add_f64 v[151:152], v[30:31], v[6:7]
	v_cvt_f32_f64_e32 v149, v[149:150]
	v_cvt_f32_f64_e32 v143, v[151:152]
	v_min3_f32 v216, v143, v149, v142
	;; [unrolled: 5-line block ×5, first 2 shown]
	v_add_f64 v[139:140], v[16:17], v[8:9]
	v_add_f64 v[141:142], v[14:15], v[6:7]
	;; [unrolled: 1-line block ×4, first 2 shown]
	v_cvt_f32_f64_e32 v139, v[139:140]
	v_cvt_f32_f64_e32 v141, v[141:142]
	v_cvt_f32_f64_e32 v6, v[6:7]
	v_cvt_f32_f64_e32 v7, v[8:9]
	v_add_f64 v[8:9], v[2:3], v[62:63]
	v_min3_f32 v212, v141, v139, v138
	v_min3_f32 v211, v6, v7, v137
	v_add_f64 v[6:7], v[4:5], v[64:65]
	v_cvt_f32_f64_e32 v8, v[8:9]
	v_cvt_f32_f64_e32 v6, v[6:7]
	v_min3_f32 v210, v8, v6, v136
	v_add_f64 v[6:7], v[36:37], v[64:65]
	v_add_f64 v[8:9], v[34:35], v[62:63]
	v_cvt_f32_f64_e32 v6, v[6:7]
	v_cvt_f32_f64_e32 v8, v[8:9]
	v_min3_f32 v209, v8, v6, v135
	v_add_f64 v[6:7], v[32:33], v[64:65]
	;; [unrolled: 5-line block ×40, first 2 shown]
	v_add_f64 v[8:9], v[2:3], v[42:43]
	v_add_f64 v[4:5], v[4:5], v[40:41]
	v_add_f64 v[2:3], v[2:3], v[38:39]
	v_cvt_f32_f64_e32 v6, v[6:7]
	v_cvt_f32_f64_e32 v8, v[8:9]
	;; [unrolled: 1-line block ×4, first 2 shown]
	v_add_f64 v[4:5], v[34:35], v[38:39]
	v_min3_f32 v164, v8, v6, v96
	v_add_f64 v[6:7], v[36:37], v[44:45]
	v_add_f64 v[8:9], v[34:35], v[42:43]
	v_min3_f32 v156, v2, v3, v88
	v_add_f64 v[2:3], v[36:37], v[40:41]
	v_cvt_f32_f64_e32 v4, v[4:5]
	v_cvt_f32_f64_e32 v6, v[6:7]
	v_cvt_f32_f64_e32 v8, v[8:9]
	v_cvt_f32_f64_e32 v2, v[2:3]
	v_min3_f32 v163, v8, v6, v95
	v_add_f64 v[6:7], v[32:33], v[44:45]
	v_add_f64 v[8:9], v[30:31], v[42:43]
	v_min3_f32 v155, v4, v2, v87
	v_add_f64 v[2:3], v[32:33], v[40:41]
	v_add_f64 v[4:5], v[30:31], v[38:39]
	v_cvt_f32_f64_e32 v6, v[6:7]
	v_cvt_f32_f64_e32 v8, v[8:9]
	v_cvt_f32_f64_e32 v2, v[2:3]
	v_cvt_f32_f64_e32 v4, v[4:5]
	v_min3_f32 v162, v8, v6, v94
	v_add_f64 v[6:7], v[28:29], v[44:45]
	v_add_f64 v[8:9], v[26:27], v[42:43]
	v_min3_f32 v154, v4, v2, v86
	v_add_f64 v[2:3], v[28:29], v[40:41]
	;; [unrolled: 10-line block ×6, first 2 shown]
	v_add_f64 v[4:5], v[10:11], v[38:39]
	v_cvt_f32_f64_e32 v6, v[6:7]
	v_cvt_f32_f64_e32 v8, v[8:9]
	;; [unrolled: 1-line block ×4, first 2 shown]
	v_min3_f32 v157, v8, v6, v89
	v_min3_f32 v149, v4, v2, v81
	s_cbranch_scc1 .LBB128_59
; %bb.33:
	v_mad_i64_i32 v[2:3], null, s28, v78, 0
	v_lshlrev_b64 v[130:131], 3, v[66:67]
	v_add_nc_u32_e32 v170, 0x4000, v80
	v_or_b32_e32 v171, 0x4000, v147
	v_add_nc_u32_e32 v172, 0x4800, v80
	v_add_nc_u32_e32 v173, 0x2000, v148
	v_lshl_add_u32 v174, v0, 5, 0x4800
	v_lshlrev_b64 v[2:3], 3, v[2:3]
	v_lshl_or_b32 v175, v1, 5, 0x2000
	s_mov_b32 s28, 0
	v_add_co_u32 v2, s6, v2, v79
	v_add_co_ci_u32_e64 v3, null, 0, v3, s6
	v_add_co_u32 v2, s6, s22, v2
	v_add_co_ci_u32_e64 v3, null, s23, v3, s6
	s_add_i32 s22, s14, -8
	v_add_co_u32 v132, s6, 0x60, v2
	v_add_co_ci_u32_e64 v133, null, 0, v3, s6
	s_add_i32 s23, s14, -1
	s_branch .LBB128_35
.LBB128_34:                             ;   in Loop: Header=BB128_35 Depth=1
	s_or_b32 exec_lo, exec_lo, s7
	v_add_f64 v[219:220], v[100:101], v[128:129]
	v_add_f64 v[221:222], v[98:99], v[126:127]
	v_add_co_u32 v132, s6, v132, 64
	v_add_co_ci_u32_e64 v133, null, 0, v133, s6
	s_add_i32 s28, s28, 8
	s_cmp_ge_i32 s28, s22
	v_cvt_f32_f64_e32 v219, v[219:220]
	v_cvt_f32_f64_e32 v221, v[221:222]
	v_min3_f32 v218, v221, v219, v218
	v_add_f64 v[219:220], v[96:97], v[128:129]
	v_add_f64 v[221:222], v[94:95], v[126:127]
	v_cvt_f32_f64_e32 v219, v[219:220]
	v_cvt_f32_f64_e32 v221, v[221:222]
	v_min3_f32 v217, v221, v219, v217
	v_add_f64 v[219:220], v[92:93], v[128:129]
	v_add_f64 v[221:222], v[90:91], v[126:127]
	;; [unrolled: 5-line block ×6, first 2 shown]
	v_add_f64 v[128:129], v[68:69], v[128:129]
	v_add_f64 v[126:127], v[66:67], v[126:127]
	v_cvt_f32_f64_e32 v219, v[219:220]
	v_cvt_f32_f64_e32 v221, v[221:222]
	;; [unrolled: 1-line block ×4, first 2 shown]
	v_add_f64 v[128:129], v[98:99], v[122:123]
	v_min3_f32 v212, v221, v219, v212
	v_min3_f32 v211, v126, v127, v211
	v_add_f64 v[126:127], v[100:101], v[124:125]
	v_cvt_f32_f64_e32 v128, v[128:129]
	v_cvt_f32_f64_e32 v126, v[126:127]
	v_min3_f32 v210, v128, v126, v210
	v_add_f64 v[126:127], v[96:97], v[124:125]
	v_add_f64 v[128:129], v[94:95], v[122:123]
	v_cvt_f32_f64_e32 v126, v[126:127]
	v_cvt_f32_f64_e32 v128, v[128:129]
	v_min3_f32 v209, v128, v126, v209
	v_add_f64 v[126:127], v[92:93], v[124:125]
	;; [unrolled: 5-line block ×6, first 2 shown]
	v_add_f64 v[128:129], v[70:71], v[122:123]
	v_add_f64 v[124:125], v[68:69], v[124:125]
	;; [unrolled: 1-line block ×3, first 2 shown]
	v_cvt_f32_f64_e32 v126, v[126:127]
	v_cvt_f32_f64_e32 v128, v[128:129]
	;; [unrolled: 1-line block ×4, first 2 shown]
	v_add_f64 v[124:125], v[98:99], v[118:119]
	v_min3_f32 v204, v128, v126, v204
	v_min3_f32 v203, v122, v123, v203
	v_add_f64 v[122:123], v[100:101], v[120:121]
	v_cvt_f32_f64_e32 v124, v[124:125]
	v_add_f64 v[125:126], v[94:95], v[118:119]
	v_cvt_f32_f64_e32 v122, v[122:123]
	v_cvt_f32_f64_e32 v125, v[125:126]
	v_min3_f32 v122, v124, v122, v202
	v_add_f64 v[123:124], v[96:97], v[120:121]
	v_cvt_f32_f64_e32 v123, v[123:124]
	v_min3_f32 v201, v125, v123, v201
	v_add_f64 v[123:124], v[92:93], v[120:121]
	v_add_f64 v[125:126], v[90:91], v[118:119]
	v_cvt_f32_f64_e32 v123, v[123:124]
	v_cvt_f32_f64_e32 v125, v[125:126]
	v_min3_f32 v200, v125, v123, v200
	v_add_f64 v[123:124], v[88:89], v[120:121]
	v_add_f64 v[125:126], v[86:87], v[118:119]
	v_cvt_f32_f64_e32 v123, v[123:124]
	;; [unrolled: 5-line block ×4, first 2 shown]
	v_cvt_f32_f64_e32 v125, v[125:126]
	v_min3_f32 v197, v125, v123, v197
	v_add_f64 v[123:124], v[72:73], v[120:121]
	v_add_f64 v[125:126], v[70:71], v[118:119]
	;; [unrolled: 1-line block ×4, first 2 shown]
	v_cvt_f32_f64_e32 v123, v[123:124]
	v_cvt_f32_f64_e32 v125, v[125:126]
	;; [unrolled: 1-line block ×4, first 2 shown]
	v_add_f64 v[120:121], v[98:99], v[114:115]
	v_min3_f32 v196, v125, v123, v196
	v_add_f64 v[123:124], v[82:83], v[114:115]
	v_add_f64 v[125:126], v[70:71], v[114:115]
	v_min3_f32 v195, v118, v119, v195
	v_add_f64 v[118:119], v[100:101], v[116:117]
	v_cvt_f32_f64_e32 v120, v[120:121]
	v_cvt_f32_f64_e32 v118, v[118:119]
	v_min3_f32 v194, v120, v118, v194
	v_add_f64 v[118:119], v[96:97], v[116:117]
	v_add_f64 v[120:121], v[94:95], v[114:115]
	v_cvt_f32_f64_e32 v118, v[118:119]
	v_cvt_f32_f64_e32 v120, v[120:121]
	v_min3_f32 v193, v120, v118, v193
	v_add_f64 v[118:119], v[92:93], v[116:117]
	;; [unrolled: 5-line block ×3, first 2 shown]
	v_add_f64 v[120:121], v[86:87], v[114:115]
	v_cvt_f32_f64_e32 v118, v[118:119]
	v_cvt_f32_f64_e32 v120, v[120:121]
	;; [unrolled: 1-line block ×3, first 2 shown]
	v_add_f64 v[123:124], v[78:79], v[114:115]
	v_add_f64 v[114:115], v[66:67], v[114:115]
	v_min3_f32 v118, v120, v118, v191
	v_add_f64 v[119:120], v[84:85], v[116:117]
	v_cvt_f32_f64_e32 v123, v[123:124]
	v_cvt_f32_f64_e32 v114, v[114:115]
	v_cvt_f32_f64_e32 v119, v[119:120]
	v_min3_f32 v119, v121, v119, v190
	v_add_f64 v[120:121], v[80:81], v[116:117]
	v_cvt_f32_f64_e32 v120, v[120:121]
	v_cvt_f32_f64_e32 v121, v[125:126]
	v_add_f64 v[125:126], v[90:91], v[110:111]
	v_min3_f32 v120, v123, v120, v189
	v_add_f64 v[123:124], v[72:73], v[116:117]
	v_add_f64 v[116:117], v[68:69], v[116:117]
	v_cvt_f32_f64_e32 v123, v[123:124]
	v_cvt_f32_f64_e32 v115, v[116:117]
	v_min3_f32 v121, v121, v123, v188
	v_min3_f32 v114, v114, v115, v187
	v_add_f64 v[115:116], v[100:101], v[112:113]
	v_add_f64 v[123:124], v[98:99], v[110:111]
	v_cvt_f32_f64_e32 v115, v[115:116]
	v_cvt_f32_f64_e32 v117, v[123:124]
	v_add_f64 v[123:124], v[94:95], v[110:111]
	v_min3_f32 v115, v117, v115, v186
	v_add_f64 v[116:117], v[96:97], v[112:113]
	v_cvt_f32_f64_e32 v123, v[123:124]
	v_cvt_f32_f64_e32 v116, v[116:117]
	;; [unrolled: 1-line block ×3, first 2 shown]
	v_add_f64 v[125:126], v[86:87], v[110:111]
	v_min3_f32 v116, v123, v116, v185
	v_add_f64 v[123:124], v[92:93], v[112:113]
	v_cvt_f32_f64_e32 v125, v[125:126]
	v_add_f64 v[126:127], v[82:83], v[110:111]
	v_cvt_f32_f64_e32 v123, v[123:124]
	v_cvt_f32_f64_e32 v126, v[126:127]
	v_add_f64 v[127:128], v[78:79], v[110:111]
	v_min3_f32 v117, v117, v123, v184
	v_add_f64 v[123:124], v[88:89], v[112:113]
	v_cvt_f32_f64_e32 v127, v[127:128]
	v_cvt_f32_f64_e32 v123, v[123:124]
	v_min3_f32 v123, v125, v123, v183
	v_add_f64 v[124:125], v[84:85], v[112:113]
	v_cvt_f32_f64_e32 v124, v[124:125]
	v_min3_f32 v124, v126, v124, v182
	v_add_f64 v[125:126], v[80:81], v[112:113]
	;; [unrolled: 3-line block ×3, first 2 shown]
	v_add_f64 v[127:128], v[70:71], v[110:111]
	v_add_f64 v[112:113], v[68:69], v[112:113]
	;; [unrolled: 1-line block ×3, first 2 shown]
	v_cvt_f32_f64_e32 v125, v[125:126]
	v_cvt_f32_f64_e32 v127, v[127:128]
	;; [unrolled: 1-line block ×4, first 2 shown]
	v_min3_f32 v125, v127, v125, v180
	v_add_f64 v[126:127], v[98:99], v[106:107]
	v_min3_f32 v112, v110, v111, v179
	v_add_f64 v[110:111], v[100:101], v[108:109]
	v_cvt_f32_f64_e32 v113, v[126:127]
	v_add_f64 v[126:127], v[94:95], v[106:107]
	v_cvt_f32_f64_e32 v110, v[110:111]
	v_cvt_f32_f64_e32 v126, v[126:127]
	v_add_f64 v[127:128], v[90:91], v[106:107]
	v_min3_f32 v113, v113, v110, v178
	v_add_f64 v[110:111], v[96:97], v[108:109]
	v_cvt_f32_f64_e32 v127, v[127:128]
	v_add_f64 v[128:129], v[86:87], v[106:107]
	v_cvt_f32_f64_e32 v110, v[110:111]
	v_cvt_f32_f64_e32 v128, v[128:129]
	v_min3_f32 v126, v126, v110, v177
	v_add_f64 v[110:111], v[92:93], v[108:109]
	v_cvt_f32_f64_e32 v110, v[110:111]
	v_min3_f32 v127, v127, v110, v176
	v_add_f64 v[110:111], v[88:89], v[108:109]
	v_add_f64 v[176:177], v[82:83], v[106:107]
	v_cvt_f32_f64_e32 v110, v[110:111]
	v_cvt_f32_f64_e32 v129, v[176:177]
	v_min3_f32 v128, v128, v110, v169
	v_add_f64 v[110:111], v[84:85], v[108:109]
	v_cvt_f32_f64_e32 v110, v[110:111]
	v_min3_f32 v129, v129, v110, v168
	v_add_f64 v[110:111], v[80:81], v[108:109]
	v_add_f64 v[168:169], v[78:79], v[106:107]
	v_cvt_f32_f64_e32 v110, v[110:111]
	v_cvt_f32_f64_e32 v168, v[168:169]
	v_min3_f32 v167, v168, v110, v167
	v_add_f64 v[110:111], v[72:73], v[108:109]
	v_add_f64 v[168:169], v[70:71], v[106:107]
	;; [unrolled: 1-line block ×4, first 2 shown]
	v_cvt_f32_f64_e32 v110, v[110:111]
	v_cvt_f32_f64_e32 v168, v[168:169]
	;; [unrolled: 1-line block ×4, first 2 shown]
	v_add_f64 v[108:109], v[98:99], v[102:103]
	v_add_f64 v[98:99], v[98:99], v[74:75]
	v_min3_f32 v166, v168, v110, v166
	v_min3_f32 v165, v106, v107, v165
	v_add_f64 v[106:107], v[100:101], v[104:105]
	v_cvt_f32_f64_e32 v108, v[108:109]
	v_add_f64 v[100:101], v[100:101], v[76:77]
	v_cvt_f32_f64_e32 v98, v[98:99]
	v_cvt_f32_f64_e32 v106, v[106:107]
	;; [unrolled: 1-line block ×3, first 2 shown]
	v_min3_f32 v164, v108, v106, v164
	v_add_f64 v[106:107], v[96:97], v[104:105]
	v_add_f64 v[108:109], v[94:95], v[102:103]
	;; [unrolled: 1-line block ×4, first 2 shown]
	v_min3_f32 v98, v98, v99, v156
	v_add_f64 v[99:100], v[10:11], v[46:47]
	v_cvt_f32_f64_e32 v106, v[106:107]
	v_cvt_f32_f64_e32 v108, v[108:109]
	v_add_f64 v[109:110], v[90:91], v[102:103]
	v_add_f64 v[90:91], v[90:91], v[74:75]
	v_cvt_f32_f64_e32 v94, v[94:95]
	v_cvt_f32_f64_e32 v95, v[96:97]
	v_min3_f32 v106, v108, v106, v163
	v_add_f64 v[107:108], v[92:93], v[104:105]
	v_cvt_f32_f64_e32 v109, v[109:110]
	v_add_f64 v[110:111], v[86:87], v[102:103]
	v_add_f64 v[86:87], v[86:87], v[74:75]
	;; [unrolled: 1-line block ×3, first 2 shown]
	v_cvt_f32_f64_e32 v90, v[90:91]
	v_min3_f32 v94, v94, v95, v155
	v_add_f64 v[95:96], v[6:7], v[50:51]
	v_cvt_f32_f64_e32 v107, v[107:108]
	v_cvt_f32_f64_e32 v110, v[110:111]
	;; [unrolled: 1-line block ×4, first 2 shown]
	v_min3_f32 v107, v109, v107, v162
	v_add_f64 v[108:109], v[88:89], v[104:105]
	v_add_f64 v[88:89], v[88:89], v[76:77]
	v_min3_f32 v90, v90, v91, v154
	v_add_f64 v[91:92], v[26:27], v[50:51]
	v_cvt_f32_f64_e32 v108, v[108:109]
	v_cvt_f32_f64_e32 v87, v[88:89]
	v_min3_f32 v108, v110, v108, v161
	v_add_f64 v[109:110], v[84:85], v[104:105]
	v_add_f64 v[161:162], v[82:83], v[102:103]
	;; [unrolled: 1-line block ×4, first 2 shown]
	v_min3_f32 v86, v86, v87, v153
	v_add_f64 v[87:88], v[14:15], v[54:55]
	v_cvt_f32_f64_e32 v109, v[109:110]
	v_cvt_f32_f64_e32 v111, v[161:162]
	;; [unrolled: 1-line block ×4, first 2 shown]
	v_min3_f32 v109, v111, v109, v160
	v_add_f64 v[110:111], v[80:81], v[104:105]
	v_add_f64 v[160:161], v[78:79], v[102:103]
	;; [unrolled: 1-line block ×4, first 2 shown]
	v_min3_f32 v82, v82, v83, v152
	v_add_f64 v[83:84], v[10:11], v[58:59]
	v_cvt_f32_f64_e32 v110, v[110:111]
	v_cvt_f32_f64_e32 v160, v[160:161]
	v_add_f64 v[161:162], v[70:71], v[102:103]
	v_add_f64 v[102:103], v[66:67], v[102:103]
	;; [unrolled: 1-line block ×5, first 2 shown]
	v_cvt_f32_f64_e32 v78, v[78:79]
	v_cvt_f32_f64_e32 v79, v[80:81]
	v_min3_f32 v110, v160, v110, v159
	v_add_f64 v[159:160], v[72:73], v[104:105]
	v_add_f64 v[104:105], v[68:69], v[104:105]
	;; [unrolled: 1-line block ×4, first 2 shown]
	v_cvt_f32_f64_e32 v66, v[66:67]
	v_cvt_f32_f64_e32 v70, v[70:71]
	v_add_f64 v[76:77], v[14:15], v[62:63]
	v_min3_f32 v78, v78, v79, v151
	v_add_f64 v[79:80], v[26:27], v[58:59]
	v_cvt_f32_f64_e32 v102, v[102:103]
	v_cvt_f32_f64_e32 v111, v[161:162]
	;; [unrolled: 1-line block ×6, first 2 shown]
	v_add_f64 v[68:69], v[34:35], v[62:63]
	v_min3_f32 v111, v111, v159, v158
	v_min3_f32 v102, v102, v103, v157
	;; [unrolled: 1-line block ×3, first 2 shown]
	v_add_f64 v[66:67], v[36:37], v[64:65]
	v_cvt_f32_f64_e32 v68, v[68:69]
	v_min3_f32 v71, v70, v71, v150
	v_add_f64 v[69:70], v[30:31], v[62:63]
	v_cvt_f32_f64_e32 v66, v[66:67]
	v_cvt_f32_f64_e32 v69, v[69:70]
	;; [unrolled: 1-line block ×3, first 2 shown]
	v_add_f64 v[74:75], v[18:19], v[62:63]
	v_min3_f32 v66, v68, v66, v218
	v_add_f64 v[67:68], v[32:33], v[64:65]
	v_cvt_f32_f64_e32 v72, v[74:75]
	v_add_f64 v[74:75], v[16:17], v[64:65]
	v_cvt_f32_f64_e32 v67, v[67:68]
	v_min3_f32 v67, v69, v67, v217
	v_add_f64 v[68:69], v[28:29], v[64:65]
	v_cvt_f32_f64_e32 v68, v[68:69]
	v_min3_f32 v68, v70, v68, v216
	v_add_f64 v[69:70], v[20:21], v[64:65]
	v_cvt_f32_f64_e32 v69, v[69:70]
	v_cvt_f32_f64_e32 v70, v[76:77]
	v_add_f64 v[76:77], v[10:11], v[62:63]
	v_min3_f32 v69, v72, v69, v215
	v_cvt_f32_f64_e32 v72, v[74:75]
	v_add_f64 v[74:75], v[12:13], v[64:65]
	v_min3_f32 v70, v70, v72, v214
	v_cvt_f32_f64_e32 v72, v[76:77]
	v_cvt_f32_f64_e32 v74, v[74:75]
	v_add_f64 v[76:77], v[6:7], v[62:63]
	v_add_f64 v[62:63], v[2:3], v[62:63]
	v_min3_f32 v72, v72, v74, v213
	v_add_f64 v[74:75], v[8:9], v[64:65]
	v_add_f64 v[64:65], v[4:5], v[64:65]
	v_cvt_f32_f64_e32 v76, v[76:77]
	v_cvt_f32_f64_e32 v62, v[62:63]
	;; [unrolled: 1-line block ×4, first 2 shown]
	v_min3_f32 v74, v76, v74, v212
	v_min3_f32 v62, v62, v63, v211
	v_add_f64 v[63:64], v[36:37], v[60:61]
	v_add_f64 v[75:76], v[34:35], v[58:59]
	v_cvt_f32_f64_e32 v63, v[63:64]
	v_cvt_f32_f64_e32 v65, v[75:76]
	v_add_f64 v[75:76], v[30:31], v[58:59]
	v_min3_f32 v63, v65, v63, v210
	v_add_f64 v[64:65], v[32:33], v[60:61]
	v_cvt_f32_f64_e32 v75, v[75:76]
	v_cvt_f32_f64_e32 v64, v[64:65]
	;; [unrolled: 1-line block ×3, first 2 shown]
	v_add_f64 v[79:80], v[18:19], v[58:59]
	v_min3_f32 v64, v75, v64, v209
	v_add_f64 v[75:76], v[28:29], v[60:61]
	v_cvt_f32_f64_e32 v77, v[79:80]
	v_add_f64 v[79:80], v[14:15], v[58:59]
	v_cvt_f32_f64_e32 v75, v[75:76]
	v_cvt_f32_f64_e32 v79, v[79:80]
	v_min3_f32 v65, v65, v75, v208
	v_add_f64 v[75:76], v[20:21], v[60:61]
	v_cvt_f32_f64_e32 v75, v[75:76]
	v_min3_f32 v75, v77, v75, v207
	v_add_f64 v[76:77], v[16:17], v[60:61]
	v_cvt_f32_f64_e32 v76, v[76:77]
	v_cvt_f32_f64_e32 v77, v[83:84]
	v_add_f64 v[83:84], v[6:7], v[58:59]
	v_add_f64 v[58:59], v[2:3], v[58:59]
	v_min3_f32 v76, v79, v76, v206
	v_add_f64 v[79:80], v[12:13], v[60:61]
	v_cvt_f32_f64_e32 v81, v[83:84]
	v_cvt_f32_f64_e32 v58, v[58:59]
	v_add_f64 v[83:84], v[26:27], v[54:55]
	v_cvt_f32_f64_e32 v79, v[79:80]
	v_min3_f32 v77, v77, v79, v205
	v_add_f64 v[79:80], v[8:9], v[60:61]
	v_add_f64 v[60:61], v[4:5], v[60:61]
	v_cvt_f32_f64_e32 v79, v[79:80]
	v_cvt_f32_f64_e32 v59, v[60:61]
	v_min3_f32 v79, v81, v79, v204
	v_min3_f32 v58, v58, v59, v203
	v_add_f64 v[59:60], v[36:37], v[56:57]
	v_add_f64 v[80:81], v[34:35], v[54:55]
	v_cvt_f32_f64_e32 v59, v[59:60]
	v_cvt_f32_f64_e32 v61, v[80:81]
	v_add_f64 v[80:81], v[30:31], v[54:55]
	v_min3_f32 v59, v61, v59, v122
	v_add_f64 v[60:61], v[32:33], v[56:57]
	v_cvt_f32_f64_e32 v80, v[80:81]
	v_cvt_f32_f64_e32 v60, v[60:61]
	;; [unrolled: 1-line block ×3, first 2 shown]
	v_add_f64 v[83:84], v[18:19], v[54:55]
	v_min3_f32 v60, v80, v60, v201
	v_add_f64 v[80:81], v[28:29], v[56:57]
	v_cvt_f32_f64_e32 v83, v[83:84]
	v_cvt_f32_f64_e32 v80, v[80:81]
	v_min3_f32 v61, v61, v80, v200
	v_add_f64 v[80:81], v[20:21], v[56:57]
	v_cvt_f32_f64_e32 v80, v[80:81]
	v_cvt_f32_f64_e32 v81, v[87:88]
	v_add_f64 v[87:88], v[10:11], v[54:55]
	v_min3_f32 v80, v83, v80, v199
	v_add_f64 v[83:84], v[16:17], v[56:57]
	v_cvt_f32_f64_e32 v85, v[87:88]
	v_add_f64 v[87:88], v[6:7], v[54:55]
	v_add_f64 v[54:55], v[2:3], v[54:55]
	v_cvt_f32_f64_e32 v83, v[83:84]
	v_cvt_f32_f64_e32 v87, v[87:88]
	;; [unrolled: 1-line block ×3, first 2 shown]
	v_min3_f32 v81, v81, v83, v198
	v_add_f64 v[83:84], v[12:13], v[56:57]
	v_cvt_f32_f64_e32 v83, v[83:84]
	v_min3_f32 v83, v85, v83, v197
	v_add_f64 v[84:85], v[8:9], v[56:57]
	v_add_f64 v[56:57], v[4:5], v[56:57]
	v_cvt_f32_f64_e32 v84, v[84:85]
	v_cvt_f32_f64_e32 v55, v[56:57]
	v_min3_f32 v84, v87, v84, v196
	v_min3_f32 v54, v54, v55, v195
	v_add_f64 v[55:56], v[36:37], v[52:53]
	v_add_f64 v[87:88], v[34:35], v[50:51]
	v_cvt_f32_f64_e32 v55, v[55:56]
	v_cvt_f32_f64_e32 v57, v[87:88]
	v_add_f64 v[87:88], v[30:31], v[50:51]
	v_min3_f32 v55, v57, v55, v194
	v_add_f64 v[56:57], v[32:33], v[52:53]
	v_cvt_f32_f64_e32 v85, v[87:88]
	v_add_f64 v[87:88], v[28:29], v[52:53]
	v_cvt_f32_f64_e32 v56, v[56:57]
	v_cvt_f32_f64_e32 v57, v[91:92]
	v_add_f64 v[91:92], v[18:19], v[50:51]
	v_min3_f32 v56, v85, v56, v193
	v_cvt_f32_f64_e32 v85, v[87:88]
	v_add_f64 v[87:88], v[20:21], v[52:53]
	v_min3_f32 v57, v57, v85, v192
	v_cvt_f32_f64_e32 v85, v[91:92]
	v_cvt_f32_f64_e32 v87, v[87:88]
	v_add_f64 v[91:92], v[14:15], v[50:51]
	v_min3_f32 v85, v85, v87, v118
	v_add_f64 v[87:88], v[16:17], v[52:53]
	v_cvt_f32_f64_e32 v89, v[91:92]
	v_add_f64 v[91:92], v[10:11], v[50:51]
	v_add_f64 v[50:51], v[2:3], v[50:51]
	v_cvt_f32_f64_e32 v87, v[87:88]
	v_cvt_f32_f64_e32 v91, v[91:92]
	;; [unrolled: 1-line block ×3, first 2 shown]
	v_min3_f32 v87, v89, v87, v119
	v_add_f64 v[88:89], v[12:13], v[52:53]
	v_cvt_f32_f64_e32 v88, v[88:89]
	v_cvt_f32_f64_e32 v89, v[95:96]
	v_add_f64 v[95:96], v[26:27], v[46:47]
	v_min3_f32 v88, v91, v88, v120
	v_add_f64 v[91:92], v[8:9], v[52:53]
	v_add_f64 v[52:53], v[4:5], v[52:53]
	v_cvt_f32_f64_e32 v91, v[91:92]
	v_cvt_f32_f64_e32 v51, v[52:53]
	v_min3_f32 v89, v89, v91, v121
	v_min3_f32 v50, v50, v51, v114
	v_add_f64 v[51:52], v[36:37], v[48:49]
	v_add_f64 v[91:92], v[34:35], v[46:47]
	v_cvt_f32_f64_e32 v51, v[51:52]
	v_cvt_f32_f64_e32 v53, v[91:92]
	v_add_f64 v[91:92], v[30:31], v[46:47]
	v_min3_f32 v51, v53, v51, v115
	v_add_f64 v[52:53], v[32:33], v[48:49]
	v_cvt_f32_f64_e32 v91, v[91:92]
	v_cvt_f32_f64_e32 v52, v[52:53]
	;; [unrolled: 1-line block ×3, first 2 shown]
	v_add_f64 v[95:96], v[18:19], v[46:47]
	v_min3_f32 v52, v91, v52, v116
	v_add_f64 v[91:92], v[28:29], v[48:49]
	v_cvt_f32_f64_e32 v93, v[95:96]
	v_add_f64 v[95:96], v[14:15], v[46:47]
	v_cvt_f32_f64_e32 v91, v[91:92]
	v_cvt_f32_f64_e32 v95, v[95:96]
	v_min3_f32 v53, v53, v91, v117
	v_add_f64 v[91:92], v[20:21], v[48:49]
	v_cvt_f32_f64_e32 v91, v[91:92]
	v_min3_f32 v91, v93, v91, v123
	v_add_f64 v[92:93], v[16:17], v[48:49]
	v_cvt_f32_f64_e32 v92, v[92:93]
	v_cvt_f32_f64_e32 v93, v[99:100]
	v_add_f64 v[99:100], v[6:7], v[46:47]
	v_add_f64 v[46:47], v[2:3], v[46:47]
	v_min3_f32 v92, v95, v92, v124
	v_add_f64 v[95:96], v[12:13], v[48:49]
	v_cvt_f32_f64_e32 v46, v[46:47]
	v_cvt_f32_f64_e32 v95, v[95:96]
	v_min3_f32 v149, v93, v95, v181
	v_add_f64 v[95:96], v[8:9], v[48:49]
	v_add_f64 v[48:49], v[4:5], v[48:49]
	v_cvt_f32_f64_e32 v93, v[99:100]
	v_add_f64 v[99:100], v[26:27], v[42:43]
	v_cvt_f32_f64_e32 v95, v[95:96]
	v_cvt_f32_f64_e32 v47, v[48:49]
	v_min3_f32 v150, v93, v95, v125
	v_min3_f32 v46, v46, v47, v112
	v_add_f64 v[47:48], v[36:37], v[44:45]
	v_add_f64 v[95:96], v[34:35], v[42:43]
	v_cvt_f32_f64_e32 v47, v[47:48]
	v_cvt_f32_f64_e32 v49, v[95:96]
	v_add_f64 v[95:96], v[30:31], v[42:43]
	v_min3_f32 v47, v49, v47, v113
	v_add_f64 v[48:49], v[32:33], v[44:45]
	v_cvt_f32_f64_e32 v93, v[95:96]
	v_add_f64 v[95:96], v[28:29], v[44:45]
	v_cvt_f32_f64_e32 v48, v[48:49]
	v_cvt_f32_f64_e32 v49, v[99:100]
	v_add_f64 v[99:100], v[18:19], v[42:43]
	v_min3_f32 v48, v93, v48, v126
	v_cvt_f32_f64_e32 v93, v[95:96]
	v_add_f64 v[95:96], v[20:21], v[44:45]
	v_min3_f32 v49, v49, v93, v127
	v_cvt_f32_f64_e32 v93, v[99:100]
	v_cvt_f32_f64_e32 v95, v[95:96]
	v_add_f64 v[99:100], v[14:15], v[42:43]
	v_min3_f32 v151, v93, v95, v128
	v_add_f64 v[95:96], v[16:17], v[44:45]
	v_cvt_f32_f64_e32 v93, v[99:100]
	v_add_f64 v[99:100], v[10:11], v[42:43]
	v_cvt_f32_f64_e32 v95, v[95:96]
	v_min3_f32 v152, v93, v95, v129
	v_add_f64 v[95:96], v[12:13], v[44:45]
	v_cvt_f32_f64_e32 v93, v[99:100]
	v_add_f64 v[99:100], v[6:7], v[42:43]
	v_add_f64 v[42:43], v[2:3], v[42:43]
	v_cvt_f32_f64_e32 v95, v[95:96]
	v_cvt_f32_f64_e32 v42, v[42:43]
	v_min3_f32 v153, v93, v95, v167
	v_add_f64 v[95:96], v[8:9], v[44:45]
	v_add_f64 v[44:45], v[4:5], v[44:45]
	v_cvt_f32_f64_e32 v93, v[99:100]
	v_add_f64 v[99:100], v[26:27], v[38:39]
	v_add_f64 v[26:27], v[26:27], v[22:23]
	v_cvt_f32_f64_e32 v95, v[95:96]
	v_cvt_f32_f64_e32 v43, v[44:45]
	v_cvt_f32_f64_e32 v26, v[26:27]
	v_min3_f32 v154, v93, v95, v166
	v_min3_f32 v42, v42, v43, v165
	v_add_f64 v[43:44], v[36:37], v[40:41]
	v_add_f64 v[95:96], v[34:35], v[38:39]
	;; [unrolled: 1-line block ×4, first 2 shown]
	v_cvt_f32_f64_e32 v43, v[43:44]
	v_cvt_f32_f64_e32 v45, v[95:96]
	v_add_f64 v[95:96], v[30:31], v[38:39]
	v_add_f64 v[30:31], v[30:31], v[22:23]
	v_cvt_f32_f64_e32 v34, v[34:35]
	v_cvt_f32_f64_e32 v35, v[36:37]
	v_min3_f32 v43, v45, v43, v164
	v_add_f64 v[44:45], v[32:33], v[40:41]
	v_cvt_f32_f64_e32 v93, v[95:96]
	v_add_f64 v[95:96], v[28:29], v[40:41]
	v_add_f64 v[32:33], v[32:33], v[24:25]
	;; [unrolled: 1-line block ×3, first 2 shown]
	v_cvt_f32_f64_e32 v30, v[30:31]
	v_min3_f32 v190, v34, v35, v98
	v_cvt_f32_f64_e32 v44, v[44:45]
	v_cvt_f32_f64_e32 v45, v[99:100]
	v_add_f64 v[99:100], v[18:19], v[38:39]
	v_add_f64 v[18:19], v[18:19], v[22:23]
	v_cvt_f32_f64_e32 v31, v[32:33]
	v_cvt_f32_f64_e32 v27, v[28:29]
	v_min3_f32 v44, v93, v44, v106
	v_cvt_f32_f64_e32 v93, v[95:96]
	v_add_f64 v[95:96], v[20:21], v[40:41]
	v_add_f64 v[20:21], v[20:21], v[24:25]
	v_cvt_f32_f64_e32 v18, v[18:19]
	v_min3_f32 v191, v30, v31, v94
	v_min3_f32 v192, v26, v27, v90
	;; [unrolled: 1-line block ×3, first 2 shown]
	v_cvt_f32_f64_e32 v93, v[99:100]
	v_cvt_f32_f64_e32 v95, v[95:96]
	v_add_f64 v[99:100], v[14:15], v[38:39]
	v_add_f64 v[14:15], v[14:15], v[22:23]
	v_cvt_f32_f64_e32 v19, v[20:21]
	v_min3_f32 v155, v93, v95, v108
	v_add_f64 v[95:96], v[16:17], v[40:41]
	v_cvt_f32_f64_e32 v93, v[99:100]
	v_add_f64 v[99:100], v[10:11], v[38:39]
	v_add_f64 v[16:17], v[16:17], v[24:25]
	;; [unrolled: 1-line block ×3, first 2 shown]
	v_cvt_f32_f64_e32 v14, v[14:15]
	v_min3_f32 v193, v18, v19, v86
	v_cvt_f32_f64_e32 v95, v[95:96]
	v_cvt_f32_f64_e32 v15, v[16:17]
	;; [unrolled: 1-line block ×3, first 2 shown]
	v_min3_f32 v156, v93, v95, v109
	v_add_f64 v[95:96], v[12:13], v[40:41]
	v_cvt_f32_f64_e32 v93, v[99:100]
	v_add_f64 v[99:100], v[6:7], v[38:39]
	v_add_f64 v[38:39], v[2:3], v[38:39]
	;; [unrolled: 1-line block ×5, first 2 shown]
	v_min3_f32 v194, v14, v15, v82
	v_cvt_f32_f64_e32 v95, v[95:96]
	v_cvt_f32_f64_e32 v38, v[38:39]
	;; [unrolled: 1-line block ×5, first 2 shown]
	v_min3_f32 v157, v93, v95, v110
	v_add_f64 v[95:96], v[8:9], v[40:41]
	v_add_f64 v[40:41], v[4:5], v[40:41]
	;; [unrolled: 1-line block ×4, first 2 shown]
	v_cvt_f32_f64_e32 v93, v[99:100]
	v_min3_f32 v195, v10, v11, v78
	v_cvt_f32_f64_e32 v95, v[95:96]
	v_cvt_f32_f64_e32 v39, v[40:41]
	;; [unrolled: 1-line block ×4, first 2 shown]
	v_min3_f32 v188, v93, v95, v111
	v_min3_f32 v189, v38, v39, v102
	v_min3_f32 v196, v6, v7, v71
	v_min3_f32 v197, v2, v3, v73
	ds_read_b128 v[6:9], v171 offset:256
	ds_read_b128 v[10:13], v171 offset:512
	;; [unrolled: 1-line block ×14, first 2 shown]
	ds_read_b128 v[97:100], v146
	ds_read_b128 v[34:37], v146 offset:16
	ds_read_b128 v[184:187], v171
	ds_read_b128 v[2:5], v171 offset:16
	s_waitcnt lgkmcnt(1)
	v_add_f64 v[101:102], v[186:187], v[99:100]
	v_add_f64 v[103:104], v[184:185], v[97:98]
	v_cvt_f32_f64_e32 v73, v[101:102]
	v_cvt_f32_f64_e32 v71, v[103:104]
	v_add_f64 v[101:102], v[8:9], v[99:100]
	v_add_f64 v[103:104], v[6:7], v[97:98]
	v_min3_f32 v129, v71, v73, v66
	v_cvt_f32_f64_e32 v71, v[101:102]
	v_cvt_f32_f64_e32 v66, v[103:104]
	v_add_f64 v[101:102], v[10:11], v[97:98]
	v_min3_f32 v128, v66, v71, v67
	v_add_f64 v[66:67], v[12:13], v[99:100]
	v_cvt_f32_f64_e32 v71, v[101:102]
	v_add_f64 v[101:102], v[14:15], v[97:98]
	v_cvt_f32_f64_e32 v66, v[66:67]
	v_min3_f32 v127, v71, v66, v68
	v_add_f64 v[66:67], v[16:17], v[99:100]
	v_cvt_f32_f64_e32 v68, v[101:102]
	v_cvt_f32_f64_e32 v66, v[66:67]
	v_min3_f32 v126, v68, v66, v69
	v_add_f64 v[66:67], v[20:21], v[99:100]
	v_add_f64 v[68:69], v[18:19], v[97:98]
	v_cvt_f32_f64_e32 v66, v[66:67]
	v_cvt_f32_f64_e32 v68, v[68:69]
	v_min3_f32 v125, v68, v66, v70
	v_add_f64 v[66:67], v[24:25], v[99:100]
	v_add_f64 v[68:69], v[22:23], v[97:98]
	v_cvt_f32_f64_e32 v66, v[66:67]
	v_cvt_f32_f64_e32 v68, v[68:69]
	v_min3_f32 v124, v68, v66, v72
	v_add_f64 v[66:67], v[28:29], v[99:100]
	v_add_f64 v[68:69], v[26:27], v[97:98]
	v_cvt_f32_f64_e32 v66, v[66:67]
	v_cvt_f32_f64_e32 v68, v[68:69]
	v_min3_f32 v123, v68, v66, v74
	v_add_f64 v[66:67], v[32:33], v[99:100]
	v_add_f64 v[68:69], v[30:31], v[97:98]
	v_cvt_f32_f64_e32 v66, v[66:67]
	v_cvt_f32_f64_e32 v68, v[68:69]
	v_min3_f32 v122, v68, v66, v62
	v_add_f64 v[66:67], v[186:187], v[40:41]
	v_add_f64 v[68:69], v[184:185], v[38:39]
	v_cvt_f32_f64_e32 v66, v[66:67]
	v_cvt_f32_f64_e32 v62, v[68:69]
	v_min3_f32 v121, v62, v66, v63
	v_add_f64 v[62:63], v[8:9], v[40:41]
	v_add_f64 v[66:67], v[6:7], v[38:39]
	v_cvt_f32_f64_e32 v62, v[62:63]
	v_cvt_f32_f64_e32 v66, v[66:67]
	v_min3_f32 v120, v66, v62, v64
	v_add_f64 v[62:63], v[12:13], v[40:41]
	v_add_f64 v[66:67], v[10:11], v[38:39]
	v_cvt_f32_f64_e32 v62, v[62:63]
	v_cvt_f32_f64_e32 v64, v[66:67]
	v_min3_f32 v119, v64, v62, v65
	v_add_f64 v[62:63], v[16:17], v[40:41]
	v_add_f64 v[64:65], v[14:15], v[38:39]
	v_cvt_f32_f64_e32 v62, v[62:63]
	v_cvt_f32_f64_e32 v64, v[64:65]
	v_min3_f32 v118, v64, v62, v75
	v_add_f64 v[62:63], v[20:21], v[40:41]
	v_add_f64 v[64:65], v[18:19], v[38:39]
	v_cvt_f32_f64_e32 v62, v[62:63]
	v_cvt_f32_f64_e32 v64, v[64:65]
	v_min3_f32 v117, v64, v62, v76
	v_add_f64 v[62:63], v[24:25], v[40:41]
	v_add_f64 v[64:65], v[22:23], v[38:39]
	v_cvt_f32_f64_e32 v62, v[62:63]
	v_cvt_f32_f64_e32 v64, v[64:65]
	v_min3_f32 v116, v64, v62, v77
	v_add_f64 v[62:63], v[28:29], v[40:41]
	v_add_f64 v[64:65], v[26:27], v[38:39]
	v_add_f64 v[40:41], v[32:33], v[40:41]
	;; [unrolled: 1-line block ×3, first 2 shown]
	v_cvt_f32_f64_e32 v62, v[62:63]
	v_cvt_f32_f64_e32 v64, v[64:65]
	;; [unrolled: 1-line block ×4, first 2 shown]
	v_add_f64 v[40:41], v[184:185], v[93:94]
	v_min3_f32 v115, v64, v62, v79
	v_min3_f32 v114, v38, v39, v58
	v_add_f64 v[38:39], v[186:187], v[95:96]
	v_cvt_f32_f64_e32 v40, v[40:41]
	v_cvt_f32_f64_e32 v38, v[38:39]
	v_min3_f32 v113, v40, v38, v59
	v_add_f64 v[38:39], v[8:9], v[95:96]
	v_add_f64 v[40:41], v[6:7], v[93:94]
	v_cvt_f32_f64_e32 v38, v[38:39]
	v_cvt_f32_f64_e32 v40, v[40:41]
	v_min3_f32 v112, v40, v38, v60
	v_add_f64 v[38:39], v[12:13], v[95:96]
	;; [unrolled: 5-line block ×23, first 2 shown]
	v_add_f64 v[40:41], v[30:31], v[162:163]
	s_waitcnt lgkmcnt(0)
	v_add_f64 v[149:150], v[4:5], v[36:37]
	v_cvt_f32_f64_e32 v38, v[38:39]
	v_cvt_f32_f64_e32 v40, v[40:41]
	;; [unrolled: 1-line block ×3, first 2 shown]
	v_min3_f32 v90, v40, v38, v46
	v_add_f64 v[38:39], v[186:187], v[168:169]
	v_add_f64 v[40:41], v[184:185], v[166:167]
	v_cvt_f32_f64_e32 v38, v[38:39]
	v_cvt_f32_f64_e32 v40, v[40:41]
	v_min3_f32 v89, v40, v38, v47
	v_add_f64 v[38:39], v[8:9], v[168:169]
	v_add_f64 v[40:41], v[6:7], v[166:167]
	v_cvt_f32_f64_e32 v38, v[38:39]
	v_cvt_f32_f64_e32 v40, v[40:41]
	;; [unrolled: 5-line block ×5, first 2 shown]
	v_min3_f32 v85, v40, v38, v152
	v_add_f64 v[38:39], v[24:25], v[168:169]
	v_add_f64 v[40:41], v[22:23], v[166:167]
	;; [unrolled: 1-line block ×3, first 2 shown]
	v_cvt_f32_f64_e32 v38, v[38:39]
	v_cvt_f32_f64_e32 v40, v[40:41]
	;; [unrolled: 1-line block ×3, first 2 shown]
	v_min3_f32 v84, v40, v38, v153
	v_add_f64 v[38:39], v[28:29], v[168:169]
	v_add_f64 v[40:41], v[26:27], v[166:167]
	v_min3_f32 v218, v151, v149, v129
	v_cvt_f32_f64_e32 v38, v[38:39]
	v_cvt_f32_f64_e32 v40, v[40:41]
	v_min3_f32 v83, v40, v38, v154
	v_add_f64 v[38:39], v[32:33], v[168:169]
	v_add_f64 v[40:41], v[30:31], v[166:167]
	v_cvt_f32_f64_e32 v38, v[38:39]
	v_cvt_f32_f64_e32 v40, v[40:41]
	v_min3_f32 v82, v40, v38, v42
	v_add_f64 v[38:39], v[186:187], v[178:179]
	v_add_f64 v[40:41], v[184:185], v[176:177]
	;; [unrolled: 5-line block ×3, first 2 shown]
	v_add_f64 v[8:9], v[8:9], v[182:183]
	v_add_f64 v[6:7], v[6:7], v[180:181]
	v_cvt_f32_f64_e32 v38, v[38:39]
	v_cvt_f32_f64_e32 v40, v[40:41]
	;; [unrolled: 1-line block ×4, first 2 shown]
	v_add_f64 v[8:9], v[10:11], v[180:181]
	v_min3_f32 v80, v40, v38, v44
	v_add_f64 v[38:39], v[12:13], v[178:179]
	v_add_f64 v[40:41], v[10:11], v[176:177]
	v_min3_f32 v72, v6, v7, v191
	v_add_f64 v[6:7], v[12:13], v[182:183]
	v_cvt_f32_f64_e32 v8, v[8:9]
	v_cvt_f32_f64_e32 v38, v[38:39]
	v_cvt_f32_f64_e32 v40, v[40:41]
	v_cvt_f32_f64_e32 v6, v[6:7]
	v_min3_f32 v79, v40, v38, v45
	v_add_f64 v[38:39], v[16:17], v[178:179]
	v_add_f64 v[40:41], v[14:15], v[176:177]
	v_min3_f32 v71, v8, v6, v192
	v_add_f64 v[6:7], v[16:17], v[182:183]
	v_add_f64 v[8:9], v[14:15], v[180:181]
	v_cvt_f32_f64_e32 v38, v[38:39]
	v_cvt_f32_f64_e32 v40, v[40:41]
	v_cvt_f32_f64_e32 v6, v[6:7]
	v_cvt_f32_f64_e32 v8, v[8:9]
	v_min3_f32 v78, v40, v38, v155
	v_add_f64 v[38:39], v[20:21], v[178:179]
	v_add_f64 v[40:41], v[18:19], v[176:177]
	v_min3_f32 v70, v8, v6, v193
	v_add_f64 v[6:7], v[20:21], v[182:183]
	;; [unrolled: 10-line block ×5, first 2 shown]
	v_add_f64 v[8:9], v[30:31], v[180:181]
	v_cvt_f32_f64_e32 v38, v[38:39]
	v_cvt_f32_f64_e32 v40, v[40:41]
	v_cvt_f32_f64_e32 v6, v[6:7]
	v_cvt_f32_f64_e32 v8, v[8:9]
	v_min3_f32 v74, v40, v38, v189
	v_add_f64 v[38:39], v[186:187], v[182:183]
	v_add_f64 v[40:41], v[184:185], v[180:181]
	v_min3_f32 v66, v8, v6, v197
	v_cvt_f32_f64_e32 v38, v[38:39]
	v_cvt_f32_f64_e32 v40, v[40:41]
	v_min3_f32 v73, v40, v38, v190
	ds_read_b128 v[22:25], v171 offset:272
	ds_read_b128 v[18:21], v171 offset:528
	;; [unrolled: 1-line block ×14, first 2 shown]
	ds_write_b64 v172, v[136:137]
	ds_write2st64_b64 v173, v[134:135], v[138:139] offset1:4
	ds_write2st64_b64 v173, v[140:141], v[142:143] offset0:8 offset1:12
	s_waitcnt lgkmcnt(0)
	s_barrier
	buffer_gl0_inv
	v_add_f64 v[149:150], v[24:25], v[36:37]
	v_add_f64 v[151:152], v[22:23], v[34:35]
	v_cvt_f32_f64_e32 v149, v[149:150]
	v_cvt_f32_f64_e32 v129, v[151:152]
	v_min3_f32 v217, v129, v149, v128
	v_add_f64 v[128:129], v[20:21], v[36:37]
	v_add_f64 v[149:150], v[18:19], v[34:35]
	v_cvt_f32_f64_e32 v128, v[128:129]
	v_cvt_f32_f64_e32 v149, v[149:150]
	v_min3_f32 v216, v149, v128, v127
	;; [unrolled: 5-line block ×5, first 2 shown]
	v_add_f64 v[124:125], v[32:33], v[36:37]
	v_add_f64 v[126:127], v[30:31], v[34:35]
	;; [unrolled: 1-line block ×4, first 2 shown]
	v_cvt_f32_f64_e32 v124, v[124:125]
	v_cvt_f32_f64_e32 v126, v[126:127]
	;; [unrolled: 1-line block ×4, first 2 shown]
	v_add_f64 v[36:37], v[2:3], v[62:63]
	v_min3_f32 v212, v126, v124, v123
	v_min3_f32 v211, v34, v35, v122
	v_add_f64 v[34:35], v[4:5], v[64:65]
	v_cvt_f32_f64_e32 v36, v[36:37]
	v_cvt_f32_f64_e32 v34, v[34:35]
	v_min3_f32 v210, v36, v34, v121
	v_add_f64 v[34:35], v[24:25], v[64:65]
	v_add_f64 v[36:37], v[22:23], v[62:63]
	v_cvt_f32_f64_e32 v34, v[34:35]
	v_cvt_f32_f64_e32 v36, v[36:37]
	v_min3_f32 v209, v36, v34, v120
	v_add_f64 v[34:35], v[20:21], v[64:65]
	;; [unrolled: 5-line block ×40, first 2 shown]
	v_add_f64 v[36:37], v[2:3], v[42:43]
	v_add_f64 v[4:5], v[4:5], v[40:41]
	;; [unrolled: 1-line block ×3, first 2 shown]
	v_cvt_f32_f64_e32 v34, v[34:35]
	v_cvt_f32_f64_e32 v36, v[36:37]
	;; [unrolled: 1-line block ×4, first 2 shown]
	v_add_f64 v[4:5], v[22:23], v[38:39]
	v_min3_f32 v164, v36, v34, v81
	v_add_f64 v[34:35], v[24:25], v[44:45]
	v_add_f64 v[36:37], v[22:23], v[42:43]
	v_min3_f32 v156, v2, v3, v73
	v_add_f64 v[2:3], v[24:25], v[40:41]
	v_cvt_f32_f64_e32 v4, v[4:5]
	v_cvt_f32_f64_e32 v34, v[34:35]
	v_cvt_f32_f64_e32 v36, v[36:37]
	v_cvt_f32_f64_e32 v2, v[2:3]
	v_min3_f32 v163, v36, v34, v80
	v_add_f64 v[34:35], v[20:21], v[44:45]
	v_add_f64 v[36:37], v[18:19], v[42:43]
	v_min3_f32 v155, v4, v2, v72
	v_add_f64 v[2:3], v[20:21], v[40:41]
	v_add_f64 v[4:5], v[18:19], v[38:39]
	v_cvt_f32_f64_e32 v34, v[34:35]
	v_cvt_f32_f64_e32 v36, v[36:37]
	v_cvt_f32_f64_e32 v2, v[2:3]
	v_cvt_f32_f64_e32 v4, v[4:5]
	v_min3_f32 v162, v36, v34, v79
	v_add_f64 v[34:35], v[16:17], v[44:45]
	v_add_f64 v[36:37], v[14:15], v[42:43]
	v_min3_f32 v154, v4, v2, v71
	v_add_f64 v[2:3], v[16:17], v[40:41]
	;; [unrolled: 10-line block ×6, first 2 shown]
	v_add_f64 v[4:5], v[26:27], v[38:39]
	v_cvt_f32_f64_e32 v34, v[34:35]
	v_cvt_f32_f64_e32 v36, v[36:37]
	;; [unrolled: 1-line block ×4, first 2 shown]
	v_min3_f32 v157, v36, v34, v74
	v_min3_f32 v149, v4, v2, v66
	s_cbranch_scc1 .LBB128_59
.LBB128_35:                             ; =>This Inner Loop Header: Depth=1
	v_add_nc_u32_e32 v220, s28, v144
                                        ; implicit-def: $vgpr134_vgpr135
	v_add_nc_u32_e32 v2, 8, v220
	v_cmp_le_i32_e64 s6, s14, v2
	s_or_b32 s7, s6, vcc_lo
	s_nor_b32 s6, s25, s7
	s_and_saveexec_b32 s29, s6
	s_xor_b32 s29, exec_lo, s29
	s_cbranch_execz .LBB128_37
; %bb.36:                               ;   in Loop: Header=BB128_35 Depth=1
	v_add_co_u32 v2, s6, 0xffffffe0, v132
	v_add_co_ci_u32_e64 v3, null, -1, v133, s6
	flat_load_dwordx2 v[2:3], v[2:3]
	s_waitcnt vmcnt(0) lgkmcnt(0)
	v_mul_f64 v[134:135], s[16:17], v[2:3]
.LBB128_37:                             ;   in Loop: Header=BB128_35 Depth=1
	s_andn2_saveexec_b32 s6, s29
; %bb.38:                               ;   in Loop: Header=BB128_35 Depth=1
	v_cndmask_b32_e64 v135, 0, 0x7fefffff, s7
	v_cndmask_b32_e64 v134, 0, -1, s7
; %bb.39:                               ;   in Loop: Header=BB128_35 Depth=1
	s_or_b32 exec_lo, exec_lo, s6
	v_add_nc_u32_e32 v219, s28, v145
	v_add_nc_u32_e32 v4, 8, v219
	v_min_i32_e32 v2, s23, v4
	v_cmp_le_i32_e64 s6, s14, v4
	v_mad_i64_i32 v[2:3], null, v2, s27, 0
	s_or_b32 s29, s0, s6
	v_cndmask_b32_e64 v137, 0, 0x7fefffff, s29
	v_cndmask_b32_e64 v136, 0, -1, s29
	v_lshlrev_b64 v[2:3], 3, v[2:3]
	v_add_co_u32 v2, s7, s20, v2
	v_add_co_ci_u32_e64 v3, null, s21, v3, s7
	s_nor_b32 s7, s25, s29
	s_and_saveexec_b32 s29, s7
	s_cbranch_execz .LBB128_41
; %bb.40:                               ;   in Loop: Header=BB128_35 Depth=1
	v_add_co_u32 v4, s7, v2, v130
	v_add_co_ci_u32_e64 v5, null, v3, v131, s7
	flat_load_dwordx2 v[4:5], v[4:5]
	s_waitcnt vmcnt(0) lgkmcnt(0)
	v_mul_f64 v[136:137], s[16:17], v[4:5]
.LBB128_41:                             ;   in Loop: Header=BB128_35 Depth=1
	s_or_b32 exec_lo, exec_lo, s29
	s_or_b32 s7, s1, s6
	v_cndmask_b32_e64 v139, 0, 0x7fefffff, s7
	v_cndmask_b32_e64 v138, 0, -1, s7
	s_nor_b32 s7, s25, s7
	s_and_saveexec_b32 s29, s7
	s_cbranch_execz .LBB128_43
; %bb.42:                               ;   in Loop: Header=BB128_35 Depth=1
	v_add_co_u32 v4, s7, v2, v130
	v_add_co_ci_u32_e64 v5, null, v3, v131, s7
	flat_load_dwordx2 v[4:5], v[4:5] offset:512
	s_waitcnt vmcnt(0) lgkmcnt(0)
	v_mul_f64 v[138:139], s[16:17], v[4:5]
.LBB128_43:                             ;   in Loop: Header=BB128_35 Depth=1
	s_or_b32 exec_lo, exec_lo, s29
	s_or_b32 s7, s2, s6
	v_cndmask_b32_e64 v141, 0, 0x7fefffff, s7
	v_cndmask_b32_e64 v140, 0, -1, s7
	s_nor_b32 s7, s25, s7
	s_and_saveexec_b32 s29, s7
	s_cbranch_execz .LBB128_45
; %bb.44:                               ;   in Loop: Header=BB128_35 Depth=1
	v_add_co_u32 v4, s7, v2, v130
	v_add_co_ci_u32_e64 v5, null, v3, v131, s7
	flat_load_dwordx2 v[4:5], v[4:5] offset:1024
	s_waitcnt vmcnt(0) lgkmcnt(0)
	v_mul_f64 v[140:141], s[16:17], v[4:5]
.LBB128_45:                             ;   in Loop: Header=BB128_35 Depth=1
	;; [unrolled: 14-line block ×3, first 2 shown]
	s_or_b32 exec_lo, exec_lo, s7
	ds_read_b128 v[126:129], v175
	ds_read_b128 v[62:65], v175 offset:16
	ds_read_b128 v[98:101], v174
	ds_read_b128 v[34:37], v174 offset:16
	ds_read_b128 v[94:97], v174 offset:256
	;; [unrolled: 1-line block ×29, first 2 shown]
	v_add_nc_u32_e32 v220, 12, v220
	ds_write_b64 v170, v[134:135]
	ds_write2st64_b64 v148, v[136:137], v[138:139] offset1:4
	ds_write2st64_b64 v148, v[140:141], v[142:143] offset0:8 offset1:12
	s_waitcnt lgkmcnt(0)
	s_barrier
	buffer_gl0_inv
	v_cmp_le_i32_e64 s6, s14, v220
                                        ; implicit-def: $vgpr136_vgpr137
	s_or_b32 s6, s6, vcc_lo
	s_nor_b32 s7, s25, s6
	s_and_saveexec_b32 s29, s7
	s_xor_b32 s7, exec_lo, s29
	s_cbranch_execz .LBB128_49
; %bb.48:                               ;   in Loop: Header=BB128_35 Depth=1
	flat_load_dwordx2 v[134:135], v[132:133]
	s_waitcnt vmcnt(0) lgkmcnt(0)
	v_mul_f64 v[136:137], s[16:17], v[134:135]
.LBB128_49:                             ;   in Loop: Header=BB128_35 Depth=1
	s_andn2_saveexec_b32 s7, s7
; %bb.50:                               ;   in Loop: Header=BB128_35 Depth=1
	v_cndmask_b32_e64 v137, 0, 0x7fefffff, s6
	v_cndmask_b32_e64 v136, 0, -1, s6
; %bb.51:                               ;   in Loop: Header=BB128_35 Depth=1
	s_or_b32 exec_lo, exec_lo, s7
	v_add_nc_u32_e32 v138, 12, v219
	v_min_i32_e32 v134, s23, v138
	v_cmp_le_i32_e64 s6, s14, v138
	v_mad_i64_i32 v[134:135], null, v134, s27, 0
	s_or_b32 s29, s0, s6
	v_lshlrev_b64 v[138:139], 3, v[134:135]
	v_cndmask_b32_e64 v135, 0, 0x7fefffff, s29
	v_cndmask_b32_e64 v134, 0, -1, s29
	v_add_co_u32 v219, s7, s20, v138
	v_add_co_ci_u32_e64 v220, null, s21, v139, s7
	s_nor_b32 s7, s25, s29
	s_and_saveexec_b32 s29, s7
	s_cbranch_execz .LBB128_53
; %bb.52:                               ;   in Loop: Header=BB128_35 Depth=1
	v_add_co_u32 v134, s7, v219, v130
	v_add_co_ci_u32_e64 v135, null, v220, v131, s7
	flat_load_dwordx2 v[134:135], v[134:135]
	s_waitcnt vmcnt(0) lgkmcnt(0)
	v_mul_f64 v[134:135], s[16:17], v[134:135]
.LBB128_53:                             ;   in Loop: Header=BB128_35 Depth=1
	s_or_b32 exec_lo, exec_lo, s29
	s_or_b32 s7, s1, s6
	v_cndmask_b32_e64 v139, 0, 0x7fefffff, s7
	v_cndmask_b32_e64 v138, 0, -1, s7
	s_nor_b32 s7, s25, s7
	s_and_saveexec_b32 s29, s7
	s_cbranch_execz .LBB128_55
; %bb.54:                               ;   in Loop: Header=BB128_35 Depth=1
	v_add_co_u32 v138, s7, v219, v130
	v_add_co_ci_u32_e64 v139, null, v220, v131, s7
	flat_load_dwordx2 v[138:139], v[138:139] offset:512
	s_waitcnt vmcnt(0) lgkmcnt(0)
	v_mul_f64 v[138:139], s[16:17], v[138:139]
.LBB128_55:                             ;   in Loop: Header=BB128_35 Depth=1
	s_or_b32 exec_lo, exec_lo, s29
	s_or_b32 s7, s2, s6
	v_cndmask_b32_e64 v141, 0, 0x7fefffff, s7
	v_cndmask_b32_e64 v140, 0, -1, s7
	s_nor_b32 s7, s25, s7
	s_and_saveexec_b32 s29, s7
	s_cbranch_execz .LBB128_57
; %bb.56:                               ;   in Loop: Header=BB128_35 Depth=1
	v_add_co_u32 v140, s7, v219, v130
	v_add_co_ci_u32_e64 v141, null, v220, v131, s7
	flat_load_dwordx2 v[140:141], v[140:141] offset:1024
	s_waitcnt vmcnt(0) lgkmcnt(0)
	v_mul_f64 v[140:141], s[16:17], v[140:141]
.LBB128_57:                             ;   in Loop: Header=BB128_35 Depth=1
	s_or_b32 exec_lo, exec_lo, s29
	s_or_b32 s6, s3, s6
	v_cndmask_b32_e64 v143, 0, 0x7fefffff, s6
	v_cndmask_b32_e64 v142, 0, -1, s6
	s_nor_b32 s6, s25, s6
	s_and_saveexec_b32 s7, s6
	s_cbranch_execz .LBB128_34
; %bb.58:                               ;   in Loop: Header=BB128_35 Depth=1
	v_add_co_u32 v142, s6, v219, v130
	v_add_co_ci_u32_e64 v143, null, v220, v131, s6
	flat_load_dwordx2 v[142:143], v[142:143] offset:1536
	s_waitcnt vmcnt(0) lgkmcnt(0)
	v_mul_f64 v[142:143], s[16:17], v[142:143]
	s_branch .LBB128_34
.LBB128_59:
	s_clause 0x2
	s_load_dwordx2 s[0:1], s[4:5], 0x78
	s_load_dword s16, s[4:5], 0x58
	s_load_dword s14, s[4:5], 0x70
	ds_read_b128 v[70:73], v147 offset:18432
	ds_read_b128 v[66:69], v147 offset:18448
	;; [unrolled: 1-line block ×17, first 2 shown]
	v_add_nc_u32_e32 v145, s24, v1
	ds_read_b128 v[2:5], v147 offset:20240
	ds_read_b128 v[118:121], v146 offset:9216
	;; [unrolled: 1-line block ×15, first 2 shown]
	v_add_nc_u32_e32 v0, s15, v0
	v_cndmask_b32_e64 v144, 0, 1, s26
	v_ashrrev_i32_e32 v1, 31, v0
	s_waitcnt lgkmcnt(0)
	s_lshl_b64 s[0:1], s[0:1], 3
	v_mad_i64_i32 v[130:131], null, v145, s16, 0
	v_mad_i64_i32 v[132:133], null, v145, s14, 0
	s_add_u32 s17, s8, s0
	s_addc_u32 s9, s9, s1
	v_cmp_gt_i32_e64 s0, s12, v0
	v_cmp_gt_i32_e64 s8, s13, v145
	v_lshlrev_b64 v[130:131], 3, v[130:131]
	v_lshlrev_b64 v[132:133], 3, v[132:133]
	s_and_b32 s2, s0, s8
	v_add_co_u32 v148, vcc_lo, s18, v130
	v_add_co_ci_u32_e64 v170, null, s19, v131, vcc_lo
	v_add_co_u32 v146, vcc_lo, s17, v132
	v_add_co_ci_u32_e64 v147, null, s9, v133, vcc_lo
	s_and_saveexec_b32 s1, s2
	s_cbranch_execz .LBB128_64
; %bb.60:
	s_andn2_b32 vcc_lo, exec_lo, s26
	s_cbranch_vccnz .LBB128_62
; %bb.61:
	v_lshlrev_b64 v[130:131], 3, v[0:1]
	v_add_co_u32 v130, vcc_lo, v148, v130
	v_add_co_ci_u32_e64 v131, null, v170, v131, vcc_lo
	flat_load_dwordx2 v[130:131], v[130:131]
	s_waitcnt vmcnt(0) lgkmcnt(0)
	v_mul_f64 v[130:131], s[10:11], v[130:131]
	v_cvt_f32_f64_e32 v130, v[130:131]
	s_branch .LBB128_63
.LBB128_62:
	v_mov_b32_e32 v130, 0
.LBB128_63:
	v_add_f64 v[131:132], v[70:71], v[126:127]
	v_add_f64 v[133:134], v[72:73], v[128:129]
	;; [unrolled: 1-line block ×4, first 2 shown]
	v_cvt_f32_f64_e32 v131, v[131:132]
	v_cvt_f32_f64_e32 v132, v[133:134]
	;; [unrolled: 1-line block ×4, first 2 shown]
	v_min3_f32 v131, v131, v132, v218
	v_min_f32_e32 v132, v133, v134
	v_min3_f32 v130, v130, v132, v131
	v_lshlrev_b64 v[132:133], 3, v[0:1]
	v_cvt_f64_f32_e32 v[130:131], v130
	v_add_co_u32 v132, vcc_lo, v146, v132
	v_add_co_ci_u32_e64 v133, null, v147, v133, vcc_lo
	flat_store_dwordx2 v[132:133], v[130:131]
.LBB128_64:
	s_or_b32 exec_lo, exec_lo, s1
	v_add_nc_u32_e32 v130, 8, v0
	v_cmp_gt_i32_e64 s1, s12, v130
	v_ashrrev_i32_e32 v131, 31, v130
	s_and_b32 s3, s1, s8
	s_and_saveexec_b32 s2, s3
	s_cbranch_execz .LBB128_69
; %bb.65:
	v_cmp_ne_u32_e32 vcc_lo, 1, v144
	s_cbranch_vccnz .LBB128_67
; %bb.66:
	v_lshlrev_b64 v[132:133], 3, v[130:131]
	v_add_co_u32 v132, vcc_lo, v148, v132
	v_add_co_ci_u32_e64 v133, null, v170, v133, vcc_lo
	flat_load_dwordx2 v[132:133], v[132:133]
	s_waitcnt vmcnt(0) lgkmcnt(0)
	v_mul_f64 v[132:133], s[10:11], v[132:133]
	v_cvt_f32_f64_e32 v132, v[132:133]
	s_branch .LBB128_68
.LBB128_67:
	v_mov_b32_e32 v132, 0
.LBB128_68:
	v_add_f64 v[133:134], v[62:63], v[126:127]
	v_add_f64 v[135:136], v[64:65], v[128:129]
	v_add_f64 v[137:138], v[58:59], v[122:123]
	v_add_f64 v[139:140], v[60:61], v[124:125]
	v_cvt_f32_f64_e32 v133, v[133:134]
	v_cvt_f32_f64_e32 v134, v[135:136]
	v_cvt_f32_f64_e32 v135, v[137:138]
	v_cvt_f32_f64_e32 v136, v[139:140]
	v_min3_f32 v133, v133, v134, v217
	v_min_f32_e32 v134, v135, v136
	v_min3_f32 v132, v132, v134, v133
	v_lshlrev_b64 v[134:135], 3, v[130:131]
	v_cvt_f64_f32_e32 v[132:133], v132
	v_add_co_u32 v134, vcc_lo, v146, v134
	v_add_co_ci_u32_e64 v135, null, v147, v135, vcc_lo
	flat_store_dwordx2 v[134:135], v[132:133]
.LBB128_69:
	s_or_b32 exec_lo, exec_lo, s2
	v_add_nc_u32_e32 v132, 16, v0
	v_cmp_gt_i32_e64 s2, s12, v132
	v_ashrrev_i32_e32 v133, 31, v132
	s_and_b32 s4, s2, s8
	s_and_saveexec_b32 s3, s4
	s_cbranch_execz .LBB128_74
; %bb.70:
	v_cmp_ne_u32_e32 vcc_lo, 1, v144
	s_cbranch_vccnz .LBB128_72
; %bb.71:
	v_lshlrev_b64 v[134:135], 3, v[132:133]
	v_add_co_u32 v134, vcc_lo, v148, v134
	v_add_co_ci_u32_e64 v135, null, v170, v135, vcc_lo
	flat_load_dwordx2 v[134:135], v[134:135]
	s_waitcnt vmcnt(0) lgkmcnt(0)
	v_mul_f64 v[134:135], s[10:11], v[134:135]
	v_cvt_f32_f64_e32 v134, v[134:135]
	s_branch .LBB128_73
.LBB128_72:
	v_mov_b32_e32 v134, 0
.LBB128_73:
	v_add_f64 v[135:136], v[54:55], v[126:127]
	v_add_f64 v[137:138], v[56:57], v[128:129]
	v_add_f64 v[139:140], v[50:51], v[122:123]
	v_add_f64 v[141:142], v[52:53], v[124:125]
	v_cvt_f32_f64_e32 v135, v[135:136]
	v_cvt_f32_f64_e32 v136, v[137:138]
	v_cvt_f32_f64_e32 v137, v[139:140]
	v_cvt_f32_f64_e32 v138, v[141:142]
	v_min3_f32 v135, v135, v136, v216
	v_min_f32_e32 v136, v137, v138
	v_min3_f32 v134, v134, v136, v135
	v_lshlrev_b64 v[136:137], 3, v[132:133]
	v_cvt_f64_f32_e32 v[134:135], v134
	v_add_co_u32 v136, vcc_lo, v146, v136
	v_add_co_ci_u32_e64 v137, null, v147, v137, vcc_lo
	flat_store_dwordx2 v[136:137], v[134:135]
.LBB128_74:
	;; [unrolled: 39-line block ×7, first 2 shown]
	s_or_b32 exec_lo, exec_lo, s8
	v_add_nc_u32_e32 v126, 32, v145
	v_mad_i64_i32 v[122:123], null, v126, s16, 0
	v_mad_i64_i32 v[124:125], null, v126, s14, 0
	v_cmp_gt_i32_e64 s8, s13, v126
	v_lshlrev_b64 v[122:123], 3, v[122:123]
	s_and_b32 s15, s0, s8
	v_lshlrev_b64 v[126:127], 3, v[124:125]
	v_add_co_u32 v124, vcc_lo, s18, v122
	v_add_co_ci_u32_e64 v125, null, s19, v123, vcc_lo
	v_add_co_u32 v122, vcc_lo, s17, v126
	v_add_co_ci_u32_e64 v123, null, s9, v127, vcc_lo
	s_and_saveexec_b32 s12, s15
	s_cbranch_execnz .LBB128_107
; %bb.100:
	s_or_b32 exec_lo, exec_lo, s12
	s_and_b32 s15, s1, s8
	s_and_saveexec_b32 s12, s15
	s_cbranch_execnz .LBB128_111
.LBB128_101:
	s_or_b32 exec_lo, exec_lo, s12
	s_and_b32 s15, s2, s8
	s_and_saveexec_b32 s12, s15
	s_cbranch_execnz .LBB128_115
.LBB128_102:
	s_or_b32 exec_lo, exec_lo, s12
	s_and_b32 s15, s3, s8
	s_and_saveexec_b32 s12, s15
	s_cbranch_execnz .LBB128_119
.LBB128_103:
	s_or_b32 exec_lo, exec_lo, s12
	s_and_b32 s15, s4, s8
	s_and_saveexec_b32 s12, s15
	s_cbranch_execnz .LBB128_123
.LBB128_104:
	s_or_b32 exec_lo, exec_lo, s12
	s_and_b32 s15, s5, s8
	s_and_saveexec_b32 s12, s15
	s_cbranch_execnz .LBB128_127
.LBB128_105:
	s_or_b32 exec_lo, exec_lo, s12
	s_and_b32 s15, s6, s8
	s_and_saveexec_b32 s12, s15
	s_cbranch_execnz .LBB128_131
.LBB128_106:
	s_or_b32 exec_lo, exec_lo, s12
	s_and_b32 s12, s7, s8
	s_and_saveexec_b32 s8, s12
	s_cbranch_execnz .LBB128_135
	s_branch .LBB128_139
.LBB128_107:
	v_cmp_ne_u32_e32 vcc_lo, 1, v144
	s_cbranch_vccnz .LBB128_109
; %bb.108:
	v_lshlrev_b64 v[126:127], 3, v[0:1]
	v_add_co_u32 v126, vcc_lo, v124, v126
	v_add_co_ci_u32_e64 v127, null, v125, v127, vcc_lo
	flat_load_dwordx2 v[126:127], v[126:127]
	s_waitcnt vmcnt(0) lgkmcnt(0)
	v_mul_f64 v[126:127], s[10:11], v[126:127]
	v_cvt_f32_f64_e32 v126, v[126:127]
	s_branch .LBB128_110
.LBB128_109:
	v_mov_b32_e32 v126, 0
.LBB128_110:
	v_add_f64 v[127:128], v[70:71], v[118:119]
	v_add_f64 v[146:147], v[72:73], v[120:121]
	v_add_f64 v[170:171], v[66:67], v[114:115]
	v_add_f64 v[172:173], v[68:69], v[116:117]
	v_cvt_f32_f64_e32 v127, v[127:128]
	v_cvt_f32_f64_e32 v128, v[146:147]
	;; [unrolled: 1-line block ×4, first 2 shown]
	v_min3_f32 v127, v127, v128, v210
	v_min_f32_e32 v128, v129, v146
	v_min3_f32 v126, v126, v128, v127
	v_lshlrev_b64 v[128:129], 3, v[0:1]
	v_cvt_f64_f32_e32 v[126:127], v126
	v_add_co_u32 v128, vcc_lo, v122, v128
	v_add_co_ci_u32_e64 v129, null, v123, v129, vcc_lo
	flat_store_dwordx2 v[128:129], v[126:127]
	s_or_b32 exec_lo, exec_lo, s12
	s_and_b32 s15, s1, s8
	s_and_saveexec_b32 s12, s15
	s_cbranch_execz .LBB128_101
.LBB128_111:
	v_cmp_ne_u32_e32 vcc_lo, 1, v144
	s_cbranch_vccnz .LBB128_113
; %bb.112:
	v_lshlrev_b64 v[126:127], 3, v[130:131]
	v_add_co_u32 v126, vcc_lo, v124, v126
	v_add_co_ci_u32_e64 v127, null, v125, v127, vcc_lo
	flat_load_dwordx2 v[126:127], v[126:127]
	s_waitcnt vmcnt(0) lgkmcnt(0)
	v_mul_f64 v[126:127], s[10:11], v[126:127]
	v_cvt_f32_f64_e32 v126, v[126:127]
	s_branch .LBB128_114
.LBB128_113:
	v_mov_b32_e32 v126, 0
.LBB128_114:
	v_add_f64 v[127:128], v[62:63], v[118:119]
	v_add_f64 v[146:147], v[64:65], v[120:121]
	;; [unrolled: 1-line block ×4, first 2 shown]
	v_cvt_f32_f64_e32 v127, v[127:128]
	v_cvt_f32_f64_e32 v128, v[146:147]
	v_cvt_f32_f64_e32 v129, v[170:171]
	v_cvt_f32_f64_e32 v146, v[172:173]
	v_min3_f32 v127, v127, v128, v209
	v_min_f32_e32 v128, v129, v146
	v_min3_f32 v126, v126, v128, v127
	v_lshlrev_b64 v[128:129], 3, v[130:131]
	v_cvt_f64_f32_e32 v[126:127], v126
	v_add_co_u32 v128, vcc_lo, v122, v128
	v_add_co_ci_u32_e64 v129, null, v123, v129, vcc_lo
	flat_store_dwordx2 v[128:129], v[126:127]
	s_or_b32 exec_lo, exec_lo, s12
	s_and_b32 s15, s2, s8
	s_and_saveexec_b32 s12, s15
	s_cbranch_execz .LBB128_102
.LBB128_115:
	v_cmp_ne_u32_e32 vcc_lo, 1, v144
	s_cbranch_vccnz .LBB128_117
; %bb.116:
	v_lshlrev_b64 v[126:127], 3, v[132:133]
	v_add_co_u32 v126, vcc_lo, v124, v126
	v_add_co_ci_u32_e64 v127, null, v125, v127, vcc_lo
	flat_load_dwordx2 v[126:127], v[126:127]
	s_waitcnt vmcnt(0) lgkmcnt(0)
	v_mul_f64 v[126:127], s[10:11], v[126:127]
	v_cvt_f32_f64_e32 v126, v[126:127]
	s_branch .LBB128_118
.LBB128_117:
	v_mov_b32_e32 v126, 0
.LBB128_118:
	v_add_f64 v[127:128], v[54:55], v[118:119]
	v_add_f64 v[146:147], v[56:57], v[120:121]
	;; [unrolled: 1-line block ×4, first 2 shown]
	v_cvt_f32_f64_e32 v127, v[127:128]
	v_cvt_f32_f64_e32 v128, v[146:147]
	;; [unrolled: 1-line block ×4, first 2 shown]
	v_min3_f32 v127, v127, v128, v208
	v_min_f32_e32 v128, v129, v146
	v_min3_f32 v126, v126, v128, v127
	v_lshlrev_b64 v[128:129], 3, v[132:133]
	v_cvt_f64_f32_e32 v[126:127], v126
	v_add_co_u32 v128, vcc_lo, v122, v128
	v_add_co_ci_u32_e64 v129, null, v123, v129, vcc_lo
	flat_store_dwordx2 v[128:129], v[126:127]
	s_or_b32 exec_lo, exec_lo, s12
	s_and_b32 s15, s3, s8
	s_and_saveexec_b32 s12, s15
	s_cbranch_execz .LBB128_103
.LBB128_119:
	v_cmp_ne_u32_e32 vcc_lo, 1, v144
	s_cbranch_vccnz .LBB128_121
; %bb.120:
	v_lshlrev_b64 v[126:127], 3, v[134:135]
	v_add_co_u32 v126, vcc_lo, v124, v126
	v_add_co_ci_u32_e64 v127, null, v125, v127, vcc_lo
	flat_load_dwordx2 v[126:127], v[126:127]
	s_waitcnt vmcnt(0) lgkmcnt(0)
	v_mul_f64 v[126:127], s[10:11], v[126:127]
	v_cvt_f32_f64_e32 v126, v[126:127]
	s_branch .LBB128_122
.LBB128_121:
	v_mov_b32_e32 v126, 0
.LBB128_122:
	v_add_f64 v[127:128], v[46:47], v[118:119]
	v_add_f64 v[146:147], v[48:49], v[120:121]
	;; [unrolled: 1-line block ×4, first 2 shown]
	v_cvt_f32_f64_e32 v127, v[127:128]
	v_cvt_f32_f64_e32 v128, v[146:147]
	;; [unrolled: 1-line block ×4, first 2 shown]
	v_min3_f32 v127, v127, v128, v207
	v_min_f32_e32 v128, v129, v146
	v_min3_f32 v126, v126, v128, v127
	v_lshlrev_b64 v[128:129], 3, v[134:135]
	v_cvt_f64_f32_e32 v[126:127], v126
	v_add_co_u32 v128, vcc_lo, v122, v128
	v_add_co_ci_u32_e64 v129, null, v123, v129, vcc_lo
	flat_store_dwordx2 v[128:129], v[126:127]
	s_or_b32 exec_lo, exec_lo, s12
	s_and_b32 s15, s4, s8
	s_and_saveexec_b32 s12, s15
	s_cbranch_execz .LBB128_104
.LBB128_123:
	v_cmp_ne_u32_e32 vcc_lo, 1, v144
	s_cbranch_vccnz .LBB128_125
; %bb.124:
	v_lshlrev_b64 v[126:127], 3, v[136:137]
	v_add_co_u32 v126, vcc_lo, v124, v126
	v_add_co_ci_u32_e64 v127, null, v125, v127, vcc_lo
	flat_load_dwordx2 v[126:127], v[126:127]
	s_waitcnt vmcnt(0) lgkmcnt(0)
	v_mul_f64 v[126:127], s[10:11], v[126:127]
	v_cvt_f32_f64_e32 v126, v[126:127]
	s_branch .LBB128_126
.LBB128_125:
	v_mov_b32_e32 v126, 0
.LBB128_126:
	v_add_f64 v[127:128], v[38:39], v[118:119]
	v_add_f64 v[146:147], v[40:41], v[120:121]
	;; [unrolled: 1-line block ×4, first 2 shown]
	v_cvt_f32_f64_e32 v127, v[127:128]
	v_cvt_f32_f64_e32 v128, v[146:147]
	;; [unrolled: 1-line block ×4, first 2 shown]
	v_min3_f32 v127, v127, v128, v206
	v_min_f32_e32 v128, v129, v146
	v_min3_f32 v126, v126, v128, v127
	v_lshlrev_b64 v[128:129], 3, v[136:137]
	v_cvt_f64_f32_e32 v[126:127], v126
	v_add_co_u32 v128, vcc_lo, v122, v128
	v_add_co_ci_u32_e64 v129, null, v123, v129, vcc_lo
	flat_store_dwordx2 v[128:129], v[126:127]
	s_or_b32 exec_lo, exec_lo, s12
	s_and_b32 s15, s5, s8
	s_and_saveexec_b32 s12, s15
	s_cbranch_execz .LBB128_105
.LBB128_127:
	v_cmp_ne_u32_e32 vcc_lo, 1, v144
	s_cbranch_vccnz .LBB128_129
; %bb.128:
	v_lshlrev_b64 v[126:127], 3, v[138:139]
	v_add_co_u32 v126, vcc_lo, v124, v126
	v_add_co_ci_u32_e64 v127, null, v125, v127, vcc_lo
	flat_load_dwordx2 v[126:127], v[126:127]
	s_waitcnt vmcnt(0) lgkmcnt(0)
	v_mul_f64 v[126:127], s[10:11], v[126:127]
	v_cvt_f32_f64_e32 v126, v[126:127]
	s_branch .LBB128_130
.LBB128_129:
	v_mov_b32_e32 v126, 0
.LBB128_130:
	v_add_f64 v[127:128], v[30:31], v[118:119]
	v_add_f64 v[146:147], v[32:33], v[120:121]
	;; [unrolled: 1-line block ×4, first 2 shown]
	v_cvt_f32_f64_e32 v127, v[127:128]
	v_cvt_f32_f64_e32 v128, v[146:147]
	;; [unrolled: 1-line block ×4, first 2 shown]
	v_min3_f32 v127, v127, v128, v205
	v_min_f32_e32 v128, v129, v146
	v_min3_f32 v126, v126, v128, v127
	v_lshlrev_b64 v[128:129], 3, v[138:139]
	v_cvt_f64_f32_e32 v[126:127], v126
	v_add_co_u32 v128, vcc_lo, v122, v128
	v_add_co_ci_u32_e64 v129, null, v123, v129, vcc_lo
	flat_store_dwordx2 v[128:129], v[126:127]
	s_or_b32 exec_lo, exec_lo, s12
	s_and_b32 s15, s6, s8
	s_and_saveexec_b32 s12, s15
	s_cbranch_execz .LBB128_106
.LBB128_131:
	v_cmp_ne_u32_e32 vcc_lo, 1, v144
	s_cbranch_vccnz .LBB128_133
; %bb.132:
	v_lshlrev_b64 v[126:127], 3, v[140:141]
	v_add_co_u32 v126, vcc_lo, v124, v126
	v_add_co_ci_u32_e64 v127, null, v125, v127, vcc_lo
	flat_load_dwordx2 v[126:127], v[126:127]
	s_waitcnt vmcnt(0) lgkmcnt(0)
	v_mul_f64 v[126:127], s[10:11], v[126:127]
	v_cvt_f32_f64_e32 v126, v[126:127]
	s_branch .LBB128_134
.LBB128_133:
	v_mov_b32_e32 v126, 0
.LBB128_134:
	v_add_f64 v[127:128], v[22:23], v[118:119]
	v_add_f64 v[146:147], v[24:25], v[120:121]
	;; [unrolled: 1-line block ×4, first 2 shown]
	v_cvt_f32_f64_e32 v127, v[127:128]
	v_cvt_f32_f64_e32 v128, v[146:147]
	;; [unrolled: 1-line block ×4, first 2 shown]
	v_min3_f32 v127, v127, v128, v204
	v_min_f32_e32 v128, v129, v146
	v_min3_f32 v126, v126, v128, v127
	v_lshlrev_b64 v[128:129], 3, v[140:141]
	v_cvt_f64_f32_e32 v[126:127], v126
	v_add_co_u32 v128, vcc_lo, v122, v128
	v_add_co_ci_u32_e64 v129, null, v123, v129, vcc_lo
	flat_store_dwordx2 v[128:129], v[126:127]
	s_or_b32 exec_lo, exec_lo, s12
	s_and_b32 s12, s7, s8
	s_and_saveexec_b32 s8, s12
	s_cbranch_execz .LBB128_139
.LBB128_135:
	v_cmp_ne_u32_e32 vcc_lo, 1, v144
	s_cbranch_vccnz .LBB128_137
; %bb.136:
	v_lshlrev_b64 v[126:127], 3, v[142:143]
	v_add_co_u32 v124, vcc_lo, v124, v126
	v_add_co_ci_u32_e64 v125, null, v125, v127, vcc_lo
	flat_load_dwordx2 v[124:125], v[124:125]
	s_waitcnt vmcnt(0) lgkmcnt(0)
	v_mul_f64 v[124:125], s[10:11], v[124:125]
	v_cvt_f32_f64_e32 v124, v[124:125]
	s_branch .LBB128_138
.LBB128_137:
	v_mov_b32_e32 v124, 0
.LBB128_138:
	v_add_f64 v[118:119], v[6:7], v[118:119]
	v_add_f64 v[120:121], v[8:9], v[120:121]
	;; [unrolled: 1-line block ×4, first 2 shown]
	v_cvt_f32_f64_e32 v118, v[118:119]
	v_cvt_f32_f64_e32 v119, v[120:121]
	;; [unrolled: 1-line block ×4, first 2 shown]
	v_min3_f32 v116, v118, v119, v203
	v_min_f32_e32 v114, v114, v115
	v_min3_f32 v114, v124, v114, v116
	v_lshlrev_b64 v[116:117], 3, v[142:143]
	v_cvt_f64_f32_e32 v[114:115], v114
	v_add_co_u32 v116, vcc_lo, v122, v116
	v_add_co_ci_u32_e64 v117, null, v123, v117, vcc_lo
	flat_store_dwordx2 v[116:117], v[114:115]
.LBB128_139:
	s_or_b32 exec_lo, exec_lo, s8
	v_add_nc_u32_e32 v118, 64, v145
	v_mad_i64_i32 v[114:115], null, v118, s16, 0
	v_mad_i64_i32 v[116:117], null, v118, s14, 0
	v_cmp_gt_i32_e64 s8, s13, v118
	v_lshlrev_b64 v[114:115], 3, v[114:115]
	s_and_b32 s15, s0, s8
	v_lshlrev_b64 v[118:119], 3, v[116:117]
	v_add_co_u32 v116, vcc_lo, s18, v114
	v_add_co_ci_u32_e64 v117, null, s19, v115, vcc_lo
	v_add_co_u32 v114, vcc_lo, s17, v118
	v_add_co_ci_u32_e64 v115, null, s9, v119, vcc_lo
	s_and_saveexec_b32 s12, s15
	s_cbranch_execnz .LBB128_147
; %bb.140:
	s_or_b32 exec_lo, exec_lo, s12
	s_and_b32 s15, s1, s8
	s_and_saveexec_b32 s12, s15
	s_cbranch_execnz .LBB128_151
.LBB128_141:
	s_or_b32 exec_lo, exec_lo, s12
	s_and_b32 s15, s2, s8
	s_and_saveexec_b32 s12, s15
	s_cbranch_execnz .LBB128_155
.LBB128_142:
	s_or_b32 exec_lo, exec_lo, s12
	s_and_b32 s15, s3, s8
	s_and_saveexec_b32 s12, s15
	s_cbranch_execnz .LBB128_159
.LBB128_143:
	s_or_b32 exec_lo, exec_lo, s12
	s_and_b32 s15, s4, s8
	s_and_saveexec_b32 s12, s15
	s_cbranch_execnz .LBB128_163
.LBB128_144:
	s_or_b32 exec_lo, exec_lo, s12
	s_and_b32 s15, s5, s8
	s_and_saveexec_b32 s12, s15
	s_cbranch_execnz .LBB128_167
.LBB128_145:
	s_or_b32 exec_lo, exec_lo, s12
	s_and_b32 s15, s6, s8
	s_and_saveexec_b32 s12, s15
	s_cbranch_execnz .LBB128_171
.LBB128_146:
	s_or_b32 exec_lo, exec_lo, s12
	s_and_b32 s12, s7, s8
	s_and_saveexec_b32 s8, s12
	s_cbranch_execnz .LBB128_175
	s_branch .LBB128_179
.LBB128_147:
	v_cmp_ne_u32_e32 vcc_lo, 1, v144
	s_cbranch_vccnz .LBB128_149
; %bb.148:
	v_lshlrev_b64 v[118:119], 3, v[0:1]
	v_add_co_u32 v118, vcc_lo, v116, v118
	v_add_co_ci_u32_e64 v119, null, v117, v119, vcc_lo
	flat_load_dwordx2 v[118:119], v[118:119]
	s_waitcnt vmcnt(0) lgkmcnt(0)
	v_mul_f64 v[118:119], s[10:11], v[118:119]
	v_cvt_f32_f64_e32 v118, v[118:119]
	s_branch .LBB128_150
.LBB128_149:
	v_mov_b32_e32 v118, 0
.LBB128_150:
	v_add_f64 v[119:120], v[70:71], v[110:111]
	v_add_f64 v[121:122], v[72:73], v[112:113]
	;; [unrolled: 1-line block ×4, first 2 shown]
	v_cvt_f32_f64_e32 v119, v[119:120]
	v_cvt_f32_f64_e32 v120, v[121:122]
	;; [unrolled: 1-line block ×4, first 2 shown]
	v_min3_f32 v119, v119, v120, v202
	v_min_f32_e32 v120, v121, v122
	v_min3_f32 v118, v118, v120, v119
	v_lshlrev_b64 v[120:121], 3, v[0:1]
	v_cvt_f64_f32_e32 v[118:119], v118
	v_add_co_u32 v120, vcc_lo, v114, v120
	v_add_co_ci_u32_e64 v121, null, v115, v121, vcc_lo
	flat_store_dwordx2 v[120:121], v[118:119]
	s_or_b32 exec_lo, exec_lo, s12
	s_and_b32 s15, s1, s8
	s_and_saveexec_b32 s12, s15
	s_cbranch_execz .LBB128_141
.LBB128_151:
	v_cmp_ne_u32_e32 vcc_lo, 1, v144
	s_cbranch_vccnz .LBB128_153
; %bb.152:
	v_lshlrev_b64 v[118:119], 3, v[130:131]
	v_add_co_u32 v118, vcc_lo, v116, v118
	v_add_co_ci_u32_e64 v119, null, v117, v119, vcc_lo
	flat_load_dwordx2 v[118:119], v[118:119]
	s_waitcnt vmcnt(0) lgkmcnt(0)
	v_mul_f64 v[118:119], s[10:11], v[118:119]
	v_cvt_f32_f64_e32 v118, v[118:119]
	s_branch .LBB128_154
.LBB128_153:
	v_mov_b32_e32 v118, 0
.LBB128_154:
	v_add_f64 v[119:120], v[62:63], v[110:111]
	v_add_f64 v[121:122], v[64:65], v[112:113]
	;; [unrolled: 1-line block ×4, first 2 shown]
	v_cvt_f32_f64_e32 v119, v[119:120]
	v_cvt_f32_f64_e32 v120, v[121:122]
	;; [unrolled: 1-line block ×4, first 2 shown]
	v_min3_f32 v119, v119, v120, v201
	v_min_f32_e32 v120, v121, v122
	v_min3_f32 v118, v118, v120, v119
	v_lshlrev_b64 v[120:121], 3, v[130:131]
	v_cvt_f64_f32_e32 v[118:119], v118
	v_add_co_u32 v120, vcc_lo, v114, v120
	v_add_co_ci_u32_e64 v121, null, v115, v121, vcc_lo
	flat_store_dwordx2 v[120:121], v[118:119]
	s_or_b32 exec_lo, exec_lo, s12
	s_and_b32 s15, s2, s8
	s_and_saveexec_b32 s12, s15
	s_cbranch_execz .LBB128_142
.LBB128_155:
	v_cmp_ne_u32_e32 vcc_lo, 1, v144
	s_cbranch_vccnz .LBB128_157
; %bb.156:
	v_lshlrev_b64 v[118:119], 3, v[132:133]
	v_add_co_u32 v118, vcc_lo, v116, v118
	v_add_co_ci_u32_e64 v119, null, v117, v119, vcc_lo
	flat_load_dwordx2 v[118:119], v[118:119]
	s_waitcnt vmcnt(0) lgkmcnt(0)
	v_mul_f64 v[118:119], s[10:11], v[118:119]
	v_cvt_f32_f64_e32 v118, v[118:119]
	s_branch .LBB128_158
.LBB128_157:
	v_mov_b32_e32 v118, 0
.LBB128_158:
	v_add_f64 v[119:120], v[54:55], v[110:111]
	v_add_f64 v[121:122], v[56:57], v[112:113]
	;; [unrolled: 1-line block ×4, first 2 shown]
	v_cvt_f32_f64_e32 v119, v[119:120]
	v_cvt_f32_f64_e32 v120, v[121:122]
	v_cvt_f32_f64_e32 v121, v[123:124]
	v_cvt_f32_f64_e32 v122, v[125:126]
	v_min3_f32 v119, v119, v120, v200
	v_min_f32_e32 v120, v121, v122
	v_min3_f32 v118, v118, v120, v119
	v_lshlrev_b64 v[120:121], 3, v[132:133]
	v_cvt_f64_f32_e32 v[118:119], v118
	v_add_co_u32 v120, vcc_lo, v114, v120
	v_add_co_ci_u32_e64 v121, null, v115, v121, vcc_lo
	flat_store_dwordx2 v[120:121], v[118:119]
	s_or_b32 exec_lo, exec_lo, s12
	s_and_b32 s15, s3, s8
	s_and_saveexec_b32 s12, s15
	s_cbranch_execz .LBB128_143
.LBB128_159:
	v_cmp_ne_u32_e32 vcc_lo, 1, v144
	s_cbranch_vccnz .LBB128_161
; %bb.160:
	v_lshlrev_b64 v[118:119], 3, v[134:135]
	v_add_co_u32 v118, vcc_lo, v116, v118
	v_add_co_ci_u32_e64 v119, null, v117, v119, vcc_lo
	flat_load_dwordx2 v[118:119], v[118:119]
	s_waitcnt vmcnt(0) lgkmcnt(0)
	v_mul_f64 v[118:119], s[10:11], v[118:119]
	v_cvt_f32_f64_e32 v118, v[118:119]
	s_branch .LBB128_162
.LBB128_161:
	v_mov_b32_e32 v118, 0
.LBB128_162:
	v_add_f64 v[119:120], v[46:47], v[110:111]
	v_add_f64 v[121:122], v[48:49], v[112:113]
	;; [unrolled: 1-line block ×4, first 2 shown]
	v_cvt_f32_f64_e32 v119, v[119:120]
	v_cvt_f32_f64_e32 v120, v[121:122]
	;; [unrolled: 1-line block ×4, first 2 shown]
	v_min3_f32 v119, v119, v120, v199
	v_min_f32_e32 v120, v121, v122
	v_min3_f32 v118, v118, v120, v119
	v_lshlrev_b64 v[120:121], 3, v[134:135]
	v_cvt_f64_f32_e32 v[118:119], v118
	v_add_co_u32 v120, vcc_lo, v114, v120
	v_add_co_ci_u32_e64 v121, null, v115, v121, vcc_lo
	flat_store_dwordx2 v[120:121], v[118:119]
	s_or_b32 exec_lo, exec_lo, s12
	s_and_b32 s15, s4, s8
	s_and_saveexec_b32 s12, s15
	s_cbranch_execz .LBB128_144
.LBB128_163:
	v_cmp_ne_u32_e32 vcc_lo, 1, v144
	s_cbranch_vccnz .LBB128_165
; %bb.164:
	v_lshlrev_b64 v[118:119], 3, v[136:137]
	v_add_co_u32 v118, vcc_lo, v116, v118
	v_add_co_ci_u32_e64 v119, null, v117, v119, vcc_lo
	flat_load_dwordx2 v[118:119], v[118:119]
	s_waitcnt vmcnt(0) lgkmcnt(0)
	v_mul_f64 v[118:119], s[10:11], v[118:119]
	v_cvt_f32_f64_e32 v118, v[118:119]
	s_branch .LBB128_166
.LBB128_165:
	v_mov_b32_e32 v118, 0
.LBB128_166:
	v_add_f64 v[119:120], v[38:39], v[110:111]
	v_add_f64 v[121:122], v[40:41], v[112:113]
	;; [unrolled: 1-line block ×4, first 2 shown]
	v_cvt_f32_f64_e32 v119, v[119:120]
	v_cvt_f32_f64_e32 v120, v[121:122]
	;; [unrolled: 1-line block ×4, first 2 shown]
	v_min3_f32 v119, v119, v120, v198
	v_min_f32_e32 v120, v121, v122
	v_min3_f32 v118, v118, v120, v119
	v_lshlrev_b64 v[120:121], 3, v[136:137]
	v_cvt_f64_f32_e32 v[118:119], v118
	v_add_co_u32 v120, vcc_lo, v114, v120
	v_add_co_ci_u32_e64 v121, null, v115, v121, vcc_lo
	flat_store_dwordx2 v[120:121], v[118:119]
	s_or_b32 exec_lo, exec_lo, s12
	s_and_b32 s15, s5, s8
	s_and_saveexec_b32 s12, s15
	s_cbranch_execz .LBB128_145
.LBB128_167:
	v_cmp_ne_u32_e32 vcc_lo, 1, v144
	s_cbranch_vccnz .LBB128_169
; %bb.168:
	v_lshlrev_b64 v[118:119], 3, v[138:139]
	v_add_co_u32 v118, vcc_lo, v116, v118
	v_add_co_ci_u32_e64 v119, null, v117, v119, vcc_lo
	flat_load_dwordx2 v[118:119], v[118:119]
	s_waitcnt vmcnt(0) lgkmcnt(0)
	v_mul_f64 v[118:119], s[10:11], v[118:119]
	v_cvt_f32_f64_e32 v118, v[118:119]
	s_branch .LBB128_170
.LBB128_169:
	v_mov_b32_e32 v118, 0
.LBB128_170:
	v_add_f64 v[119:120], v[30:31], v[110:111]
	v_add_f64 v[121:122], v[32:33], v[112:113]
	;; [unrolled: 1-line block ×4, first 2 shown]
	v_cvt_f32_f64_e32 v119, v[119:120]
	v_cvt_f32_f64_e32 v120, v[121:122]
	;; [unrolled: 1-line block ×4, first 2 shown]
	v_min3_f32 v119, v119, v120, v197
	v_min_f32_e32 v120, v121, v122
	v_min3_f32 v118, v118, v120, v119
	v_lshlrev_b64 v[120:121], 3, v[138:139]
	v_cvt_f64_f32_e32 v[118:119], v118
	v_add_co_u32 v120, vcc_lo, v114, v120
	v_add_co_ci_u32_e64 v121, null, v115, v121, vcc_lo
	flat_store_dwordx2 v[120:121], v[118:119]
	s_or_b32 exec_lo, exec_lo, s12
	s_and_b32 s15, s6, s8
	s_and_saveexec_b32 s12, s15
	s_cbranch_execz .LBB128_146
.LBB128_171:
	v_cmp_ne_u32_e32 vcc_lo, 1, v144
	s_cbranch_vccnz .LBB128_173
; %bb.172:
	v_lshlrev_b64 v[118:119], 3, v[140:141]
	v_add_co_u32 v118, vcc_lo, v116, v118
	v_add_co_ci_u32_e64 v119, null, v117, v119, vcc_lo
	flat_load_dwordx2 v[118:119], v[118:119]
	s_waitcnt vmcnt(0) lgkmcnt(0)
	v_mul_f64 v[118:119], s[10:11], v[118:119]
	v_cvt_f32_f64_e32 v118, v[118:119]
	s_branch .LBB128_174
.LBB128_173:
	v_mov_b32_e32 v118, 0
.LBB128_174:
	v_add_f64 v[119:120], v[22:23], v[110:111]
	v_add_f64 v[121:122], v[24:25], v[112:113]
	;; [unrolled: 1-line block ×4, first 2 shown]
	v_cvt_f32_f64_e32 v119, v[119:120]
	v_cvt_f32_f64_e32 v120, v[121:122]
	;; [unrolled: 1-line block ×4, first 2 shown]
	v_min3_f32 v119, v119, v120, v196
	v_min_f32_e32 v120, v121, v122
	v_min3_f32 v118, v118, v120, v119
	v_lshlrev_b64 v[120:121], 3, v[140:141]
	v_cvt_f64_f32_e32 v[118:119], v118
	v_add_co_u32 v120, vcc_lo, v114, v120
	v_add_co_ci_u32_e64 v121, null, v115, v121, vcc_lo
	flat_store_dwordx2 v[120:121], v[118:119]
	s_or_b32 exec_lo, exec_lo, s12
	s_and_b32 s12, s7, s8
	s_and_saveexec_b32 s8, s12
	s_cbranch_execz .LBB128_179
.LBB128_175:
	v_cmp_ne_u32_e32 vcc_lo, 1, v144
	s_cbranch_vccnz .LBB128_177
; %bb.176:
	v_lshlrev_b64 v[118:119], 3, v[142:143]
	v_add_co_u32 v116, vcc_lo, v116, v118
	v_add_co_ci_u32_e64 v117, null, v117, v119, vcc_lo
	flat_load_dwordx2 v[116:117], v[116:117]
	s_waitcnt vmcnt(0) lgkmcnt(0)
	v_mul_f64 v[116:117], s[10:11], v[116:117]
	v_cvt_f32_f64_e32 v116, v[116:117]
	s_branch .LBB128_178
.LBB128_177:
	v_mov_b32_e32 v116, 0
.LBB128_178:
	v_add_f64 v[110:111], v[6:7], v[110:111]
	v_add_f64 v[112:113], v[8:9], v[112:113]
	;; [unrolled: 1-line block ×4, first 2 shown]
	v_cvt_f32_f64_e32 v110, v[110:111]
	v_cvt_f32_f64_e32 v111, v[112:113]
	;; [unrolled: 1-line block ×4, first 2 shown]
	v_min3_f32 v108, v110, v111, v195
	v_min_f32_e32 v106, v106, v107
	v_min3_f32 v106, v116, v106, v108
	v_lshlrev_b64 v[108:109], 3, v[142:143]
	v_cvt_f64_f32_e32 v[106:107], v106
	v_add_co_u32 v108, vcc_lo, v114, v108
	v_add_co_ci_u32_e64 v109, null, v115, v109, vcc_lo
	flat_store_dwordx2 v[108:109], v[106:107]
.LBB128_179:
	s_or_b32 exec_lo, exec_lo, s8
	v_add_nc_u32_e32 v110, 0x60, v145
	v_mad_i64_i32 v[106:107], null, v110, s16, 0
	v_mad_i64_i32 v[108:109], null, v110, s14, 0
	v_cmp_gt_i32_e64 s8, s13, v110
	v_lshlrev_b64 v[106:107], 3, v[106:107]
	s_and_b32 s15, s0, s8
	v_lshlrev_b64 v[110:111], 3, v[108:109]
	v_add_co_u32 v108, vcc_lo, s18, v106
	v_add_co_ci_u32_e64 v109, null, s19, v107, vcc_lo
	v_add_co_u32 v106, vcc_lo, s17, v110
	v_add_co_ci_u32_e64 v107, null, s9, v111, vcc_lo
	s_and_saveexec_b32 s12, s15
	s_cbranch_execnz .LBB128_187
; %bb.180:
	s_or_b32 exec_lo, exec_lo, s12
	s_and_b32 s15, s1, s8
	s_and_saveexec_b32 s12, s15
	s_cbranch_execnz .LBB128_191
.LBB128_181:
	s_or_b32 exec_lo, exec_lo, s12
	s_and_b32 s15, s2, s8
	s_and_saveexec_b32 s12, s15
	s_cbranch_execnz .LBB128_195
.LBB128_182:
	s_or_b32 exec_lo, exec_lo, s12
	s_and_b32 s15, s3, s8
	s_and_saveexec_b32 s12, s15
	s_cbranch_execnz .LBB128_199
.LBB128_183:
	s_or_b32 exec_lo, exec_lo, s12
	s_and_b32 s15, s4, s8
	s_and_saveexec_b32 s12, s15
	s_cbranch_execnz .LBB128_203
.LBB128_184:
	s_or_b32 exec_lo, exec_lo, s12
	s_and_b32 s15, s5, s8
	s_and_saveexec_b32 s12, s15
	s_cbranch_execnz .LBB128_207
.LBB128_185:
	s_or_b32 exec_lo, exec_lo, s12
	s_and_b32 s15, s6, s8
	s_and_saveexec_b32 s12, s15
	s_cbranch_execnz .LBB128_211
.LBB128_186:
	s_or_b32 exec_lo, exec_lo, s12
	s_and_b32 s12, s7, s8
	s_and_saveexec_b32 s8, s12
	s_cbranch_execnz .LBB128_215
	s_branch .LBB128_219
.LBB128_187:
	v_cmp_ne_u32_e32 vcc_lo, 1, v144
	s_cbranch_vccnz .LBB128_189
; %bb.188:
	v_lshlrev_b64 v[110:111], 3, v[0:1]
	v_add_co_u32 v110, vcc_lo, v108, v110
	v_add_co_ci_u32_e64 v111, null, v109, v111, vcc_lo
	flat_load_dwordx2 v[110:111], v[110:111]
	s_waitcnt vmcnt(0) lgkmcnt(0)
	v_mul_f64 v[110:111], s[10:11], v[110:111]
	v_cvt_f32_f64_e32 v110, v[110:111]
	s_branch .LBB128_190
.LBB128_189:
	v_mov_b32_e32 v110, 0
.LBB128_190:
	v_add_f64 v[111:112], v[70:71], v[102:103]
	v_add_f64 v[113:114], v[72:73], v[104:105]
	;; [unrolled: 1-line block ×4, first 2 shown]
	v_cvt_f32_f64_e32 v111, v[111:112]
	v_cvt_f32_f64_e32 v112, v[113:114]
	;; [unrolled: 1-line block ×4, first 2 shown]
	v_min3_f32 v111, v111, v112, v194
	v_min_f32_e32 v112, v113, v114
	v_min3_f32 v110, v110, v112, v111
	v_lshlrev_b64 v[112:113], 3, v[0:1]
	v_cvt_f64_f32_e32 v[110:111], v110
	v_add_co_u32 v112, vcc_lo, v106, v112
	v_add_co_ci_u32_e64 v113, null, v107, v113, vcc_lo
	flat_store_dwordx2 v[112:113], v[110:111]
	s_or_b32 exec_lo, exec_lo, s12
	s_and_b32 s15, s1, s8
	s_and_saveexec_b32 s12, s15
	s_cbranch_execz .LBB128_181
.LBB128_191:
	v_cmp_ne_u32_e32 vcc_lo, 1, v144
	s_cbranch_vccnz .LBB128_193
; %bb.192:
	v_lshlrev_b64 v[110:111], 3, v[130:131]
	v_add_co_u32 v110, vcc_lo, v108, v110
	v_add_co_ci_u32_e64 v111, null, v109, v111, vcc_lo
	flat_load_dwordx2 v[110:111], v[110:111]
	s_waitcnt vmcnt(0) lgkmcnt(0)
	v_mul_f64 v[110:111], s[10:11], v[110:111]
	v_cvt_f32_f64_e32 v110, v[110:111]
	s_branch .LBB128_194
.LBB128_193:
	v_mov_b32_e32 v110, 0
.LBB128_194:
	v_add_f64 v[111:112], v[62:63], v[102:103]
	v_add_f64 v[113:114], v[64:65], v[104:105]
	;; [unrolled: 1-line block ×4, first 2 shown]
	v_cvt_f32_f64_e32 v111, v[111:112]
	v_cvt_f32_f64_e32 v112, v[113:114]
	;; [unrolled: 1-line block ×4, first 2 shown]
	v_min3_f32 v111, v111, v112, v193
	v_min_f32_e32 v112, v113, v114
	v_min3_f32 v110, v110, v112, v111
	v_lshlrev_b64 v[112:113], 3, v[130:131]
	v_cvt_f64_f32_e32 v[110:111], v110
	v_add_co_u32 v112, vcc_lo, v106, v112
	v_add_co_ci_u32_e64 v113, null, v107, v113, vcc_lo
	flat_store_dwordx2 v[112:113], v[110:111]
	s_or_b32 exec_lo, exec_lo, s12
	s_and_b32 s15, s2, s8
	s_and_saveexec_b32 s12, s15
	s_cbranch_execz .LBB128_182
.LBB128_195:
	v_cmp_ne_u32_e32 vcc_lo, 1, v144
	s_cbranch_vccnz .LBB128_197
; %bb.196:
	v_lshlrev_b64 v[110:111], 3, v[132:133]
	v_add_co_u32 v110, vcc_lo, v108, v110
	v_add_co_ci_u32_e64 v111, null, v109, v111, vcc_lo
	flat_load_dwordx2 v[110:111], v[110:111]
	s_waitcnt vmcnt(0) lgkmcnt(0)
	v_mul_f64 v[110:111], s[10:11], v[110:111]
	v_cvt_f32_f64_e32 v110, v[110:111]
	s_branch .LBB128_198
.LBB128_197:
	v_mov_b32_e32 v110, 0
.LBB128_198:
	v_add_f64 v[111:112], v[54:55], v[102:103]
	v_add_f64 v[113:114], v[56:57], v[104:105]
	;; [unrolled: 1-line block ×4, first 2 shown]
	v_cvt_f32_f64_e32 v111, v[111:112]
	v_cvt_f32_f64_e32 v112, v[113:114]
	;; [unrolled: 1-line block ×4, first 2 shown]
	v_min3_f32 v111, v111, v112, v192
	v_min_f32_e32 v112, v113, v114
	v_min3_f32 v110, v110, v112, v111
	v_lshlrev_b64 v[112:113], 3, v[132:133]
	v_cvt_f64_f32_e32 v[110:111], v110
	v_add_co_u32 v112, vcc_lo, v106, v112
	v_add_co_ci_u32_e64 v113, null, v107, v113, vcc_lo
	flat_store_dwordx2 v[112:113], v[110:111]
	s_or_b32 exec_lo, exec_lo, s12
	s_and_b32 s15, s3, s8
	s_and_saveexec_b32 s12, s15
	s_cbranch_execz .LBB128_183
.LBB128_199:
	v_cmp_ne_u32_e32 vcc_lo, 1, v144
	s_cbranch_vccnz .LBB128_201
; %bb.200:
	v_lshlrev_b64 v[110:111], 3, v[134:135]
	v_add_co_u32 v110, vcc_lo, v108, v110
	v_add_co_ci_u32_e64 v111, null, v109, v111, vcc_lo
	flat_load_dwordx2 v[110:111], v[110:111]
	s_waitcnt vmcnt(0) lgkmcnt(0)
	v_mul_f64 v[110:111], s[10:11], v[110:111]
	v_cvt_f32_f64_e32 v110, v[110:111]
	s_branch .LBB128_202
.LBB128_201:
	v_mov_b32_e32 v110, 0
.LBB128_202:
	v_add_f64 v[111:112], v[46:47], v[102:103]
	v_add_f64 v[113:114], v[48:49], v[104:105]
	;; [unrolled: 1-line block ×4, first 2 shown]
	v_cvt_f32_f64_e32 v111, v[111:112]
	v_cvt_f32_f64_e32 v112, v[113:114]
	;; [unrolled: 1-line block ×4, first 2 shown]
	v_min3_f32 v111, v111, v112, v191
	v_min_f32_e32 v112, v113, v114
	v_min3_f32 v110, v110, v112, v111
	v_lshlrev_b64 v[112:113], 3, v[134:135]
	v_cvt_f64_f32_e32 v[110:111], v110
	v_add_co_u32 v112, vcc_lo, v106, v112
	v_add_co_ci_u32_e64 v113, null, v107, v113, vcc_lo
	flat_store_dwordx2 v[112:113], v[110:111]
	s_or_b32 exec_lo, exec_lo, s12
	s_and_b32 s15, s4, s8
	s_and_saveexec_b32 s12, s15
	s_cbranch_execz .LBB128_184
.LBB128_203:
	v_cmp_ne_u32_e32 vcc_lo, 1, v144
	s_cbranch_vccnz .LBB128_205
; %bb.204:
	v_lshlrev_b64 v[110:111], 3, v[136:137]
	v_add_co_u32 v110, vcc_lo, v108, v110
	v_add_co_ci_u32_e64 v111, null, v109, v111, vcc_lo
	flat_load_dwordx2 v[110:111], v[110:111]
	s_waitcnt vmcnt(0) lgkmcnt(0)
	v_mul_f64 v[110:111], s[10:11], v[110:111]
	v_cvt_f32_f64_e32 v110, v[110:111]
	s_branch .LBB128_206
.LBB128_205:
	v_mov_b32_e32 v110, 0
.LBB128_206:
	v_add_f64 v[111:112], v[38:39], v[102:103]
	v_add_f64 v[113:114], v[40:41], v[104:105]
	;; [unrolled: 1-line block ×4, first 2 shown]
	v_cvt_f32_f64_e32 v111, v[111:112]
	v_cvt_f32_f64_e32 v112, v[113:114]
	v_cvt_f32_f64_e32 v113, v[115:116]
	v_cvt_f32_f64_e32 v114, v[117:118]
	v_min3_f32 v111, v111, v112, v190
	v_min_f32_e32 v112, v113, v114
	v_min3_f32 v110, v110, v112, v111
	v_lshlrev_b64 v[112:113], 3, v[136:137]
	v_cvt_f64_f32_e32 v[110:111], v110
	v_add_co_u32 v112, vcc_lo, v106, v112
	v_add_co_ci_u32_e64 v113, null, v107, v113, vcc_lo
	flat_store_dwordx2 v[112:113], v[110:111]
	s_or_b32 exec_lo, exec_lo, s12
	s_and_b32 s15, s5, s8
	s_and_saveexec_b32 s12, s15
	s_cbranch_execz .LBB128_185
.LBB128_207:
	v_cmp_ne_u32_e32 vcc_lo, 1, v144
	s_cbranch_vccnz .LBB128_209
; %bb.208:
	v_lshlrev_b64 v[110:111], 3, v[138:139]
	v_add_co_u32 v110, vcc_lo, v108, v110
	v_add_co_ci_u32_e64 v111, null, v109, v111, vcc_lo
	flat_load_dwordx2 v[110:111], v[110:111]
	s_waitcnt vmcnt(0) lgkmcnt(0)
	v_mul_f64 v[110:111], s[10:11], v[110:111]
	v_cvt_f32_f64_e32 v110, v[110:111]
	s_branch .LBB128_210
.LBB128_209:
	v_mov_b32_e32 v110, 0
.LBB128_210:
	v_add_f64 v[111:112], v[30:31], v[102:103]
	v_add_f64 v[113:114], v[32:33], v[104:105]
	;; [unrolled: 1-line block ×4, first 2 shown]
	v_cvt_f32_f64_e32 v111, v[111:112]
	v_cvt_f32_f64_e32 v112, v[113:114]
	;; [unrolled: 1-line block ×4, first 2 shown]
	v_min3_f32 v111, v111, v112, v189
	v_min_f32_e32 v112, v113, v114
	v_min3_f32 v110, v110, v112, v111
	v_lshlrev_b64 v[112:113], 3, v[138:139]
	v_cvt_f64_f32_e32 v[110:111], v110
	v_add_co_u32 v112, vcc_lo, v106, v112
	v_add_co_ci_u32_e64 v113, null, v107, v113, vcc_lo
	flat_store_dwordx2 v[112:113], v[110:111]
	s_or_b32 exec_lo, exec_lo, s12
	s_and_b32 s15, s6, s8
	s_and_saveexec_b32 s12, s15
	s_cbranch_execz .LBB128_186
.LBB128_211:
	v_cmp_ne_u32_e32 vcc_lo, 1, v144
	s_cbranch_vccnz .LBB128_213
; %bb.212:
	v_lshlrev_b64 v[110:111], 3, v[140:141]
	v_add_co_u32 v110, vcc_lo, v108, v110
	v_add_co_ci_u32_e64 v111, null, v109, v111, vcc_lo
	flat_load_dwordx2 v[110:111], v[110:111]
	s_waitcnt vmcnt(0) lgkmcnt(0)
	v_mul_f64 v[110:111], s[10:11], v[110:111]
	v_cvt_f32_f64_e32 v110, v[110:111]
	s_branch .LBB128_214
.LBB128_213:
	v_mov_b32_e32 v110, 0
.LBB128_214:
	v_add_f64 v[111:112], v[22:23], v[102:103]
	v_add_f64 v[113:114], v[24:25], v[104:105]
	v_add_f64 v[115:116], v[18:19], v[98:99]
	v_add_f64 v[117:118], v[20:21], v[100:101]
	v_cvt_f32_f64_e32 v111, v[111:112]
	v_cvt_f32_f64_e32 v112, v[113:114]
	;; [unrolled: 1-line block ×4, first 2 shown]
	v_min3_f32 v111, v111, v112, v188
	v_min_f32_e32 v112, v113, v114
	v_min3_f32 v110, v110, v112, v111
	v_lshlrev_b64 v[112:113], 3, v[140:141]
	v_cvt_f64_f32_e32 v[110:111], v110
	v_add_co_u32 v112, vcc_lo, v106, v112
	v_add_co_ci_u32_e64 v113, null, v107, v113, vcc_lo
	flat_store_dwordx2 v[112:113], v[110:111]
	s_or_b32 exec_lo, exec_lo, s12
	s_and_b32 s12, s7, s8
	s_and_saveexec_b32 s8, s12
	s_cbranch_execz .LBB128_219
.LBB128_215:
	v_cmp_ne_u32_e32 vcc_lo, 1, v144
	s_cbranch_vccnz .LBB128_217
; %bb.216:
	v_lshlrev_b64 v[110:111], 3, v[142:143]
	v_add_co_u32 v108, vcc_lo, v108, v110
	v_add_co_ci_u32_e64 v109, null, v109, v111, vcc_lo
	flat_load_dwordx2 v[108:109], v[108:109]
	s_waitcnt vmcnt(0) lgkmcnt(0)
	v_mul_f64 v[108:109], s[10:11], v[108:109]
	v_cvt_f32_f64_e32 v108, v[108:109]
	s_branch .LBB128_218
.LBB128_217:
	v_mov_b32_e32 v108, 0
.LBB128_218:
	v_add_f64 v[102:103], v[6:7], v[102:103]
	v_add_f64 v[104:105], v[8:9], v[104:105]
	;; [unrolled: 1-line block ×4, first 2 shown]
	v_cvt_f32_f64_e32 v102, v[102:103]
	v_cvt_f32_f64_e32 v103, v[104:105]
	;; [unrolled: 1-line block ×4, first 2 shown]
	v_min3_f32 v100, v102, v103, v187
	v_min_f32_e32 v98, v98, v99
	v_min3_f32 v98, v108, v98, v100
	v_lshlrev_b64 v[100:101], 3, v[142:143]
	v_cvt_f64_f32_e32 v[98:99], v98
	v_add_co_u32 v100, vcc_lo, v106, v100
	v_add_co_ci_u32_e64 v101, null, v107, v101, vcc_lo
	flat_store_dwordx2 v[100:101], v[98:99]
.LBB128_219:
	s_or_b32 exec_lo, exec_lo, s8
	v_add_nc_u32_e32 v102, 0x80, v145
	v_mad_i64_i32 v[98:99], null, v102, s16, 0
	v_mad_i64_i32 v[100:101], null, v102, s14, 0
	v_cmp_gt_i32_e64 s8, s13, v102
	v_lshlrev_b64 v[98:99], 3, v[98:99]
	s_and_b32 s15, s0, s8
	v_lshlrev_b64 v[102:103], 3, v[100:101]
	v_add_co_u32 v100, vcc_lo, s18, v98
	v_add_co_ci_u32_e64 v101, null, s19, v99, vcc_lo
	v_add_co_u32 v98, vcc_lo, s17, v102
	v_add_co_ci_u32_e64 v99, null, s9, v103, vcc_lo
	s_and_saveexec_b32 s12, s15
	s_cbranch_execnz .LBB128_227
; %bb.220:
	s_or_b32 exec_lo, exec_lo, s12
	s_and_b32 s15, s1, s8
	s_and_saveexec_b32 s12, s15
	s_cbranch_execnz .LBB128_231
.LBB128_221:
	s_or_b32 exec_lo, exec_lo, s12
	s_and_b32 s15, s2, s8
	s_and_saveexec_b32 s12, s15
	s_cbranch_execnz .LBB128_235
.LBB128_222:
	s_or_b32 exec_lo, exec_lo, s12
	s_and_b32 s15, s3, s8
	s_and_saveexec_b32 s12, s15
	s_cbranch_execnz .LBB128_239
.LBB128_223:
	s_or_b32 exec_lo, exec_lo, s12
	s_and_b32 s15, s4, s8
	s_and_saveexec_b32 s12, s15
	s_cbranch_execnz .LBB128_243
.LBB128_224:
	s_or_b32 exec_lo, exec_lo, s12
	s_and_b32 s15, s5, s8
	s_and_saveexec_b32 s12, s15
	s_cbranch_execnz .LBB128_247
.LBB128_225:
	s_or_b32 exec_lo, exec_lo, s12
	s_and_b32 s15, s6, s8
	s_and_saveexec_b32 s12, s15
	s_cbranch_execnz .LBB128_251
.LBB128_226:
	s_or_b32 exec_lo, exec_lo, s12
	s_and_b32 s12, s7, s8
	s_and_saveexec_b32 s8, s12
	s_cbranch_execnz .LBB128_255
	s_branch .LBB128_259
.LBB128_227:
	v_cmp_ne_u32_e32 vcc_lo, 1, v144
	s_cbranch_vccnz .LBB128_229
; %bb.228:
	v_lshlrev_b64 v[102:103], 3, v[0:1]
	v_add_co_u32 v102, vcc_lo, v100, v102
	v_add_co_ci_u32_e64 v103, null, v101, v103, vcc_lo
	flat_load_dwordx2 v[102:103], v[102:103]
	s_waitcnt vmcnt(0) lgkmcnt(0)
	v_mul_f64 v[102:103], s[10:11], v[102:103]
	v_cvt_f32_f64_e32 v102, v[102:103]
	s_branch .LBB128_230
.LBB128_229:
	v_mov_b32_e32 v102, 0
.LBB128_230:
	v_add_f64 v[103:104], v[70:71], v[94:95]
	v_add_f64 v[105:106], v[72:73], v[96:97]
	;; [unrolled: 1-line block ×4, first 2 shown]
	v_cvt_f32_f64_e32 v103, v[103:104]
	v_cvt_f32_f64_e32 v104, v[105:106]
	;; [unrolled: 1-line block ×4, first 2 shown]
	v_min3_f32 v103, v103, v104, v186
	v_min_f32_e32 v104, v105, v106
	v_min3_f32 v102, v102, v104, v103
	v_lshlrev_b64 v[104:105], 3, v[0:1]
	v_cvt_f64_f32_e32 v[102:103], v102
	v_add_co_u32 v104, vcc_lo, v98, v104
	v_add_co_ci_u32_e64 v105, null, v99, v105, vcc_lo
	flat_store_dwordx2 v[104:105], v[102:103]
	s_or_b32 exec_lo, exec_lo, s12
	s_and_b32 s15, s1, s8
	s_and_saveexec_b32 s12, s15
	s_cbranch_execz .LBB128_221
.LBB128_231:
	v_cmp_ne_u32_e32 vcc_lo, 1, v144
	s_cbranch_vccnz .LBB128_233
; %bb.232:
	v_lshlrev_b64 v[102:103], 3, v[130:131]
	v_add_co_u32 v102, vcc_lo, v100, v102
	v_add_co_ci_u32_e64 v103, null, v101, v103, vcc_lo
	flat_load_dwordx2 v[102:103], v[102:103]
	s_waitcnt vmcnt(0) lgkmcnt(0)
	v_mul_f64 v[102:103], s[10:11], v[102:103]
	v_cvt_f32_f64_e32 v102, v[102:103]
	s_branch .LBB128_234
.LBB128_233:
	v_mov_b32_e32 v102, 0
.LBB128_234:
	v_add_f64 v[103:104], v[62:63], v[94:95]
	v_add_f64 v[105:106], v[64:65], v[96:97]
	;; [unrolled: 1-line block ×4, first 2 shown]
	v_cvt_f32_f64_e32 v103, v[103:104]
	v_cvt_f32_f64_e32 v104, v[105:106]
	;; [unrolled: 1-line block ×4, first 2 shown]
	v_min3_f32 v103, v103, v104, v185
	v_min_f32_e32 v104, v105, v106
	v_min3_f32 v102, v102, v104, v103
	v_lshlrev_b64 v[104:105], 3, v[130:131]
	v_cvt_f64_f32_e32 v[102:103], v102
	v_add_co_u32 v104, vcc_lo, v98, v104
	v_add_co_ci_u32_e64 v105, null, v99, v105, vcc_lo
	flat_store_dwordx2 v[104:105], v[102:103]
	s_or_b32 exec_lo, exec_lo, s12
	s_and_b32 s15, s2, s8
	s_and_saveexec_b32 s12, s15
	s_cbranch_execz .LBB128_222
.LBB128_235:
	v_cmp_ne_u32_e32 vcc_lo, 1, v144
	s_cbranch_vccnz .LBB128_237
; %bb.236:
	v_lshlrev_b64 v[102:103], 3, v[132:133]
	v_add_co_u32 v102, vcc_lo, v100, v102
	v_add_co_ci_u32_e64 v103, null, v101, v103, vcc_lo
	flat_load_dwordx2 v[102:103], v[102:103]
	s_waitcnt vmcnt(0) lgkmcnt(0)
	v_mul_f64 v[102:103], s[10:11], v[102:103]
	v_cvt_f32_f64_e32 v102, v[102:103]
	s_branch .LBB128_238
.LBB128_237:
	v_mov_b32_e32 v102, 0
.LBB128_238:
	v_add_f64 v[103:104], v[54:55], v[94:95]
	v_add_f64 v[105:106], v[56:57], v[96:97]
	;; [unrolled: 1-line block ×4, first 2 shown]
	v_cvt_f32_f64_e32 v103, v[103:104]
	v_cvt_f32_f64_e32 v104, v[105:106]
	;; [unrolled: 1-line block ×4, first 2 shown]
	v_min3_f32 v103, v103, v104, v184
	v_min_f32_e32 v104, v105, v106
	v_min3_f32 v102, v102, v104, v103
	v_lshlrev_b64 v[104:105], 3, v[132:133]
	v_cvt_f64_f32_e32 v[102:103], v102
	v_add_co_u32 v104, vcc_lo, v98, v104
	v_add_co_ci_u32_e64 v105, null, v99, v105, vcc_lo
	flat_store_dwordx2 v[104:105], v[102:103]
	s_or_b32 exec_lo, exec_lo, s12
	s_and_b32 s15, s3, s8
	s_and_saveexec_b32 s12, s15
	s_cbranch_execz .LBB128_223
.LBB128_239:
	v_cmp_ne_u32_e32 vcc_lo, 1, v144
	s_cbranch_vccnz .LBB128_241
; %bb.240:
	v_lshlrev_b64 v[102:103], 3, v[134:135]
	v_add_co_u32 v102, vcc_lo, v100, v102
	v_add_co_ci_u32_e64 v103, null, v101, v103, vcc_lo
	flat_load_dwordx2 v[102:103], v[102:103]
	s_waitcnt vmcnt(0) lgkmcnt(0)
	v_mul_f64 v[102:103], s[10:11], v[102:103]
	v_cvt_f32_f64_e32 v102, v[102:103]
	s_branch .LBB128_242
.LBB128_241:
	v_mov_b32_e32 v102, 0
.LBB128_242:
	v_add_f64 v[103:104], v[46:47], v[94:95]
	v_add_f64 v[105:106], v[48:49], v[96:97]
	;; [unrolled: 1-line block ×4, first 2 shown]
	v_cvt_f32_f64_e32 v103, v[103:104]
	v_cvt_f32_f64_e32 v104, v[105:106]
	;; [unrolled: 1-line block ×4, first 2 shown]
	v_min3_f32 v103, v103, v104, v183
	v_min_f32_e32 v104, v105, v106
	v_min3_f32 v102, v102, v104, v103
	v_lshlrev_b64 v[104:105], 3, v[134:135]
	v_cvt_f64_f32_e32 v[102:103], v102
	v_add_co_u32 v104, vcc_lo, v98, v104
	v_add_co_ci_u32_e64 v105, null, v99, v105, vcc_lo
	flat_store_dwordx2 v[104:105], v[102:103]
	s_or_b32 exec_lo, exec_lo, s12
	s_and_b32 s15, s4, s8
	s_and_saveexec_b32 s12, s15
	s_cbranch_execz .LBB128_224
.LBB128_243:
	v_cmp_ne_u32_e32 vcc_lo, 1, v144
	s_cbranch_vccnz .LBB128_245
; %bb.244:
	v_lshlrev_b64 v[102:103], 3, v[136:137]
	v_add_co_u32 v102, vcc_lo, v100, v102
	v_add_co_ci_u32_e64 v103, null, v101, v103, vcc_lo
	flat_load_dwordx2 v[102:103], v[102:103]
	s_waitcnt vmcnt(0) lgkmcnt(0)
	v_mul_f64 v[102:103], s[10:11], v[102:103]
	v_cvt_f32_f64_e32 v102, v[102:103]
	s_branch .LBB128_246
.LBB128_245:
	v_mov_b32_e32 v102, 0
.LBB128_246:
	v_add_f64 v[103:104], v[38:39], v[94:95]
	v_add_f64 v[105:106], v[40:41], v[96:97]
	;; [unrolled: 1-line block ×4, first 2 shown]
	v_cvt_f32_f64_e32 v103, v[103:104]
	v_cvt_f32_f64_e32 v104, v[105:106]
	;; [unrolled: 1-line block ×4, first 2 shown]
	v_min3_f32 v103, v103, v104, v182
	v_min_f32_e32 v104, v105, v106
	v_min3_f32 v102, v102, v104, v103
	v_lshlrev_b64 v[104:105], 3, v[136:137]
	v_cvt_f64_f32_e32 v[102:103], v102
	v_add_co_u32 v104, vcc_lo, v98, v104
	v_add_co_ci_u32_e64 v105, null, v99, v105, vcc_lo
	flat_store_dwordx2 v[104:105], v[102:103]
	s_or_b32 exec_lo, exec_lo, s12
	s_and_b32 s15, s5, s8
	s_and_saveexec_b32 s12, s15
	s_cbranch_execz .LBB128_225
.LBB128_247:
	v_cmp_ne_u32_e32 vcc_lo, 1, v144
	s_cbranch_vccnz .LBB128_249
; %bb.248:
	v_lshlrev_b64 v[102:103], 3, v[138:139]
	v_add_co_u32 v102, vcc_lo, v100, v102
	v_add_co_ci_u32_e64 v103, null, v101, v103, vcc_lo
	flat_load_dwordx2 v[102:103], v[102:103]
	s_waitcnt vmcnt(0) lgkmcnt(0)
	v_mul_f64 v[102:103], s[10:11], v[102:103]
	v_cvt_f32_f64_e32 v102, v[102:103]
	s_branch .LBB128_250
.LBB128_249:
	v_mov_b32_e32 v102, 0
.LBB128_250:
	v_add_f64 v[103:104], v[30:31], v[94:95]
	v_add_f64 v[105:106], v[32:33], v[96:97]
	;; [unrolled: 1-line block ×4, first 2 shown]
	v_cvt_f32_f64_e32 v103, v[103:104]
	v_cvt_f32_f64_e32 v104, v[105:106]
	;; [unrolled: 1-line block ×4, first 2 shown]
	v_min3_f32 v103, v103, v104, v181
	v_min_f32_e32 v104, v105, v106
	v_min3_f32 v102, v102, v104, v103
	v_lshlrev_b64 v[104:105], 3, v[138:139]
	v_cvt_f64_f32_e32 v[102:103], v102
	v_add_co_u32 v104, vcc_lo, v98, v104
	v_add_co_ci_u32_e64 v105, null, v99, v105, vcc_lo
	flat_store_dwordx2 v[104:105], v[102:103]
	s_or_b32 exec_lo, exec_lo, s12
	s_and_b32 s15, s6, s8
	s_and_saveexec_b32 s12, s15
	s_cbranch_execz .LBB128_226
.LBB128_251:
	v_cmp_ne_u32_e32 vcc_lo, 1, v144
	s_cbranch_vccnz .LBB128_253
; %bb.252:
	v_lshlrev_b64 v[102:103], 3, v[140:141]
	v_add_co_u32 v102, vcc_lo, v100, v102
	v_add_co_ci_u32_e64 v103, null, v101, v103, vcc_lo
	flat_load_dwordx2 v[102:103], v[102:103]
	s_waitcnt vmcnt(0) lgkmcnt(0)
	v_mul_f64 v[102:103], s[10:11], v[102:103]
	v_cvt_f32_f64_e32 v102, v[102:103]
	s_branch .LBB128_254
.LBB128_253:
	v_mov_b32_e32 v102, 0
.LBB128_254:
	v_add_f64 v[103:104], v[22:23], v[94:95]
	v_add_f64 v[105:106], v[24:25], v[96:97]
	;; [unrolled: 1-line block ×4, first 2 shown]
	v_cvt_f32_f64_e32 v103, v[103:104]
	v_cvt_f32_f64_e32 v104, v[105:106]
	;; [unrolled: 1-line block ×4, first 2 shown]
	v_min3_f32 v103, v103, v104, v180
	v_min_f32_e32 v104, v105, v106
	v_min3_f32 v102, v102, v104, v103
	v_lshlrev_b64 v[104:105], 3, v[140:141]
	v_cvt_f64_f32_e32 v[102:103], v102
	v_add_co_u32 v104, vcc_lo, v98, v104
	v_add_co_ci_u32_e64 v105, null, v99, v105, vcc_lo
	flat_store_dwordx2 v[104:105], v[102:103]
	s_or_b32 exec_lo, exec_lo, s12
	s_and_b32 s12, s7, s8
	s_and_saveexec_b32 s8, s12
	s_cbranch_execz .LBB128_259
.LBB128_255:
	v_cmp_ne_u32_e32 vcc_lo, 1, v144
	s_cbranch_vccnz .LBB128_257
; %bb.256:
	v_lshlrev_b64 v[102:103], 3, v[142:143]
	v_add_co_u32 v100, vcc_lo, v100, v102
	v_add_co_ci_u32_e64 v101, null, v101, v103, vcc_lo
	flat_load_dwordx2 v[100:101], v[100:101]
	s_waitcnt vmcnt(0) lgkmcnt(0)
	v_mul_f64 v[100:101], s[10:11], v[100:101]
	v_cvt_f32_f64_e32 v100, v[100:101]
	s_branch .LBB128_258
.LBB128_257:
	v_mov_b32_e32 v100, 0
.LBB128_258:
	v_add_f64 v[94:95], v[6:7], v[94:95]
	v_add_f64 v[96:97], v[8:9], v[96:97]
	;; [unrolled: 1-line block ×4, first 2 shown]
	v_cvt_f32_f64_e32 v94, v[94:95]
	v_cvt_f32_f64_e32 v95, v[96:97]
	;; [unrolled: 1-line block ×4, first 2 shown]
	v_min3_f32 v92, v94, v95, v179
	v_min_f32_e32 v90, v90, v91
	v_min3_f32 v90, v100, v90, v92
	v_lshlrev_b64 v[92:93], 3, v[142:143]
	v_cvt_f64_f32_e32 v[90:91], v90
	v_add_co_u32 v92, vcc_lo, v98, v92
	v_add_co_ci_u32_e64 v93, null, v99, v93, vcc_lo
	flat_store_dwordx2 v[92:93], v[90:91]
.LBB128_259:
	s_or_b32 exec_lo, exec_lo, s8
	v_add_nc_u32_e32 v94, 0xa0, v145
	v_mad_i64_i32 v[90:91], null, v94, s16, 0
	v_mad_i64_i32 v[92:93], null, v94, s14, 0
	v_cmp_gt_i32_e64 s8, s13, v94
	v_lshlrev_b64 v[90:91], 3, v[90:91]
	s_and_b32 s15, s0, s8
	v_lshlrev_b64 v[94:95], 3, v[92:93]
	v_add_co_u32 v92, vcc_lo, s18, v90
	v_add_co_ci_u32_e64 v93, null, s19, v91, vcc_lo
	v_add_co_u32 v90, vcc_lo, s17, v94
	v_add_co_ci_u32_e64 v91, null, s9, v95, vcc_lo
	s_and_saveexec_b32 s12, s15
	s_cbranch_execnz .LBB128_267
; %bb.260:
	s_or_b32 exec_lo, exec_lo, s12
	s_and_b32 s15, s1, s8
	s_and_saveexec_b32 s12, s15
	s_cbranch_execnz .LBB128_271
.LBB128_261:
	s_or_b32 exec_lo, exec_lo, s12
	s_and_b32 s15, s2, s8
	s_and_saveexec_b32 s12, s15
	s_cbranch_execnz .LBB128_275
.LBB128_262:
	s_or_b32 exec_lo, exec_lo, s12
	s_and_b32 s15, s3, s8
	s_and_saveexec_b32 s12, s15
	s_cbranch_execnz .LBB128_279
.LBB128_263:
	s_or_b32 exec_lo, exec_lo, s12
	s_and_b32 s15, s4, s8
	s_and_saveexec_b32 s12, s15
	s_cbranch_execnz .LBB128_283
.LBB128_264:
	s_or_b32 exec_lo, exec_lo, s12
	s_and_b32 s15, s5, s8
	s_and_saveexec_b32 s12, s15
	s_cbranch_execnz .LBB128_287
.LBB128_265:
	s_or_b32 exec_lo, exec_lo, s12
	s_and_b32 s15, s6, s8
	s_and_saveexec_b32 s12, s15
	s_cbranch_execnz .LBB128_291
.LBB128_266:
	s_or_b32 exec_lo, exec_lo, s12
	s_and_b32 s12, s7, s8
	s_and_saveexec_b32 s8, s12
	s_cbranch_execnz .LBB128_295
	s_branch .LBB128_299
.LBB128_267:
	v_cmp_ne_u32_e32 vcc_lo, 1, v144
	s_cbranch_vccnz .LBB128_269
; %bb.268:
	v_lshlrev_b64 v[94:95], 3, v[0:1]
	v_add_co_u32 v94, vcc_lo, v92, v94
	v_add_co_ci_u32_e64 v95, null, v93, v95, vcc_lo
	flat_load_dwordx2 v[94:95], v[94:95]
	s_waitcnt vmcnt(0) lgkmcnt(0)
	v_mul_f64 v[94:95], s[10:11], v[94:95]
	v_cvt_f32_f64_e32 v94, v[94:95]
	s_branch .LBB128_270
.LBB128_269:
	v_mov_b32_e32 v94, 0
.LBB128_270:
	v_add_f64 v[95:96], v[70:71], v[86:87]
	v_add_f64 v[97:98], v[72:73], v[88:89]
	;; [unrolled: 1-line block ×4, first 2 shown]
	v_cvt_f32_f64_e32 v95, v[95:96]
	v_cvt_f32_f64_e32 v96, v[97:98]
	;; [unrolled: 1-line block ×4, first 2 shown]
	v_min3_f32 v95, v95, v96, v178
	v_min_f32_e32 v96, v97, v98
	v_min3_f32 v94, v94, v96, v95
	v_lshlrev_b64 v[96:97], 3, v[0:1]
	v_cvt_f64_f32_e32 v[94:95], v94
	v_add_co_u32 v96, vcc_lo, v90, v96
	v_add_co_ci_u32_e64 v97, null, v91, v97, vcc_lo
	flat_store_dwordx2 v[96:97], v[94:95]
	s_or_b32 exec_lo, exec_lo, s12
	s_and_b32 s15, s1, s8
	s_and_saveexec_b32 s12, s15
	s_cbranch_execz .LBB128_261
.LBB128_271:
	v_cmp_ne_u32_e32 vcc_lo, 1, v144
	s_cbranch_vccnz .LBB128_273
; %bb.272:
	v_lshlrev_b64 v[94:95], 3, v[130:131]
	v_add_co_u32 v94, vcc_lo, v92, v94
	v_add_co_ci_u32_e64 v95, null, v93, v95, vcc_lo
	flat_load_dwordx2 v[94:95], v[94:95]
	s_waitcnt vmcnt(0) lgkmcnt(0)
	v_mul_f64 v[94:95], s[10:11], v[94:95]
	v_cvt_f32_f64_e32 v94, v[94:95]
	s_branch .LBB128_274
.LBB128_273:
	v_mov_b32_e32 v94, 0
.LBB128_274:
	v_add_f64 v[95:96], v[62:63], v[86:87]
	v_add_f64 v[97:98], v[64:65], v[88:89]
	;; [unrolled: 1-line block ×4, first 2 shown]
	v_cvt_f32_f64_e32 v95, v[95:96]
	v_cvt_f32_f64_e32 v96, v[97:98]
	;; [unrolled: 1-line block ×4, first 2 shown]
	v_min3_f32 v95, v95, v96, v177
	v_min_f32_e32 v96, v97, v98
	v_min3_f32 v94, v94, v96, v95
	v_lshlrev_b64 v[96:97], 3, v[130:131]
	v_cvt_f64_f32_e32 v[94:95], v94
	v_add_co_u32 v96, vcc_lo, v90, v96
	v_add_co_ci_u32_e64 v97, null, v91, v97, vcc_lo
	flat_store_dwordx2 v[96:97], v[94:95]
	s_or_b32 exec_lo, exec_lo, s12
	s_and_b32 s15, s2, s8
	s_and_saveexec_b32 s12, s15
	s_cbranch_execz .LBB128_262
.LBB128_275:
	v_cmp_ne_u32_e32 vcc_lo, 1, v144
	s_cbranch_vccnz .LBB128_277
; %bb.276:
	v_lshlrev_b64 v[94:95], 3, v[132:133]
	v_add_co_u32 v94, vcc_lo, v92, v94
	v_add_co_ci_u32_e64 v95, null, v93, v95, vcc_lo
	flat_load_dwordx2 v[94:95], v[94:95]
	s_waitcnt vmcnt(0) lgkmcnt(0)
	v_mul_f64 v[94:95], s[10:11], v[94:95]
	v_cvt_f32_f64_e32 v94, v[94:95]
	s_branch .LBB128_278
.LBB128_277:
	v_mov_b32_e32 v94, 0
.LBB128_278:
	v_add_f64 v[95:96], v[54:55], v[86:87]
	v_add_f64 v[97:98], v[56:57], v[88:89]
	;; [unrolled: 1-line block ×4, first 2 shown]
	v_cvt_f32_f64_e32 v95, v[95:96]
	v_cvt_f32_f64_e32 v96, v[97:98]
	;; [unrolled: 1-line block ×4, first 2 shown]
	v_min3_f32 v95, v95, v96, v176
	v_min_f32_e32 v96, v97, v98
	v_min3_f32 v94, v94, v96, v95
	v_lshlrev_b64 v[96:97], 3, v[132:133]
	v_cvt_f64_f32_e32 v[94:95], v94
	v_add_co_u32 v96, vcc_lo, v90, v96
	v_add_co_ci_u32_e64 v97, null, v91, v97, vcc_lo
	flat_store_dwordx2 v[96:97], v[94:95]
	s_or_b32 exec_lo, exec_lo, s12
	s_and_b32 s15, s3, s8
	s_and_saveexec_b32 s12, s15
	s_cbranch_execz .LBB128_263
.LBB128_279:
	v_cmp_ne_u32_e32 vcc_lo, 1, v144
	s_cbranch_vccnz .LBB128_281
; %bb.280:
	v_lshlrev_b64 v[94:95], 3, v[134:135]
	v_add_co_u32 v94, vcc_lo, v92, v94
	v_add_co_ci_u32_e64 v95, null, v93, v95, vcc_lo
	flat_load_dwordx2 v[94:95], v[94:95]
	s_waitcnt vmcnt(0) lgkmcnt(0)
	v_mul_f64 v[94:95], s[10:11], v[94:95]
	v_cvt_f32_f64_e32 v94, v[94:95]
	s_branch .LBB128_282
.LBB128_281:
	v_mov_b32_e32 v94, 0
.LBB128_282:
	v_add_f64 v[95:96], v[46:47], v[86:87]
	v_add_f64 v[97:98], v[48:49], v[88:89]
	;; [unrolled: 1-line block ×4, first 2 shown]
	v_cvt_f32_f64_e32 v95, v[95:96]
	v_cvt_f32_f64_e32 v96, v[97:98]
	;; [unrolled: 1-line block ×4, first 2 shown]
	v_min3_f32 v95, v95, v96, v169
	v_min_f32_e32 v96, v97, v98
	v_min3_f32 v94, v94, v96, v95
	v_lshlrev_b64 v[96:97], 3, v[134:135]
	v_cvt_f64_f32_e32 v[94:95], v94
	v_add_co_u32 v96, vcc_lo, v90, v96
	v_add_co_ci_u32_e64 v97, null, v91, v97, vcc_lo
	flat_store_dwordx2 v[96:97], v[94:95]
	s_or_b32 exec_lo, exec_lo, s12
	s_and_b32 s15, s4, s8
	s_and_saveexec_b32 s12, s15
	s_cbranch_execz .LBB128_264
.LBB128_283:
	v_cmp_ne_u32_e32 vcc_lo, 1, v144
	s_cbranch_vccnz .LBB128_285
; %bb.284:
	v_lshlrev_b64 v[94:95], 3, v[136:137]
	v_add_co_u32 v94, vcc_lo, v92, v94
	v_add_co_ci_u32_e64 v95, null, v93, v95, vcc_lo
	flat_load_dwordx2 v[94:95], v[94:95]
	s_waitcnt vmcnt(0) lgkmcnt(0)
	v_mul_f64 v[94:95], s[10:11], v[94:95]
	v_cvt_f32_f64_e32 v94, v[94:95]
	s_branch .LBB128_286
.LBB128_285:
	v_mov_b32_e32 v94, 0
.LBB128_286:
	v_add_f64 v[95:96], v[38:39], v[86:87]
	v_add_f64 v[97:98], v[40:41], v[88:89]
	;; [unrolled: 1-line block ×4, first 2 shown]
	v_cvt_f32_f64_e32 v95, v[95:96]
	v_cvt_f32_f64_e32 v96, v[97:98]
	;; [unrolled: 1-line block ×4, first 2 shown]
	v_min3_f32 v95, v95, v96, v168
	v_min_f32_e32 v96, v97, v98
	v_min3_f32 v94, v94, v96, v95
	v_lshlrev_b64 v[96:97], 3, v[136:137]
	v_cvt_f64_f32_e32 v[94:95], v94
	v_add_co_u32 v96, vcc_lo, v90, v96
	v_add_co_ci_u32_e64 v97, null, v91, v97, vcc_lo
	flat_store_dwordx2 v[96:97], v[94:95]
	s_or_b32 exec_lo, exec_lo, s12
	s_and_b32 s15, s5, s8
	s_and_saveexec_b32 s12, s15
	s_cbranch_execz .LBB128_265
.LBB128_287:
	v_cmp_ne_u32_e32 vcc_lo, 1, v144
	s_cbranch_vccnz .LBB128_289
; %bb.288:
	v_lshlrev_b64 v[94:95], 3, v[138:139]
	v_add_co_u32 v94, vcc_lo, v92, v94
	v_add_co_ci_u32_e64 v95, null, v93, v95, vcc_lo
	flat_load_dwordx2 v[94:95], v[94:95]
	s_waitcnt vmcnt(0) lgkmcnt(0)
	v_mul_f64 v[94:95], s[10:11], v[94:95]
	v_cvt_f32_f64_e32 v94, v[94:95]
	s_branch .LBB128_290
.LBB128_289:
	v_mov_b32_e32 v94, 0
.LBB128_290:
	v_add_f64 v[95:96], v[30:31], v[86:87]
	v_add_f64 v[97:98], v[32:33], v[88:89]
	;; [unrolled: 1-line block ×4, first 2 shown]
	v_cvt_f32_f64_e32 v95, v[95:96]
	v_cvt_f32_f64_e32 v96, v[97:98]
	;; [unrolled: 1-line block ×4, first 2 shown]
	v_min3_f32 v95, v95, v96, v167
	v_min_f32_e32 v96, v97, v98
	v_min3_f32 v94, v94, v96, v95
	v_lshlrev_b64 v[96:97], 3, v[138:139]
	v_cvt_f64_f32_e32 v[94:95], v94
	v_add_co_u32 v96, vcc_lo, v90, v96
	v_add_co_ci_u32_e64 v97, null, v91, v97, vcc_lo
	flat_store_dwordx2 v[96:97], v[94:95]
	s_or_b32 exec_lo, exec_lo, s12
	s_and_b32 s15, s6, s8
	s_and_saveexec_b32 s12, s15
	s_cbranch_execz .LBB128_266
.LBB128_291:
	v_cmp_ne_u32_e32 vcc_lo, 1, v144
	s_cbranch_vccnz .LBB128_293
; %bb.292:
	v_lshlrev_b64 v[94:95], 3, v[140:141]
	v_add_co_u32 v94, vcc_lo, v92, v94
	v_add_co_ci_u32_e64 v95, null, v93, v95, vcc_lo
	flat_load_dwordx2 v[94:95], v[94:95]
	s_waitcnt vmcnt(0) lgkmcnt(0)
	v_mul_f64 v[94:95], s[10:11], v[94:95]
	v_cvt_f32_f64_e32 v94, v[94:95]
	s_branch .LBB128_294
.LBB128_293:
	v_mov_b32_e32 v94, 0
.LBB128_294:
	v_add_f64 v[95:96], v[22:23], v[86:87]
	v_add_f64 v[97:98], v[24:25], v[88:89]
	;; [unrolled: 1-line block ×4, first 2 shown]
	v_cvt_f32_f64_e32 v95, v[95:96]
	v_cvt_f32_f64_e32 v96, v[97:98]
	;; [unrolled: 1-line block ×4, first 2 shown]
	v_min3_f32 v95, v95, v96, v166
	v_min_f32_e32 v96, v97, v98
	v_min3_f32 v94, v94, v96, v95
	v_lshlrev_b64 v[96:97], 3, v[140:141]
	v_cvt_f64_f32_e32 v[94:95], v94
	v_add_co_u32 v96, vcc_lo, v90, v96
	v_add_co_ci_u32_e64 v97, null, v91, v97, vcc_lo
	flat_store_dwordx2 v[96:97], v[94:95]
	s_or_b32 exec_lo, exec_lo, s12
	s_and_b32 s12, s7, s8
	s_and_saveexec_b32 s8, s12
	s_cbranch_execz .LBB128_299
.LBB128_295:
	v_cmp_ne_u32_e32 vcc_lo, 1, v144
	s_cbranch_vccnz .LBB128_297
; %bb.296:
	v_lshlrev_b64 v[94:95], 3, v[142:143]
	v_add_co_u32 v92, vcc_lo, v92, v94
	v_add_co_ci_u32_e64 v93, null, v93, v95, vcc_lo
	flat_load_dwordx2 v[92:93], v[92:93]
	s_waitcnt vmcnt(0) lgkmcnt(0)
	v_mul_f64 v[92:93], s[10:11], v[92:93]
	v_cvt_f32_f64_e32 v92, v[92:93]
	s_branch .LBB128_298
.LBB128_297:
	v_mov_b32_e32 v92, 0
.LBB128_298:
	v_add_f64 v[86:87], v[6:7], v[86:87]
	v_add_f64 v[88:89], v[8:9], v[88:89]
	;; [unrolled: 1-line block ×4, first 2 shown]
	v_cvt_f32_f64_e32 v86, v[86:87]
	v_cvt_f32_f64_e32 v87, v[88:89]
	;; [unrolled: 1-line block ×4, first 2 shown]
	v_min3_f32 v84, v86, v87, v165
	v_min_f32_e32 v82, v82, v83
	v_min3_f32 v82, v92, v82, v84
	v_lshlrev_b64 v[84:85], 3, v[142:143]
	v_cvt_f64_f32_e32 v[82:83], v82
	v_add_co_u32 v84, vcc_lo, v90, v84
	v_add_co_ci_u32_e64 v85, null, v91, v85, vcc_lo
	flat_store_dwordx2 v[84:85], v[82:83]
.LBB128_299:
	s_or_b32 exec_lo, exec_lo, s8
	v_add_nc_u32_e32 v86, 0xc0, v145
	v_mad_i64_i32 v[82:83], null, v86, s16, 0
	v_mad_i64_i32 v[84:85], null, v86, s14, 0
	v_cmp_gt_i32_e64 s8, s13, v86
	v_lshlrev_b64 v[82:83], 3, v[82:83]
	s_and_b32 s15, s0, s8
	v_lshlrev_b64 v[86:87], 3, v[84:85]
	v_add_co_u32 v84, vcc_lo, s18, v82
	v_add_co_ci_u32_e64 v85, null, s19, v83, vcc_lo
	v_add_co_u32 v82, vcc_lo, s17, v86
	v_add_co_ci_u32_e64 v83, null, s9, v87, vcc_lo
	s_and_saveexec_b32 s12, s15
	s_cbranch_execnz .LBB128_307
; %bb.300:
	s_or_b32 exec_lo, exec_lo, s12
	s_and_b32 s15, s1, s8
	s_and_saveexec_b32 s12, s15
	s_cbranch_execnz .LBB128_311
.LBB128_301:
	s_or_b32 exec_lo, exec_lo, s12
	s_and_b32 s15, s2, s8
	s_and_saveexec_b32 s12, s15
	s_cbranch_execnz .LBB128_315
.LBB128_302:
	s_or_b32 exec_lo, exec_lo, s12
	s_and_b32 s15, s3, s8
	s_and_saveexec_b32 s12, s15
	s_cbranch_execnz .LBB128_319
.LBB128_303:
	s_or_b32 exec_lo, exec_lo, s12
	s_and_b32 s15, s4, s8
	s_and_saveexec_b32 s12, s15
	s_cbranch_execnz .LBB128_323
.LBB128_304:
	s_or_b32 exec_lo, exec_lo, s12
	s_and_b32 s15, s5, s8
	s_and_saveexec_b32 s12, s15
	s_cbranch_execnz .LBB128_327
.LBB128_305:
	s_or_b32 exec_lo, exec_lo, s12
	s_and_b32 s15, s6, s8
	s_and_saveexec_b32 s12, s15
	s_cbranch_execnz .LBB128_331
.LBB128_306:
	s_or_b32 exec_lo, exec_lo, s12
	s_and_b32 s12, s7, s8
	s_and_saveexec_b32 s8, s12
	s_cbranch_execnz .LBB128_335
	s_branch .LBB128_339
.LBB128_307:
	v_cmp_ne_u32_e32 vcc_lo, 1, v144
	s_cbranch_vccnz .LBB128_309
; %bb.308:
	v_lshlrev_b64 v[86:87], 3, v[0:1]
	v_add_co_u32 v86, vcc_lo, v84, v86
	v_add_co_ci_u32_e64 v87, null, v85, v87, vcc_lo
	flat_load_dwordx2 v[86:87], v[86:87]
	s_waitcnt vmcnt(0) lgkmcnt(0)
	v_mul_f64 v[86:87], s[10:11], v[86:87]
	v_cvt_f32_f64_e32 v86, v[86:87]
	s_branch .LBB128_310
.LBB128_309:
	v_mov_b32_e32 v86, 0
.LBB128_310:
	v_add_f64 v[87:88], v[70:71], v[78:79]
	v_add_f64 v[89:90], v[72:73], v[80:81]
	;; [unrolled: 1-line block ×4, first 2 shown]
	v_cvt_f32_f64_e32 v87, v[87:88]
	v_cvt_f32_f64_e32 v88, v[89:90]
	;; [unrolled: 1-line block ×4, first 2 shown]
	v_min3_f32 v87, v87, v88, v164
	v_min_f32_e32 v88, v89, v90
	v_min3_f32 v86, v86, v88, v87
	v_lshlrev_b64 v[88:89], 3, v[0:1]
	v_cvt_f64_f32_e32 v[86:87], v86
	v_add_co_u32 v88, vcc_lo, v82, v88
	v_add_co_ci_u32_e64 v89, null, v83, v89, vcc_lo
	flat_store_dwordx2 v[88:89], v[86:87]
	s_or_b32 exec_lo, exec_lo, s12
	s_and_b32 s15, s1, s8
	s_and_saveexec_b32 s12, s15
	s_cbranch_execz .LBB128_301
.LBB128_311:
	v_cmp_ne_u32_e32 vcc_lo, 1, v144
	s_cbranch_vccnz .LBB128_313
; %bb.312:
	v_lshlrev_b64 v[86:87], 3, v[130:131]
	v_add_co_u32 v86, vcc_lo, v84, v86
	v_add_co_ci_u32_e64 v87, null, v85, v87, vcc_lo
	flat_load_dwordx2 v[86:87], v[86:87]
	s_waitcnt vmcnt(0) lgkmcnt(0)
	v_mul_f64 v[86:87], s[10:11], v[86:87]
	v_cvt_f32_f64_e32 v86, v[86:87]
	s_branch .LBB128_314
.LBB128_313:
	v_mov_b32_e32 v86, 0
.LBB128_314:
	v_add_f64 v[87:88], v[62:63], v[78:79]
	v_add_f64 v[89:90], v[64:65], v[80:81]
	;; [unrolled: 1-line block ×4, first 2 shown]
	v_cvt_f32_f64_e32 v87, v[87:88]
	v_cvt_f32_f64_e32 v88, v[89:90]
	;; [unrolled: 1-line block ×4, first 2 shown]
	v_min3_f32 v87, v87, v88, v163
	v_min_f32_e32 v88, v89, v90
	v_min3_f32 v86, v86, v88, v87
	v_lshlrev_b64 v[88:89], 3, v[130:131]
	v_cvt_f64_f32_e32 v[86:87], v86
	v_add_co_u32 v88, vcc_lo, v82, v88
	v_add_co_ci_u32_e64 v89, null, v83, v89, vcc_lo
	flat_store_dwordx2 v[88:89], v[86:87]
	s_or_b32 exec_lo, exec_lo, s12
	s_and_b32 s15, s2, s8
	s_and_saveexec_b32 s12, s15
	s_cbranch_execz .LBB128_302
.LBB128_315:
	v_cmp_ne_u32_e32 vcc_lo, 1, v144
	s_cbranch_vccnz .LBB128_317
; %bb.316:
	v_lshlrev_b64 v[86:87], 3, v[132:133]
	v_add_co_u32 v86, vcc_lo, v84, v86
	v_add_co_ci_u32_e64 v87, null, v85, v87, vcc_lo
	flat_load_dwordx2 v[86:87], v[86:87]
	s_waitcnt vmcnt(0) lgkmcnt(0)
	v_mul_f64 v[86:87], s[10:11], v[86:87]
	v_cvt_f32_f64_e32 v86, v[86:87]
	s_branch .LBB128_318
.LBB128_317:
	v_mov_b32_e32 v86, 0
.LBB128_318:
	v_add_f64 v[87:88], v[54:55], v[78:79]
	v_add_f64 v[89:90], v[56:57], v[80:81]
	;; [unrolled: 1-line block ×4, first 2 shown]
	v_cvt_f32_f64_e32 v87, v[87:88]
	v_cvt_f32_f64_e32 v88, v[89:90]
	;; [unrolled: 1-line block ×4, first 2 shown]
	v_min3_f32 v87, v87, v88, v162
	v_min_f32_e32 v88, v89, v90
	v_min3_f32 v86, v86, v88, v87
	v_lshlrev_b64 v[88:89], 3, v[132:133]
	v_cvt_f64_f32_e32 v[86:87], v86
	v_add_co_u32 v88, vcc_lo, v82, v88
	v_add_co_ci_u32_e64 v89, null, v83, v89, vcc_lo
	flat_store_dwordx2 v[88:89], v[86:87]
	s_or_b32 exec_lo, exec_lo, s12
	s_and_b32 s15, s3, s8
	s_and_saveexec_b32 s12, s15
	s_cbranch_execz .LBB128_303
.LBB128_319:
	v_cmp_ne_u32_e32 vcc_lo, 1, v144
	s_cbranch_vccnz .LBB128_321
; %bb.320:
	v_lshlrev_b64 v[86:87], 3, v[134:135]
	v_add_co_u32 v86, vcc_lo, v84, v86
	v_add_co_ci_u32_e64 v87, null, v85, v87, vcc_lo
	flat_load_dwordx2 v[86:87], v[86:87]
	s_waitcnt vmcnt(0) lgkmcnt(0)
	v_mul_f64 v[86:87], s[10:11], v[86:87]
	v_cvt_f32_f64_e32 v86, v[86:87]
	s_branch .LBB128_322
.LBB128_321:
	v_mov_b32_e32 v86, 0
.LBB128_322:
	v_add_f64 v[87:88], v[46:47], v[78:79]
	v_add_f64 v[89:90], v[48:49], v[80:81]
	;; [unrolled: 1-line block ×4, first 2 shown]
	v_cvt_f32_f64_e32 v87, v[87:88]
	v_cvt_f32_f64_e32 v88, v[89:90]
	;; [unrolled: 1-line block ×4, first 2 shown]
	v_min3_f32 v87, v87, v88, v161
	v_min_f32_e32 v88, v89, v90
	v_min3_f32 v86, v86, v88, v87
	v_lshlrev_b64 v[88:89], 3, v[134:135]
	v_cvt_f64_f32_e32 v[86:87], v86
	v_add_co_u32 v88, vcc_lo, v82, v88
	v_add_co_ci_u32_e64 v89, null, v83, v89, vcc_lo
	flat_store_dwordx2 v[88:89], v[86:87]
	s_or_b32 exec_lo, exec_lo, s12
	s_and_b32 s15, s4, s8
	s_and_saveexec_b32 s12, s15
	s_cbranch_execz .LBB128_304
.LBB128_323:
	v_cmp_ne_u32_e32 vcc_lo, 1, v144
	s_cbranch_vccnz .LBB128_325
; %bb.324:
	v_lshlrev_b64 v[86:87], 3, v[136:137]
	v_add_co_u32 v86, vcc_lo, v84, v86
	v_add_co_ci_u32_e64 v87, null, v85, v87, vcc_lo
	flat_load_dwordx2 v[86:87], v[86:87]
	s_waitcnt vmcnt(0) lgkmcnt(0)
	v_mul_f64 v[86:87], s[10:11], v[86:87]
	v_cvt_f32_f64_e32 v86, v[86:87]
	s_branch .LBB128_326
.LBB128_325:
	v_mov_b32_e32 v86, 0
.LBB128_326:
	v_add_f64 v[87:88], v[38:39], v[78:79]
	v_add_f64 v[89:90], v[40:41], v[80:81]
	v_add_f64 v[91:92], v[34:35], v[74:75]
	v_add_f64 v[93:94], v[36:37], v[76:77]
	v_cvt_f32_f64_e32 v87, v[87:88]
	v_cvt_f32_f64_e32 v88, v[89:90]
	;; [unrolled: 1-line block ×4, first 2 shown]
	v_min3_f32 v87, v87, v88, v160
	v_min_f32_e32 v88, v89, v90
	v_min3_f32 v86, v86, v88, v87
	v_lshlrev_b64 v[88:89], 3, v[136:137]
	v_cvt_f64_f32_e32 v[86:87], v86
	v_add_co_u32 v88, vcc_lo, v82, v88
	v_add_co_ci_u32_e64 v89, null, v83, v89, vcc_lo
	flat_store_dwordx2 v[88:89], v[86:87]
	s_or_b32 exec_lo, exec_lo, s12
	s_and_b32 s15, s5, s8
	s_and_saveexec_b32 s12, s15
	s_cbranch_execz .LBB128_305
.LBB128_327:
	v_cmp_ne_u32_e32 vcc_lo, 1, v144
	s_cbranch_vccnz .LBB128_329
; %bb.328:
	v_lshlrev_b64 v[86:87], 3, v[138:139]
	v_add_co_u32 v86, vcc_lo, v84, v86
	v_add_co_ci_u32_e64 v87, null, v85, v87, vcc_lo
	flat_load_dwordx2 v[86:87], v[86:87]
	s_waitcnt vmcnt(0) lgkmcnt(0)
	v_mul_f64 v[86:87], s[10:11], v[86:87]
	v_cvt_f32_f64_e32 v86, v[86:87]
	s_branch .LBB128_330
.LBB128_329:
	v_mov_b32_e32 v86, 0
.LBB128_330:
	v_add_f64 v[87:88], v[30:31], v[78:79]
	v_add_f64 v[89:90], v[32:33], v[80:81]
	;; [unrolled: 1-line block ×4, first 2 shown]
	v_cvt_f32_f64_e32 v87, v[87:88]
	v_cvt_f32_f64_e32 v88, v[89:90]
	;; [unrolled: 1-line block ×4, first 2 shown]
	v_min3_f32 v87, v87, v88, v159
	v_min_f32_e32 v88, v89, v90
	v_min3_f32 v86, v86, v88, v87
	v_lshlrev_b64 v[88:89], 3, v[138:139]
	v_cvt_f64_f32_e32 v[86:87], v86
	v_add_co_u32 v88, vcc_lo, v82, v88
	v_add_co_ci_u32_e64 v89, null, v83, v89, vcc_lo
	flat_store_dwordx2 v[88:89], v[86:87]
	s_or_b32 exec_lo, exec_lo, s12
	s_and_b32 s15, s6, s8
	s_and_saveexec_b32 s12, s15
	s_cbranch_execz .LBB128_306
.LBB128_331:
	v_cmp_ne_u32_e32 vcc_lo, 1, v144
	s_cbranch_vccnz .LBB128_333
; %bb.332:
	v_lshlrev_b64 v[86:87], 3, v[140:141]
	v_add_co_u32 v86, vcc_lo, v84, v86
	v_add_co_ci_u32_e64 v87, null, v85, v87, vcc_lo
	flat_load_dwordx2 v[86:87], v[86:87]
	s_waitcnt vmcnt(0) lgkmcnt(0)
	v_mul_f64 v[86:87], s[10:11], v[86:87]
	v_cvt_f32_f64_e32 v86, v[86:87]
	s_branch .LBB128_334
.LBB128_333:
	v_mov_b32_e32 v86, 0
.LBB128_334:
	v_add_f64 v[87:88], v[22:23], v[78:79]
	v_add_f64 v[89:90], v[24:25], v[80:81]
	v_add_f64 v[91:92], v[18:19], v[74:75]
	v_add_f64 v[93:94], v[20:21], v[76:77]
	v_cvt_f32_f64_e32 v87, v[87:88]
	v_cvt_f32_f64_e32 v88, v[89:90]
	;; [unrolled: 1-line block ×4, first 2 shown]
	v_min3_f32 v87, v87, v88, v158
	v_min_f32_e32 v88, v89, v90
	v_min3_f32 v86, v86, v88, v87
	v_lshlrev_b64 v[88:89], 3, v[140:141]
	v_cvt_f64_f32_e32 v[86:87], v86
	v_add_co_u32 v88, vcc_lo, v82, v88
	v_add_co_ci_u32_e64 v89, null, v83, v89, vcc_lo
	flat_store_dwordx2 v[88:89], v[86:87]
	s_or_b32 exec_lo, exec_lo, s12
	s_and_b32 s12, s7, s8
	s_and_saveexec_b32 s8, s12
	s_cbranch_execz .LBB128_339
.LBB128_335:
	v_cmp_ne_u32_e32 vcc_lo, 1, v144
	s_cbranch_vccnz .LBB128_337
; %bb.336:
	v_lshlrev_b64 v[86:87], 3, v[142:143]
	v_add_co_u32 v84, vcc_lo, v84, v86
	v_add_co_ci_u32_e64 v85, null, v85, v87, vcc_lo
	flat_load_dwordx2 v[84:85], v[84:85]
	s_waitcnt vmcnt(0) lgkmcnt(0)
	v_mul_f64 v[84:85], s[10:11], v[84:85]
	v_cvt_f32_f64_e32 v84, v[84:85]
	s_branch .LBB128_338
.LBB128_337:
	v_mov_b32_e32 v84, 0
.LBB128_338:
	v_add_f64 v[78:79], v[6:7], v[78:79]
	v_add_f64 v[80:81], v[8:9], v[80:81]
	;; [unrolled: 1-line block ×4, first 2 shown]
	v_cvt_f32_f64_e32 v78, v[78:79]
	v_cvt_f32_f64_e32 v79, v[80:81]
	;; [unrolled: 1-line block ×4, first 2 shown]
	v_min3_f32 v76, v78, v79, v157
	v_min_f32_e32 v74, v74, v75
	v_min3_f32 v74, v84, v74, v76
	v_lshlrev_b64 v[76:77], 3, v[142:143]
	v_cvt_f64_f32_e32 v[74:75], v74
	v_add_co_u32 v76, vcc_lo, v82, v76
	v_add_co_ci_u32_e64 v77, null, v83, v77, vcc_lo
	flat_store_dwordx2 v[76:77], v[74:75]
.LBB128_339:
	s_or_b32 exec_lo, exec_lo, s8
	v_add_nc_u32_e32 v78, 0xe0, v145
	v_mad_i64_i32 v[74:75], null, v78, s16, 0
	v_mad_i64_i32 v[76:77], null, v78, s14, 0
	v_cmp_gt_i32_e64 s8, s13, v78
	v_lshlrev_b64 v[74:75], 3, v[74:75]
	v_lshlrev_b64 v[78:79], 3, v[76:77]
	v_add_co_u32 v76, vcc_lo, s18, v74
	v_add_co_ci_u32_e64 v77, null, s19, v75, vcc_lo
	v_add_co_u32 v74, vcc_lo, s17, v78
	v_add_co_ci_u32_e64 v75, null, s9, v79, vcc_lo
	s_and_b32 s9, s0, s8
	s_and_saveexec_b32 s0, s9
	s_cbranch_execnz .LBB128_348
; %bb.340:
	s_or_b32 exec_lo, exec_lo, s0
	s_and_b32 s1, s1, s8
	s_and_saveexec_b32 s0, s1
	s_cbranch_execnz .LBB128_352
.LBB128_341:
	s_or_b32 exec_lo, exec_lo, s0
	s_and_b32 s1, s2, s8
	s_and_saveexec_b32 s0, s1
	s_cbranch_execnz .LBB128_356
.LBB128_342:
	s_or_b32 exec_lo, exec_lo, s0
	s_and_b32 s1, s3, s8
	s_and_saveexec_b32 s0, s1
	s_cbranch_execnz .LBB128_360
.LBB128_343:
	s_or_b32 exec_lo, exec_lo, s0
	s_and_b32 s1, s4, s8
	s_and_saveexec_b32 s0, s1
	s_cbranch_execnz .LBB128_364
.LBB128_344:
	s_or_b32 exec_lo, exec_lo, s0
	s_and_b32 s1, s5, s8
	s_and_saveexec_b32 s0, s1
	s_cbranch_execnz .LBB128_368
.LBB128_345:
	s_or_b32 exec_lo, exec_lo, s0
	s_and_b32 s1, s6, s8
	s_and_saveexec_b32 s0, s1
	s_cbranch_execnz .LBB128_372
.LBB128_346:
	s_or_b32 exec_lo, exec_lo, s0
	s_and_b32 s0, s7, s8
	s_and_saveexec_b32 s1, s0
	s_cbranch_execnz .LBB128_376
.LBB128_347:
	s_endpgm
.LBB128_348:
	v_cmp_ne_u32_e32 vcc_lo, 1, v144
	v_lshlrev_b64 v[0:1], 3, v[0:1]
	s_cbranch_vccnz .LBB128_350
; %bb.349:
	v_add_co_u32 v78, vcc_lo, v76, v0
	v_add_co_ci_u32_e64 v79, null, v77, v1, vcc_lo
	flat_load_dwordx2 v[78:79], v[78:79]
	s_waitcnt vmcnt(0) lgkmcnt(0)
	v_mul_f64 v[78:79], s[10:11], v[78:79]
	v_cvt_f32_f64_e32 v78, v[78:79]
	s_branch .LBB128_351
.LBB128_350:
	v_mov_b32_e32 v78, 0
.LBB128_351:
	v_add_f64 v[70:71], v[70:71], v[14:15]
	v_add_f64 v[72:73], v[72:73], v[16:17]
	;; [unrolled: 1-line block ×4, first 2 shown]
	v_add_co_u32 v0, vcc_lo, v74, v0
	v_add_co_ci_u32_e64 v1, null, v75, v1, vcc_lo
	v_cvt_f32_f64_e32 v70, v[70:71]
	v_cvt_f32_f64_e32 v71, v[72:73]
	;; [unrolled: 1-line block ×4, first 2 shown]
	v_min3_f32 v68, v70, v71, v156
	v_min_f32_e32 v66, v66, v67
	v_min3_f32 v66, v78, v66, v68
	v_cvt_f64_f32_e32 v[66:67], v66
	flat_store_dwordx2 v[0:1], v[66:67]
	s_or_b32 exec_lo, exec_lo, s0
	s_and_b32 s1, s1, s8
	s_and_saveexec_b32 s0, s1
	s_cbranch_execz .LBB128_341
.LBB128_352:
	v_cmp_ne_u32_e32 vcc_lo, 1, v144
	v_lshlrev_b64 v[0:1], 3, v[130:131]
	s_cbranch_vccnz .LBB128_354
; %bb.353:
	v_add_co_u32 v66, vcc_lo, v76, v0
	v_add_co_ci_u32_e64 v67, null, v77, v1, vcc_lo
	flat_load_dwordx2 v[66:67], v[66:67]
	s_waitcnt vmcnt(0) lgkmcnt(0)
	v_mul_f64 v[66:67], s[10:11], v[66:67]
	v_cvt_f32_f64_e32 v66, v[66:67]
	s_branch .LBB128_355
.LBB128_354:
	v_mov_b32_e32 v66, 0
.LBB128_355:
	v_add_f64 v[62:63], v[62:63], v[14:15]
	v_add_f64 v[64:65], v[64:65], v[16:17]
	;; [unrolled: 1-line block ×4, first 2 shown]
	v_add_co_u32 v0, vcc_lo, v74, v0
	v_add_co_ci_u32_e64 v1, null, v75, v1, vcc_lo
	v_cvt_f32_f64_e32 v62, v[62:63]
	v_cvt_f32_f64_e32 v63, v[64:65]
	v_cvt_f32_f64_e32 v58, v[58:59]
	v_cvt_f32_f64_e32 v59, v[60:61]
	v_min3_f32 v60, v62, v63, v155
	v_min_f32_e32 v58, v58, v59
	v_min3_f32 v58, v66, v58, v60
	v_cvt_f64_f32_e32 v[58:59], v58
	flat_store_dwordx2 v[0:1], v[58:59]
	s_or_b32 exec_lo, exec_lo, s0
	s_and_b32 s1, s2, s8
	s_and_saveexec_b32 s0, s1
	s_cbranch_execz .LBB128_342
.LBB128_356:
	v_cmp_ne_u32_e32 vcc_lo, 1, v144
	v_lshlrev_b64 v[0:1], 3, v[132:133]
	s_cbranch_vccnz .LBB128_358
; %bb.357:
	v_add_co_u32 v58, vcc_lo, v76, v0
	v_add_co_ci_u32_e64 v59, null, v77, v1, vcc_lo
	flat_load_dwordx2 v[58:59], v[58:59]
	s_waitcnt vmcnt(0) lgkmcnt(0)
	v_mul_f64 v[58:59], s[10:11], v[58:59]
	v_cvt_f32_f64_e32 v58, v[58:59]
	s_branch .LBB128_359
.LBB128_358:
	v_mov_b32_e32 v58, 0
.LBB128_359:
	v_add_f64 v[54:55], v[54:55], v[14:15]
	v_add_f64 v[56:57], v[56:57], v[16:17]
	v_add_f64 v[50:51], v[50:51], v[10:11]
	v_add_f64 v[52:53], v[52:53], v[12:13]
	v_add_co_u32 v0, vcc_lo, v74, v0
	v_add_co_ci_u32_e64 v1, null, v75, v1, vcc_lo
	v_cvt_f32_f64_e32 v54, v[54:55]
	v_cvt_f32_f64_e32 v55, v[56:57]
	;; [unrolled: 1-line block ×4, first 2 shown]
	v_min3_f32 v52, v54, v55, v154
	v_min_f32_e32 v50, v50, v51
	v_min3_f32 v50, v58, v50, v52
	v_cvt_f64_f32_e32 v[50:51], v50
	flat_store_dwordx2 v[0:1], v[50:51]
	s_or_b32 exec_lo, exec_lo, s0
	s_and_b32 s1, s3, s8
	s_and_saveexec_b32 s0, s1
	s_cbranch_execz .LBB128_343
.LBB128_360:
	v_cmp_ne_u32_e32 vcc_lo, 1, v144
	v_lshlrev_b64 v[0:1], 3, v[134:135]
	s_cbranch_vccnz .LBB128_362
; %bb.361:
	v_add_co_u32 v50, vcc_lo, v76, v0
	v_add_co_ci_u32_e64 v51, null, v77, v1, vcc_lo
	flat_load_dwordx2 v[50:51], v[50:51]
	s_waitcnt vmcnt(0) lgkmcnt(0)
	v_mul_f64 v[50:51], s[10:11], v[50:51]
	v_cvt_f32_f64_e32 v50, v[50:51]
	s_branch .LBB128_363
.LBB128_362:
	v_mov_b32_e32 v50, 0
.LBB128_363:
	v_add_f64 v[46:47], v[46:47], v[14:15]
	v_add_f64 v[48:49], v[48:49], v[16:17]
	;; [unrolled: 1-line block ×4, first 2 shown]
	v_add_co_u32 v0, vcc_lo, v74, v0
	v_add_co_ci_u32_e64 v1, null, v75, v1, vcc_lo
	v_cvt_f32_f64_e32 v46, v[46:47]
	v_cvt_f32_f64_e32 v47, v[48:49]
	v_cvt_f32_f64_e32 v42, v[42:43]
	v_cvt_f32_f64_e32 v43, v[44:45]
	v_min3_f32 v44, v46, v47, v153
	v_min_f32_e32 v42, v42, v43
	v_min3_f32 v42, v50, v42, v44
	v_cvt_f64_f32_e32 v[42:43], v42
	flat_store_dwordx2 v[0:1], v[42:43]
	s_or_b32 exec_lo, exec_lo, s0
	s_and_b32 s1, s4, s8
	s_and_saveexec_b32 s0, s1
	s_cbranch_execz .LBB128_344
.LBB128_364:
	v_cmp_ne_u32_e32 vcc_lo, 1, v144
	v_lshlrev_b64 v[0:1], 3, v[136:137]
	s_cbranch_vccnz .LBB128_366
; %bb.365:
	v_add_co_u32 v42, vcc_lo, v76, v0
	v_add_co_ci_u32_e64 v43, null, v77, v1, vcc_lo
	flat_load_dwordx2 v[42:43], v[42:43]
	s_waitcnt vmcnt(0) lgkmcnt(0)
	v_mul_f64 v[42:43], s[10:11], v[42:43]
	v_cvt_f32_f64_e32 v42, v[42:43]
	s_branch .LBB128_367
.LBB128_366:
	v_mov_b32_e32 v42, 0
.LBB128_367:
	v_add_f64 v[38:39], v[38:39], v[14:15]
	v_add_f64 v[40:41], v[40:41], v[16:17]
	;; [unrolled: 1-line block ×4, first 2 shown]
	v_add_co_u32 v0, vcc_lo, v74, v0
	v_add_co_ci_u32_e64 v1, null, v75, v1, vcc_lo
	v_cvt_f32_f64_e32 v38, v[38:39]
	v_cvt_f32_f64_e32 v39, v[40:41]
	;; [unrolled: 1-line block ×4, first 2 shown]
	v_min3_f32 v36, v38, v39, v152
	v_min_f32_e32 v34, v34, v35
	v_min3_f32 v34, v42, v34, v36
	v_cvt_f64_f32_e32 v[34:35], v34
	flat_store_dwordx2 v[0:1], v[34:35]
	s_or_b32 exec_lo, exec_lo, s0
	s_and_b32 s1, s5, s8
	s_and_saveexec_b32 s0, s1
	s_cbranch_execz .LBB128_345
.LBB128_368:
	v_cmp_ne_u32_e32 vcc_lo, 1, v144
	v_lshlrev_b64 v[0:1], 3, v[138:139]
	s_cbranch_vccnz .LBB128_370
; %bb.369:
	v_add_co_u32 v34, vcc_lo, v76, v0
	v_add_co_ci_u32_e64 v35, null, v77, v1, vcc_lo
	flat_load_dwordx2 v[34:35], v[34:35]
	s_waitcnt vmcnt(0) lgkmcnt(0)
	v_mul_f64 v[34:35], s[10:11], v[34:35]
	v_cvt_f32_f64_e32 v34, v[34:35]
	s_branch .LBB128_371
.LBB128_370:
	v_mov_b32_e32 v34, 0
.LBB128_371:
	v_add_f64 v[30:31], v[30:31], v[14:15]
	v_add_f64 v[32:33], v[32:33], v[16:17]
	;; [unrolled: 1-line block ×4, first 2 shown]
	v_add_co_u32 v0, vcc_lo, v74, v0
	v_add_co_ci_u32_e64 v1, null, v75, v1, vcc_lo
	v_cvt_f32_f64_e32 v30, v[30:31]
	v_cvt_f32_f64_e32 v31, v[32:33]
	;; [unrolled: 1-line block ×4, first 2 shown]
	v_min3_f32 v28, v30, v31, v151
	v_min_f32_e32 v26, v26, v27
	v_min3_f32 v26, v34, v26, v28
	v_cvt_f64_f32_e32 v[26:27], v26
	flat_store_dwordx2 v[0:1], v[26:27]
	s_or_b32 exec_lo, exec_lo, s0
	s_and_b32 s1, s6, s8
	s_and_saveexec_b32 s0, s1
	s_cbranch_execz .LBB128_346
.LBB128_372:
	v_cmp_ne_u32_e32 vcc_lo, 1, v144
	v_lshlrev_b64 v[0:1], 3, v[140:141]
	s_cbranch_vccnz .LBB128_374
; %bb.373:
	v_add_co_u32 v26, vcc_lo, v76, v0
	v_add_co_ci_u32_e64 v27, null, v77, v1, vcc_lo
	flat_load_dwordx2 v[26:27], v[26:27]
	s_waitcnt vmcnt(0) lgkmcnt(0)
	v_mul_f64 v[26:27], s[10:11], v[26:27]
	v_cvt_f32_f64_e32 v26, v[26:27]
	s_branch .LBB128_375
.LBB128_374:
	v_mov_b32_e32 v26, 0
.LBB128_375:
	v_add_f64 v[22:23], v[22:23], v[14:15]
	v_add_f64 v[24:25], v[24:25], v[16:17]
	;; [unrolled: 1-line block ×4, first 2 shown]
	v_add_co_u32 v0, vcc_lo, v74, v0
	v_add_co_ci_u32_e64 v1, null, v75, v1, vcc_lo
	v_cvt_f32_f64_e32 v22, v[22:23]
	v_cvt_f32_f64_e32 v23, v[24:25]
	;; [unrolled: 1-line block ×4, first 2 shown]
	v_min3_f32 v20, v22, v23, v150
	v_min_f32_e32 v18, v18, v19
	v_min3_f32 v18, v26, v18, v20
	v_cvt_f64_f32_e32 v[18:19], v18
	flat_store_dwordx2 v[0:1], v[18:19]
	s_or_b32 exec_lo, exec_lo, s0
	s_and_b32 s0, s7, s8
	s_and_saveexec_b32 s1, s0
	s_cbranch_execz .LBB128_347
.LBB128_376:
	v_cmp_ne_u32_e32 vcc_lo, 1, v144
	v_lshlrev_b64 v[0:1], 3, v[142:143]
	s_cbranch_vccnz .LBB128_378
; %bb.377:
	v_add_co_u32 v18, vcc_lo, v76, v0
	v_add_co_ci_u32_e64 v19, null, v77, v1, vcc_lo
	flat_load_dwordx2 v[18:19], v[18:19]
	s_waitcnt vmcnt(0) lgkmcnt(0)
	v_mul_f64 v[18:19], s[10:11], v[18:19]
	v_cvt_f32_f64_e32 v18, v[18:19]
	s_branch .LBB128_379
.LBB128_378:
	v_mov_b32_e32 v18, 0
.LBB128_379:
	v_add_f64 v[6:7], v[6:7], v[14:15]
	v_add_f64 v[8:9], v[8:9], v[16:17]
	;; [unrolled: 1-line block ×4, first 2 shown]
	v_add_co_u32 v0, vcc_lo, v74, v0
	v_add_co_ci_u32_e64 v1, null, v75, v1, vcc_lo
	v_cvt_f32_f64_e32 v6, v[6:7]
	v_cvt_f32_f64_e32 v7, v[8:9]
	;; [unrolled: 1-line block ×4, first 2 shown]
	v_min3_f32 v4, v6, v7, v149
	v_min_f32_e32 v2, v2, v3
	v_min3_f32 v2, v18, v2, v4
	v_cvt_f64_f32_e32 v[2:3], v2
	flat_store_dwordx2 v[0:1], v[2:3]
	s_endpgm
	.section	.rodata,"a",@progbits
	.p2align	6, 0x0
	.amdhsa_kernel _ZN12_GLOBAL__N_120geam_min_plus_kernelId15HIP_vector_typeIdLj2EEdLi8ELi32ELi64ELi256ELi4ELi4ELi64ELi64ELi4ELc84ELc84ELb0ELb1ELb1EdKPKdKPdEEviiiT16_PT17_ilSA_ilS8_SA_ilPT18_ili26rocblas_geam_ex_operation_
		.amdhsa_group_segment_fixed_size 20480
		.amdhsa_private_segment_fixed_size 0
		.amdhsa_kernarg_size 136
		.amdhsa_user_sgpr_count 6
		.amdhsa_user_sgpr_private_segment_buffer 1
		.amdhsa_user_sgpr_dispatch_ptr 0
		.amdhsa_user_sgpr_queue_ptr 0
		.amdhsa_user_sgpr_kernarg_segment_ptr 1
		.amdhsa_user_sgpr_dispatch_id 0
		.amdhsa_user_sgpr_flat_scratch_init 0
		.amdhsa_user_sgpr_private_segment_size 0
		.amdhsa_wavefront_size32 1
		.amdhsa_uses_dynamic_stack 0
		.amdhsa_system_sgpr_private_segment_wavefront_offset 0
		.amdhsa_system_sgpr_workgroup_id_x 1
		.amdhsa_system_sgpr_workgroup_id_y 0
		.amdhsa_system_sgpr_workgroup_id_z 1
		.amdhsa_system_sgpr_workgroup_info 0
		.amdhsa_system_vgpr_workitem_id 1
		.amdhsa_next_free_vgpr 223
		.amdhsa_next_free_sgpr 31
		.amdhsa_reserve_vcc 1
		.amdhsa_reserve_flat_scratch 0
		.amdhsa_float_round_mode_32 0
		.amdhsa_float_round_mode_16_64 0
		.amdhsa_float_denorm_mode_32 3
		.amdhsa_float_denorm_mode_16_64 3
		.amdhsa_dx10_clamp 1
		.amdhsa_ieee_mode 1
		.amdhsa_fp16_overflow 0
		.amdhsa_workgroup_processor_mode 1
		.amdhsa_memory_ordered 1
		.amdhsa_forward_progress 1
		.amdhsa_shared_vgpr_count 0
		.amdhsa_exception_fp_ieee_invalid_op 0
		.amdhsa_exception_fp_denorm_src 0
		.amdhsa_exception_fp_ieee_div_zero 0
		.amdhsa_exception_fp_ieee_overflow 0
		.amdhsa_exception_fp_ieee_underflow 0
		.amdhsa_exception_fp_ieee_inexact 0
		.amdhsa_exception_int_div_zero 0
	.end_amdhsa_kernel
	.section	.text._ZN12_GLOBAL__N_120geam_min_plus_kernelId15HIP_vector_typeIdLj2EEdLi8ELi32ELi64ELi256ELi4ELi4ELi64ELi64ELi4ELc84ELc84ELb0ELb1ELb1EdKPKdKPdEEviiiT16_PT17_ilSA_ilS8_SA_ilPT18_ili26rocblas_geam_ex_operation_,"axG",@progbits,_ZN12_GLOBAL__N_120geam_min_plus_kernelId15HIP_vector_typeIdLj2EEdLi8ELi32ELi64ELi256ELi4ELi4ELi64ELi64ELi4ELc84ELc84ELb0ELb1ELb1EdKPKdKPdEEviiiT16_PT17_ilSA_ilS8_SA_ilPT18_ili26rocblas_geam_ex_operation_,comdat
.Lfunc_end128:
	.size	_ZN12_GLOBAL__N_120geam_min_plus_kernelId15HIP_vector_typeIdLj2EEdLi8ELi32ELi64ELi256ELi4ELi4ELi64ELi64ELi4ELc84ELc84ELb0ELb1ELb1EdKPKdKPdEEviiiT16_PT17_ilSA_ilS8_SA_ilPT18_ili26rocblas_geam_ex_operation_, .Lfunc_end128-_ZN12_GLOBAL__N_120geam_min_plus_kernelId15HIP_vector_typeIdLj2EEdLi8ELi32ELi64ELi256ELi4ELi4ELi64ELi64ELi4ELc84ELc84ELb0ELb1ELb1EdKPKdKPdEEviiiT16_PT17_ilSA_ilS8_SA_ilPT18_ili26rocblas_geam_ex_operation_
                                        ; -- End function
	.set _ZN12_GLOBAL__N_120geam_min_plus_kernelId15HIP_vector_typeIdLj2EEdLi8ELi32ELi64ELi256ELi4ELi4ELi64ELi64ELi4ELc84ELc84ELb0ELb1ELb1EdKPKdKPdEEviiiT16_PT17_ilSA_ilS8_SA_ilPT18_ili26rocblas_geam_ex_operation_.num_vgpr, 223
	.set _ZN12_GLOBAL__N_120geam_min_plus_kernelId15HIP_vector_typeIdLj2EEdLi8ELi32ELi64ELi256ELi4ELi4ELi64ELi64ELi4ELc84ELc84ELb0ELb1ELb1EdKPKdKPdEEviiiT16_PT17_ilSA_ilS8_SA_ilPT18_ili26rocblas_geam_ex_operation_.num_agpr, 0
	.set _ZN12_GLOBAL__N_120geam_min_plus_kernelId15HIP_vector_typeIdLj2EEdLi8ELi32ELi64ELi256ELi4ELi4ELi64ELi64ELi4ELc84ELc84ELb0ELb1ELb1EdKPKdKPdEEviiiT16_PT17_ilSA_ilS8_SA_ilPT18_ili26rocblas_geam_ex_operation_.numbered_sgpr, 31
	.set _ZN12_GLOBAL__N_120geam_min_plus_kernelId15HIP_vector_typeIdLj2EEdLi8ELi32ELi64ELi256ELi4ELi4ELi64ELi64ELi4ELc84ELc84ELb0ELb1ELb1EdKPKdKPdEEviiiT16_PT17_ilSA_ilS8_SA_ilPT18_ili26rocblas_geam_ex_operation_.num_named_barrier, 0
	.set _ZN12_GLOBAL__N_120geam_min_plus_kernelId15HIP_vector_typeIdLj2EEdLi8ELi32ELi64ELi256ELi4ELi4ELi64ELi64ELi4ELc84ELc84ELb0ELb1ELb1EdKPKdKPdEEviiiT16_PT17_ilSA_ilS8_SA_ilPT18_ili26rocblas_geam_ex_operation_.private_seg_size, 0
	.set _ZN12_GLOBAL__N_120geam_min_plus_kernelId15HIP_vector_typeIdLj2EEdLi8ELi32ELi64ELi256ELi4ELi4ELi64ELi64ELi4ELc84ELc84ELb0ELb1ELb1EdKPKdKPdEEviiiT16_PT17_ilSA_ilS8_SA_ilPT18_ili26rocblas_geam_ex_operation_.uses_vcc, 1
	.set _ZN12_GLOBAL__N_120geam_min_plus_kernelId15HIP_vector_typeIdLj2EEdLi8ELi32ELi64ELi256ELi4ELi4ELi64ELi64ELi4ELc84ELc84ELb0ELb1ELb1EdKPKdKPdEEviiiT16_PT17_ilSA_ilS8_SA_ilPT18_ili26rocblas_geam_ex_operation_.uses_flat_scratch, 0
	.set _ZN12_GLOBAL__N_120geam_min_plus_kernelId15HIP_vector_typeIdLj2EEdLi8ELi32ELi64ELi256ELi4ELi4ELi64ELi64ELi4ELc84ELc84ELb0ELb1ELb1EdKPKdKPdEEviiiT16_PT17_ilSA_ilS8_SA_ilPT18_ili26rocblas_geam_ex_operation_.has_dyn_sized_stack, 0
	.set _ZN12_GLOBAL__N_120geam_min_plus_kernelId15HIP_vector_typeIdLj2EEdLi8ELi32ELi64ELi256ELi4ELi4ELi64ELi64ELi4ELc84ELc84ELb0ELb1ELb1EdKPKdKPdEEviiiT16_PT17_ilSA_ilS8_SA_ilPT18_ili26rocblas_geam_ex_operation_.has_recursion, 0
	.set _ZN12_GLOBAL__N_120geam_min_plus_kernelId15HIP_vector_typeIdLj2EEdLi8ELi32ELi64ELi256ELi4ELi4ELi64ELi64ELi4ELc84ELc84ELb0ELb1ELb1EdKPKdKPdEEviiiT16_PT17_ilSA_ilS8_SA_ilPT18_ili26rocblas_geam_ex_operation_.has_indirect_call, 0
	.section	.AMDGPU.csdata,"",@progbits
; Kernel info:
; codeLenInByte = 29808
; TotalNumSgprs: 33
; NumVgprs: 223
; ScratchSize: 0
; MemoryBound: 1
; FloatMode: 240
; IeeeMode: 1
; LDSByteSize: 20480 bytes/workgroup (compile time only)
; SGPRBlocks: 0
; VGPRBlocks: 27
; NumSGPRsForWavesPerEU: 33
; NumVGPRsForWavesPerEU: 223
; Occupancy: 4
; WaveLimiterHint : 1
; COMPUTE_PGM_RSRC2:SCRATCH_EN: 0
; COMPUTE_PGM_RSRC2:USER_SGPR: 6
; COMPUTE_PGM_RSRC2:TRAP_HANDLER: 0
; COMPUTE_PGM_RSRC2:TGID_X_EN: 1
; COMPUTE_PGM_RSRC2:TGID_Y_EN: 0
; COMPUTE_PGM_RSRC2:TGID_Z_EN: 1
; COMPUTE_PGM_RSRC2:TIDIG_COMP_CNT: 1
	.section	.text._ZN12_GLOBAL__N_120geam_min_plus_kernelIdddLi4ELi64ELi128ELi128ELi4ELi64ELi4ELi4ELi64ELc78ELc78ELb0ELb0ELb0EPKdKS2_KPdEEviiiT16_PT17_ilS8_ilS6_S8_ilPT18_ili26rocblas_geam_ex_operation_,"axG",@progbits,_ZN12_GLOBAL__N_120geam_min_plus_kernelIdddLi4ELi64ELi128ELi128ELi4ELi64ELi4ELi4ELi64ELc78ELc78ELb0ELb0ELb0EPKdKS2_KPdEEviiiT16_PT17_ilS8_ilS6_S8_ilPT18_ili26rocblas_geam_ex_operation_,comdat
	.globl	_ZN12_GLOBAL__N_120geam_min_plus_kernelIdddLi4ELi64ELi128ELi128ELi4ELi64ELi4ELi4ELi64ELc78ELc78ELb0ELb0ELb0EPKdKS2_KPdEEviiiT16_PT17_ilS8_ilS6_S8_ilPT18_ili26rocblas_geam_ex_operation_ ; -- Begin function _ZN12_GLOBAL__N_120geam_min_plus_kernelIdddLi4ELi64ELi128ELi128ELi4ELi64ELi4ELi4ELi64ELc78ELc78ELb0ELb0ELb0EPKdKS2_KPdEEviiiT16_PT17_ilS8_ilS6_S8_ilPT18_ili26rocblas_geam_ex_operation_
	.p2align	8
	.type	_ZN12_GLOBAL__N_120geam_min_plus_kernelIdddLi4ELi64ELi128ELi128ELi4ELi64ELi4ELi4ELi64ELc78ELc78ELb0ELb0ELb0EPKdKS2_KPdEEviiiT16_PT17_ilS8_ilS6_S8_ilPT18_ili26rocblas_geam_ex_operation_,@function
_ZN12_GLOBAL__N_120geam_min_plus_kernelIdddLi4ELi64ELi128ELi128ELi4ELi64ELi4ELi4ELi64ELc78ELc78ELb0ELb0ELb0EPKdKS2_KPdEEviiiT16_PT17_ilS8_ilS6_S8_ilPT18_ili26rocblas_geam_ex_operation_: ; @_ZN12_GLOBAL__N_120geam_min_plus_kernelIdddLi4ELi64ELi128ELi128ELi4ELi64ELi4ELi4ELi64ELc78ELc78ELb0ELb0ELb0EPKdKS2_KPdEEviiiT16_PT17_ilS8_ilS6_S8_ilPT18_ili26rocblas_geam_ex_operation_
; %bb.0:
	s_load_dwordx4 s[16:19], s[4:5], 0x10
	s_add_u32 s0, s0, s8
	s_mov_b32 s8, s7
	s_mov_b32 s9, 0
	s_addc_u32 s1, s1, 0
	s_lshl_b64 s[24:25], s[8:9], 3
	s_clause 0x1
	s_load_dwordx4 s[8:11], s[4:5], 0x28
	s_load_dwordx2 s[26:27], s[4:5], 0x50
	s_mov_b64 s[20:21], 0
	s_mov_b64 s[22:23], 0
	s_waitcnt lgkmcnt(0)
	s_add_u32 s12, s16, s24
	s_addc_u32 s13, s17, s25
	s_load_dwordx2 s[16:17], s[12:13], 0x0
	s_load_dwordx4 s[12:15], s[4:5], 0x40
	s_waitcnt lgkmcnt(0)
	v_cmp_eq_f64_e64 s7, s[16:17], 0
	v_cmp_neq_f64_e64 s28, s[16:17], 0
	s_add_u32 s14, s14, s24
	s_addc_u32 s15, s15, s25
	s_and_b32 vcc_lo, exec_lo, s7
	s_cbranch_vccnz .LBB129_2
; %bb.1:
	s_add_u32 s18, s18, s24
	s_addc_u32 s19, s19, s25
	s_lshl_b64 s[8:9], s[8:9], 3
	s_load_dwordx2 s[18:19], s[18:19], 0x0
	s_waitcnt lgkmcnt(0)
	s_add_u32 s22, s18, s8
	s_addc_u32 s23, s19, s9
.LBB129_2:
	s_load_dwordx2 s[14:15], s[14:15], 0x0
	v_cndmask_b32_e64 v2, 0, 1, s28
	s_andn2_b32 vcc_lo, exec_lo, s28
	v_cmp_ne_u32_e64 s7, 1, v2
	s_cbranch_vccnz .LBB129_4
; %bb.3:
	s_add_u32 s8, s10, s24
	s_addc_u32 s9, s11, s25
	s_lshl_b64 s[10:11], s[12:13], 3
	s_load_dwordx2 s[8:9], s[8:9], 0x0
	s_waitcnt lgkmcnt(0)
	s_add_u32 s20, s8, s10
	s_addc_u32 s21, s9, s11
.LBB129_4:
	s_waitcnt lgkmcnt(0)
	v_cmp_eq_f64_e64 s12, s[14:15], 0
	s_load_dwordx4 s[8:11], s[4:5], 0x60
	s_and_b32 vcc_lo, exec_lo, s12
	s_mov_b64 s[12:13], 0
	s_cbranch_vccnz .LBB129_6
; %bb.5:
	s_add_u32 s12, s26, s24
	s_addc_u32 s13, s27, s25
	s_waitcnt lgkmcnt(0)
	s_lshl_b64 s[8:9], s[8:9], 3
	s_load_dwordx2 s[12:13], s[12:13], 0x0
	s_waitcnt lgkmcnt(0)
	s_add_u32 s12, s12, s8
	s_addc_u32 s13, s13, s9
.LBB129_6:
	s_clause 0x1
	s_load_dword s19, s[4:5], 0x20
	s_load_dword s18, s[4:5], 0x0
	v_mov_b32_e32 v9, 0
	v_lshl_add_u32 v8, v1, 2, v0
	v_mov_b32_e32 v16, 0
	buffer_store_dword v9, off, s[0:3], 0 offset:4
	buffer_store_dword v9, off, s[0:3], 0
	buffer_store_dword v9, off, s[0:3], 0 offset:12
	buffer_store_dword v9, off, s[0:3], 0 offset:8
	;; [unrolled: 1-line block ×40, first 2 shown]
	v_and_b32_e32 v80, 63, v8
	s_waitcnt lgkmcnt(0)
	s_ashr_i32 s26, s19, 31
	s_add_u32 s8, s10, s24
	s_addc_u32 s9, s11, s25
	s_add_i32 s10, s18, -1
	s_load_dwordx2 s[8:9], s[8:9], 0x0
	s_ashr_i32 s11, s10, 31
	v_mov_b32_e32 v4, 0
	s_lshr_b32 s11, s11, 25
	v_lshrrev_b32_e32 v84, 6, v8
	s_add_i32 s10, s10, s11
	v_mov_b32_e32 v17, 0
	s_ashr_i32 s10, s10, 7
	v_mov_b32_e32 v5, 0
	s_add_i32 s11, s10, 1
	s_not_b32 s10, s10
	v_cvt_f32_u32_e32 v2, s11
	buffer_store_dword v9, off, s[0:3], 0 offset:172
	buffer_store_dword v9, off, s[0:3], 0 offset:168
	;; [unrolled: 1-line block ×4, first 2 shown]
	v_rcp_iflag_f32_e32 v2, v2
	buffer_store_dword v9, off, s[0:3], 0 offset:188
	buffer_store_dword v9, off, s[0:3], 0 offset:184
	;; [unrolled: 1-line block ×80, first 2 shown]
	v_mul_f32_e32 v2, 0x4f7ffffe, v2
	buffer_store_dword v9, off, s[0:3], 0 offset:508
	buffer_store_dword v9, off, s[0:3], 0 offset:504
	v_cvt_u32_f32_e32 v2, v2
	v_readfirstlane_b32 s18, v2
	v_mov_b32_e32 v2, 0
	v_mov_b32_e32 v3, 0
	s_mul_i32 s10, s10, s18
	s_mul_hi_u32 s10, s18, s10
	s_add_i32 s18, s18, s10
	s_mul_hi_u32 s10, s6, s18
	s_mul_i32 s18, s10, s11
	s_add_i32 s24, s10, 1
	s_sub_i32 s18, s6, s18
	s_sub_i32 s25, s18, s11
	s_cmp_ge_u32 s18, s11
	s_cselect_b32 s10, s24, s10
	s_cselect_b32 s18, s25, s18
	s_add_i32 s24, s10, 1
	s_cmp_ge_u32 s18, s11
	s_cselect_b32 s10, s24, s10
	s_and_b32 vcc_lo, exec_lo, s7
	s_mul_i32 s11, s10, s11
	s_sub_i32 s6, s6, s11
	s_lshl_b32 s6, s6, 7
	v_or_b32_e32 v6, s6, v80
	v_ashrrev_i32_e32 v7, 31, v6
	s_cbranch_vccnz .LBB129_8
; %bb.7:
	v_mad_i64_i32 v[2:3], null, s19, v84, 0
	v_lshlrev_b64 v[4:5], 3, v[6:7]
	v_lshlrev_b64 v[2:3], 3, v[2:3]
	v_add_co_u32 v2, vcc_lo, s22, v2
	v_add_co_ci_u32_e64 v3, null, s23, v3, vcc_lo
	v_add_co_u32 v2, vcc_lo, v2, v4
	v_add_co_ci_u32_e64 v3, null, v3, v5, vcc_lo
	s_clause 0x1
	flat_load_dwordx2 v[4:5], v[2:3]
	flat_load_dwordx2 v[9:10], v[2:3] offset:512
	s_waitcnt vmcnt(1) lgkmcnt(0)
	v_mul_f64 v[2:3], s[16:17], v[4:5]
	s_waitcnt vmcnt(0)
	v_mul_f64 v[4:5], s[16:17], v[9:10]
.LBB129_8:
	s_load_dword s24, s[4:5], 0x38
	v_lshrrev_b32_e32 v20, 2, v8
	s_lshl_b32 s10, s10, 7
	v_and_b32_e32 v85, 3, v0
	v_mov_b32_e32 v18, 0
	v_mov_b32_e32 v19, 0
	v_add_nc_u32_e32 v82, s10, v20
	s_and_b32 vcc_lo, exec_lo, s7
	v_lshlrev_b32_e32 v21, 3, v85
	v_add_nc_u32_e32 v81, 64, v82
	s_cbranch_vccnz .LBB129_10
; %bb.9:
	s_waitcnt lgkmcnt(0)
	v_mad_i64_i32 v[8:9], null, v82, s24, 0
	v_mad_i64_i32 v[10:11], null, v81, s24, 0
	v_add_co_u32 v12, s11, s20, v21
	v_add_co_ci_u32_e64 v13, null, s21, 0, s11
	v_lshlrev_b64 v[8:9], 3, v[8:9]
	v_lshlrev_b64 v[10:11], 3, v[10:11]
	v_add_co_u32 v8, vcc_lo, v12, v8
	v_add_co_ci_u32_e64 v9, null, v13, v9, vcc_lo
	v_add_co_u32 v10, vcc_lo, v12, v10
	v_add_co_ci_u32_e64 v11, null, v13, v11, vcc_lo
	s_clause 0x1
	flat_load_dwordx2 v[8:9], v[8:9]
	flat_load_dwordx2 v[10:11], v[10:11]
	s_waitcnt vmcnt(1) lgkmcnt(1)
	v_mul_f64 v[16:17], s[16:17], v[8:9]
	s_waitcnt vmcnt(0) lgkmcnt(0)
	v_mul_f64 v[18:19], s[16:17], v[10:11]
.LBB129_10:
	v_mov_b32_e32 v12, 0
	v_mov_b32_e32 v8, 0
	;; [unrolled: 1-line block ×6, first 2 shown]
	v_add_nc_u32_e32 v86, 4, v84
	s_and_b32 vcc_lo, exec_lo, s7
	s_cbranch_vccnz .LBB129_12
; %bb.11:
	v_mad_i64_i32 v[8:9], null, s19, v86, 0
	v_lshlrev_b64 v[10:11], 3, v[6:7]
	v_lshlrev_b64 v[8:9], 3, v[8:9]
	v_add_co_u32 v8, vcc_lo, s22, v8
	v_add_co_ci_u32_e64 v9, null, s23, v9, vcc_lo
	v_add_co_u32 v8, vcc_lo, v8, v10
	v_add_co_ci_u32_e64 v9, null, v9, v11, vcc_lo
	s_clause 0x1
	flat_load_dwordx2 v[10:11], v[8:9]
	flat_load_dwordx2 v[14:15], v[8:9] offset:512
	s_waitcnt vmcnt(1) lgkmcnt(0)
	v_mul_f64 v[8:9], s[16:17], v[10:11]
	s_waitcnt vmcnt(0)
	v_mul_f64 v[10:11], s[16:17], v[14:15]
.LBB129_12:
	v_mov_b32_e32 v14, 0
	v_mov_b32_e32 v15, 0
	s_and_b32 vcc_lo, exec_lo, s7
	s_cbranch_vccnz .LBB129_14
; %bb.13:
	s_waitcnt lgkmcnt(0)
	v_mad_i64_i32 v[12:13], null, v82, s24, 0
	v_mad_i64_i32 v[14:15], null, v81, s24, 0
	v_add_co_u32 v22, s11, s20, v21
	v_add_co_ci_u32_e64 v23, null, s21, 0, s11
	v_lshlrev_b64 v[12:13], 3, v[12:13]
	v_lshlrev_b64 v[14:15], 3, v[14:15]
	v_add_co_u32 v12, vcc_lo, v22, v12
	v_add_co_ci_u32_e64 v13, null, v23, v13, vcc_lo
	v_add_co_u32 v14, vcc_lo, v22, v14
	v_add_co_ci_u32_e64 v15, null, v23, v15, vcc_lo
	s_clause 0x1
	flat_load_dwordx2 v[12:13], v[12:13] offset:32
	flat_load_dwordx2 v[14:15], v[14:15] offset:32
	s_waitcnt vmcnt(1) lgkmcnt(1)
	v_mul_f64 v[12:13], s[16:17], v[12:13]
	s_waitcnt vmcnt(0) lgkmcnt(0)
	v_mul_f64 v[14:15], s[16:17], v[14:15]
.LBB129_14:
	v_cmp_neq_f64_e64 s11, s[14:15], 0
	v_lshlrev_b32_e32 v22, 5, v80
	v_lshl_or_b32 v83, v20, 5, v21
	v_lshlrev_b32_e32 v89, 5, v0
	v_lshl_or_b32 v90, v1, 5, 0x2000
	s_mov_b32 s18, 0
	v_lshl_add_u32 v87, v84, 3, v22
	v_add_nc_u32_e32 v88, 0x2000, v83
	s_addk_i32 s18, 0x100
	s_mov_b32 s25, 0
	ds_write2st64_b64 v83, v[16:17], v[18:19] offset0:16 offset1:20
	ds_write2st64_b64 v87, v[2:3], v[4:5] offset1:4
	s_waitcnt lgkmcnt(0)
	s_waitcnt_vscnt null, 0x0
	s_barrier
	buffer_gl0_inv
.LBB129_15:                             ; =>This Loop Header: Depth=1
                                        ;     Child Loop BB129_16 Depth 2
	s_lshl_b32 s27, s25, 3
	s_mov_b32 s28, 0
	v_add_nc_u32_e32 v16, s27, v89
	v_add_nc_u32_e32 v91, s27, v90
	s_mov_b32 s27, -1
	ds_read2_b64 v[2:5], v16 offset1:16
	ds_read2_b64 v[20:23], v16 offset0:32 offset1:48
	ds_read2_b64 v[24:27], v16 offset0:64 offset1:80
	;; [unrolled: 1-line block ×4, first 2 shown]
	v_add_nc_u32_e32 v76, 0x800, v16
	ds_read2_b64 v[36:39], v16 offset0:160 offset1:176
	ds_read2_b64 v[40:43], v16 offset0:192 offset1:208
	;; [unrolled: 1-line block ×3, first 2 shown]
	ds_read2_b64 v[48:51], v76 offset1:16
	ds_read2_b64 v[52:55], v76 offset0:32 offset1:48
	ds_read2_b64 v[56:59], v76 offset0:64 offset1:80
	;; [unrolled: 1-line block ×6, first 2 shown]
	s_waitcnt lgkmcnt(9)
	v_max_f64 v[36:37], v[36:37], v[36:37]
	v_max_f64 v[38:39], v[38:39], v[38:39]
	;; [unrolled: 1-line block ×4, first 2 shown]
	ds_read2_b64 v[2:5], v76 offset0:224 offset1:240
	v_max_f64 v[20:21], v[20:21], v[20:21]
	v_max_f64 v[22:23], v[22:23], v[22:23]
	;; [unrolled: 1-line block ×8, first 2 shown]
	s_waitcnt lgkmcnt(9)
	v_max_f64 v[40:41], v[40:41], v[40:41]
	v_max_f64 v[42:43], v[42:43], v[42:43]
	s_waitcnt lgkmcnt(8)
	v_max_f64 v[44:45], v[44:45], v[44:45]
	v_max_f64 v[46:47], v[46:47], v[46:47]
	;; [unrolled: 3-line block ×10, first 2 shown]
	ds_read2st64_b64 v[2:5], v91 offset1:4
.LBB129_16:                             ;   Parent Loop BB129_15 Depth=1
                                        ; =>  This Inner Loop Header: Depth=2
	v_mov_b32_e32 v219, s28
	s_waitcnt lgkmcnt(0)
	v_max_f64 v[155:156], v[2:3], v[2:3]
	v_mov_b32_e32 v2, v4
	v_mov_b32_e32 v3, v5
	s_and_b32 vcc_lo, exec_lo, s27
	s_clause 0x3e
	buffer_load_dword v91, v219, s[0:3], 0 offen
	buffer_load_dword v92, v219, s[0:3], 0 offen offset:4
	buffer_load_dword v93, v219, s[0:3], 0 offen offset:8
	;; [unrolled: 1-line block ×63, first 2 shown]
	s_mov_b32 s27, 0
	s_mov_b32 s28, s18
	v_min_f64 v[157:158], v[16:17], v[155:156]
	v_min_f64 v[159:160], v[18:19], v[155:156]
	;; [unrolled: 1-line block ×32, first 2 shown]
	s_waitcnt vmcnt(62)
	v_add_f64 v[91:92], v[157:158], v[91:92]
	s_waitcnt vmcnt(60)
	v_add_f64 v[93:94], v[159:160], v[93:94]
	;; [unrolled: 2-line block ×32, first 2 shown]
	buffer_store_dword v91, v219, s[0:3], 0 offen
	buffer_store_dword v92, v219, s[0:3], 0 offen offset:4
	buffer_store_dword v93, v219, s[0:3], 0 offen offset:8
	;; [unrolled: 1-line block ×63, first 2 shown]
	s_cbranch_vccnz .LBB129_16
; %bb.17:                               ;   in Loop: Header=BB129_15 Depth=1
	s_add_i32 s25, s25, 1
	s_cmp_eq_u32 s25, 4
	s_cbranch_scc0 .LBB129_15
; %bb.18:
	s_load_dword s25, s[4:5], 0x8
	v_lshlrev_b32_e32 v2, 3, v84
	v_lshl_add_u32 v91, v0, 5, 0x1000
	v_lshl_add_u32 v92, v1, 5, 0x3000
	;; [unrolled: 1-line block ×3, first 2 shown]
	ds_write2st64_b64 v2, v[8:9], v[10:11] offset0:8 offset1:12
	ds_write2st64_b64 v83, v[12:13], v[14:15] offset0:24 offset1:28
	s_waitcnt lgkmcnt(0)
	s_waitcnt_vscnt null, 0x0
	s_barrier
	buffer_gl0_inv
	s_cmp_lt_i32 s25, 9
	s_cbranch_scc1 .LBB129_37
; %bb.19:
	v_mad_i64_i32 v[3:4], null, v82, s24, 0
	v_lshlrev_b64 v[5:6], 3, v[6:7]
	v_mad_i64_i32 v[7:8], null, v81, s24, 0
	v_or_b32_e32 v93, 0x1000, v2
	v_add_nc_u32_e32 v94, 0x3000, v83
	v_mov_b32_e32 v75, 0
	v_add_co_u32 v95, vcc_lo, s22, v5
	v_lshlrev_b64 v[70:71], 3, v[3:4]
	v_lshlrev_b64 v[72:73], 3, v[7:8]
	v_add_co_ci_u32_e64 v96, null, s23, v6, vcc_lo
	s_add_i32 s22, s25, -8
	s_mov_b32 s23, 8
	s_mov_b32 s24, 0
.LBB129_20:                             ; =>This Loop Header: Depth=1
                                        ;     Child Loop BB129_25 Depth 2
                                        ;       Child Loop BB129_26 Depth 3
                                        ;     Child Loop BB129_33 Depth 2
                                        ;       Child Loop BB129_34 Depth 3
	v_mov_b32_e32 v6, 0
	v_mov_b32_e32 v8, 0
	;; [unrolled: 1-line block ×6, first 2 shown]
	s_and_b32 vcc_lo, exec_lo, s7
	s_cbranch_vccnz .LBB129_22
; %bb.21:                               ;   in Loop: Header=BB129_20 Depth=1
	v_add_nc_u32_e32 v4, s23, v84
	v_mad_u64_u32 v[2:3], null, v4, s19, 0
	v_mad_u64_u32 v[3:4], null, v4, s26, v[3:4]
	v_lshlrev_b64 v[2:3], 3, v[2:3]
	v_add_co_u32 v2, vcc_lo, v95, v2
	v_add_co_ci_u32_e64 v3, null, v96, v3, vcc_lo
	s_clause 0x1
	flat_load_dwordx2 v[4:5], v[2:3]
	flat_load_dwordx2 v[2:3], v[2:3] offset:512
	s_waitcnt vmcnt(1) lgkmcnt(1)
	v_mul_f64 v[8:9], s[16:17], v[4:5]
	s_waitcnt vmcnt(0) lgkmcnt(0)
	v_mul_f64 v[10:11], s[16:17], v[2:3]
.LBB129_22:                             ;   in Loop: Header=BB129_20 Depth=1
	v_mov_b32_e32 v12, 0
	v_mov_b32_e32 v13, 0
	s_and_b32 vcc_lo, exec_lo, s7
	s_cbranch_vccnz .LBB129_24
; %bb.23:                               ;   in Loop: Header=BB129_20 Depth=1
	v_or_b32_e32 v74, s23, v85
	v_lshlrev_b64 v[2:3], 3, v[74:75]
	v_add_co_u32 v4, vcc_lo, s20, v2
	v_add_co_ci_u32_e64 v5, null, s21, v3, vcc_lo
	v_add_co_u32 v2, vcc_lo, v4, v70
	v_add_co_ci_u32_e64 v3, null, v5, v71, vcc_lo
	;; [unrolled: 2-line block ×3, first 2 shown]
	s_clause 0x1
	flat_load_dwordx2 v[2:3], v[2:3]
	flat_load_dwordx2 v[4:5], v[4:5]
	s_waitcnt vmcnt(1) lgkmcnt(1)
	v_mul_f64 v[6:7], s[16:17], v[2:3]
	s_waitcnt vmcnt(0) lgkmcnt(0)
	v_mul_f64 v[12:13], s[16:17], v[4:5]
.LBB129_24:                             ;   in Loop: Header=BB129_20 Depth=1
	s_mov_b32 s25, 0
.LBB129_25:                             ;   Parent Loop BB129_20 Depth=1
                                        ; =>  This Loop Header: Depth=2
                                        ;       Child Loop BB129_26 Depth 3
	s_lshl_b32 s27, s25, 3
	s_mov_b32 s28, 0
	v_add_nc_u32_e32 v14, s27, v91
	v_add_nc_u32_e32 v74, s27, v92
	s_mov_b32 s27, -1
	ds_read2_b64 v[2:5], v14 offset1:16
	ds_read2_b64 v[18:21], v14 offset0:32 offset1:48
	ds_read2_b64 v[22:25], v14 offset0:64 offset1:80
	v_add_nc_u32_e32 v15, 0x800, v14
	ds_read2_b64 v[26:29], v14 offset0:96 offset1:112
	ds_read2_b64 v[30:33], v14 offset0:128 offset1:144
	;; [unrolled: 1-line block ×5, first 2 shown]
	ds_read2_b64 v[46:49], v15 offset1:16
	ds_read2_b64 v[50:53], v15 offset0:32 offset1:48
	ds_read2_b64 v[54:57], v15 offset0:64 offset1:80
	;; [unrolled: 1-line block ×7, first 2 shown]
	s_waitcnt lgkmcnt(11)
	v_max_f64 v[30:31], v[30:31], v[30:31]
	v_max_f64 v[32:33], v[32:33], v[32:33]
	s_waitcnt lgkmcnt(10)
	v_max_f64 v[34:35], v[34:35], v[34:35]
	v_max_f64 v[36:37], v[36:37], v[36:37]
	;; [unrolled: 3-line block ×3, first 2 shown]
	v_max_f64 v[14:15], v[2:3], v[2:3]
	v_max_f64 v[16:17], v[4:5], v[4:5]
	;; [unrolled: 1-line block ×8, first 2 shown]
	s_waitcnt lgkmcnt(8)
	v_max_f64 v[42:43], v[42:43], v[42:43]
	v_max_f64 v[44:45], v[44:45], v[44:45]
	s_waitcnt lgkmcnt(7)
	v_max_f64 v[46:47], v[46:47], v[46:47]
	v_max_f64 v[48:49], v[48:49], v[48:49]
	s_waitcnt lgkmcnt(6)
	v_max_f64 v[50:51], v[50:51], v[50:51]
	v_max_f64 v[52:53], v[52:53], v[52:53]
	s_waitcnt lgkmcnt(5)
	v_max_f64 v[54:55], v[54:55], v[54:55]
	v_max_f64 v[56:57], v[56:57], v[56:57]
	s_waitcnt lgkmcnt(4)
	v_max_f64 v[58:59], v[58:59], v[58:59]
	v_max_f64 v[60:61], v[60:61], v[60:61]
	s_waitcnt lgkmcnt(3)
	v_max_f64 v[62:63], v[62:63], v[62:63]
	v_max_f64 v[64:65], v[64:65], v[64:65]
	s_waitcnt lgkmcnt(2)
	v_max_f64 v[66:67], v[66:67], v[66:67]
	v_max_f64 v[68:69], v[68:69], v[68:69]
	s_waitcnt lgkmcnt(1)
	v_max_f64 v[76:77], v[76:77], v[76:77]
	v_max_f64 v[78:79], v[78:79], v[78:79]
	s_waitcnt lgkmcnt(0)
	v_max_f64 v[80:81], v[80:81], v[80:81]
	v_max_f64 v[82:83], v[82:83], v[82:83]
	ds_read2st64_b64 v[2:5], v74 offset1:4
.LBB129_26:                             ;   Parent Loop BB129_20 Depth=1
                                        ;     Parent Loop BB129_25 Depth=2
                                        ; =>    This Inner Loop Header: Depth=3
	v_mov_b32_e32 v74, s28
	s_waitcnt lgkmcnt(0)
	v_max_f64 v[161:162], v[2:3], v[2:3]
	v_mov_b32_e32 v2, v4
	v_mov_b32_e32 v3, v5
	s_and_b32 vcc_lo, exec_lo, s27
	s_clause 0x3e
	buffer_load_dword v97, v74, s[0:3], 0 offen
	buffer_load_dword v98, v74, s[0:3], 0 offen offset:4
	buffer_load_dword v99, v74, s[0:3], 0 offen offset:8
	;; [unrolled: 1-line block ×63, first 2 shown]
	s_mov_b32 s27, 0
	s_mov_b32 s28, s18
	v_min_f64 v[163:164], v[14:15], v[161:162]
	v_min_f64 v[165:166], v[16:17], v[161:162]
	v_min_f64 v[167:168], v[18:19], v[161:162]
	v_min_f64 v[169:170], v[20:21], v[161:162]
	v_min_f64 v[171:172], v[22:23], v[161:162]
	v_min_f64 v[173:174], v[24:25], v[161:162]
	v_min_f64 v[175:176], v[26:27], v[161:162]
	v_min_f64 v[177:178], v[28:29], v[161:162]
	v_min_f64 v[179:180], v[30:31], v[161:162]
	v_min_f64 v[181:182], v[32:33], v[161:162]
	v_min_f64 v[183:184], v[34:35], v[161:162]
	v_min_f64 v[185:186], v[36:37], v[161:162]
	v_min_f64 v[187:188], v[38:39], v[161:162]
	v_min_f64 v[189:190], v[40:41], v[161:162]
	v_min_f64 v[191:192], v[42:43], v[161:162]
	v_min_f64 v[193:194], v[44:45], v[161:162]
	v_min_f64 v[195:196], v[46:47], v[161:162]
	v_min_f64 v[197:198], v[48:49], v[161:162]
	v_min_f64 v[199:200], v[50:51], v[161:162]
	v_min_f64 v[201:202], v[52:53], v[161:162]
	v_min_f64 v[203:204], v[54:55], v[161:162]
	v_min_f64 v[205:206], v[56:57], v[161:162]
	v_min_f64 v[207:208], v[58:59], v[161:162]
	v_min_f64 v[209:210], v[60:61], v[161:162]
	v_min_f64 v[211:212], v[62:63], v[161:162]
	v_min_f64 v[213:214], v[64:65], v[161:162]
	v_min_f64 v[215:216], v[66:67], v[161:162]
	v_min_f64 v[217:218], v[68:69], v[161:162]
	v_min_f64 v[219:220], v[76:77], v[161:162]
	v_min_f64 v[221:222], v[78:79], v[161:162]
	v_min_f64 v[223:224], v[80:81], v[161:162]
	v_min_f64 v[161:162], v[82:83], v[161:162]
	s_waitcnt vmcnt(62)
	v_add_f64 v[97:98], v[163:164], v[97:98]
	s_waitcnt vmcnt(60)
	v_add_f64 v[99:100], v[165:166], v[99:100]
	;; [unrolled: 2-line block ×32, first 2 shown]
	buffer_store_dword v97, v74, s[0:3], 0 offen
	buffer_store_dword v98, v74, s[0:3], 0 offen offset:4
	buffer_store_dword v99, v74, s[0:3], 0 offen offset:8
	;; [unrolled: 1-line block ×63, first 2 shown]
	s_cbranch_vccnz .LBB129_26
; %bb.27:                               ;   in Loop: Header=BB129_25 Depth=2
	s_add_i32 s25, s25, 1
	s_cmp_eq_u32 s25, 4
	s_cbranch_scc0 .LBB129_25
; %bb.28:                               ;   in Loop: Header=BB129_20 Depth=1
	v_mov_b32_e32 v78, 0
	v_mov_b32_e32 v76, 0
	;; [unrolled: 1-line block ×6, first 2 shown]
	s_and_b32 vcc_lo, exec_lo, s7
	ds_write2st64_b64 v87, v[8:9], v[10:11] offset1:4
	ds_write2st64_b64 v88, v[6:7], v[12:13] offset1:4
	s_waitcnt lgkmcnt(0)
	s_waitcnt_vscnt null, 0x0
	s_barrier
	buffer_gl0_inv
	s_cbranch_vccnz .LBB129_30
; %bb.29:                               ;   in Loop: Header=BB129_20 Depth=1
	v_add_nc_u32_e32 v4, s23, v86
	v_mad_u64_u32 v[2:3], null, v4, s19, 0
	v_mad_u64_u32 v[3:4], null, v4, s26, v[3:4]
	v_lshlrev_b64 v[2:3], 3, v[2:3]
	v_add_co_u32 v2, vcc_lo, v95, v2
	v_add_co_ci_u32_e64 v3, null, v96, v3, vcc_lo
	s_clause 0x1
	flat_load_dwordx2 v[4:5], v[2:3]
	flat_load_dwordx2 v[2:3], v[2:3] offset:512
	s_waitcnt vmcnt(1) lgkmcnt(1)
	v_mul_f64 v[76:77], s[16:17], v[4:5]
	s_waitcnt vmcnt(0) lgkmcnt(0)
	v_mul_f64 v[80:81], s[16:17], v[2:3]
.LBB129_30:                             ;   in Loop: Header=BB129_20 Depth=1
	v_mov_b32_e32 v82, 0
	v_mov_b32_e32 v83, 0
	s_and_b32 vcc_lo, exec_lo, s7
	s_cbranch_vccnz .LBB129_32
; %bb.31:                               ;   in Loop: Header=BB129_20 Depth=1
	v_or_b32_e32 v74, s23, v85
	v_lshlrev_b64 v[2:3], 3, v[74:75]
	v_add_co_u32 v4, vcc_lo, s20, v2
	v_add_co_ci_u32_e64 v5, null, s21, v3, vcc_lo
	v_add_co_u32 v2, vcc_lo, v4, v70
	v_add_co_ci_u32_e64 v3, null, v5, v71, vcc_lo
	;; [unrolled: 2-line block ×3, first 2 shown]
	s_clause 0x1
	flat_load_dwordx2 v[2:3], v[2:3] offset:32
	flat_load_dwordx2 v[4:5], v[4:5] offset:32
	s_waitcnt vmcnt(1) lgkmcnt(1)
	v_mul_f64 v[78:79], s[16:17], v[2:3]
	s_waitcnt vmcnt(0) lgkmcnt(0)
	v_mul_f64 v[82:83], s[16:17], v[4:5]
.LBB129_32:                             ;   in Loop: Header=BB129_20 Depth=1
	s_mov_b32 s25, 0
.LBB129_33:                             ;   Parent Loop BB129_20 Depth=1
                                        ; =>  This Loop Header: Depth=2
                                        ;       Child Loop BB129_34 Depth 3
	s_lshl_b32 s27, s25, 3
	s_mov_b32 s28, 0
	v_add_nc_u32_e32 v30, s27, v89
	v_add_nc_u32_e32 v66, s27, v90
	s_mov_b32 s27, -1
	ds_read2_b64 v[2:5], v30 offset1:16
	ds_read2_b64 v[6:9], v30 offset0:32 offset1:48
	ds_read2_b64 v[10:13], v30 offset0:64 offset1:80
	;; [unrolled: 1-line block ×3, first 2 shown]
	v_add_nc_u32_e32 v62, 0x800, v30
	ds_read2_b64 v[18:21], v30 offset0:128 offset1:144
	ds_read2_b64 v[22:25], v30 offset0:160 offset1:176
	;; [unrolled: 1-line block ×4, first 2 shown]
	ds_read2_b64 v[34:37], v62 offset1:16
	ds_read2_b64 v[38:41], v62 offset0:32 offset1:48
	ds_read2_b64 v[42:45], v62 offset0:64 offset1:80
	;; [unrolled: 1-line block ×7, first 2 shown]
	ds_read2st64_b64 v[66:69], v66 offset1:4
.LBB129_34:                             ;   Parent Loop BB129_20 Depth=1
                                        ;     Parent Loop BB129_33 Depth=2
                                        ; =>    This Inner Loop Header: Depth=3
	v_mov_b32_e32 v74, s28
	s_waitcnt lgkmcnt(16)
	v_max_f64 v[161:162], v[2:3], v[2:3]
	s_waitcnt lgkmcnt(0)
	v_max_f64 v[163:164], v[66:67], v[66:67]
	v_max_f64 v[165:166], v[4:5], v[4:5]
	;; [unrolled: 1-line block ×3, first 2 shown]
	s_clause 0x3e
	buffer_load_dword v97, v74, s[0:3], 0 offen
	buffer_load_dword v98, v74, s[0:3], 0 offen offset:4
	buffer_load_dword v99, v74, s[0:3], 0 offen offset:8
	;; [unrolled: 1-line block ×63, first 2 shown]
	v_max_f64 v[169:170], v[8:9], v[8:9]
	v_max_f64 v[171:172], v[10:11], v[10:11]
	;; [unrolled: 1-line block ×29, first 2 shown]
	v_min_f64 v[161:162], v[161:162], v[163:164]
	v_min_f64 v[165:166], v[165:166], v[163:164]
	;; [unrolled: 1-line block ×32, first 2 shown]
	v_mov_b32_e32 v66, v68
	v_mov_b32_e32 v67, v69
	s_and_b32 vcc_lo, exec_lo, s27
	s_mov_b32 s27, 0
	s_mov_b32 s28, s18
	s_waitcnt vmcnt(62)
	v_add_f64 v[97:98], v[161:162], v[97:98]
	s_waitcnt vmcnt(60)
	v_add_f64 v[99:100], v[165:166], v[99:100]
	;; [unrolled: 2-line block ×32, first 2 shown]
	buffer_store_dword v97, v74, s[0:3], 0 offen
	buffer_store_dword v98, v74, s[0:3], 0 offen offset:4
	buffer_store_dword v99, v74, s[0:3], 0 offen offset:8
	;; [unrolled: 1-line block ×63, first 2 shown]
	s_cbranch_vccnz .LBB129_34
; %bb.35:                               ;   in Loop: Header=BB129_33 Depth=2
	s_add_i32 s25, s25, 1
	s_cmp_eq_u32 s25, 4
	s_cbranch_scc0 .LBB129_33
; %bb.36:                               ;   in Loop: Header=BB129_20 Depth=1
	s_add_i32 s24, s24, 8
	s_add_i32 s23, s23, 8
	s_cmp_ge_i32 s24, s22
	ds_write2st64_b64 v93, v[76:77], v[80:81] offset1:4
	ds_write2st64_b64 v94, v[78:79], v[82:83] offset1:4
	s_waitcnt lgkmcnt(0)
	s_waitcnt_vscnt null, 0x0
	s_barrier
	buffer_gl0_inv
	s_cbranch_scc0 .LBB129_20
.LBB129_37:
	s_mov_b32 s7, 0
.LBB129_38:                             ; =>This Loop Header: Depth=1
                                        ;     Child Loop BB129_39 Depth 2
	s_lshl_b32 s16, s7, 3
	s_mov_b32 s17, 0
	v_add_nc_u32_e32 v6, s16, v91
	v_add_nc_u32_e32 v70, s16, v92
	s_mov_b32 s16, -1
	ds_read2_b64 v[2:5], v6 offset1:16
	ds_read2_b64 v[10:13], v6 offset0:32 offset1:48
	ds_read2_b64 v[14:17], v6 offset0:64 offset1:80
	v_add_nc_u32_e32 v7, 0x800, v6
	ds_read2_b64 v[18:21], v6 offset0:96 offset1:112
	ds_read2_b64 v[22:25], v6 offset0:128 offset1:144
	;; [unrolled: 1-line block ×5, first 2 shown]
	ds_read2_b64 v[38:41], v7 offset1:16
	ds_read2_b64 v[42:45], v7 offset0:32 offset1:48
	ds_read2_b64 v[46:49], v7 offset0:64 offset1:80
	;; [unrolled: 1-line block ×7, first 2 shown]
	s_waitcnt lgkmcnt(11)
	v_max_f64 v[22:23], v[22:23], v[22:23]
	v_max_f64 v[24:25], v[24:25], v[24:25]
	s_waitcnt lgkmcnt(10)
	v_max_f64 v[26:27], v[26:27], v[26:27]
	v_max_f64 v[28:29], v[28:29], v[28:29]
	;; [unrolled: 3-line block ×3, first 2 shown]
	v_max_f64 v[6:7], v[2:3], v[2:3]
	v_max_f64 v[8:9], v[4:5], v[4:5]
	;; [unrolled: 1-line block ×8, first 2 shown]
	s_waitcnt lgkmcnt(8)
	v_max_f64 v[34:35], v[34:35], v[34:35]
	v_max_f64 v[36:37], v[36:37], v[36:37]
	s_waitcnt lgkmcnt(7)
	v_max_f64 v[38:39], v[38:39], v[38:39]
	v_max_f64 v[40:41], v[40:41], v[40:41]
	;; [unrolled: 3-line block ×9, first 2 shown]
	ds_read2st64_b64 v[2:5], v70 offset1:4
.LBB129_39:                             ;   Parent Loop BB129_38 Depth=1
                                        ; =>  This Inner Loop Header: Depth=2
	v_mov_b32_e32 v90, s17
	s_waitcnt lgkmcnt(0)
	v_max_f64 v[137:138], v[2:3], v[2:3]
	v_mov_b32_e32 v2, v4
	v_mov_b32_e32 v3, v5
	s_and_b32 vcc_lo, exec_lo, s16
	s_clause 0x3e
	buffer_load_dword v70, v90, s[0:3], 0 offen
	buffer_load_dword v71, v90, s[0:3], 0 offen offset:4
	buffer_load_dword v72, v90, s[0:3], 0 offen offset:8
	;; [unrolled: 1-line block ×63, first 2 shown]
	s_mov_b32 s16, 0
	s_mov_b32 s17, s18
	v_min_f64 v[139:140], v[6:7], v[137:138]
	v_min_f64 v[141:142], v[8:9], v[137:138]
	;; [unrolled: 1-line block ×32, first 2 shown]
	s_waitcnt vmcnt(62)
	v_add_f64 v[70:71], v[139:140], v[70:71]
	s_waitcnt vmcnt(60)
	v_add_f64 v[72:73], v[141:142], v[72:73]
	;; [unrolled: 2-line block ×32, first 2 shown]
	buffer_store_dword v70, v90, s[0:3], 0 offen
	buffer_store_dword v71, v90, s[0:3], 0 offen offset:4
	buffer_store_dword v72, v90, s[0:3], 0 offen offset:8
	;; [unrolled: 1-line block ×63, first 2 shown]
	s_cbranch_vccnz .LBB129_39
; %bb.40:                               ;   in Loop: Header=BB129_38 Depth=1
	s_add_i32 s7, s7, 1
	s_cmp_eq_u32 s7, 4
	s_cbranch_scc0 .LBB129_38
; %bb.41:
	s_clause 0x1
	buffer_load_dword v2, off, s[0:3], 0
	buffer_load_dword v3, off, s[0:3], 0 offset:4
	s_load_dword s7, s[4:5], 0x58
	v_add_nc_u32_e32 v69, s10, v1
	v_add_nc_u32_e32 v12, s6, v0
	v_cndmask_b32_e64 v0, 0, 1, s11
	v_mov_b32_e32 v6, 0
	v_mov_b32_e32 v7, 0
	v_ashrrev_i32_e32 v13, 31, v12
	v_cmp_ne_u32_e64 s6, 1, v0
	v_lshlrev_b64 v[0:1], 3, v[12:13]
	s_waitcnt lgkmcnt(0)
	v_mad_i64_i32 v[4:5], null, v69, s7, 0
	v_lshlrev_b64 v[8:9], 3, v[4:5]
	v_mov_b32_e32 v4, 0
	v_mov_b32_e32 v5, 0
	v_add_co_u32 v70, vcc_lo, s12, v8
	v_add_co_ci_u32_e64 v71, null, s13, v9, vcc_lo
	s_andn2_b32 vcc_lo, exec_lo, s11
	s_cbranch_vccnz .LBB129_43
; %bb.42:
	v_add_co_u32 v6, vcc_lo, v70, v0
	v_add_co_ci_u32_e64 v7, null, v71, v1, vcc_lo
	flat_load_dwordx2 v[6:7], v[6:7]
	s_waitcnt vmcnt(0) lgkmcnt(0)
	v_mul_f64 v[6:7], s[14:15], v[6:7]
.LBB129_43:
	s_clause 0x1
	s_load_dword s10, s[4:5], 0x70
	s_load_dwordx2 s[4:5], s[4:5], 0x78
	s_waitcnt vmcnt(0)
	v_add_f64 v[2:3], v[2:3], v[6:7]
	s_waitcnt lgkmcnt(0)
	v_mad_i64_i32 v[8:9], null, v69, s10, 0
	s_lshl_b64 s[4:5], s[4:5], 3
	s_add_u32 s4, s8, s4
	s_addc_u32 s5, s9, s5
	v_lshlrev_b64 v[6:7], 3, v[8:9]
	v_add_co_u32 v72, vcc_lo, s4, v6
	v_add_co_ci_u32_e64 v73, null, s5, v7, vcc_lo
	v_add_co_u32 v6, vcc_lo, v72, v0
	v_add_co_ci_u32_e64 v7, null, v73, v1, vcc_lo
	s_and_b32 vcc_lo, exec_lo, s6
	flat_store_dwordx2 v[6:7], v[2:3]
	s_clause 0x1
	buffer_load_dword v6, off, s[0:3], 0 offset:8
	buffer_load_dword v7, off, s[0:3], 0 offset:12
	v_add_nc_u32_e32 v2, 4, v12
	v_ashrrev_i32_e32 v3, 31, v2
	v_lshlrev_b64 v[2:3], 3, v[2:3]
	s_cbranch_vccnz .LBB129_45
; %bb.44:
	v_add_co_u32 v4, vcc_lo, v70, v2
	v_add_co_ci_u32_e64 v5, null, v71, v3, vcc_lo
	flat_load_dwordx2 v[4:5], v[4:5]
	s_waitcnt vmcnt(0) lgkmcnt(0)
	v_mul_f64 v[4:5], s[14:15], v[4:5]
.LBB129_45:
	s_waitcnt vmcnt(0)
	v_add_f64 v[4:5], v[6:7], v[4:5]
	v_add_co_u32 v6, vcc_lo, v72, v2
	v_add_co_ci_u32_e64 v7, null, v73, v3, vcc_lo
	v_mov_b32_e32 v8, 0
	v_mov_b32_e32 v10, 0
	v_mov_b32_e32 v9, 0
	v_mov_b32_e32 v11, 0
	s_and_b32 vcc_lo, exec_lo, s6
	flat_store_dwordx2 v[6:7], v[4:5]
	s_clause 0x1
	buffer_load_dword v6, off, s[0:3], 0 offset:16
	buffer_load_dword v7, off, s[0:3], 0 offset:20
	v_add_nc_u32_e32 v4, 8, v12
	v_ashrrev_i32_e32 v5, 31, v4
	v_lshlrev_b64 v[4:5], 3, v[4:5]
	s_cbranch_vccnz .LBB129_47
; %bb.46:
	v_add_co_u32 v10, vcc_lo, v70, v4
	v_add_co_ci_u32_e64 v11, null, v71, v5, vcc_lo
	flat_load_dwordx2 v[10:11], v[10:11]
	s_waitcnt vmcnt(0) lgkmcnt(0)
	v_mul_f64 v[10:11], s[14:15], v[10:11]
.LBB129_47:
	s_waitcnt vmcnt(0)
	v_add_f64 v[6:7], v[6:7], v[10:11]
	v_add_co_u32 v10, vcc_lo, v72, v4
	v_add_co_ci_u32_e64 v11, null, v73, v5, vcc_lo
	s_and_b32 vcc_lo, exec_lo, s6
	flat_store_dwordx2 v[10:11], v[6:7]
	s_clause 0x1
	buffer_load_dword v10, off, s[0:3], 0 offset:24
	buffer_load_dword v11, off, s[0:3], 0 offset:28
	v_add_nc_u32_e32 v6, 12, v12
	v_ashrrev_i32_e32 v7, 31, v6
	v_lshlrev_b64 v[6:7], 3, v[6:7]
	s_cbranch_vccnz .LBB129_49
; %bb.48:
	v_add_co_u32 v8, vcc_lo, v70, v6
	v_add_co_ci_u32_e64 v9, null, v71, v7, vcc_lo
	flat_load_dwordx2 v[8:9], v[8:9]
	s_waitcnt vmcnt(0) lgkmcnt(0)
	v_mul_f64 v[8:9], s[14:15], v[8:9]
.LBB129_49:
	s_waitcnt vmcnt(0)
	v_add_f64 v[8:9], v[10:11], v[8:9]
	v_add_co_u32 v10, vcc_lo, v72, v6
	v_add_co_ci_u32_e64 v11, null, v73, v7, vcc_lo
	v_mov_b32_e32 v13, 0
	v_mov_b32_e32 v15, 0
	v_mov_b32_e32 v14, 0
	v_mov_b32_e32 v16, 0
	s_and_b32 vcc_lo, exec_lo, s6
	flat_store_dwordx2 v[10:11], v[8:9]
	s_clause 0x1
	buffer_load_dword v10, off, s[0:3], 0 offset:32
	buffer_load_dword v11, off, s[0:3], 0 offset:36
	v_add_nc_u32_e32 v8, 16, v12
	v_ashrrev_i32_e32 v9, 31, v8
	v_lshlrev_b64 v[8:9], 3, v[8:9]
	s_cbranch_vccnz .LBB129_51
; %bb.50:
	v_add_co_u32 v15, vcc_lo, v70, v8
	v_add_co_ci_u32_e64 v16, null, v71, v9, vcc_lo
	flat_load_dwordx2 v[15:16], v[15:16]
	s_waitcnt vmcnt(0) lgkmcnt(0)
	v_mul_f64 v[15:16], s[14:15], v[15:16]
.LBB129_51:
	s_waitcnt vmcnt(0)
	v_add_f64 v[10:11], v[10:11], v[15:16]
	;; [unrolled: 44-line block ×15, first 2 shown]
	v_add_co_u32 v67, vcc_lo, v72, v61
	v_add_co_ci_u32_e64 v68, null, v73, v62, vcc_lo
	s_and_b32 vcc_lo, exec_lo, s6
	flat_store_dwordx2 v[67:68], v[63:64]
	s_clause 0x1
	buffer_load_dword v67, off, s[0:3], 0 offset:248
	buffer_load_dword v68, off, s[0:3], 0 offset:252
	v_add_nc_u32_e32 v63, 0x7c, v12
	v_ashrrev_i32_e32 v64, 31, v63
	v_lshlrev_b64 v[63:64], 3, v[63:64]
	s_cbranch_vccnz .LBB129_105
; %bb.104:
	v_add_co_u32 v65, vcc_lo, v70, v63
	v_add_co_ci_u32_e64 v66, null, v71, v64, vcc_lo
	flat_load_dwordx2 v[65:66], v[65:66]
	s_waitcnt vmcnt(0) lgkmcnt(0)
	v_mul_f64 v[65:66], s[14:15], v[65:66]
.LBB129_105:
	s_waitcnt vmcnt(0)
	v_add_f64 v[65:66], v[67:68], v[65:66]
	v_add_co_u32 v67, vcc_lo, v72, v63
	v_add_co_ci_u32_e64 v68, null, v73, v64, vcc_lo
	v_add_nc_u32_e32 v72, 64, v69
	v_mov_b32_e32 v69, 0
	v_mov_b32_e32 v70, 0
	flat_store_dwordx2 v[67:68], v[65:66]
	s_clause 0x1
	buffer_load_dword v67, off, s[0:3], 0 offset:256
	buffer_load_dword v68, off, s[0:3], 0 offset:260
	v_mad_i64_i32 v[65:66], null, v72, s7, 0
	v_lshlrev_b64 v[73:74], 3, v[65:66]
	v_mov_b32_e32 v65, 0
	v_mov_b32_e32 v66, 0
	v_add_co_u32 v12, vcc_lo, s12, v73
	v_add_co_ci_u32_e64 v71, null, s13, v74, vcc_lo
	s_and_b32 vcc_lo, exec_lo, s6
	s_cbranch_vccnz .LBB129_107
; %bb.106:
	v_add_co_u32 v69, vcc_lo, v12, v0
	v_add_co_ci_u32_e64 v70, null, v71, v1, vcc_lo
	flat_load_dwordx2 v[69:70], v[69:70]
	s_waitcnt vmcnt(0) lgkmcnt(0)
	v_mul_f64 v[69:70], s[14:15], v[69:70]
.LBB129_107:
	v_mad_i64_i32 v[72:73], null, v72, s10, 0
	s_waitcnt vmcnt(0)
	v_add_f64 v[69:70], v[67:68], v[69:70]
	v_lshlrev_b64 v[67:68], 3, v[72:73]
	v_add_co_u32 v67, vcc_lo, s4, v67
	v_add_co_ci_u32_e64 v68, null, s5, v68, vcc_lo
	v_add_co_u32 v0, vcc_lo, v67, v0
	v_add_co_ci_u32_e64 v1, null, v68, v1, vcc_lo
	s_and_b32 vcc_lo, exec_lo, s6
	flat_store_dwordx2 v[0:1], v[69:70]
	s_clause 0x1
	buffer_load_dword v0, off, s[0:3], 0 offset:264
	buffer_load_dword v1, off, s[0:3], 0 offset:268
	s_cbranch_vccnz .LBB129_109
; %bb.108:
	v_add_co_u32 v65, vcc_lo, v12, v2
	v_add_co_ci_u32_e64 v66, null, v71, v3, vcc_lo
	flat_load_dwordx2 v[65:66], v[65:66]
	s_waitcnt vmcnt(0) lgkmcnt(0)
	v_mul_f64 v[65:66], s[14:15], v[65:66]
.LBB129_109:
	s_waitcnt vmcnt(0)
	v_add_f64 v[0:1], v[0:1], v[65:66]
	v_add_co_u32 v2, vcc_lo, v67, v2
	v_add_co_ci_u32_e64 v3, null, v68, v3, vcc_lo
	v_mov_b32_e32 v65, 0
	v_mov_b32_e32 v66, 0
	s_and_b32 vcc_lo, exec_lo, s6
	flat_store_dwordx2 v[2:3], v[0:1]
	s_clause 0x1
	buffer_load_dword v2, off, s[0:3], 0 offset:272
	buffer_load_dword v3, off, s[0:3], 0 offset:276
	v_mov_b32_e32 v0, 0
	v_mov_b32_e32 v1, 0
	s_cbranch_vccnz .LBB129_111
; %bb.110:
	v_add_co_u32 v65, vcc_lo, v12, v4
	v_add_co_ci_u32_e64 v66, null, v71, v5, vcc_lo
	flat_load_dwordx2 v[65:66], v[65:66]
	s_waitcnt vmcnt(0) lgkmcnt(0)
	v_mul_f64 v[65:66], s[14:15], v[65:66]
.LBB129_111:
	s_waitcnt vmcnt(0)
	v_add_f64 v[2:3], v[2:3], v[65:66]
	v_add_co_u32 v4, vcc_lo, v67, v4
	v_add_co_ci_u32_e64 v5, null, v68, v5, vcc_lo
	s_and_b32 vcc_lo, exec_lo, s6
	flat_store_dwordx2 v[4:5], v[2:3]
	s_clause 0x1
	buffer_load_dword v2, off, s[0:3], 0 offset:280
	buffer_load_dword v3, off, s[0:3], 0 offset:284
	s_cbranch_vccnz .LBB129_113
; %bb.112:
	v_add_co_u32 v0, vcc_lo, v12, v6
	v_add_co_ci_u32_e64 v1, null, v71, v7, vcc_lo
	flat_load_dwordx2 v[0:1], v[0:1]
	s_waitcnt vmcnt(0) lgkmcnt(0)
	v_mul_f64 v[0:1], s[14:15], v[0:1]
.LBB129_113:
	s_waitcnt vmcnt(0)
	v_add_f64 v[0:1], v[2:3], v[0:1]
	v_add_co_u32 v2, vcc_lo, v67, v6
	v_add_co_ci_u32_e64 v3, null, v68, v7, vcc_lo
	v_mov_b32_e32 v4, 0
	v_mov_b32_e32 v5, 0
	s_and_b32 vcc_lo, exec_lo, s6
	flat_store_dwordx2 v[2:3], v[0:1]
	s_clause 0x1
	buffer_load_dword v2, off, s[0:3], 0 offset:288
	buffer_load_dword v3, off, s[0:3], 0 offset:292
	v_mov_b32_e32 v0, 0
	v_mov_b32_e32 v1, 0
	s_cbranch_vccnz .LBB129_115
; %bb.114:
	v_add_co_u32 v4, vcc_lo, v12, v8
	v_add_co_ci_u32_e64 v5, null, v71, v9, vcc_lo
	flat_load_dwordx2 v[4:5], v[4:5]
	s_waitcnt vmcnt(0) lgkmcnt(0)
	v_mul_f64 v[4:5], s[14:15], v[4:5]
.LBB129_115:
	s_waitcnt vmcnt(0)
	v_add_f64 v[2:3], v[2:3], v[4:5]
	;; [unrolled: 38-line block ×15, first 2 shown]
	v_add_co_u32 v4, vcc_lo, v67, v61
	v_add_co_ci_u32_e64 v5, null, v68, v62, vcc_lo
	s_and_b32 vcc_lo, exec_lo, s6
	flat_store_dwordx2 v[4:5], v[2:3]
	s_clause 0x1
	buffer_load_dword v2, off, s[0:3], 0 offset:504
	buffer_load_dword v3, off, s[0:3], 0 offset:508
	s_cbranch_vccnz .LBB129_169
; %bb.168:
	v_add_co_u32 v0, vcc_lo, v12, v63
	v_add_co_ci_u32_e64 v1, null, v71, v64, vcc_lo
	flat_load_dwordx2 v[0:1], v[0:1]
	s_waitcnt vmcnt(0) lgkmcnt(0)
	v_mul_f64 v[0:1], s[14:15], v[0:1]
.LBB129_169:
	s_waitcnt vmcnt(0)
	v_add_f64 v[0:1], v[2:3], v[0:1]
	v_add_co_u32 v2, vcc_lo, v67, v63
	v_add_co_ci_u32_e64 v3, null, v68, v64, vcc_lo
	flat_store_dwordx2 v[2:3], v[0:1]
	s_endpgm
	.section	.rodata,"a",@progbits
	.p2align	6, 0x0
	.amdhsa_kernel _ZN12_GLOBAL__N_120geam_min_plus_kernelIdddLi4ELi64ELi128ELi128ELi4ELi64ELi4ELi4ELi64ELc78ELc78ELb0ELb0ELb0EPKdKS2_KPdEEviiiT16_PT17_ilS8_ilS6_S8_ilPT18_ili26rocblas_geam_ex_operation_
		.amdhsa_group_segment_fixed_size 16384
		.amdhsa_private_segment_fixed_size 528
		.amdhsa_kernarg_size 136
		.amdhsa_user_sgpr_count 6
		.amdhsa_user_sgpr_private_segment_buffer 1
		.amdhsa_user_sgpr_dispatch_ptr 0
		.amdhsa_user_sgpr_queue_ptr 0
		.amdhsa_user_sgpr_kernarg_segment_ptr 1
		.amdhsa_user_sgpr_dispatch_id 0
		.amdhsa_user_sgpr_flat_scratch_init 0
		.amdhsa_user_sgpr_private_segment_size 0
		.amdhsa_wavefront_size32 1
		.amdhsa_uses_dynamic_stack 0
		.amdhsa_system_sgpr_private_segment_wavefront_offset 1
		.amdhsa_system_sgpr_workgroup_id_x 1
		.amdhsa_system_sgpr_workgroup_id_y 0
		.amdhsa_system_sgpr_workgroup_id_z 1
		.amdhsa_system_sgpr_workgroup_info 0
		.amdhsa_system_vgpr_workitem_id 1
		.amdhsa_next_free_vgpr 227
		.amdhsa_next_free_sgpr 29
		.amdhsa_reserve_vcc 1
		.amdhsa_reserve_flat_scratch 1
		.amdhsa_float_round_mode_32 0
		.amdhsa_float_round_mode_16_64 0
		.amdhsa_float_denorm_mode_32 3
		.amdhsa_float_denorm_mode_16_64 3
		.amdhsa_dx10_clamp 1
		.amdhsa_ieee_mode 1
		.amdhsa_fp16_overflow 0
		.amdhsa_workgroup_processor_mode 1
		.amdhsa_memory_ordered 1
		.amdhsa_forward_progress 1
		.amdhsa_shared_vgpr_count 0
		.amdhsa_exception_fp_ieee_invalid_op 0
		.amdhsa_exception_fp_denorm_src 0
		.amdhsa_exception_fp_ieee_div_zero 0
		.amdhsa_exception_fp_ieee_overflow 0
		.amdhsa_exception_fp_ieee_underflow 0
		.amdhsa_exception_fp_ieee_inexact 0
		.amdhsa_exception_int_div_zero 0
	.end_amdhsa_kernel
	.section	.text._ZN12_GLOBAL__N_120geam_min_plus_kernelIdddLi4ELi64ELi128ELi128ELi4ELi64ELi4ELi4ELi64ELc78ELc78ELb0ELb0ELb0EPKdKS2_KPdEEviiiT16_PT17_ilS8_ilS6_S8_ilPT18_ili26rocblas_geam_ex_operation_,"axG",@progbits,_ZN12_GLOBAL__N_120geam_min_plus_kernelIdddLi4ELi64ELi128ELi128ELi4ELi64ELi4ELi4ELi64ELc78ELc78ELb0ELb0ELb0EPKdKS2_KPdEEviiiT16_PT17_ilS8_ilS6_S8_ilPT18_ili26rocblas_geam_ex_operation_,comdat
.Lfunc_end129:
	.size	_ZN12_GLOBAL__N_120geam_min_plus_kernelIdddLi4ELi64ELi128ELi128ELi4ELi64ELi4ELi4ELi64ELc78ELc78ELb0ELb0ELb0EPKdKS2_KPdEEviiiT16_PT17_ilS8_ilS6_S8_ilPT18_ili26rocblas_geam_ex_operation_, .Lfunc_end129-_ZN12_GLOBAL__N_120geam_min_plus_kernelIdddLi4ELi64ELi128ELi128ELi4ELi64ELi4ELi4ELi64ELc78ELc78ELb0ELb0ELb0EPKdKS2_KPdEEviiiT16_PT17_ilS8_ilS6_S8_ilPT18_ili26rocblas_geam_ex_operation_
                                        ; -- End function
	.set _ZN12_GLOBAL__N_120geam_min_plus_kernelIdddLi4ELi64ELi128ELi128ELi4ELi64ELi4ELi4ELi64ELc78ELc78ELb0ELb0ELb0EPKdKS2_KPdEEviiiT16_PT17_ilS8_ilS6_S8_ilPT18_ili26rocblas_geam_ex_operation_.num_vgpr, 227
	.set _ZN12_GLOBAL__N_120geam_min_plus_kernelIdddLi4ELi64ELi128ELi128ELi4ELi64ELi4ELi4ELi64ELc78ELc78ELb0ELb0ELb0EPKdKS2_KPdEEviiiT16_PT17_ilS8_ilS6_S8_ilPT18_ili26rocblas_geam_ex_operation_.num_agpr, 0
	.set _ZN12_GLOBAL__N_120geam_min_plus_kernelIdddLi4ELi64ELi128ELi128ELi4ELi64ELi4ELi4ELi64ELc78ELc78ELb0ELb0ELb0EPKdKS2_KPdEEviiiT16_PT17_ilS8_ilS6_S8_ilPT18_ili26rocblas_geam_ex_operation_.numbered_sgpr, 29
	.set _ZN12_GLOBAL__N_120geam_min_plus_kernelIdddLi4ELi64ELi128ELi128ELi4ELi64ELi4ELi4ELi64ELc78ELc78ELb0ELb0ELb0EPKdKS2_KPdEEviiiT16_PT17_ilS8_ilS6_S8_ilPT18_ili26rocblas_geam_ex_operation_.num_named_barrier, 0
	.set _ZN12_GLOBAL__N_120geam_min_plus_kernelIdddLi4ELi64ELi128ELi128ELi4ELi64ELi4ELi4ELi64ELc78ELc78ELb0ELb0ELb0EPKdKS2_KPdEEviiiT16_PT17_ilS8_ilS6_S8_ilPT18_ili26rocblas_geam_ex_operation_.private_seg_size, 528
	.set _ZN12_GLOBAL__N_120geam_min_plus_kernelIdddLi4ELi64ELi128ELi128ELi4ELi64ELi4ELi4ELi64ELc78ELc78ELb0ELb0ELb0EPKdKS2_KPdEEviiiT16_PT17_ilS8_ilS6_S8_ilPT18_ili26rocblas_geam_ex_operation_.uses_vcc, 1
	.set _ZN12_GLOBAL__N_120geam_min_plus_kernelIdddLi4ELi64ELi128ELi128ELi4ELi64ELi4ELi4ELi64ELc78ELc78ELb0ELb0ELb0EPKdKS2_KPdEEviiiT16_PT17_ilS8_ilS6_S8_ilPT18_ili26rocblas_geam_ex_operation_.uses_flat_scratch, 1
	.set _ZN12_GLOBAL__N_120geam_min_plus_kernelIdddLi4ELi64ELi128ELi128ELi4ELi64ELi4ELi4ELi64ELc78ELc78ELb0ELb0ELb0EPKdKS2_KPdEEviiiT16_PT17_ilS8_ilS6_S8_ilPT18_ili26rocblas_geam_ex_operation_.has_dyn_sized_stack, 0
	.set _ZN12_GLOBAL__N_120geam_min_plus_kernelIdddLi4ELi64ELi128ELi128ELi4ELi64ELi4ELi4ELi64ELc78ELc78ELb0ELb0ELb0EPKdKS2_KPdEEviiiT16_PT17_ilS8_ilS6_S8_ilPT18_ili26rocblas_geam_ex_operation_.has_recursion, 0
	.set _ZN12_GLOBAL__N_120geam_min_plus_kernelIdddLi4ELi64ELi128ELi128ELi4ELi64ELi4ELi4ELi64ELc78ELc78ELb0ELb0ELb0EPKdKS2_KPdEEviiiT16_PT17_ilS8_ilS6_S8_ilPT18_ili26rocblas_geam_ex_operation_.has_indirect_call, 0
	.section	.AMDGPU.csdata,"",@progbits
; Kernel info:
; codeLenInByte = 19336
; TotalNumSgprs: 31
; NumVgprs: 227
; ScratchSize: 528
; MemoryBound: 1
; FloatMode: 240
; IeeeMode: 1
; LDSByteSize: 16384 bytes/workgroup (compile time only)
; SGPRBlocks: 0
; VGPRBlocks: 28
; NumSGPRsForWavesPerEU: 31
; NumVGPRsForWavesPerEU: 227
; Occupancy: 4
; WaveLimiterHint : 1
; COMPUTE_PGM_RSRC2:SCRATCH_EN: 1
; COMPUTE_PGM_RSRC2:USER_SGPR: 6
; COMPUTE_PGM_RSRC2:TRAP_HANDLER: 0
; COMPUTE_PGM_RSRC2:TGID_X_EN: 1
; COMPUTE_PGM_RSRC2:TGID_Y_EN: 0
; COMPUTE_PGM_RSRC2:TGID_Z_EN: 1
; COMPUTE_PGM_RSRC2:TIDIG_COMP_CNT: 1
	.section	.text._ZN12_GLOBAL__N_120geam_min_plus_kernelIdddLi4ELi64ELi128ELi128ELi4ELi64ELi4ELi4ELi64ELc78ELc78ELb1ELb0ELb0EdKPKdKPdEEviiiT16_PT17_ilS8_ilS6_S8_ilPT18_ili26rocblas_geam_ex_operation_,"axG",@progbits,_ZN12_GLOBAL__N_120geam_min_plus_kernelIdddLi4ELi64ELi128ELi128ELi4ELi64ELi4ELi4ELi64ELc78ELc78ELb1ELb0ELb0EdKPKdKPdEEviiiT16_PT17_ilS8_ilS6_S8_ilPT18_ili26rocblas_geam_ex_operation_,comdat
	.globl	_ZN12_GLOBAL__N_120geam_min_plus_kernelIdddLi4ELi64ELi128ELi128ELi4ELi64ELi4ELi4ELi64ELc78ELc78ELb1ELb0ELb0EdKPKdKPdEEviiiT16_PT17_ilS8_ilS6_S8_ilPT18_ili26rocblas_geam_ex_operation_ ; -- Begin function _ZN12_GLOBAL__N_120geam_min_plus_kernelIdddLi4ELi64ELi128ELi128ELi4ELi64ELi4ELi4ELi64ELc78ELc78ELb1ELb0ELb0EdKPKdKPdEEviiiT16_PT17_ilS8_ilS6_S8_ilPT18_ili26rocblas_geam_ex_operation_
	.p2align	8
	.type	_ZN12_GLOBAL__N_120geam_min_plus_kernelIdddLi4ELi64ELi128ELi128ELi4ELi64ELi4ELi4ELi64ELc78ELc78ELb1ELb0ELb0EdKPKdKPdEEviiiT16_PT17_ilS8_ilS6_S8_ilPT18_ili26rocblas_geam_ex_operation_,@function
_ZN12_GLOBAL__N_120geam_min_plus_kernelIdddLi4ELi64ELi128ELi128ELi4ELi64ELi4ELi4ELi64ELc78ELc78ELb1ELb0ELb0EdKPKdKPdEEviiiT16_PT17_ilS8_ilS6_S8_ilPT18_ili26rocblas_geam_ex_operation_: ; @_ZN12_GLOBAL__N_120geam_min_plus_kernelIdddLi4ELi64ELi128ELi128ELi4ELi64ELi4ELi4ELi64ELc78ELc78ELb1ELb0ELb0EdKPKdKPdEEviiiT16_PT17_ilS8_ilS6_S8_ilPT18_ili26rocblas_geam_ex_operation_
; %bb.0:
	s_add_u32 s0, s0, s8
	s_clause 0x1
	s_load_dwordx4 s[8:11], s[4:5], 0x10
	s_load_dwordx4 s[12:15], s[4:5], 0x28
	s_mov_b32 s22, s7
	s_addc_u32 s1, s1, 0
	s_mov_b64 s[20:21], 0
	s_waitcnt lgkmcnt(0)
	v_cmp_eq_f64_e64 s7, s[8:9], 0
	s_and_b32 vcc_lo, exec_lo, s7
	s_cbranch_vccnz .LBB130_2
; %bb.1:
	s_mov_b32 s23, 0
	s_lshl_b64 s[8:9], s[22:23], 3
	s_add_u32 s8, s10, s8
	s_addc_u32 s9, s11, s9
	s_lshl_b64 s[10:11], s[12:13], 3
	s_load_dwordx2 s[8:9], s[8:9], 0x0
	s_waitcnt lgkmcnt(0)
	s_add_u32 s20, s8, s10
	s_addc_u32 s21, s9, s11
.LBB130_2:
	s_clause 0x1
	s_load_dwordx4 s[8:11], s[4:5], 0x40
	s_load_dwordx2 s[24:25], s[4:5], 0x50
	s_andn2_b32 vcc_lo, exec_lo, s7
	s_mov_b32 s23, 0
	s_cbranch_vccnz .LBB130_4
; %bb.3:
	s_mov_b32 s7, s23
	s_mov_b64 s[16:17], 0
	s_andn2_b32 vcc_lo, exec_lo, s7
	s_mov_b64 s[18:19], 0
	s_cbranch_vccz .LBB130_5
	s_branch .LBB130_6
.LBB130_4:
	s_mov_b64 s[16:17], 0
	s_mov_b64 s[18:19], 0
.LBB130_5:
	s_lshl_b64 s[12:13], s[22:23], 3
	s_add_u32 s12, s14, s12
	s_addc_u32 s13, s15, s13
	s_waitcnt lgkmcnt(0)
	s_lshl_b64 s[8:9], s[8:9], 3
	s_load_dwordx2 s[12:13], s[12:13], 0x0
	s_waitcnt lgkmcnt(0)
	s_add_u32 s18, s12, s8
	s_addc_u32 s19, s13, s9
.LBB130_6:
	s_waitcnt lgkmcnt(0)
	v_cmp_eq_f64_e64 s7, s[10:11], 0
	s_load_dwordx4 s[12:15], s[4:5], 0x60
	s_and_b32 vcc_lo, exec_lo, s7
	s_cbranch_vccnz .LBB130_8
; %bb.7:
	s_lshl_b64 s[8:9], s[22:23], 3
	s_add_u32 s8, s24, s8
	s_addc_u32 s9, s25, s9
	s_waitcnt lgkmcnt(0)
	s_lshl_b64 s[12:13], s[12:13], 3
	s_load_dwordx2 s[8:9], s[8:9], 0x0
	s_waitcnt lgkmcnt(0)
	s_add_u32 s16, s8, s12
	s_addc_u32 s17, s9, s13
.LBB130_8:
	s_load_dword s24, s[4:5], 0x20
	s_waitcnt lgkmcnt(0)
	s_clause 0x1
	s_load_dword s12, s[4:5], 0x0
	s_load_dword s13, s[4:5], 0x38
	s_mov_b32 s7, 0
	s_lshl_b64 s[8:9], s[22:23], 3
	s_addk_i32 s7, 0x100
	v_lshl_add_u32 v2, v1, 2, v0
	v_mov_b32_e32 v6, 0
	buffer_store_dword v6, off, s[0:3], 0 offset:4
	buffer_store_dword v6, off, s[0:3], 0
	buffer_store_dword v6, off, s[0:3], 0 offset:12
	buffer_store_dword v6, off, s[0:3], 0 offset:8
	;; [unrolled: 1-line block ×5, first 2 shown]
	v_and_b32_e32 v84, 63, v2
	v_lshrrev_b32_e32 v89, 6, v2
	v_lshrrev_b32_e32 v22, 2, v2
	buffer_store_dword v6, off, s[0:3], 0 offset:24
	buffer_store_dword v6, off, s[0:3], 0 offset:36
	buffer_store_dword v6, off, s[0:3], 0 offset:32
	buffer_store_dword v6, off, s[0:3], 0 offset:44
	s_ashr_i32 s22, s24, 31
	s_add_u32 s8, s14, s8
	s_addc_u32 s9, s15, s9
	s_waitcnt lgkmcnt(0)
	s_add_i32 s12, s12, -1
	buffer_store_dword v6, off, s[0:3], 0 offset:40
	s_ashr_i32 s14, s12, 31
	buffer_store_dword v6, off, s[0:3], 0 offset:52
	s_lshr_b32 s14, s14, 25
	buffer_store_dword v6, off, s[0:3], 0 offset:48
	buffer_store_dword v6, off, s[0:3], 0 offset:60
	;; [unrolled: 1-line block ×4, first 2 shown]
	s_add_i32 s12, s12, s14
	buffer_store_dword v6, off, s[0:3], 0 offset:64
	buffer_store_dword v6, off, s[0:3], 0 offset:76
	;; [unrolled: 1-line block ×9, first 2 shown]
	s_ashr_i32 s12, s12, 7
	buffer_store_dword v6, off, s[0:3], 0 offset:108
	buffer_store_dword v6, off, s[0:3], 0 offset:104
	buffer_store_dword v6, off, s[0:3], 0 offset:116
	buffer_store_dword v6, off, s[0:3], 0 offset:112
	s_add_i32 s14, s12, 1
	s_not_b32 s12, s12
	v_cvt_f32_u32_e32 v2, s14
	buffer_store_dword v6, off, s[0:3], 0 offset:124
	buffer_store_dword v6, off, s[0:3], 0 offset:120
	;; [unrolled: 1-line block ×8, first 2 shown]
	v_rcp_iflag_f32_e32 v2, v2
	buffer_store_dword v6, off, s[0:3], 0 offset:156
	buffer_store_dword v6, off, s[0:3], 0 offset:152
	;; [unrolled: 1-line block ×83, first 2 shown]
	v_mul_f32_e32 v2, 0x4f7ffffe, v2
	buffer_store_dword v6, off, s[0:3], 0 offset:480
	buffer_store_dword v6, off, s[0:3], 0 offset:492
	;; [unrolled: 1-line block ×7, first 2 shown]
	v_add_nc_u32_e32 v90, 4, v89
	v_cvt_u32_f32_e32 v2, v2
	v_and_b32_e32 v88, 3, v0
	v_lshlrev_b32_e32 v92, 5, v0
	v_lshl_or_b32 v93, v1, 5, 0x2000
	v_readfirstlane_b32 s15, v2
	v_mad_i64_i32 v[2:3], null, s24, v89, 0
	v_lshlrev_b32_e32 v23, 3, v88
	s_mul_i32 s12, s12, s15
	s_mul_hi_u32 s12, s15, s12
	v_lshl_or_b32 v85, v22, 5, v23
	s_add_i32 s15, s15, s12
	v_lshlrev_b64 v[2:3], 3, v[2:3]
	s_mul_hi_u32 s12, s6, s15
	s_mul_i32 s15, s12, s14
	s_add_i32 s23, s12, 1
	s_sub_i32 s15, s6, s15
	v_add_nc_u32_e32 v94, 0x2000, v85
	s_sub_i32 s25, s15, s14
	s_cmp_ge_u32 s15, s14
	s_cselect_b32 s12, s23, s12
	s_cselect_b32 s15, s25, s15
	s_add_i32 s23, s12, 1
	s_cmp_ge_u32 s15, s14
	s_cselect_b32 s12, s23, s12
	s_mul_i32 s14, s12, s14
	s_lshl_b32 s12, s12, 7
	s_sub_i32 s6, s6, s14
	v_add_nc_u32_e32 v8, s12, v22
	s_lshl_b32 s6, s6, 7
	s_mov_b32 s14, 0
	v_or_b32_e32 v4, s6, v84
	v_add_nc_u32_e32 v10, 64, v8
	v_ashrrev_i32_e32 v5, 31, v4
	v_lshlrev_b64 v[6:7], 3, v[4:5]
	v_add_co_u32 v4, vcc_lo, s20, v2
	v_add_co_ci_u32_e64 v5, null, s21, v3, vcc_lo
	v_mad_i64_i32 v[2:3], null, v8, s13, 0
	v_mad_i64_i32 v[8:9], null, s24, v90, 0
	v_add_co_u32 v4, vcc_lo, v4, v6
	v_add_co_ci_u32_e64 v5, null, v5, v7, vcc_lo
	v_lshlrev_b64 v[70:71], 3, v[2:3]
	v_mad_i64_i32 v[2:3], null, v10, s13, 0
	v_add_co_u32 v10, s13, s18, v23
	v_lshlrev_b64 v[8:9], 3, v[8:9]
	v_add_co_ci_u32_e64 v11, null, s19, 0, s13
	v_add_co_u32 v14, vcc_lo, v10, v70
	v_lshlrev_b64 v[72:73], 3, v[2:3]
	v_add_co_ci_u32_e64 v15, null, v11, v71, vcc_lo
	v_add_co_u32 v8, vcc_lo, s20, v8
	v_add_co_ci_u32_e64 v9, null, s21, v9, vcc_lo
	v_add_co_u32 v2, vcc_lo, v10, v72
	;; [unrolled: 2-line block ×3, first 2 shown]
	v_add_co_ci_u32_e64 v11, null, v9, v7, vcc_lo
	s_clause 0x1
	flat_load_dwordx2 v[16:17], v[4:5]
	flat_load_dwordx2 v[4:5], v[4:5] offset:512
	s_clause 0x1
	flat_load_dwordx2 v[18:19], v[14:15]
	flat_load_dwordx2 v[20:21], v[2:3]
	s_clause 0x1
	flat_load_dwordx2 v[8:9], v[10:11]
	flat_load_dwordx2 v[10:11], v[10:11] offset:512
	s_clause 0x1
	flat_load_dwordx2 v[12:13], v[2:3] offset:32
	flat_load_dwordx2 v[14:15], v[14:15] offset:32
	v_cmp_neq_f64_e64 s13, s[10:11], 0
	s_load_dwordx2 s[8:9], s[8:9], 0x0
	v_lshlrev_b32_e32 v2, 5, v84
	v_lshl_add_u32 v91, v89, 3, v2
	s_waitcnt vmcnt(6) lgkmcnt(0)
	ds_write2st64_b64 v91, v[16:17], v[4:5] offset1:4
	s_waitcnt vmcnt(4)
	ds_write2st64_b64 v85, v[18:19], v[20:21] offset0:16 offset1:20
	s_waitcnt vmcnt(0) lgkmcnt(0)
	s_waitcnt_vscnt null, 0x0
	s_barrier
	buffer_gl0_inv
.LBB130_9:                              ; =>This Loop Header: Depth=1
                                        ;     Child Loop BB130_10 Depth 2
	s_lshl_b32 s15, s14, 3
	s_mov_b32 s23, 0
	v_add_nc_u32_e32 v16, s15, v92
	v_add_nc_u32_e32 v86, s15, v93
	s_mov_b32 s15, -1
	ds_read2_b64 v[2:5], v16 offset1:16
	ds_read2_b64 v[20:23], v16 offset0:32 offset1:48
	ds_read2_b64 v[24:27], v16 offset0:64 offset1:80
	;; [unrolled: 1-line block ×4, first 2 shown]
	v_add_nc_u32_e32 v68, 0x800, v16
	ds_read2_b64 v[36:39], v16 offset0:160 offset1:176
	ds_read2_b64 v[40:43], v16 offset0:192 offset1:208
	;; [unrolled: 1-line block ×3, first 2 shown]
	ds_read2_b64 v[48:51], v68 offset1:16
	ds_read2_b64 v[52:55], v68 offset0:32 offset1:48
	ds_read2_b64 v[56:59], v68 offset0:64 offset1:80
	;; [unrolled: 1-line block ×6, first 2 shown]
	s_waitcnt lgkmcnt(9)
	v_max_f64 v[36:37], v[36:37], v[36:37]
	v_max_f64 v[38:39], v[38:39], v[38:39]
	;; [unrolled: 1-line block ×4, first 2 shown]
	ds_read2_b64 v[2:5], v68 offset0:224 offset1:240
	v_max_f64 v[20:21], v[20:21], v[20:21]
	v_max_f64 v[22:23], v[22:23], v[22:23]
	v_max_f64 v[24:25], v[24:25], v[24:25]
	v_max_f64 v[26:27], v[26:27], v[26:27]
	v_max_f64 v[28:29], v[28:29], v[28:29]
	v_max_f64 v[30:31], v[30:31], v[30:31]
	v_max_f64 v[32:33], v[32:33], v[32:33]
	v_max_f64 v[34:35], v[34:35], v[34:35]
	s_waitcnt lgkmcnt(9)
	v_max_f64 v[40:41], v[40:41], v[40:41]
	v_max_f64 v[42:43], v[42:43], v[42:43]
	s_waitcnt lgkmcnt(8)
	v_max_f64 v[44:45], v[44:45], v[44:45]
	v_max_f64 v[46:47], v[46:47], v[46:47]
	;; [unrolled: 3-line block ×10, first 2 shown]
	ds_read2st64_b64 v[2:5], v86 offset1:4
.LBB130_10:                             ;   Parent Loop BB130_9 Depth=1
                                        ; =>  This Inner Loop Header: Depth=2
	v_mov_b32_e32 v221, s23
	s_waitcnt lgkmcnt(0)
	v_max_f64 v[157:158], v[2:3], v[2:3]
	v_mov_b32_e32 v2, v4
	v_mov_b32_e32 v3, v5
	s_and_b32 vcc_lo, exec_lo, s15
	s_clause 0x3e
	buffer_load_dword v86, v221, s[0:3], 0 offen
	buffer_load_dword v87, v221, s[0:3], 0 offen offset:4
	buffer_load_dword v95, v221, s[0:3], 0 offen offset:8
	;; [unrolled: 1-line block ×63, first 2 shown]
	s_mov_b32 s15, 0
	s_mov_b32 s23, s7
	v_min_f64 v[159:160], v[16:17], v[157:158]
	v_min_f64 v[161:162], v[18:19], v[157:158]
	;; [unrolled: 1-line block ×32, first 2 shown]
	s_waitcnt vmcnt(62)
	v_add_f64 v[86:87], v[159:160], v[86:87]
	s_waitcnt vmcnt(60)
	v_add_f64 v[95:96], v[161:162], v[95:96]
	;; [unrolled: 2-line block ×32, first 2 shown]
	buffer_store_dword v86, v221, s[0:3], 0 offen
	buffer_store_dword v87, v221, s[0:3], 0 offen offset:4
	buffer_store_dword v95, v221, s[0:3], 0 offen offset:8
	;; [unrolled: 1-line block ×63, first 2 shown]
	s_cbranch_vccnz .LBB130_10
; %bb.11:                               ;   in Loop: Header=BB130_9 Depth=1
	s_add_i32 s14, s14, 1
	s_cmp_eq_u32 s14, 4
	s_cbranch_scc0 .LBB130_9
; %bb.12:
	s_load_dword s14, s[4:5], 0x8
	v_lshlrev_b32_e32 v2, 3, v89
	v_lshl_add_u32 v95, v0, 5, 0x1000
	v_lshl_add_u32 v96, v1, 5, 0x3000
	;; [unrolled: 1-line block ×3, first 2 shown]
	ds_write2st64_b64 v2, v[8:9], v[10:11] offset0:8 offset1:12
	ds_write2st64_b64 v85, v[14:15], v[12:13] offset0:24 offset1:28
	s_waitcnt lgkmcnt(0)
	s_waitcnt_vscnt null, 0x0
	s_barrier
	buffer_gl0_inv
	s_cmp_lt_i32 s14, 9
	s_cbranch_scc1 .LBB130_23
; %bb.13:
	v_add_co_u32 v99, vcc_lo, s20, v6
	v_or_b32_e32 v97, 0x1000, v2
	v_add_nc_u32_e32 v98, 0x3000, v85
	v_add_co_ci_u32_e64 v100, null, s21, v7, vcc_lo
	v_mov_b32_e32 v75, 0
	s_add_i32 s14, s14, -8
	s_mov_b32 s15, 8
	s_mov_b32 s20, 0
.LBB130_14:                             ; =>This Loop Header: Depth=1
                                        ;     Child Loop BB130_15 Depth 2
                                        ;       Child Loop BB130_16 Depth 3
                                        ;     Child Loop BB130_19 Depth 2
                                        ;       Child Loop BB130_20 Depth 3
	v_add_nc_u32_e32 v4, s15, v89
	v_or_b32_e32 v74, s15, v88
	s_mov_b32 s21, 0
	v_mad_u64_u32 v[2:3], null, v4, s24, 0
	v_mad_u64_u32 v[3:4], null, v4, s22, v[3:4]
	v_lshlrev_b64 v[4:5], 3, v[74:75]
	v_add_co_u32 v4, vcc_lo, s18, v4
	v_lshlrev_b64 v[2:3], 3, v[2:3]
	v_add_co_ci_u32_e64 v5, null, s19, v5, vcc_lo
	v_add_co_u32 v6, vcc_lo, v4, v70
	v_add_co_ci_u32_e64 v7, null, v5, v71, vcc_lo
	v_add_co_u32 v2, vcc_lo, v99, v2
	;; [unrolled: 2-line block ×3, first 2 shown]
	v_add_co_ci_u32_e64 v9, null, v5, v73, vcc_lo
	s_clause 0x1
	flat_load_dwordx2 v[12:13], v[2:3]
	flat_load_dwordx2 v[14:15], v[2:3] offset:512
	s_clause 0x1
	flat_load_dwordx2 v[10:11], v[6:7]
	flat_load_dwordx2 v[16:17], v[8:9]
.LBB130_15:                             ;   Parent Loop BB130_14 Depth=1
                                        ; =>  This Loop Header: Depth=2
                                        ;       Child Loop BB130_16 Depth 3
	s_lshl_b32 s23, s21, 3
	s_mov_b32 s25, 0
	v_add_nc_u32_e32 v18, s23, v95
	v_add_nc_u32_e32 v74, s23, v96
	s_mov_b32 s23, -1
	ds_read2_b64 v[2:5], v18 offset1:16
	ds_read2_b64 v[22:25], v18 offset0:32 offset1:48
	ds_read2_b64 v[26:29], v18 offset0:64 offset1:80
	v_add_nc_u32_e32 v19, 0x800, v18
	ds_read2_b64 v[30:33], v18 offset0:96 offset1:112
	ds_read2_b64 v[34:37], v18 offset0:128 offset1:144
	;; [unrolled: 1-line block ×5, first 2 shown]
	ds_read2_b64 v[50:53], v19 offset1:16
	ds_read2_b64 v[54:57], v19 offset0:32 offset1:48
	ds_read2_b64 v[58:61], v19 offset0:64 offset1:80
	;; [unrolled: 1-line block ×7, first 2 shown]
	s_waitcnt lgkmcnt(11)
	v_max_f64 v[34:35], v[34:35], v[34:35]
	v_max_f64 v[36:37], v[36:37], v[36:37]
	s_waitcnt lgkmcnt(10)
	v_max_f64 v[38:39], v[38:39], v[38:39]
	v_max_f64 v[40:41], v[40:41], v[40:41]
	;; [unrolled: 3-line block ×3, first 2 shown]
	v_max_f64 v[18:19], v[2:3], v[2:3]
	v_max_f64 v[20:21], v[4:5], v[4:5]
	;; [unrolled: 1-line block ×8, first 2 shown]
	s_waitcnt lgkmcnt(8)
	v_max_f64 v[46:47], v[46:47], v[46:47]
	v_max_f64 v[48:49], v[48:49], v[48:49]
	s_waitcnt lgkmcnt(7)
	v_max_f64 v[50:51], v[50:51], v[50:51]
	v_max_f64 v[52:53], v[52:53], v[52:53]
	;; [unrolled: 3-line block ×9, first 2 shown]
	ds_read2st64_b64 v[2:5], v74 offset1:4
.LBB130_16:                             ;   Parent Loop BB130_14 Depth=1
                                        ;     Parent Loop BB130_15 Depth=2
                                        ; =>    This Inner Loop Header: Depth=3
	v_mov_b32_e32 v74, s25
	s_waitcnt lgkmcnt(0)
	v_max_f64 v[165:166], v[2:3], v[2:3]
	v_mov_b32_e32 v2, v4
	v_mov_b32_e32 v3, v5
	s_and_b32 vcc_lo, exec_lo, s23
	s_clause 0x3e
	buffer_load_dword v101, v74, s[0:3], 0 offen
	buffer_load_dword v102, v74, s[0:3], 0 offen offset:4
	buffer_load_dword v103, v74, s[0:3], 0 offen offset:8
	;; [unrolled: 1-line block ×63, first 2 shown]
	s_mov_b32 s23, 0
	s_mov_b32 s25, s7
	v_min_f64 v[167:168], v[18:19], v[165:166]
	v_min_f64 v[169:170], v[20:21], v[165:166]
	;; [unrolled: 1-line block ×32, first 2 shown]
	s_waitcnt vmcnt(62)
	v_add_f64 v[101:102], v[167:168], v[101:102]
	s_waitcnt vmcnt(60)
	v_add_f64 v[103:104], v[169:170], v[103:104]
	s_waitcnt vmcnt(58)
	v_add_f64 v[105:106], v[171:172], v[105:106]
	s_waitcnt vmcnt(56)
	v_add_f64 v[107:108], v[173:174], v[107:108]
	s_waitcnt vmcnt(54)
	v_add_f64 v[109:110], v[175:176], v[109:110]
	s_waitcnt vmcnt(52)
	v_add_f64 v[111:112], v[177:178], v[111:112]
	s_waitcnt vmcnt(50)
	v_add_f64 v[113:114], v[179:180], v[113:114]
	s_waitcnt vmcnt(48)
	v_add_f64 v[115:116], v[181:182], v[115:116]
	s_waitcnt vmcnt(45)
	v_add_f64 v[119:120], v[185:186], v[119:120]
	s_waitcnt vmcnt(43)
	v_add_f64 v[121:122], v[187:188], v[121:122]
	s_waitcnt vmcnt(41)
	v_add_f64 v[123:124], v[189:190], v[123:124]
	s_waitcnt vmcnt(40)
	v_add_f64 v[117:118], v[183:184], v[117:118]
	s_waitcnt vmcnt(38)
	v_add_f64 v[125:126], v[191:192], v[125:126]
	s_waitcnt vmcnt(36)
	v_add_f64 v[127:128], v[193:194], v[127:128]
	s_waitcnt vmcnt(34)
	v_add_f64 v[129:130], v[195:196], v[129:130]
	s_waitcnt vmcnt(32)
	v_add_f64 v[131:132], v[197:198], v[131:132]
	s_waitcnt vmcnt(30)
	v_add_f64 v[133:134], v[199:200], v[133:134]
	s_waitcnt vmcnt(28)
	v_add_f64 v[135:136], v[201:202], v[135:136]
	s_waitcnt vmcnt(26)
	v_add_f64 v[137:138], v[203:204], v[137:138]
	s_waitcnt vmcnt(24)
	v_add_f64 v[139:140], v[205:206], v[139:140]
	s_waitcnt vmcnt(22)
	v_add_f64 v[141:142], v[207:208], v[141:142]
	s_waitcnt vmcnt(20)
	v_add_f64 v[143:144], v[209:210], v[143:144]
	s_waitcnt vmcnt(18)
	v_add_f64 v[145:146], v[211:212], v[145:146]
	s_waitcnt vmcnt(16)
	v_add_f64 v[147:148], v[213:214], v[147:148]
	s_waitcnt vmcnt(14)
	v_add_f64 v[149:150], v[215:216], v[149:150]
	s_waitcnt vmcnt(12)
	v_add_f64 v[151:152], v[217:218], v[151:152]
	s_waitcnt vmcnt(10)
	v_add_f64 v[153:154], v[219:220], v[153:154]
	s_waitcnt vmcnt(8)
	v_add_f64 v[155:156], v[221:222], v[155:156]
	s_waitcnt vmcnt(6)
	v_add_f64 v[157:158], v[223:224], v[157:158]
	s_waitcnt vmcnt(4)
	v_add_f64 v[159:160], v[225:226], v[159:160]
	s_waitcnt vmcnt(2)
	v_add_f64 v[161:162], v[227:228], v[161:162]
	s_waitcnt vmcnt(0)
	v_add_f64 v[163:164], v[165:166], v[163:164]
	buffer_store_dword v101, v74, s[0:3], 0 offen
	buffer_store_dword v102, v74, s[0:3], 0 offen offset:4
	buffer_store_dword v103, v74, s[0:3], 0 offen offset:8
	;; [unrolled: 1-line block ×63, first 2 shown]
	s_cbranch_vccnz .LBB130_16
; %bb.17:                               ;   in Loop: Header=BB130_15 Depth=2
	s_add_i32 s21, s21, 1
	s_cmp_eq_u32 s21, 4
	s_cbranch_scc0 .LBB130_15
; %bb.18:                               ;   in Loop: Header=BB130_14 Depth=1
	v_add_nc_u32_e32 v4, s15, v90
	ds_write2st64_b64 v91, v[12:13], v[14:15] offset1:4
	ds_write2st64_b64 v94, v[10:11], v[16:17] offset1:4
	s_waitcnt lgkmcnt(0)
	s_waitcnt_vscnt null, 0x0
	s_barrier
	v_mad_u64_u32 v[2:3], null, v4, s24, 0
	buffer_gl0_inv
	s_mov_b32 s21, 0
	v_mad_u64_u32 v[3:4], null, v4, s22, v[3:4]
	v_lshlrev_b64 v[2:3], 3, v[2:3]
	v_add_co_u32 v2, vcc_lo, v99, v2
	v_add_co_ci_u32_e64 v3, null, v100, v3, vcc_lo
	s_clause 0x1
	flat_load_dwordx2 v[76:77], v[2:3]
	flat_load_dwordx2 v[78:79], v[2:3] offset:512
	s_clause 0x1
	flat_load_dwordx2 v[80:81], v[6:7] offset:32
	flat_load_dwordx2 v[82:83], v[8:9] offset:32
.LBB130_19:                             ;   Parent Loop BB130_14 Depth=1
                                        ; =>  This Loop Header: Depth=2
                                        ;       Child Loop BB130_20 Depth 3
	s_lshl_b32 s23, s21, 3
	s_mov_b32 s25, 0
	v_add_nc_u32_e32 v30, s23, v92
	v_add_nc_u32_e32 v66, s23, v93
	s_mov_b32 s23, -1
	ds_read2_b64 v[2:5], v30 offset1:16
	ds_read2_b64 v[6:9], v30 offset0:32 offset1:48
	ds_read2_b64 v[10:13], v30 offset0:64 offset1:80
	;; [unrolled: 1-line block ×3, first 2 shown]
	v_add_nc_u32_e32 v62, 0x800, v30
	ds_read2_b64 v[18:21], v30 offset0:128 offset1:144
	ds_read2_b64 v[22:25], v30 offset0:160 offset1:176
	;; [unrolled: 1-line block ×4, first 2 shown]
	ds_read2_b64 v[34:37], v62 offset1:16
	ds_read2_b64 v[38:41], v62 offset0:32 offset1:48
	ds_read2_b64 v[42:45], v62 offset0:64 offset1:80
	;; [unrolled: 1-line block ×7, first 2 shown]
	ds_read2st64_b64 v[66:69], v66 offset1:4
.LBB130_20:                             ;   Parent Loop BB130_14 Depth=1
                                        ;     Parent Loop BB130_19 Depth=2
                                        ; =>    This Inner Loop Header: Depth=3
	v_mov_b32_e32 v74, s25
	s_waitcnt lgkmcnt(16)
	v_max_f64 v[161:162], v[2:3], v[2:3]
	s_waitcnt lgkmcnt(0)
	v_max_f64 v[163:164], v[66:67], v[66:67]
	v_max_f64 v[165:166], v[4:5], v[4:5]
	;; [unrolled: 1-line block ×3, first 2 shown]
	s_clause 0x3e
	buffer_load_dword v84, v74, s[0:3], 0 offen
	buffer_load_dword v85, v74, s[0:3], 0 offen offset:4
	buffer_load_dword v86, v74, s[0:3], 0 offen offset:8
	;; [unrolled: 1-line block ×63, first 2 shown]
	v_max_f64 v[169:170], v[8:9], v[8:9]
	v_max_f64 v[171:172], v[10:11], v[10:11]
	;; [unrolled: 1-line block ×29, first 2 shown]
	v_min_f64 v[161:162], v[161:162], v[163:164]
	v_min_f64 v[165:166], v[165:166], v[163:164]
	;; [unrolled: 1-line block ×32, first 2 shown]
	v_mov_b32_e32 v66, v68
	v_mov_b32_e32 v67, v69
	s_and_b32 vcc_lo, exec_lo, s23
	s_mov_b32 s23, 0
	s_mov_b32 s25, s7
	s_waitcnt vmcnt(62)
	v_add_f64 v[84:85], v[161:162], v[84:85]
	s_waitcnt vmcnt(60)
	v_add_f64 v[86:87], v[165:166], v[86:87]
	;; [unrolled: 2-line block ×32, first 2 shown]
	buffer_store_dword v84, v74, s[0:3], 0 offen
	buffer_store_dword v85, v74, s[0:3], 0 offen offset:4
	buffer_store_dword v86, v74, s[0:3], 0 offen offset:8
	;; [unrolled: 1-line block ×63, first 2 shown]
	s_cbranch_vccnz .LBB130_20
; %bb.21:                               ;   in Loop: Header=BB130_19 Depth=2
	s_add_i32 s21, s21, 1
	s_cmp_eq_u32 s21, 4
	s_cbranch_scc0 .LBB130_19
; %bb.22:                               ;   in Loop: Header=BB130_14 Depth=1
	s_add_i32 s20, s20, 8
	s_add_i32 s15, s15, 8
	s_cmp_ge_i32 s20, s14
	ds_write2st64_b64 v97, v[76:77], v[78:79] offset1:4
	ds_write2st64_b64 v98, v[80:81], v[82:83] offset1:4
	s_waitcnt lgkmcnt(0)
	s_waitcnt_vscnt null, 0x0
	s_barrier
	buffer_gl0_inv
	s_cbranch_scc0 .LBB130_14
.LBB130_23:
	s_mov_b32 s14, 0
.LBB130_24:                             ; =>This Loop Header: Depth=1
                                        ;     Child Loop BB130_25 Depth 2
	s_lshl_b32 s15, s14, 3
	s_mov_b32 s18, 0
	v_add_nc_u32_e32 v6, s15, v95
	v_add_nc_u32_e32 v70, s15, v96
	s_mov_b32 s15, -1
	ds_read2_b64 v[2:5], v6 offset1:16
	ds_read2_b64 v[10:13], v6 offset0:32 offset1:48
	ds_read2_b64 v[14:17], v6 offset0:64 offset1:80
	v_add_nc_u32_e32 v7, 0x800, v6
	ds_read2_b64 v[18:21], v6 offset0:96 offset1:112
	ds_read2_b64 v[22:25], v6 offset0:128 offset1:144
	;; [unrolled: 1-line block ×5, first 2 shown]
	ds_read2_b64 v[38:41], v7 offset1:16
	ds_read2_b64 v[42:45], v7 offset0:32 offset1:48
	ds_read2_b64 v[46:49], v7 offset0:64 offset1:80
	;; [unrolled: 1-line block ×7, first 2 shown]
	s_waitcnt lgkmcnt(11)
	v_max_f64 v[22:23], v[22:23], v[22:23]
	v_max_f64 v[24:25], v[24:25], v[24:25]
	s_waitcnt lgkmcnt(10)
	v_max_f64 v[26:27], v[26:27], v[26:27]
	v_max_f64 v[28:29], v[28:29], v[28:29]
	;; [unrolled: 3-line block ×3, first 2 shown]
	v_max_f64 v[6:7], v[2:3], v[2:3]
	v_max_f64 v[8:9], v[4:5], v[4:5]
	;; [unrolled: 1-line block ×8, first 2 shown]
	s_waitcnt lgkmcnt(8)
	v_max_f64 v[34:35], v[34:35], v[34:35]
	v_max_f64 v[36:37], v[36:37], v[36:37]
	s_waitcnt lgkmcnt(7)
	v_max_f64 v[38:39], v[38:39], v[38:39]
	v_max_f64 v[40:41], v[40:41], v[40:41]
	;; [unrolled: 3-line block ×9, first 2 shown]
	ds_read2st64_b64 v[2:5], v70 offset1:4
.LBB130_25:                             ;   Parent Loop BB130_24 Depth=1
                                        ; =>  This Inner Loop Header: Depth=2
	v_mov_b32_e32 v94, s18
	s_waitcnt lgkmcnt(0)
	v_max_f64 v[137:138], v[2:3], v[2:3]
	v_mov_b32_e32 v2, v4
	v_mov_b32_e32 v3, v5
	s_and_b32 vcc_lo, exec_lo, s15
	s_clause 0x3e
	buffer_load_dword v70, v94, s[0:3], 0 offen
	buffer_load_dword v71, v94, s[0:3], 0 offen offset:4
	buffer_load_dword v72, v94, s[0:3], 0 offen offset:8
	;; [unrolled: 1-line block ×63, first 2 shown]
	s_mov_b32 s15, 0
	s_mov_b32 s18, s7
	v_min_f64 v[139:140], v[6:7], v[137:138]
	v_min_f64 v[141:142], v[8:9], v[137:138]
	;; [unrolled: 1-line block ×32, first 2 shown]
	s_waitcnt vmcnt(62)
	v_add_f64 v[70:71], v[139:140], v[70:71]
	s_waitcnt vmcnt(60)
	v_add_f64 v[72:73], v[141:142], v[72:73]
	;; [unrolled: 2-line block ×32, first 2 shown]
	buffer_store_dword v70, v94, s[0:3], 0 offen
	buffer_store_dword v71, v94, s[0:3], 0 offen offset:4
	buffer_store_dword v72, v94, s[0:3], 0 offen offset:8
	;; [unrolled: 1-line block ×63, first 2 shown]
	s_cbranch_vccnz .LBB130_25
; %bb.26:                               ;   in Loop: Header=BB130_24 Depth=1
	s_add_i32 s14, s14, 1
	s_cmp_eq_u32 s14, 4
	s_cbranch_scc0 .LBB130_24
; %bb.27:
	s_clause 0x1
	buffer_load_dword v2, off, s[0:3], 0
	buffer_load_dword v3, off, s[0:3], 0 offset:4
	s_load_dword s7, s[4:5], 0x58
	v_add_nc_u32_e32 v69, s12, v1
	v_add_nc_u32_e32 v12, s6, v0
	v_cndmask_b32_e64 v0, 0, 1, s13
	v_mov_b32_e32 v6, 0
	v_mov_b32_e32 v7, 0
	v_ashrrev_i32_e32 v13, 31, v12
	v_cmp_ne_u32_e64 s6, 1, v0
	v_lshlrev_b64 v[0:1], 3, v[12:13]
	s_waitcnt lgkmcnt(0)
	v_mad_i64_i32 v[4:5], null, v69, s7, 0
	v_lshlrev_b64 v[8:9], 3, v[4:5]
	v_mov_b32_e32 v4, 0
	v_mov_b32_e32 v5, 0
	v_add_co_u32 v70, vcc_lo, s16, v8
	v_add_co_ci_u32_e64 v71, null, s17, v9, vcc_lo
	s_andn2_b32 vcc_lo, exec_lo, s13
	s_cbranch_vccnz .LBB130_29
; %bb.28:
	v_add_co_u32 v6, vcc_lo, v70, v0
	v_add_co_ci_u32_e64 v7, null, v71, v1, vcc_lo
	flat_load_dwordx2 v[6:7], v[6:7]
	s_waitcnt vmcnt(0) lgkmcnt(0)
	v_mul_f64 v[6:7], s[10:11], v[6:7]
.LBB130_29:
	s_clause 0x1
	s_load_dword s12, s[4:5], 0x70
	s_load_dwordx2 s[4:5], s[4:5], 0x78
	s_waitcnt vmcnt(0)
	v_add_f64 v[2:3], v[2:3], v[6:7]
	s_waitcnt lgkmcnt(0)
	v_mad_i64_i32 v[8:9], null, v69, s12, 0
	s_lshl_b64 s[4:5], s[4:5], 3
	s_add_u32 s4, s8, s4
	s_addc_u32 s5, s9, s5
	v_lshlrev_b64 v[6:7], 3, v[8:9]
	v_add_co_u32 v72, vcc_lo, s4, v6
	v_add_co_ci_u32_e64 v73, null, s5, v7, vcc_lo
	v_add_co_u32 v6, vcc_lo, v72, v0
	v_add_co_ci_u32_e64 v7, null, v73, v1, vcc_lo
	s_and_b32 vcc_lo, exec_lo, s6
	flat_store_dwordx2 v[6:7], v[2:3]
	s_clause 0x1
	buffer_load_dword v6, off, s[0:3], 0 offset:8
	buffer_load_dword v7, off, s[0:3], 0 offset:12
	v_add_nc_u32_e32 v2, 4, v12
	v_ashrrev_i32_e32 v3, 31, v2
	v_lshlrev_b64 v[2:3], 3, v[2:3]
	s_cbranch_vccnz .LBB130_31
; %bb.30:
	v_add_co_u32 v4, vcc_lo, v70, v2
	v_add_co_ci_u32_e64 v5, null, v71, v3, vcc_lo
	flat_load_dwordx2 v[4:5], v[4:5]
	s_waitcnt vmcnt(0) lgkmcnt(0)
	v_mul_f64 v[4:5], s[10:11], v[4:5]
.LBB130_31:
	s_waitcnt vmcnt(0)
	v_add_f64 v[4:5], v[6:7], v[4:5]
	v_add_co_u32 v6, vcc_lo, v72, v2
	v_add_co_ci_u32_e64 v7, null, v73, v3, vcc_lo
	v_mov_b32_e32 v8, 0
	v_mov_b32_e32 v10, 0
	v_mov_b32_e32 v9, 0
	v_mov_b32_e32 v11, 0
	s_and_b32 vcc_lo, exec_lo, s6
	flat_store_dwordx2 v[6:7], v[4:5]
	s_clause 0x1
	buffer_load_dword v6, off, s[0:3], 0 offset:16
	buffer_load_dword v7, off, s[0:3], 0 offset:20
	v_add_nc_u32_e32 v4, 8, v12
	v_ashrrev_i32_e32 v5, 31, v4
	v_lshlrev_b64 v[4:5], 3, v[4:5]
	s_cbranch_vccnz .LBB130_33
; %bb.32:
	v_add_co_u32 v10, vcc_lo, v70, v4
	v_add_co_ci_u32_e64 v11, null, v71, v5, vcc_lo
	flat_load_dwordx2 v[10:11], v[10:11]
	s_waitcnt vmcnt(0) lgkmcnt(0)
	v_mul_f64 v[10:11], s[10:11], v[10:11]
.LBB130_33:
	s_waitcnt vmcnt(0)
	v_add_f64 v[6:7], v[6:7], v[10:11]
	v_add_co_u32 v10, vcc_lo, v72, v4
	v_add_co_ci_u32_e64 v11, null, v73, v5, vcc_lo
	s_and_b32 vcc_lo, exec_lo, s6
	flat_store_dwordx2 v[10:11], v[6:7]
	s_clause 0x1
	buffer_load_dword v10, off, s[0:3], 0 offset:24
	buffer_load_dword v11, off, s[0:3], 0 offset:28
	v_add_nc_u32_e32 v6, 12, v12
	v_ashrrev_i32_e32 v7, 31, v6
	v_lshlrev_b64 v[6:7], 3, v[6:7]
	s_cbranch_vccnz .LBB130_35
; %bb.34:
	v_add_co_u32 v8, vcc_lo, v70, v6
	v_add_co_ci_u32_e64 v9, null, v71, v7, vcc_lo
	flat_load_dwordx2 v[8:9], v[8:9]
	s_waitcnt vmcnt(0) lgkmcnt(0)
	v_mul_f64 v[8:9], s[10:11], v[8:9]
.LBB130_35:
	s_waitcnt vmcnt(0)
	v_add_f64 v[8:9], v[10:11], v[8:9]
	v_add_co_u32 v10, vcc_lo, v72, v6
	v_add_co_ci_u32_e64 v11, null, v73, v7, vcc_lo
	v_mov_b32_e32 v13, 0
	v_mov_b32_e32 v15, 0
	v_mov_b32_e32 v14, 0
	v_mov_b32_e32 v16, 0
	s_and_b32 vcc_lo, exec_lo, s6
	flat_store_dwordx2 v[10:11], v[8:9]
	s_clause 0x1
	buffer_load_dword v10, off, s[0:3], 0 offset:32
	buffer_load_dword v11, off, s[0:3], 0 offset:36
	v_add_nc_u32_e32 v8, 16, v12
	v_ashrrev_i32_e32 v9, 31, v8
	v_lshlrev_b64 v[8:9], 3, v[8:9]
	s_cbranch_vccnz .LBB130_37
; %bb.36:
	v_add_co_u32 v15, vcc_lo, v70, v8
	v_add_co_ci_u32_e64 v16, null, v71, v9, vcc_lo
	flat_load_dwordx2 v[15:16], v[15:16]
	s_waitcnt vmcnt(0) lgkmcnt(0)
	v_mul_f64 v[15:16], s[10:11], v[15:16]
.LBB130_37:
	s_waitcnt vmcnt(0)
	v_add_f64 v[10:11], v[10:11], v[15:16]
	;; [unrolled: 44-line block ×15, first 2 shown]
	v_add_co_u32 v67, vcc_lo, v72, v61
	v_add_co_ci_u32_e64 v68, null, v73, v62, vcc_lo
	s_and_b32 vcc_lo, exec_lo, s6
	flat_store_dwordx2 v[67:68], v[63:64]
	s_clause 0x1
	buffer_load_dword v67, off, s[0:3], 0 offset:248
	buffer_load_dword v68, off, s[0:3], 0 offset:252
	v_add_nc_u32_e32 v63, 0x7c, v12
	v_ashrrev_i32_e32 v64, 31, v63
	v_lshlrev_b64 v[63:64], 3, v[63:64]
	s_cbranch_vccnz .LBB130_91
; %bb.90:
	v_add_co_u32 v65, vcc_lo, v70, v63
	v_add_co_ci_u32_e64 v66, null, v71, v64, vcc_lo
	flat_load_dwordx2 v[65:66], v[65:66]
	s_waitcnt vmcnt(0) lgkmcnt(0)
	v_mul_f64 v[65:66], s[10:11], v[65:66]
.LBB130_91:
	s_waitcnt vmcnt(0)
	v_add_f64 v[65:66], v[67:68], v[65:66]
	v_add_co_u32 v67, vcc_lo, v72, v63
	v_add_co_ci_u32_e64 v68, null, v73, v64, vcc_lo
	v_add_nc_u32_e32 v72, 64, v69
	v_mov_b32_e32 v69, 0
	v_mov_b32_e32 v70, 0
	flat_store_dwordx2 v[67:68], v[65:66]
	s_clause 0x1
	buffer_load_dword v67, off, s[0:3], 0 offset:256
	buffer_load_dword v68, off, s[0:3], 0 offset:260
	v_mad_i64_i32 v[65:66], null, v72, s7, 0
	v_lshlrev_b64 v[73:74], 3, v[65:66]
	v_mov_b32_e32 v65, 0
	v_mov_b32_e32 v66, 0
	v_add_co_u32 v12, vcc_lo, s16, v73
	v_add_co_ci_u32_e64 v71, null, s17, v74, vcc_lo
	s_and_b32 vcc_lo, exec_lo, s6
	s_cbranch_vccnz .LBB130_93
; %bb.92:
	v_add_co_u32 v69, vcc_lo, v12, v0
	v_add_co_ci_u32_e64 v70, null, v71, v1, vcc_lo
	flat_load_dwordx2 v[69:70], v[69:70]
	s_waitcnt vmcnt(0) lgkmcnt(0)
	v_mul_f64 v[69:70], s[10:11], v[69:70]
.LBB130_93:
	v_mad_i64_i32 v[72:73], null, v72, s12, 0
	s_waitcnt vmcnt(0)
	v_add_f64 v[69:70], v[67:68], v[69:70]
	v_lshlrev_b64 v[67:68], 3, v[72:73]
	v_add_co_u32 v67, vcc_lo, s4, v67
	v_add_co_ci_u32_e64 v68, null, s5, v68, vcc_lo
	v_add_co_u32 v0, vcc_lo, v67, v0
	v_add_co_ci_u32_e64 v1, null, v68, v1, vcc_lo
	s_and_b32 vcc_lo, exec_lo, s6
	flat_store_dwordx2 v[0:1], v[69:70]
	s_clause 0x1
	buffer_load_dword v0, off, s[0:3], 0 offset:264
	buffer_load_dword v1, off, s[0:3], 0 offset:268
	s_cbranch_vccnz .LBB130_95
; %bb.94:
	v_add_co_u32 v65, vcc_lo, v12, v2
	v_add_co_ci_u32_e64 v66, null, v71, v3, vcc_lo
	flat_load_dwordx2 v[65:66], v[65:66]
	s_waitcnt vmcnt(0) lgkmcnt(0)
	v_mul_f64 v[65:66], s[10:11], v[65:66]
.LBB130_95:
	s_waitcnt vmcnt(0)
	v_add_f64 v[0:1], v[0:1], v[65:66]
	v_add_co_u32 v2, vcc_lo, v67, v2
	v_add_co_ci_u32_e64 v3, null, v68, v3, vcc_lo
	v_mov_b32_e32 v65, 0
	v_mov_b32_e32 v66, 0
	s_and_b32 vcc_lo, exec_lo, s6
	flat_store_dwordx2 v[2:3], v[0:1]
	s_clause 0x1
	buffer_load_dword v2, off, s[0:3], 0 offset:272
	buffer_load_dword v3, off, s[0:3], 0 offset:276
	v_mov_b32_e32 v0, 0
	v_mov_b32_e32 v1, 0
	s_cbranch_vccnz .LBB130_97
; %bb.96:
	v_add_co_u32 v65, vcc_lo, v12, v4
	v_add_co_ci_u32_e64 v66, null, v71, v5, vcc_lo
	flat_load_dwordx2 v[65:66], v[65:66]
	s_waitcnt vmcnt(0) lgkmcnt(0)
	v_mul_f64 v[65:66], s[10:11], v[65:66]
.LBB130_97:
	s_waitcnt vmcnt(0)
	v_add_f64 v[2:3], v[2:3], v[65:66]
	v_add_co_u32 v4, vcc_lo, v67, v4
	v_add_co_ci_u32_e64 v5, null, v68, v5, vcc_lo
	s_and_b32 vcc_lo, exec_lo, s6
	flat_store_dwordx2 v[4:5], v[2:3]
	s_clause 0x1
	buffer_load_dword v2, off, s[0:3], 0 offset:280
	buffer_load_dword v3, off, s[0:3], 0 offset:284
	s_cbranch_vccnz .LBB130_99
; %bb.98:
	v_add_co_u32 v0, vcc_lo, v12, v6
	v_add_co_ci_u32_e64 v1, null, v71, v7, vcc_lo
	flat_load_dwordx2 v[0:1], v[0:1]
	s_waitcnt vmcnt(0) lgkmcnt(0)
	v_mul_f64 v[0:1], s[10:11], v[0:1]
.LBB130_99:
	s_waitcnt vmcnt(0)
	v_add_f64 v[0:1], v[2:3], v[0:1]
	v_add_co_u32 v2, vcc_lo, v67, v6
	v_add_co_ci_u32_e64 v3, null, v68, v7, vcc_lo
	v_mov_b32_e32 v4, 0
	v_mov_b32_e32 v5, 0
	s_and_b32 vcc_lo, exec_lo, s6
	flat_store_dwordx2 v[2:3], v[0:1]
	s_clause 0x1
	buffer_load_dword v2, off, s[0:3], 0 offset:288
	buffer_load_dword v3, off, s[0:3], 0 offset:292
	v_mov_b32_e32 v0, 0
	v_mov_b32_e32 v1, 0
	s_cbranch_vccnz .LBB130_101
; %bb.100:
	v_add_co_u32 v4, vcc_lo, v12, v8
	v_add_co_ci_u32_e64 v5, null, v71, v9, vcc_lo
	flat_load_dwordx2 v[4:5], v[4:5]
	s_waitcnt vmcnt(0) lgkmcnt(0)
	v_mul_f64 v[4:5], s[10:11], v[4:5]
.LBB130_101:
	s_waitcnt vmcnt(0)
	v_add_f64 v[2:3], v[2:3], v[4:5]
	;; [unrolled: 38-line block ×15, first 2 shown]
	v_add_co_u32 v4, vcc_lo, v67, v61
	v_add_co_ci_u32_e64 v5, null, v68, v62, vcc_lo
	s_and_b32 vcc_lo, exec_lo, s6
	flat_store_dwordx2 v[4:5], v[2:3]
	s_clause 0x1
	buffer_load_dword v2, off, s[0:3], 0 offset:504
	buffer_load_dword v3, off, s[0:3], 0 offset:508
	s_cbranch_vccnz .LBB130_155
; %bb.154:
	v_add_co_u32 v0, vcc_lo, v12, v63
	v_add_co_ci_u32_e64 v1, null, v71, v64, vcc_lo
	flat_load_dwordx2 v[0:1], v[0:1]
	s_waitcnt vmcnt(0) lgkmcnt(0)
	v_mul_f64 v[0:1], s[10:11], v[0:1]
.LBB130_155:
	s_waitcnt vmcnt(0)
	v_add_f64 v[0:1], v[2:3], v[0:1]
	v_add_co_u32 v2, vcc_lo, v67, v63
	v_add_co_ci_u32_e64 v3, null, v68, v64, vcc_lo
	flat_store_dwordx2 v[2:3], v[0:1]
	s_endpgm
	.section	.rodata,"a",@progbits
	.p2align	6, 0x0
	.amdhsa_kernel _ZN12_GLOBAL__N_120geam_min_plus_kernelIdddLi4ELi64ELi128ELi128ELi4ELi64ELi4ELi4ELi64ELc78ELc78ELb1ELb0ELb0EdKPKdKPdEEviiiT16_PT17_ilS8_ilS6_S8_ilPT18_ili26rocblas_geam_ex_operation_
		.amdhsa_group_segment_fixed_size 16384
		.amdhsa_private_segment_fixed_size 528
		.amdhsa_kernarg_size 136
		.amdhsa_user_sgpr_count 6
		.amdhsa_user_sgpr_private_segment_buffer 1
		.amdhsa_user_sgpr_dispatch_ptr 0
		.amdhsa_user_sgpr_queue_ptr 0
		.amdhsa_user_sgpr_kernarg_segment_ptr 1
		.amdhsa_user_sgpr_dispatch_id 0
		.amdhsa_user_sgpr_flat_scratch_init 0
		.amdhsa_user_sgpr_private_segment_size 0
		.amdhsa_wavefront_size32 1
		.amdhsa_uses_dynamic_stack 0
		.amdhsa_system_sgpr_private_segment_wavefront_offset 1
		.amdhsa_system_sgpr_workgroup_id_x 1
		.amdhsa_system_sgpr_workgroup_id_y 0
		.amdhsa_system_sgpr_workgroup_id_z 1
		.amdhsa_system_sgpr_workgroup_info 0
		.amdhsa_system_vgpr_workitem_id 1
		.amdhsa_next_free_vgpr 229
		.amdhsa_next_free_sgpr 26
		.amdhsa_reserve_vcc 1
		.amdhsa_reserve_flat_scratch 1
		.amdhsa_float_round_mode_32 0
		.amdhsa_float_round_mode_16_64 0
		.amdhsa_float_denorm_mode_32 3
		.amdhsa_float_denorm_mode_16_64 3
		.amdhsa_dx10_clamp 1
		.amdhsa_ieee_mode 1
		.amdhsa_fp16_overflow 0
		.amdhsa_workgroup_processor_mode 1
		.amdhsa_memory_ordered 1
		.amdhsa_forward_progress 1
		.amdhsa_shared_vgpr_count 0
		.amdhsa_exception_fp_ieee_invalid_op 0
		.amdhsa_exception_fp_denorm_src 0
		.amdhsa_exception_fp_ieee_div_zero 0
		.amdhsa_exception_fp_ieee_overflow 0
		.amdhsa_exception_fp_ieee_underflow 0
		.amdhsa_exception_fp_ieee_inexact 0
		.amdhsa_exception_int_div_zero 0
	.end_amdhsa_kernel
	.section	.text._ZN12_GLOBAL__N_120geam_min_plus_kernelIdddLi4ELi64ELi128ELi128ELi4ELi64ELi4ELi4ELi64ELc78ELc78ELb1ELb0ELb0EdKPKdKPdEEviiiT16_PT17_ilS8_ilS6_S8_ilPT18_ili26rocblas_geam_ex_operation_,"axG",@progbits,_ZN12_GLOBAL__N_120geam_min_plus_kernelIdddLi4ELi64ELi128ELi128ELi4ELi64ELi4ELi4ELi64ELc78ELc78ELb1ELb0ELb0EdKPKdKPdEEviiiT16_PT17_ilS8_ilS6_S8_ilPT18_ili26rocblas_geam_ex_operation_,comdat
.Lfunc_end130:
	.size	_ZN12_GLOBAL__N_120geam_min_plus_kernelIdddLi4ELi64ELi128ELi128ELi4ELi64ELi4ELi4ELi64ELc78ELc78ELb1ELb0ELb0EdKPKdKPdEEviiiT16_PT17_ilS8_ilS6_S8_ilPT18_ili26rocblas_geam_ex_operation_, .Lfunc_end130-_ZN12_GLOBAL__N_120geam_min_plus_kernelIdddLi4ELi64ELi128ELi128ELi4ELi64ELi4ELi4ELi64ELc78ELc78ELb1ELb0ELb0EdKPKdKPdEEviiiT16_PT17_ilS8_ilS6_S8_ilPT18_ili26rocblas_geam_ex_operation_
                                        ; -- End function
	.set _ZN12_GLOBAL__N_120geam_min_plus_kernelIdddLi4ELi64ELi128ELi128ELi4ELi64ELi4ELi4ELi64ELc78ELc78ELb1ELb0ELb0EdKPKdKPdEEviiiT16_PT17_ilS8_ilS6_S8_ilPT18_ili26rocblas_geam_ex_operation_.num_vgpr, 229
	.set _ZN12_GLOBAL__N_120geam_min_plus_kernelIdddLi4ELi64ELi128ELi128ELi4ELi64ELi4ELi4ELi64ELc78ELc78ELb1ELb0ELb0EdKPKdKPdEEviiiT16_PT17_ilS8_ilS6_S8_ilPT18_ili26rocblas_geam_ex_operation_.num_agpr, 0
	.set _ZN12_GLOBAL__N_120geam_min_plus_kernelIdddLi4ELi64ELi128ELi128ELi4ELi64ELi4ELi4ELi64ELc78ELc78ELb1ELb0ELb0EdKPKdKPdEEviiiT16_PT17_ilS8_ilS6_S8_ilPT18_ili26rocblas_geam_ex_operation_.numbered_sgpr, 26
	.set _ZN12_GLOBAL__N_120geam_min_plus_kernelIdddLi4ELi64ELi128ELi128ELi4ELi64ELi4ELi4ELi64ELc78ELc78ELb1ELb0ELb0EdKPKdKPdEEviiiT16_PT17_ilS8_ilS6_S8_ilPT18_ili26rocblas_geam_ex_operation_.num_named_barrier, 0
	.set _ZN12_GLOBAL__N_120geam_min_plus_kernelIdddLi4ELi64ELi128ELi128ELi4ELi64ELi4ELi4ELi64ELc78ELc78ELb1ELb0ELb0EdKPKdKPdEEviiiT16_PT17_ilS8_ilS6_S8_ilPT18_ili26rocblas_geam_ex_operation_.private_seg_size, 528
	.set _ZN12_GLOBAL__N_120geam_min_plus_kernelIdddLi4ELi64ELi128ELi128ELi4ELi64ELi4ELi4ELi64ELc78ELc78ELb1ELb0ELb0EdKPKdKPdEEviiiT16_PT17_ilS8_ilS6_S8_ilPT18_ili26rocblas_geam_ex_operation_.uses_vcc, 1
	.set _ZN12_GLOBAL__N_120geam_min_plus_kernelIdddLi4ELi64ELi128ELi128ELi4ELi64ELi4ELi4ELi64ELc78ELc78ELb1ELb0ELb0EdKPKdKPdEEviiiT16_PT17_ilS8_ilS6_S8_ilPT18_ili26rocblas_geam_ex_operation_.uses_flat_scratch, 1
	.set _ZN12_GLOBAL__N_120geam_min_plus_kernelIdddLi4ELi64ELi128ELi128ELi4ELi64ELi4ELi4ELi64ELc78ELc78ELb1ELb0ELb0EdKPKdKPdEEviiiT16_PT17_ilS8_ilS6_S8_ilPT18_ili26rocblas_geam_ex_operation_.has_dyn_sized_stack, 0
	.set _ZN12_GLOBAL__N_120geam_min_plus_kernelIdddLi4ELi64ELi128ELi128ELi4ELi64ELi4ELi4ELi64ELc78ELc78ELb1ELb0ELb0EdKPKdKPdEEviiiT16_PT17_ilS8_ilS6_S8_ilPT18_ili26rocblas_geam_ex_operation_.has_recursion, 0
	.set _ZN12_GLOBAL__N_120geam_min_plus_kernelIdddLi4ELi64ELi128ELi128ELi4ELi64ELi4ELi4ELi64ELc78ELc78ELb1ELb0ELb0EdKPKdKPdEEviiiT16_PT17_ilS8_ilS6_S8_ilPT18_ili26rocblas_geam_ex_operation_.has_indirect_call, 0
	.section	.AMDGPU.csdata,"",@progbits
; Kernel info:
; codeLenInByte = 18756
; TotalNumSgprs: 28
; NumVgprs: 229
; ScratchSize: 528
; MemoryBound: 1
; FloatMode: 240
; IeeeMode: 1
; LDSByteSize: 16384 bytes/workgroup (compile time only)
; SGPRBlocks: 0
; VGPRBlocks: 28
; NumSGPRsForWavesPerEU: 28
; NumVGPRsForWavesPerEU: 229
; Occupancy: 4
; WaveLimiterHint : 1
; COMPUTE_PGM_RSRC2:SCRATCH_EN: 1
; COMPUTE_PGM_RSRC2:USER_SGPR: 6
; COMPUTE_PGM_RSRC2:TRAP_HANDLER: 0
; COMPUTE_PGM_RSRC2:TGID_X_EN: 1
; COMPUTE_PGM_RSRC2:TGID_Y_EN: 0
; COMPUTE_PGM_RSRC2:TGID_Z_EN: 1
; COMPUTE_PGM_RSRC2:TIDIG_COMP_CNT: 1
	.section	.text._ZN12_GLOBAL__N_120geam_min_plus_kernelIdddLi4ELi64ELi128ELi128ELi4ELi64ELi4ELi4ELi64ELc78ELc78ELb0ELb0ELb0EdKPKdKPdEEviiiT16_PT17_ilS8_ilS6_S8_ilPT18_ili26rocblas_geam_ex_operation_,"axG",@progbits,_ZN12_GLOBAL__N_120geam_min_plus_kernelIdddLi4ELi64ELi128ELi128ELi4ELi64ELi4ELi4ELi64ELc78ELc78ELb0ELb0ELb0EdKPKdKPdEEviiiT16_PT17_ilS8_ilS6_S8_ilPT18_ili26rocblas_geam_ex_operation_,comdat
	.globl	_ZN12_GLOBAL__N_120geam_min_plus_kernelIdddLi4ELi64ELi128ELi128ELi4ELi64ELi4ELi4ELi64ELc78ELc78ELb0ELb0ELb0EdKPKdKPdEEviiiT16_PT17_ilS8_ilS6_S8_ilPT18_ili26rocblas_geam_ex_operation_ ; -- Begin function _ZN12_GLOBAL__N_120geam_min_plus_kernelIdddLi4ELi64ELi128ELi128ELi4ELi64ELi4ELi4ELi64ELc78ELc78ELb0ELb0ELb0EdKPKdKPdEEviiiT16_PT17_ilS8_ilS6_S8_ilPT18_ili26rocblas_geam_ex_operation_
	.p2align	8
	.type	_ZN12_GLOBAL__N_120geam_min_plus_kernelIdddLi4ELi64ELi128ELi128ELi4ELi64ELi4ELi4ELi64ELc78ELc78ELb0ELb0ELb0EdKPKdKPdEEviiiT16_PT17_ilS8_ilS6_S8_ilPT18_ili26rocblas_geam_ex_operation_,@function
_ZN12_GLOBAL__N_120geam_min_plus_kernelIdddLi4ELi64ELi128ELi128ELi4ELi64ELi4ELi4ELi64ELc78ELc78ELb0ELb0ELb0EdKPKdKPdEEviiiT16_PT17_ilS8_ilS6_S8_ilPT18_ili26rocblas_geam_ex_operation_: ; @_ZN12_GLOBAL__N_120geam_min_plus_kernelIdddLi4ELi64ELi128ELi128ELi4ELi64ELi4ELi4ELi64ELc78ELc78ELb0ELb0ELb0EdKPKdKPdEEviiiT16_PT17_ilS8_ilS6_S8_ilPT18_ili26rocblas_geam_ex_operation_
; %bb.0:
	s_clause 0x1
	s_load_dwordx4 s[12:15], s[4:5], 0x10
	s_load_dwordx4 s[16:19], s[4:5], 0x28
	s_mov_b32 s24, s7
	s_add_u32 s0, s0, s8
	s_addc_u32 s1, s1, 0
	s_mov_b64 s[22:23], 0
	s_waitcnt lgkmcnt(0)
	v_cmp_eq_f64_e64 s7, s[12:13], 0
	s_and_b32 vcc_lo, exec_lo, s7
	s_cbranch_vccnz .LBB131_2
; %bb.1:
	s_mov_b32 s25, 0
	s_lshl_b64 s[8:9], s[24:25], 3
	s_add_u32 s8, s14, s8
	s_addc_u32 s9, s15, s9
	s_lshl_b64 s[10:11], s[16:17], 3
	s_load_dwordx2 s[8:9], s[8:9], 0x0
	s_waitcnt lgkmcnt(0)
	s_add_u32 s22, s8, s10
	s_addc_u32 s23, s9, s11
.LBB131_2:
	s_clause 0x1
	s_load_dwordx4 s[8:11], s[4:5], 0x40
	s_load_dwordx2 s[26:27], s[4:5], 0x50
	s_andn2_b32 vcc_lo, exec_lo, s7
	s_mov_b32 s25, 0
	s_cbranch_vccnz .LBB131_4
; %bb.3:
	s_mov_b32 s7, s25
	s_mov_b64 s[14:15], 0
	s_andn2_b32 vcc_lo, exec_lo, s7
	s_mov_b64 s[20:21], 0
	s_cbranch_vccz .LBB131_5
	s_branch .LBB131_6
.LBB131_4:
	s_mov_b64 s[14:15], 0
	s_mov_b64 s[20:21], 0
.LBB131_5:
	s_lshl_b64 s[16:17], s[24:25], 3
	s_add_u32 s16, s18, s16
	s_addc_u32 s17, s19, s17
	s_waitcnt lgkmcnt(0)
	s_lshl_b64 s[8:9], s[8:9], 3
	s_load_dwordx2 s[16:17], s[16:17], 0x0
	s_waitcnt lgkmcnt(0)
	s_add_u32 s20, s16, s8
	s_addc_u32 s21, s17, s9
.LBB131_6:
	s_waitcnt lgkmcnt(0)
	v_cmp_eq_f64_e64 s7, s[10:11], 0
	v_cmp_neq_f64_e64 s28, s[12:13], 0
	s_load_dwordx4 s[16:19], s[4:5], 0x60
	s_and_b32 vcc_lo, exec_lo, s7
	s_cbranch_vccnz .LBB131_8
; %bb.7:
	s_lshl_b64 s[8:9], s[24:25], 3
	s_add_u32 s8, s26, s8
	s_addc_u32 s9, s27, s9
	s_waitcnt lgkmcnt(0)
	s_lshl_b64 s[14:15], s[16:17], 3
	s_load_dwordx2 s[8:9], s[8:9], 0x0
	s_waitcnt lgkmcnt(0)
	s_add_u32 s14, s8, s14
	s_addc_u32 s15, s9, s15
.LBB131_8:
	s_clause 0x1
	s_load_dword s26, s[4:5], 0x20
	s_load_dword s7, s[4:5], 0x0
	s_lshl_b64 s[8:9], s[24:25], 3
	v_mov_b32_e32 v9, 0
	v_lshl_add_u32 v8, v1, 2, v0
	buffer_store_dword v9, off, s[0:3], 0 offset:4
	buffer_store_dword v9, off, s[0:3], 0
	buffer_store_dword v9, off, s[0:3], 0 offset:12
	buffer_store_dword v9, off, s[0:3], 0 offset:8
	;; [unrolled: 1-line block ×39, first 2 shown]
	s_waitcnt lgkmcnt(0)
	s_ashr_i32 s24, s26, 31
	s_add_u32 s8, s18, s8
	s_addc_u32 s9, s19, s9
	s_add_i32 s7, s7, -1
	s_load_dwordx2 s[8:9], s[8:9], 0x0
	s_ashr_i32 s16, s7, 31
	v_and_b32_e32 v80, 63, v8
	s_lshr_b32 s16, s16, 25
	v_mov_b32_e32 v16, 0
	s_add_i32 s7, s7, s16
	v_mov_b32_e32 v4, 0
	s_ashr_i32 s7, s7, 7
	v_lshrrev_b32_e32 v84, 6, v8
	s_add_i32 s17, s7, 1
	s_not_b32 s7, s7
	v_cvt_f32_u32_e32 v2, s17
	v_mov_b32_e32 v17, 0
	v_mov_b32_e32 v5, 0
	buffer_store_dword v9, off, s[0:3], 0 offset:160
	buffer_store_dword v9, off, s[0:3], 0 offset:172
	v_rcp_iflag_f32_e32 v2, v2
	buffer_store_dword v9, off, s[0:3], 0 offset:168
	buffer_store_dword v9, off, s[0:3], 0 offset:180
	buffer_store_dword v9, off, s[0:3], 0 offset:176
	buffer_store_dword v9, off, s[0:3], 0 offset:188
	buffer_store_dword v9, off, s[0:3], 0 offset:184
	buffer_store_dword v9, off, s[0:3], 0 offset:196
	buffer_store_dword v9, off, s[0:3], 0 offset:192
	buffer_store_dword v9, off, s[0:3], 0 offset:204
	buffer_store_dword v9, off, s[0:3], 0 offset:200
	buffer_store_dword v9, off, s[0:3], 0 offset:212
	buffer_store_dword v9, off, s[0:3], 0 offset:208
	buffer_store_dword v9, off, s[0:3], 0 offset:220
	buffer_store_dword v9, off, s[0:3], 0 offset:216
	buffer_store_dword v9, off, s[0:3], 0 offset:228
	buffer_store_dword v9, off, s[0:3], 0 offset:224
	buffer_store_dword v9, off, s[0:3], 0 offset:236
	buffer_store_dword v9, off, s[0:3], 0 offset:232
	buffer_store_dword v9, off, s[0:3], 0 offset:244
	buffer_store_dword v9, off, s[0:3], 0 offset:240
	buffer_store_dword v9, off, s[0:3], 0 offset:252
	buffer_store_dword v9, off, s[0:3], 0 offset:248
	buffer_store_dword v9, off, s[0:3], 0 offset:260
	buffer_store_dword v9, off, s[0:3], 0 offset:256
	buffer_store_dword v9, off, s[0:3], 0 offset:268
	buffer_store_dword v9, off, s[0:3], 0 offset:264
	buffer_store_dword v9, off, s[0:3], 0 offset:276
	buffer_store_dword v9, off, s[0:3], 0 offset:272
	buffer_store_dword v9, off, s[0:3], 0 offset:284
	buffer_store_dword v9, off, s[0:3], 0 offset:280
	buffer_store_dword v9, off, s[0:3], 0 offset:292
	buffer_store_dword v9, off, s[0:3], 0 offset:288
	buffer_store_dword v9, off, s[0:3], 0 offset:300
	buffer_store_dword v9, off, s[0:3], 0 offset:296
	buffer_store_dword v9, off, s[0:3], 0 offset:308
	buffer_store_dword v9, off, s[0:3], 0 offset:304
	buffer_store_dword v9, off, s[0:3], 0 offset:316
	buffer_store_dword v9, off, s[0:3], 0 offset:312
	buffer_store_dword v9, off, s[0:3], 0 offset:324
	buffer_store_dword v9, off, s[0:3], 0 offset:320
	buffer_store_dword v9, off, s[0:3], 0 offset:332
	buffer_store_dword v9, off, s[0:3], 0 offset:328
	buffer_store_dword v9, off, s[0:3], 0 offset:340
	buffer_store_dword v9, off, s[0:3], 0 offset:336
	buffer_store_dword v9, off, s[0:3], 0 offset:348
	buffer_store_dword v9, off, s[0:3], 0 offset:344
	buffer_store_dword v9, off, s[0:3], 0 offset:356
	buffer_store_dword v9, off, s[0:3], 0 offset:352
	buffer_store_dword v9, off, s[0:3], 0 offset:364
	buffer_store_dword v9, off, s[0:3], 0 offset:360
	buffer_store_dword v9, off, s[0:3], 0 offset:372
	buffer_store_dword v9, off, s[0:3], 0 offset:368
	buffer_store_dword v9, off, s[0:3], 0 offset:380
	buffer_store_dword v9, off, s[0:3], 0 offset:376
	buffer_store_dword v9, off, s[0:3], 0 offset:388
	buffer_store_dword v9, off, s[0:3], 0 offset:384
	buffer_store_dword v9, off, s[0:3], 0 offset:396
	buffer_store_dword v9, off, s[0:3], 0 offset:392
	buffer_store_dword v9, off, s[0:3], 0 offset:404
	buffer_store_dword v9, off, s[0:3], 0 offset:400
	buffer_store_dword v9, off, s[0:3], 0 offset:412
	buffer_store_dword v9, off, s[0:3], 0 offset:408
	buffer_store_dword v9, off, s[0:3], 0 offset:420
	buffer_store_dword v9, off, s[0:3], 0 offset:416
	buffer_store_dword v9, off, s[0:3], 0 offset:428
	buffer_store_dword v9, off, s[0:3], 0 offset:424
	buffer_store_dword v9, off, s[0:3], 0 offset:436
	buffer_store_dword v9, off, s[0:3], 0 offset:432
	buffer_store_dword v9, off, s[0:3], 0 offset:444
	buffer_store_dword v9, off, s[0:3], 0 offset:440
	buffer_store_dword v9, off, s[0:3], 0 offset:452
	buffer_store_dword v9, off, s[0:3], 0 offset:448
	buffer_store_dword v9, off, s[0:3], 0 offset:460
	buffer_store_dword v9, off, s[0:3], 0 offset:456
	buffer_store_dword v9, off, s[0:3], 0 offset:468
	buffer_store_dword v9, off, s[0:3], 0 offset:464
	buffer_store_dword v9, off, s[0:3], 0 offset:476
	buffer_store_dword v9, off, s[0:3], 0 offset:472
	buffer_store_dword v9, off, s[0:3], 0 offset:484
	buffer_store_dword v9, off, s[0:3], 0 offset:480
	buffer_store_dword v9, off, s[0:3], 0 offset:492
	v_mul_f32_e32 v2, 0x4f7ffffe, v2
	buffer_store_dword v9, off, s[0:3], 0 offset:488
	buffer_store_dword v9, off, s[0:3], 0 offset:500
	;; [unrolled: 1-line block ×5, first 2 shown]
	v_cvt_u32_f32_e32 v2, v2
	v_readfirstlane_b32 s16, v2
	v_cndmask_b32_e64 v2, 0, 1, s28
	s_mul_i32 s7, s7, s16
	s_mul_hi_u32 s7, s16, s7
	s_add_i32 s16, s16, s7
	s_mul_hi_u32 s7, s6, s16
	s_mul_i32 s16, s7, s17
	s_add_i32 s18, s7, 1
	s_sub_i32 s16, s6, s16
	s_sub_i32 s19, s16, s17
	s_cmp_ge_u32 s16, s17
	s_cselect_b32 s7, s18, s7
	s_cselect_b32 s16, s19, s16
	s_add_i32 s18, s7, 1
	s_cmp_ge_u32 s16, s17
	s_cselect_b32 s16, s18, s7
	s_andn2_b32 vcc_lo, exec_lo, s28
	s_mul_i32 s7, s16, s17
	s_sub_i32 s6, s6, s7
	s_lshl_b32 s7, s6, 7
	v_cmp_ne_u32_e64 s6, 1, v2
	v_or_b32_e32 v6, s7, v80
	v_mov_b32_e32 v2, 0
	v_mov_b32_e32 v3, 0
	v_ashrrev_i32_e32 v7, 31, v6
	s_cbranch_vccnz .LBB131_10
; %bb.9:
	v_mad_i64_i32 v[2:3], null, s26, v84, 0
	v_lshlrev_b64 v[4:5], 3, v[6:7]
	v_lshlrev_b64 v[2:3], 3, v[2:3]
	v_add_co_u32 v2, vcc_lo, s22, v2
	v_add_co_ci_u32_e64 v3, null, s23, v3, vcc_lo
	v_add_co_u32 v2, vcc_lo, v2, v4
	v_add_co_ci_u32_e64 v3, null, v3, v5, vcc_lo
	s_clause 0x1
	flat_load_dwordx2 v[4:5], v[2:3]
	flat_load_dwordx2 v[9:10], v[2:3] offset:512
	s_waitcnt vmcnt(1) lgkmcnt(0)
	v_mul_f64 v[2:3], s[12:13], v[4:5]
	s_waitcnt vmcnt(0)
	v_mul_f64 v[4:5], s[12:13], v[9:10]
.LBB131_10:
	s_load_dword s19, s[4:5], 0x38
	v_lshrrev_b32_e32 v20, 2, v8
	s_lshl_b32 s16, s16, 7
	v_and_b32_e32 v85, 3, v0
	v_mov_b32_e32 v18, 0
	v_mov_b32_e32 v19, 0
	v_add_nc_u32_e32 v82, s16, v20
	s_and_b32 vcc_lo, exec_lo, s6
	v_lshlrev_b32_e32 v21, 3, v85
	v_add_nc_u32_e32 v81, 64, v82
	s_cbranch_vccnz .LBB131_12
; %bb.11:
	s_waitcnt lgkmcnt(0)
	v_mad_i64_i32 v[8:9], null, v82, s19, 0
	v_mad_i64_i32 v[10:11], null, v81, s19, 0
	v_add_co_u32 v12, s17, s20, v21
	v_add_co_ci_u32_e64 v13, null, s21, 0, s17
	v_lshlrev_b64 v[8:9], 3, v[8:9]
	v_lshlrev_b64 v[10:11], 3, v[10:11]
	v_add_co_u32 v8, vcc_lo, v12, v8
	v_add_co_ci_u32_e64 v9, null, v13, v9, vcc_lo
	v_add_co_u32 v10, vcc_lo, v12, v10
	v_add_co_ci_u32_e64 v11, null, v13, v11, vcc_lo
	s_clause 0x1
	flat_load_dwordx2 v[8:9], v[8:9]
	flat_load_dwordx2 v[10:11], v[10:11]
	s_waitcnt vmcnt(1) lgkmcnt(1)
	v_mul_f64 v[16:17], s[12:13], v[8:9]
	s_waitcnt vmcnt(0) lgkmcnt(0)
	v_mul_f64 v[18:19], s[12:13], v[10:11]
.LBB131_12:
	v_mov_b32_e32 v12, 0
	v_mov_b32_e32 v8, 0
	v_mov_b32_e32 v10, 0
	v_mov_b32_e32 v13, 0
	v_mov_b32_e32 v9, 0
	v_mov_b32_e32 v11, 0
	v_add_nc_u32_e32 v86, 4, v84
	s_and_b32 vcc_lo, exec_lo, s6
	s_cbranch_vccnz .LBB131_14
; %bb.13:
	v_mad_i64_i32 v[8:9], null, s26, v86, 0
	v_lshlrev_b64 v[10:11], 3, v[6:7]
	v_lshlrev_b64 v[8:9], 3, v[8:9]
	v_add_co_u32 v8, vcc_lo, s22, v8
	v_add_co_ci_u32_e64 v9, null, s23, v9, vcc_lo
	v_add_co_u32 v8, vcc_lo, v8, v10
	v_add_co_ci_u32_e64 v9, null, v9, v11, vcc_lo
	s_clause 0x1
	flat_load_dwordx2 v[10:11], v[8:9]
	flat_load_dwordx2 v[14:15], v[8:9] offset:512
	s_waitcnt vmcnt(1) lgkmcnt(0)
	v_mul_f64 v[8:9], s[12:13], v[10:11]
	s_waitcnt vmcnt(0)
	v_mul_f64 v[10:11], s[12:13], v[14:15]
.LBB131_14:
	v_mov_b32_e32 v14, 0
	v_mov_b32_e32 v15, 0
	s_and_b32 vcc_lo, exec_lo, s6
	s_cbranch_vccnz .LBB131_16
; %bb.15:
	s_waitcnt lgkmcnt(0)
	v_mad_i64_i32 v[12:13], null, v82, s19, 0
	v_mad_i64_i32 v[14:15], null, v81, s19, 0
	v_add_co_u32 v22, s17, s20, v21
	v_add_co_ci_u32_e64 v23, null, s21, 0, s17
	v_lshlrev_b64 v[12:13], 3, v[12:13]
	v_lshlrev_b64 v[14:15], 3, v[14:15]
	v_add_co_u32 v12, vcc_lo, v22, v12
	v_add_co_ci_u32_e64 v13, null, v23, v13, vcc_lo
	v_add_co_u32 v14, vcc_lo, v22, v14
	v_add_co_ci_u32_e64 v15, null, v23, v15, vcc_lo
	s_clause 0x1
	flat_load_dwordx2 v[12:13], v[12:13] offset:32
	flat_load_dwordx2 v[14:15], v[14:15] offset:32
	s_waitcnt vmcnt(1) lgkmcnt(1)
	v_mul_f64 v[12:13], s[12:13], v[12:13]
	s_waitcnt vmcnt(0) lgkmcnt(0)
	v_mul_f64 v[14:15], s[12:13], v[14:15]
.LBB131_16:
	v_cmp_neq_f64_e64 s17, s[10:11], 0
	v_lshlrev_b32_e32 v22, 5, v80
	v_lshl_or_b32 v83, v20, 5, v21
	v_lshlrev_b32_e32 v89, 5, v0
	v_lshl_or_b32 v90, v1, 5, 0x2000
	s_mov_b32 s18, 0
	v_lshl_add_u32 v87, v84, 3, v22
	v_add_nc_u32_e32 v88, 0x2000, v83
	s_addk_i32 s18, 0x100
	ds_write2st64_b64 v83, v[16:17], v[18:19] offset0:16 offset1:20
	ds_write2st64_b64 v87, v[2:3], v[4:5] offset1:4
	s_waitcnt lgkmcnt(0)
	s_waitcnt_vscnt null, 0x0
	s_barrier
	buffer_gl0_inv
.LBB131_17:                             ; =>This Loop Header: Depth=1
                                        ;     Child Loop BB131_18 Depth 2
	s_lshl_b32 s27, s25, 3
	s_mov_b32 s28, 0
	v_add_nc_u32_e32 v16, s27, v89
	v_add_nc_u32_e32 v91, s27, v90
	s_mov_b32 s27, -1
	ds_read2_b64 v[2:5], v16 offset1:16
	ds_read2_b64 v[20:23], v16 offset0:32 offset1:48
	ds_read2_b64 v[24:27], v16 offset0:64 offset1:80
	ds_read2_b64 v[28:31], v16 offset0:96 offset1:112
	ds_read2_b64 v[32:35], v16 offset0:128 offset1:144
	v_add_nc_u32_e32 v76, 0x800, v16
	ds_read2_b64 v[36:39], v16 offset0:160 offset1:176
	ds_read2_b64 v[40:43], v16 offset0:192 offset1:208
	ds_read2_b64 v[44:47], v16 offset0:224 offset1:240
	ds_read2_b64 v[48:51], v76 offset1:16
	ds_read2_b64 v[52:55], v76 offset0:32 offset1:48
	ds_read2_b64 v[56:59], v76 offset0:64 offset1:80
	;; [unrolled: 1-line block ×6, first 2 shown]
	s_waitcnt lgkmcnt(9)
	v_max_f64 v[36:37], v[36:37], v[36:37]
	v_max_f64 v[38:39], v[38:39], v[38:39]
	;; [unrolled: 1-line block ×4, first 2 shown]
	ds_read2_b64 v[2:5], v76 offset0:224 offset1:240
	v_max_f64 v[20:21], v[20:21], v[20:21]
	v_max_f64 v[22:23], v[22:23], v[22:23]
	;; [unrolled: 1-line block ×8, first 2 shown]
	s_waitcnt lgkmcnt(9)
	v_max_f64 v[40:41], v[40:41], v[40:41]
	v_max_f64 v[42:43], v[42:43], v[42:43]
	s_waitcnt lgkmcnt(8)
	v_max_f64 v[44:45], v[44:45], v[44:45]
	v_max_f64 v[46:47], v[46:47], v[46:47]
	s_waitcnt lgkmcnt(7)
	v_max_f64 v[48:49], v[48:49], v[48:49]
	v_max_f64 v[50:51], v[50:51], v[50:51]
	s_waitcnt lgkmcnt(6)
	v_max_f64 v[52:53], v[52:53], v[52:53]
	v_max_f64 v[54:55], v[54:55], v[54:55]
	s_waitcnt lgkmcnt(5)
	v_max_f64 v[56:57], v[56:57], v[56:57]
	v_max_f64 v[58:59], v[58:59], v[58:59]
	s_waitcnt lgkmcnt(4)
	v_max_f64 v[60:61], v[60:61], v[60:61]
	v_max_f64 v[62:63], v[62:63], v[62:63]
	s_waitcnt lgkmcnt(3)
	v_max_f64 v[64:65], v[64:65], v[64:65]
	v_max_f64 v[66:67], v[66:67], v[66:67]
	s_waitcnt lgkmcnt(2)
	v_max_f64 v[68:69], v[68:69], v[68:69]
	v_max_f64 v[70:71], v[70:71], v[70:71]
	s_waitcnt lgkmcnt(1)
	v_max_f64 v[72:73], v[72:73], v[72:73]
	v_max_f64 v[74:75], v[74:75], v[74:75]
	s_waitcnt lgkmcnt(0)
	v_max_f64 v[76:77], v[2:3], v[2:3]
	v_max_f64 v[78:79], v[4:5], v[4:5]
	ds_read2st64_b64 v[2:5], v91 offset1:4
.LBB131_18:                             ;   Parent Loop BB131_17 Depth=1
                                        ; =>  This Inner Loop Header: Depth=2
	v_mov_b32_e32 v219, s28
	s_waitcnt lgkmcnt(0)
	v_max_f64 v[155:156], v[2:3], v[2:3]
	v_mov_b32_e32 v2, v4
	v_mov_b32_e32 v3, v5
	s_and_b32 vcc_lo, exec_lo, s27
	s_clause 0x3e
	buffer_load_dword v91, v219, s[0:3], 0 offen
	buffer_load_dword v92, v219, s[0:3], 0 offen offset:4
	buffer_load_dword v93, v219, s[0:3], 0 offen offset:8
	;; [unrolled: 1-line block ×63, first 2 shown]
	s_mov_b32 s27, 0
	s_mov_b32 s28, s18
	v_min_f64 v[157:158], v[16:17], v[155:156]
	v_min_f64 v[159:160], v[18:19], v[155:156]
	;; [unrolled: 1-line block ×32, first 2 shown]
	s_waitcnt vmcnt(62)
	v_add_f64 v[91:92], v[157:158], v[91:92]
	s_waitcnt vmcnt(60)
	v_add_f64 v[93:94], v[159:160], v[93:94]
	s_waitcnt vmcnt(58)
	v_add_f64 v[95:96], v[161:162], v[95:96]
	s_waitcnt vmcnt(56)
	v_add_f64 v[97:98], v[163:164], v[97:98]
	s_waitcnt vmcnt(54)
	v_add_f64 v[99:100], v[165:166], v[99:100]
	s_waitcnt vmcnt(52)
	v_add_f64 v[101:102], v[167:168], v[101:102]
	s_waitcnt vmcnt(50)
	v_add_f64 v[103:104], v[169:170], v[103:104]
	s_waitcnt vmcnt(48)
	v_add_f64 v[105:106], v[171:172], v[105:106]
	s_waitcnt vmcnt(46)
	v_add_f64 v[107:108], v[175:176], v[107:108]
	s_waitcnt vmcnt(44)
	v_add_f64 v[109:110], v[177:178], v[109:110]
	s_waitcnt vmcnt(42)
	v_add_f64 v[111:112], v[179:180], v[111:112]
	s_waitcnt vmcnt(40)
	v_add_f64 v[113:114], v[173:174], v[113:114]
	s_waitcnt vmcnt(38)
	v_add_f64 v[115:116], v[181:182], v[115:116]
	s_waitcnt vmcnt(36)
	v_add_f64 v[117:118], v[183:184], v[117:118]
	s_waitcnt vmcnt(34)
	v_add_f64 v[119:120], v[185:186], v[119:120]
	s_waitcnt vmcnt(32)
	v_add_f64 v[121:122], v[187:188], v[121:122]
	s_waitcnt vmcnt(30)
	v_add_f64 v[123:124], v[189:190], v[123:124]
	s_waitcnt vmcnt(28)
	v_add_f64 v[125:126], v[191:192], v[125:126]
	s_waitcnt vmcnt(26)
	v_add_f64 v[127:128], v[193:194], v[127:128]
	s_waitcnt vmcnt(24)
	v_add_f64 v[129:130], v[195:196], v[129:130]
	s_waitcnt vmcnt(22)
	v_add_f64 v[131:132], v[197:198], v[131:132]
	s_waitcnt vmcnt(20)
	v_add_f64 v[133:134], v[199:200], v[133:134]
	s_waitcnt vmcnt(18)
	v_add_f64 v[135:136], v[201:202], v[135:136]
	s_waitcnt vmcnt(16)
	v_add_f64 v[137:138], v[203:204], v[137:138]
	s_waitcnt vmcnt(14)
	v_add_f64 v[139:140], v[205:206], v[139:140]
	s_waitcnt vmcnt(12)
	v_add_f64 v[141:142], v[207:208], v[141:142]
	s_waitcnt vmcnt(10)
	v_add_f64 v[143:144], v[209:210], v[143:144]
	s_waitcnt vmcnt(8)
	v_add_f64 v[145:146], v[211:212], v[145:146]
	s_waitcnt vmcnt(6)
	v_add_f64 v[147:148], v[213:214], v[147:148]
	s_waitcnt vmcnt(4)
	v_add_f64 v[149:150], v[215:216], v[149:150]
	s_waitcnt vmcnt(2)
	v_add_f64 v[151:152], v[217:218], v[151:152]
	s_waitcnt vmcnt(0)
	v_add_f64 v[153:154], v[155:156], v[153:154]
	buffer_store_dword v91, v219, s[0:3], 0 offen
	buffer_store_dword v92, v219, s[0:3], 0 offen offset:4
	buffer_store_dword v93, v219, s[0:3], 0 offen offset:8
	;; [unrolled: 1-line block ×63, first 2 shown]
	s_cbranch_vccnz .LBB131_18
; %bb.19:                               ;   in Loop: Header=BB131_17 Depth=1
	s_add_i32 s25, s25, 1
	s_cmp_eq_u32 s25, 4
	s_cbranch_scc0 .LBB131_17
; %bb.20:
	s_load_dword s25, s[4:5], 0x8
	v_lshlrev_b32_e32 v2, 3, v84
	v_lshl_add_u32 v91, v0, 5, 0x1000
	v_lshl_add_u32 v92, v1, 5, 0x3000
	;; [unrolled: 1-line block ×3, first 2 shown]
	ds_write2st64_b64 v2, v[8:9], v[10:11] offset0:8 offset1:12
	ds_write2st64_b64 v83, v[12:13], v[14:15] offset0:24 offset1:28
	s_waitcnt lgkmcnt(0)
	s_waitcnt_vscnt null, 0x0
	s_barrier
	buffer_gl0_inv
	s_cmp_lt_i32 s25, 9
	s_cbranch_scc1 .LBB131_39
; %bb.21:
	v_mad_i64_i32 v[3:4], null, v82, s19, 0
	v_lshlrev_b64 v[5:6], 3, v[6:7]
	v_mad_i64_i32 v[7:8], null, v81, s19, 0
	v_or_b32_e32 v93, 0x1000, v2
	v_add_nc_u32_e32 v94, 0x3000, v83
	v_mov_b32_e32 v75, 0
	v_add_co_u32 v95, vcc_lo, s22, v5
	v_lshlrev_b64 v[70:71], 3, v[3:4]
	v_lshlrev_b64 v[72:73], 3, v[7:8]
	v_add_co_ci_u32_e64 v96, null, s23, v6, vcc_lo
	s_add_i32 s19, s25, -8
	s_mov_b32 s22, 8
	s_mov_b32 s23, 0
.LBB131_22:                             ; =>This Loop Header: Depth=1
                                        ;     Child Loop BB131_27 Depth 2
                                        ;       Child Loop BB131_28 Depth 3
                                        ;     Child Loop BB131_35 Depth 2
                                        ;       Child Loop BB131_36 Depth 3
	v_mov_b32_e32 v6, 0
	v_mov_b32_e32 v8, 0
	;; [unrolled: 1-line block ×6, first 2 shown]
	s_and_b32 vcc_lo, exec_lo, s6
	s_cbranch_vccnz .LBB131_24
; %bb.23:                               ;   in Loop: Header=BB131_22 Depth=1
	v_add_nc_u32_e32 v4, s22, v84
	v_mad_u64_u32 v[2:3], null, v4, s26, 0
	v_mad_u64_u32 v[3:4], null, v4, s24, v[3:4]
	v_lshlrev_b64 v[2:3], 3, v[2:3]
	v_add_co_u32 v2, vcc_lo, v95, v2
	v_add_co_ci_u32_e64 v3, null, v96, v3, vcc_lo
	s_clause 0x1
	flat_load_dwordx2 v[4:5], v[2:3]
	flat_load_dwordx2 v[2:3], v[2:3] offset:512
	s_waitcnt vmcnt(1) lgkmcnt(1)
	v_mul_f64 v[8:9], s[12:13], v[4:5]
	s_waitcnt vmcnt(0) lgkmcnt(0)
	v_mul_f64 v[10:11], s[12:13], v[2:3]
.LBB131_24:                             ;   in Loop: Header=BB131_22 Depth=1
	v_mov_b32_e32 v12, 0
	v_mov_b32_e32 v13, 0
	s_and_b32 vcc_lo, exec_lo, s6
	s_cbranch_vccnz .LBB131_26
; %bb.25:                               ;   in Loop: Header=BB131_22 Depth=1
	v_or_b32_e32 v74, s22, v85
	v_lshlrev_b64 v[2:3], 3, v[74:75]
	v_add_co_u32 v4, vcc_lo, s20, v2
	v_add_co_ci_u32_e64 v5, null, s21, v3, vcc_lo
	v_add_co_u32 v2, vcc_lo, v4, v70
	v_add_co_ci_u32_e64 v3, null, v5, v71, vcc_lo
	;; [unrolled: 2-line block ×3, first 2 shown]
	s_clause 0x1
	flat_load_dwordx2 v[2:3], v[2:3]
	flat_load_dwordx2 v[4:5], v[4:5]
	s_waitcnt vmcnt(1) lgkmcnt(1)
	v_mul_f64 v[6:7], s[12:13], v[2:3]
	s_waitcnt vmcnt(0) lgkmcnt(0)
	v_mul_f64 v[12:13], s[12:13], v[4:5]
.LBB131_26:                             ;   in Loop: Header=BB131_22 Depth=1
	s_mov_b32 s25, 0
.LBB131_27:                             ;   Parent Loop BB131_22 Depth=1
                                        ; =>  This Loop Header: Depth=2
                                        ;       Child Loop BB131_28 Depth 3
	s_lshl_b32 s27, s25, 3
	s_mov_b32 s28, 0
	v_add_nc_u32_e32 v14, s27, v91
	v_add_nc_u32_e32 v74, s27, v92
	s_mov_b32 s27, -1
	ds_read2_b64 v[2:5], v14 offset1:16
	ds_read2_b64 v[18:21], v14 offset0:32 offset1:48
	ds_read2_b64 v[22:25], v14 offset0:64 offset1:80
	v_add_nc_u32_e32 v15, 0x800, v14
	ds_read2_b64 v[26:29], v14 offset0:96 offset1:112
	ds_read2_b64 v[30:33], v14 offset0:128 offset1:144
	;; [unrolled: 1-line block ×5, first 2 shown]
	ds_read2_b64 v[46:49], v15 offset1:16
	ds_read2_b64 v[50:53], v15 offset0:32 offset1:48
	ds_read2_b64 v[54:57], v15 offset0:64 offset1:80
	;; [unrolled: 1-line block ×7, first 2 shown]
	s_waitcnt lgkmcnt(11)
	v_max_f64 v[30:31], v[30:31], v[30:31]
	v_max_f64 v[32:33], v[32:33], v[32:33]
	s_waitcnt lgkmcnt(10)
	v_max_f64 v[34:35], v[34:35], v[34:35]
	v_max_f64 v[36:37], v[36:37], v[36:37]
	;; [unrolled: 3-line block ×3, first 2 shown]
	v_max_f64 v[14:15], v[2:3], v[2:3]
	v_max_f64 v[16:17], v[4:5], v[4:5]
	;; [unrolled: 1-line block ×8, first 2 shown]
	s_waitcnt lgkmcnt(8)
	v_max_f64 v[42:43], v[42:43], v[42:43]
	v_max_f64 v[44:45], v[44:45], v[44:45]
	s_waitcnt lgkmcnt(7)
	v_max_f64 v[46:47], v[46:47], v[46:47]
	v_max_f64 v[48:49], v[48:49], v[48:49]
	;; [unrolled: 3-line block ×9, first 2 shown]
	ds_read2st64_b64 v[2:5], v74 offset1:4
.LBB131_28:                             ;   Parent Loop BB131_22 Depth=1
                                        ;     Parent Loop BB131_27 Depth=2
                                        ; =>    This Inner Loop Header: Depth=3
	v_mov_b32_e32 v74, s28
	s_waitcnt lgkmcnt(0)
	v_max_f64 v[161:162], v[2:3], v[2:3]
	v_mov_b32_e32 v2, v4
	v_mov_b32_e32 v3, v5
	s_and_b32 vcc_lo, exec_lo, s27
	s_clause 0x3e
	buffer_load_dword v97, v74, s[0:3], 0 offen
	buffer_load_dword v98, v74, s[0:3], 0 offen offset:4
	buffer_load_dword v99, v74, s[0:3], 0 offen offset:8
	;; [unrolled: 1-line block ×63, first 2 shown]
	s_mov_b32 s27, 0
	s_mov_b32 s28, s18
	v_min_f64 v[163:164], v[14:15], v[161:162]
	v_min_f64 v[165:166], v[16:17], v[161:162]
	;; [unrolled: 1-line block ×32, first 2 shown]
	s_waitcnt vmcnt(62)
	v_add_f64 v[97:98], v[163:164], v[97:98]
	s_waitcnt vmcnt(60)
	v_add_f64 v[99:100], v[165:166], v[99:100]
	;; [unrolled: 2-line block ×32, first 2 shown]
	buffer_store_dword v97, v74, s[0:3], 0 offen
	buffer_store_dword v98, v74, s[0:3], 0 offen offset:4
	buffer_store_dword v99, v74, s[0:3], 0 offen offset:8
	;; [unrolled: 1-line block ×63, first 2 shown]
	s_cbranch_vccnz .LBB131_28
; %bb.29:                               ;   in Loop: Header=BB131_27 Depth=2
	s_add_i32 s25, s25, 1
	s_cmp_eq_u32 s25, 4
	s_cbranch_scc0 .LBB131_27
; %bb.30:                               ;   in Loop: Header=BB131_22 Depth=1
	v_mov_b32_e32 v78, 0
	v_mov_b32_e32 v76, 0
	;; [unrolled: 1-line block ×6, first 2 shown]
	s_and_b32 vcc_lo, exec_lo, s6
	ds_write2st64_b64 v87, v[8:9], v[10:11] offset1:4
	ds_write2st64_b64 v88, v[6:7], v[12:13] offset1:4
	s_waitcnt lgkmcnt(0)
	s_waitcnt_vscnt null, 0x0
	s_barrier
	buffer_gl0_inv
	s_cbranch_vccnz .LBB131_32
; %bb.31:                               ;   in Loop: Header=BB131_22 Depth=1
	v_add_nc_u32_e32 v4, s22, v86
	v_mad_u64_u32 v[2:3], null, v4, s26, 0
	v_mad_u64_u32 v[3:4], null, v4, s24, v[3:4]
	v_lshlrev_b64 v[2:3], 3, v[2:3]
	v_add_co_u32 v2, vcc_lo, v95, v2
	v_add_co_ci_u32_e64 v3, null, v96, v3, vcc_lo
	s_clause 0x1
	flat_load_dwordx2 v[4:5], v[2:3]
	flat_load_dwordx2 v[2:3], v[2:3] offset:512
	s_waitcnt vmcnt(1) lgkmcnt(1)
	v_mul_f64 v[76:77], s[12:13], v[4:5]
	s_waitcnt vmcnt(0) lgkmcnt(0)
	v_mul_f64 v[80:81], s[12:13], v[2:3]
.LBB131_32:                             ;   in Loop: Header=BB131_22 Depth=1
	v_mov_b32_e32 v82, 0
	v_mov_b32_e32 v83, 0
	s_and_b32 vcc_lo, exec_lo, s6
	s_cbranch_vccnz .LBB131_34
; %bb.33:                               ;   in Loop: Header=BB131_22 Depth=1
	v_or_b32_e32 v74, s22, v85
	v_lshlrev_b64 v[2:3], 3, v[74:75]
	v_add_co_u32 v4, vcc_lo, s20, v2
	v_add_co_ci_u32_e64 v5, null, s21, v3, vcc_lo
	v_add_co_u32 v2, vcc_lo, v4, v70
	v_add_co_ci_u32_e64 v3, null, v5, v71, vcc_lo
	;; [unrolled: 2-line block ×3, first 2 shown]
	s_clause 0x1
	flat_load_dwordx2 v[2:3], v[2:3] offset:32
	flat_load_dwordx2 v[4:5], v[4:5] offset:32
	s_waitcnt vmcnt(1) lgkmcnt(1)
	v_mul_f64 v[78:79], s[12:13], v[2:3]
	s_waitcnt vmcnt(0) lgkmcnt(0)
	v_mul_f64 v[82:83], s[12:13], v[4:5]
.LBB131_34:                             ;   in Loop: Header=BB131_22 Depth=1
	s_mov_b32 s25, 0
.LBB131_35:                             ;   Parent Loop BB131_22 Depth=1
                                        ; =>  This Loop Header: Depth=2
                                        ;       Child Loop BB131_36 Depth 3
	s_lshl_b32 s27, s25, 3
	s_mov_b32 s28, 0
	v_add_nc_u32_e32 v30, s27, v89
	v_add_nc_u32_e32 v66, s27, v90
	s_mov_b32 s27, -1
	ds_read2_b64 v[2:5], v30 offset1:16
	ds_read2_b64 v[6:9], v30 offset0:32 offset1:48
	ds_read2_b64 v[10:13], v30 offset0:64 offset1:80
	;; [unrolled: 1-line block ×3, first 2 shown]
	v_add_nc_u32_e32 v62, 0x800, v30
	ds_read2_b64 v[18:21], v30 offset0:128 offset1:144
	ds_read2_b64 v[22:25], v30 offset0:160 offset1:176
	;; [unrolled: 1-line block ×4, first 2 shown]
	ds_read2_b64 v[34:37], v62 offset1:16
	ds_read2_b64 v[38:41], v62 offset0:32 offset1:48
	ds_read2_b64 v[42:45], v62 offset0:64 offset1:80
	;; [unrolled: 1-line block ×7, first 2 shown]
	ds_read2st64_b64 v[66:69], v66 offset1:4
.LBB131_36:                             ;   Parent Loop BB131_22 Depth=1
                                        ;     Parent Loop BB131_35 Depth=2
                                        ; =>    This Inner Loop Header: Depth=3
	v_mov_b32_e32 v74, s28
	s_waitcnt lgkmcnt(16)
	v_max_f64 v[161:162], v[2:3], v[2:3]
	s_waitcnt lgkmcnt(0)
	v_max_f64 v[163:164], v[66:67], v[66:67]
	v_max_f64 v[165:166], v[4:5], v[4:5]
	;; [unrolled: 1-line block ×3, first 2 shown]
	s_clause 0x3e
	buffer_load_dword v97, v74, s[0:3], 0 offen
	buffer_load_dword v98, v74, s[0:3], 0 offen offset:4
	buffer_load_dword v99, v74, s[0:3], 0 offen offset:8
	;; [unrolled: 1-line block ×63, first 2 shown]
	v_max_f64 v[169:170], v[8:9], v[8:9]
	v_max_f64 v[171:172], v[10:11], v[10:11]
	;; [unrolled: 1-line block ×29, first 2 shown]
	v_min_f64 v[161:162], v[161:162], v[163:164]
	v_min_f64 v[165:166], v[165:166], v[163:164]
	;; [unrolled: 1-line block ×32, first 2 shown]
	v_mov_b32_e32 v66, v68
	v_mov_b32_e32 v67, v69
	s_and_b32 vcc_lo, exec_lo, s27
	s_mov_b32 s27, 0
	s_mov_b32 s28, s18
	s_waitcnt vmcnt(62)
	v_add_f64 v[97:98], v[161:162], v[97:98]
	s_waitcnt vmcnt(60)
	v_add_f64 v[99:100], v[165:166], v[99:100]
	;; [unrolled: 2-line block ×32, first 2 shown]
	buffer_store_dword v97, v74, s[0:3], 0 offen
	buffer_store_dword v98, v74, s[0:3], 0 offen offset:4
	buffer_store_dword v99, v74, s[0:3], 0 offen offset:8
	;; [unrolled: 1-line block ×63, first 2 shown]
	s_cbranch_vccnz .LBB131_36
; %bb.37:                               ;   in Loop: Header=BB131_35 Depth=2
	s_add_i32 s25, s25, 1
	s_cmp_eq_u32 s25, 4
	s_cbranch_scc0 .LBB131_35
; %bb.38:                               ;   in Loop: Header=BB131_22 Depth=1
	s_add_i32 s23, s23, 8
	s_add_i32 s22, s22, 8
	s_cmp_ge_i32 s23, s19
	ds_write2st64_b64 v93, v[76:77], v[80:81] offset1:4
	ds_write2st64_b64 v94, v[78:79], v[82:83] offset1:4
	s_waitcnt lgkmcnt(0)
	s_waitcnt_vscnt null, 0x0
	s_barrier
	buffer_gl0_inv
	s_cbranch_scc0 .LBB131_22
.LBB131_39:
	s_mov_b32 s6, 0
.LBB131_40:                             ; =>This Loop Header: Depth=1
                                        ;     Child Loop BB131_41 Depth 2
	s_lshl_b32 s12, s6, 3
	s_mov_b32 s13, 0
	v_add_nc_u32_e32 v6, s12, v91
	v_add_nc_u32_e32 v70, s12, v92
	s_mov_b32 s12, -1
	ds_read2_b64 v[2:5], v6 offset1:16
	ds_read2_b64 v[10:13], v6 offset0:32 offset1:48
	ds_read2_b64 v[14:17], v6 offset0:64 offset1:80
	v_add_nc_u32_e32 v7, 0x800, v6
	ds_read2_b64 v[18:21], v6 offset0:96 offset1:112
	ds_read2_b64 v[22:25], v6 offset0:128 offset1:144
	;; [unrolled: 1-line block ×5, first 2 shown]
	ds_read2_b64 v[38:41], v7 offset1:16
	ds_read2_b64 v[42:45], v7 offset0:32 offset1:48
	ds_read2_b64 v[46:49], v7 offset0:64 offset1:80
	ds_read2_b64 v[50:53], v7 offset0:96 offset1:112
	ds_read2_b64 v[54:57], v7 offset0:128 offset1:144
	ds_read2_b64 v[58:61], v7 offset0:160 offset1:176
	ds_read2_b64 v[62:65], v7 offset0:192 offset1:208
	ds_read2_b64 v[66:69], v7 offset0:224 offset1:240
	s_waitcnt lgkmcnt(11)
	v_max_f64 v[22:23], v[22:23], v[22:23]
	v_max_f64 v[24:25], v[24:25], v[24:25]
	s_waitcnt lgkmcnt(10)
	v_max_f64 v[26:27], v[26:27], v[26:27]
	v_max_f64 v[28:29], v[28:29], v[28:29]
	;; [unrolled: 3-line block ×3, first 2 shown]
	v_max_f64 v[6:7], v[2:3], v[2:3]
	v_max_f64 v[8:9], v[4:5], v[4:5]
	;; [unrolled: 1-line block ×8, first 2 shown]
	s_waitcnt lgkmcnt(8)
	v_max_f64 v[34:35], v[34:35], v[34:35]
	v_max_f64 v[36:37], v[36:37], v[36:37]
	s_waitcnt lgkmcnt(7)
	v_max_f64 v[38:39], v[38:39], v[38:39]
	v_max_f64 v[40:41], v[40:41], v[40:41]
	;; [unrolled: 3-line block ×9, first 2 shown]
	ds_read2st64_b64 v[2:5], v70 offset1:4
.LBB131_41:                             ;   Parent Loop BB131_40 Depth=1
                                        ; =>  This Inner Loop Header: Depth=2
	v_mov_b32_e32 v90, s13
	s_waitcnt lgkmcnt(0)
	v_max_f64 v[137:138], v[2:3], v[2:3]
	v_mov_b32_e32 v2, v4
	v_mov_b32_e32 v3, v5
	s_and_b32 vcc_lo, exec_lo, s12
	s_clause 0x3e
	buffer_load_dword v70, v90, s[0:3], 0 offen
	buffer_load_dword v71, v90, s[0:3], 0 offen offset:4
	buffer_load_dword v72, v90, s[0:3], 0 offen offset:8
	;; [unrolled: 1-line block ×63, first 2 shown]
	s_mov_b32 s12, 0
	s_mov_b32 s13, s18
	v_min_f64 v[139:140], v[6:7], v[137:138]
	v_min_f64 v[141:142], v[8:9], v[137:138]
	;; [unrolled: 1-line block ×32, first 2 shown]
	s_waitcnt vmcnt(62)
	v_add_f64 v[70:71], v[139:140], v[70:71]
	s_waitcnt vmcnt(60)
	v_add_f64 v[72:73], v[141:142], v[72:73]
	;; [unrolled: 2-line block ×32, first 2 shown]
	buffer_store_dword v70, v90, s[0:3], 0 offen
	buffer_store_dword v71, v90, s[0:3], 0 offen offset:4
	buffer_store_dword v72, v90, s[0:3], 0 offen offset:8
	;; [unrolled: 1-line block ×63, first 2 shown]
	s_cbranch_vccnz .LBB131_41
; %bb.42:                               ;   in Loop: Header=BB131_40 Depth=1
	s_add_i32 s6, s6, 1
	s_cmp_eq_u32 s6, 4
	s_cbranch_scc0 .LBB131_40
; %bb.43:
	s_clause 0x1
	buffer_load_dword v2, off, s[0:3], 0
	buffer_load_dword v3, off, s[0:3], 0 offset:4
	s_load_dword s12, s[4:5], 0x58
	v_add_nc_u32_e32 v69, s16, v1
	v_add_nc_u32_e32 v12, s7, v0
	v_cndmask_b32_e64 v0, 0, 1, s17
	v_mov_b32_e32 v6, 0
	v_mov_b32_e32 v7, 0
	v_ashrrev_i32_e32 v13, 31, v12
	v_cmp_ne_u32_e64 s6, 1, v0
	v_lshlrev_b64 v[0:1], 3, v[12:13]
	s_waitcnt lgkmcnt(0)
	v_mad_i64_i32 v[4:5], null, v69, s12, 0
	v_lshlrev_b64 v[8:9], 3, v[4:5]
	v_mov_b32_e32 v4, 0
	v_mov_b32_e32 v5, 0
	v_add_co_u32 v70, vcc_lo, s14, v8
	v_add_co_ci_u32_e64 v71, null, s15, v9, vcc_lo
	s_andn2_b32 vcc_lo, exec_lo, s17
	s_cbranch_vccnz .LBB131_45
; %bb.44:
	v_add_co_u32 v6, vcc_lo, v70, v0
	v_add_co_ci_u32_e64 v7, null, v71, v1, vcc_lo
	flat_load_dwordx2 v[6:7], v[6:7]
	s_waitcnt vmcnt(0) lgkmcnt(0)
	v_mul_f64 v[6:7], s[10:11], v[6:7]
.LBB131_45:
	s_clause 0x1
	s_load_dword s7, s[4:5], 0x70
	s_load_dwordx2 s[4:5], s[4:5], 0x78
	s_waitcnt vmcnt(0)
	v_add_f64 v[2:3], v[2:3], v[6:7]
	s_waitcnt lgkmcnt(0)
	v_mad_i64_i32 v[8:9], null, v69, s7, 0
	s_lshl_b64 s[4:5], s[4:5], 3
	s_add_u32 s4, s8, s4
	s_addc_u32 s5, s9, s5
	v_lshlrev_b64 v[6:7], 3, v[8:9]
	v_add_co_u32 v72, vcc_lo, s4, v6
	v_add_co_ci_u32_e64 v73, null, s5, v7, vcc_lo
	v_add_co_u32 v6, vcc_lo, v72, v0
	v_add_co_ci_u32_e64 v7, null, v73, v1, vcc_lo
	s_and_b32 vcc_lo, exec_lo, s6
	flat_store_dwordx2 v[6:7], v[2:3]
	s_clause 0x1
	buffer_load_dword v6, off, s[0:3], 0 offset:8
	buffer_load_dword v7, off, s[0:3], 0 offset:12
	v_add_nc_u32_e32 v2, 4, v12
	v_ashrrev_i32_e32 v3, 31, v2
	v_lshlrev_b64 v[2:3], 3, v[2:3]
	s_cbranch_vccnz .LBB131_47
; %bb.46:
	v_add_co_u32 v4, vcc_lo, v70, v2
	v_add_co_ci_u32_e64 v5, null, v71, v3, vcc_lo
	flat_load_dwordx2 v[4:5], v[4:5]
	s_waitcnt vmcnt(0) lgkmcnt(0)
	v_mul_f64 v[4:5], s[10:11], v[4:5]
.LBB131_47:
	s_waitcnt vmcnt(0)
	v_add_f64 v[4:5], v[6:7], v[4:5]
	v_add_co_u32 v6, vcc_lo, v72, v2
	v_add_co_ci_u32_e64 v7, null, v73, v3, vcc_lo
	v_mov_b32_e32 v8, 0
	v_mov_b32_e32 v10, 0
	v_mov_b32_e32 v9, 0
	v_mov_b32_e32 v11, 0
	s_and_b32 vcc_lo, exec_lo, s6
	flat_store_dwordx2 v[6:7], v[4:5]
	s_clause 0x1
	buffer_load_dword v6, off, s[0:3], 0 offset:16
	buffer_load_dword v7, off, s[0:3], 0 offset:20
	v_add_nc_u32_e32 v4, 8, v12
	v_ashrrev_i32_e32 v5, 31, v4
	v_lshlrev_b64 v[4:5], 3, v[4:5]
	s_cbranch_vccnz .LBB131_49
; %bb.48:
	v_add_co_u32 v10, vcc_lo, v70, v4
	v_add_co_ci_u32_e64 v11, null, v71, v5, vcc_lo
	flat_load_dwordx2 v[10:11], v[10:11]
	s_waitcnt vmcnt(0) lgkmcnt(0)
	v_mul_f64 v[10:11], s[10:11], v[10:11]
.LBB131_49:
	s_waitcnt vmcnt(0)
	v_add_f64 v[6:7], v[6:7], v[10:11]
	v_add_co_u32 v10, vcc_lo, v72, v4
	v_add_co_ci_u32_e64 v11, null, v73, v5, vcc_lo
	s_and_b32 vcc_lo, exec_lo, s6
	flat_store_dwordx2 v[10:11], v[6:7]
	s_clause 0x1
	buffer_load_dword v10, off, s[0:3], 0 offset:24
	buffer_load_dword v11, off, s[0:3], 0 offset:28
	v_add_nc_u32_e32 v6, 12, v12
	v_ashrrev_i32_e32 v7, 31, v6
	v_lshlrev_b64 v[6:7], 3, v[6:7]
	s_cbranch_vccnz .LBB131_51
; %bb.50:
	v_add_co_u32 v8, vcc_lo, v70, v6
	v_add_co_ci_u32_e64 v9, null, v71, v7, vcc_lo
	flat_load_dwordx2 v[8:9], v[8:9]
	s_waitcnt vmcnt(0) lgkmcnt(0)
	v_mul_f64 v[8:9], s[10:11], v[8:9]
.LBB131_51:
	s_waitcnt vmcnt(0)
	v_add_f64 v[8:9], v[10:11], v[8:9]
	v_add_co_u32 v10, vcc_lo, v72, v6
	v_add_co_ci_u32_e64 v11, null, v73, v7, vcc_lo
	v_mov_b32_e32 v13, 0
	v_mov_b32_e32 v15, 0
	v_mov_b32_e32 v14, 0
	v_mov_b32_e32 v16, 0
	s_and_b32 vcc_lo, exec_lo, s6
	flat_store_dwordx2 v[10:11], v[8:9]
	s_clause 0x1
	buffer_load_dword v10, off, s[0:3], 0 offset:32
	buffer_load_dword v11, off, s[0:3], 0 offset:36
	v_add_nc_u32_e32 v8, 16, v12
	v_ashrrev_i32_e32 v9, 31, v8
	v_lshlrev_b64 v[8:9], 3, v[8:9]
	s_cbranch_vccnz .LBB131_53
; %bb.52:
	v_add_co_u32 v15, vcc_lo, v70, v8
	v_add_co_ci_u32_e64 v16, null, v71, v9, vcc_lo
	flat_load_dwordx2 v[15:16], v[15:16]
	s_waitcnt vmcnt(0) lgkmcnt(0)
	v_mul_f64 v[15:16], s[10:11], v[15:16]
.LBB131_53:
	s_waitcnt vmcnt(0)
	v_add_f64 v[10:11], v[10:11], v[15:16]
	;; [unrolled: 44-line block ×15, first 2 shown]
	v_add_co_u32 v67, vcc_lo, v72, v61
	v_add_co_ci_u32_e64 v68, null, v73, v62, vcc_lo
	s_and_b32 vcc_lo, exec_lo, s6
	flat_store_dwordx2 v[67:68], v[63:64]
	s_clause 0x1
	buffer_load_dword v67, off, s[0:3], 0 offset:248
	buffer_load_dword v68, off, s[0:3], 0 offset:252
	v_add_nc_u32_e32 v63, 0x7c, v12
	v_ashrrev_i32_e32 v64, 31, v63
	v_lshlrev_b64 v[63:64], 3, v[63:64]
	s_cbranch_vccnz .LBB131_107
; %bb.106:
	v_add_co_u32 v65, vcc_lo, v70, v63
	v_add_co_ci_u32_e64 v66, null, v71, v64, vcc_lo
	flat_load_dwordx2 v[65:66], v[65:66]
	s_waitcnt vmcnt(0) lgkmcnt(0)
	v_mul_f64 v[65:66], s[10:11], v[65:66]
.LBB131_107:
	s_waitcnt vmcnt(0)
	v_add_f64 v[65:66], v[67:68], v[65:66]
	v_add_co_u32 v67, vcc_lo, v72, v63
	v_add_co_ci_u32_e64 v68, null, v73, v64, vcc_lo
	v_add_nc_u32_e32 v72, 64, v69
	v_mov_b32_e32 v69, 0
	v_mov_b32_e32 v70, 0
	flat_store_dwordx2 v[67:68], v[65:66]
	s_clause 0x1
	buffer_load_dword v67, off, s[0:3], 0 offset:256
	buffer_load_dword v68, off, s[0:3], 0 offset:260
	v_mad_i64_i32 v[65:66], null, v72, s12, 0
	v_lshlrev_b64 v[73:74], 3, v[65:66]
	v_mov_b32_e32 v65, 0
	v_mov_b32_e32 v66, 0
	v_add_co_u32 v12, vcc_lo, s14, v73
	v_add_co_ci_u32_e64 v71, null, s15, v74, vcc_lo
	s_and_b32 vcc_lo, exec_lo, s6
	s_cbranch_vccnz .LBB131_109
; %bb.108:
	v_add_co_u32 v69, vcc_lo, v12, v0
	v_add_co_ci_u32_e64 v70, null, v71, v1, vcc_lo
	flat_load_dwordx2 v[69:70], v[69:70]
	s_waitcnt vmcnt(0) lgkmcnt(0)
	v_mul_f64 v[69:70], s[10:11], v[69:70]
.LBB131_109:
	v_mad_i64_i32 v[72:73], null, v72, s7, 0
	s_waitcnt vmcnt(0)
	v_add_f64 v[69:70], v[67:68], v[69:70]
	v_lshlrev_b64 v[67:68], 3, v[72:73]
	v_add_co_u32 v67, vcc_lo, s4, v67
	v_add_co_ci_u32_e64 v68, null, s5, v68, vcc_lo
	v_add_co_u32 v0, vcc_lo, v67, v0
	v_add_co_ci_u32_e64 v1, null, v68, v1, vcc_lo
	s_and_b32 vcc_lo, exec_lo, s6
	flat_store_dwordx2 v[0:1], v[69:70]
	s_clause 0x1
	buffer_load_dword v0, off, s[0:3], 0 offset:264
	buffer_load_dword v1, off, s[0:3], 0 offset:268
	s_cbranch_vccnz .LBB131_111
; %bb.110:
	v_add_co_u32 v65, vcc_lo, v12, v2
	v_add_co_ci_u32_e64 v66, null, v71, v3, vcc_lo
	flat_load_dwordx2 v[65:66], v[65:66]
	s_waitcnt vmcnt(0) lgkmcnt(0)
	v_mul_f64 v[65:66], s[10:11], v[65:66]
.LBB131_111:
	s_waitcnt vmcnt(0)
	v_add_f64 v[0:1], v[0:1], v[65:66]
	v_add_co_u32 v2, vcc_lo, v67, v2
	v_add_co_ci_u32_e64 v3, null, v68, v3, vcc_lo
	v_mov_b32_e32 v65, 0
	v_mov_b32_e32 v66, 0
	s_and_b32 vcc_lo, exec_lo, s6
	flat_store_dwordx2 v[2:3], v[0:1]
	s_clause 0x1
	buffer_load_dword v2, off, s[0:3], 0 offset:272
	buffer_load_dword v3, off, s[0:3], 0 offset:276
	v_mov_b32_e32 v0, 0
	v_mov_b32_e32 v1, 0
	s_cbranch_vccnz .LBB131_113
; %bb.112:
	v_add_co_u32 v65, vcc_lo, v12, v4
	v_add_co_ci_u32_e64 v66, null, v71, v5, vcc_lo
	flat_load_dwordx2 v[65:66], v[65:66]
	s_waitcnt vmcnt(0) lgkmcnt(0)
	v_mul_f64 v[65:66], s[10:11], v[65:66]
.LBB131_113:
	s_waitcnt vmcnt(0)
	v_add_f64 v[2:3], v[2:3], v[65:66]
	v_add_co_u32 v4, vcc_lo, v67, v4
	v_add_co_ci_u32_e64 v5, null, v68, v5, vcc_lo
	s_and_b32 vcc_lo, exec_lo, s6
	flat_store_dwordx2 v[4:5], v[2:3]
	s_clause 0x1
	buffer_load_dword v2, off, s[0:3], 0 offset:280
	buffer_load_dword v3, off, s[0:3], 0 offset:284
	s_cbranch_vccnz .LBB131_115
; %bb.114:
	v_add_co_u32 v0, vcc_lo, v12, v6
	v_add_co_ci_u32_e64 v1, null, v71, v7, vcc_lo
	flat_load_dwordx2 v[0:1], v[0:1]
	s_waitcnt vmcnt(0) lgkmcnt(0)
	v_mul_f64 v[0:1], s[10:11], v[0:1]
.LBB131_115:
	s_waitcnt vmcnt(0)
	v_add_f64 v[0:1], v[2:3], v[0:1]
	v_add_co_u32 v2, vcc_lo, v67, v6
	v_add_co_ci_u32_e64 v3, null, v68, v7, vcc_lo
	v_mov_b32_e32 v4, 0
	v_mov_b32_e32 v5, 0
	s_and_b32 vcc_lo, exec_lo, s6
	flat_store_dwordx2 v[2:3], v[0:1]
	s_clause 0x1
	buffer_load_dword v2, off, s[0:3], 0 offset:288
	buffer_load_dword v3, off, s[0:3], 0 offset:292
	v_mov_b32_e32 v0, 0
	v_mov_b32_e32 v1, 0
	s_cbranch_vccnz .LBB131_117
; %bb.116:
	v_add_co_u32 v4, vcc_lo, v12, v8
	v_add_co_ci_u32_e64 v5, null, v71, v9, vcc_lo
	flat_load_dwordx2 v[4:5], v[4:5]
	s_waitcnt vmcnt(0) lgkmcnt(0)
	v_mul_f64 v[4:5], s[10:11], v[4:5]
.LBB131_117:
	s_waitcnt vmcnt(0)
	v_add_f64 v[2:3], v[2:3], v[4:5]
	;; [unrolled: 38-line block ×15, first 2 shown]
	v_add_co_u32 v4, vcc_lo, v67, v61
	v_add_co_ci_u32_e64 v5, null, v68, v62, vcc_lo
	s_and_b32 vcc_lo, exec_lo, s6
	flat_store_dwordx2 v[4:5], v[2:3]
	s_clause 0x1
	buffer_load_dword v2, off, s[0:3], 0 offset:504
	buffer_load_dword v3, off, s[0:3], 0 offset:508
	s_cbranch_vccnz .LBB131_171
; %bb.170:
	v_add_co_u32 v0, vcc_lo, v12, v63
	v_add_co_ci_u32_e64 v1, null, v71, v64, vcc_lo
	flat_load_dwordx2 v[0:1], v[0:1]
	s_waitcnt vmcnt(0) lgkmcnt(0)
	v_mul_f64 v[0:1], s[10:11], v[0:1]
.LBB131_171:
	s_waitcnt vmcnt(0)
	v_add_f64 v[0:1], v[2:3], v[0:1]
	v_add_co_u32 v2, vcc_lo, v67, v63
	v_add_co_ci_u32_e64 v3, null, v68, v64, vcc_lo
	flat_store_dwordx2 v[2:3], v[0:1]
	s_endpgm
	.section	.rodata,"a",@progbits
	.p2align	6, 0x0
	.amdhsa_kernel _ZN12_GLOBAL__N_120geam_min_plus_kernelIdddLi4ELi64ELi128ELi128ELi4ELi64ELi4ELi4ELi64ELc78ELc78ELb0ELb0ELb0EdKPKdKPdEEviiiT16_PT17_ilS8_ilS6_S8_ilPT18_ili26rocblas_geam_ex_operation_
		.amdhsa_group_segment_fixed_size 16384
		.amdhsa_private_segment_fixed_size 528
		.amdhsa_kernarg_size 136
		.amdhsa_user_sgpr_count 6
		.amdhsa_user_sgpr_private_segment_buffer 1
		.amdhsa_user_sgpr_dispatch_ptr 0
		.amdhsa_user_sgpr_queue_ptr 0
		.amdhsa_user_sgpr_kernarg_segment_ptr 1
		.amdhsa_user_sgpr_dispatch_id 0
		.amdhsa_user_sgpr_flat_scratch_init 0
		.amdhsa_user_sgpr_private_segment_size 0
		.amdhsa_wavefront_size32 1
		.amdhsa_uses_dynamic_stack 0
		.amdhsa_system_sgpr_private_segment_wavefront_offset 1
		.amdhsa_system_sgpr_workgroup_id_x 1
		.amdhsa_system_sgpr_workgroup_id_y 0
		.amdhsa_system_sgpr_workgroup_id_z 1
		.amdhsa_system_sgpr_workgroup_info 0
		.amdhsa_system_vgpr_workitem_id 1
		.amdhsa_next_free_vgpr 227
		.amdhsa_next_free_sgpr 29
		.amdhsa_reserve_vcc 1
		.amdhsa_reserve_flat_scratch 1
		.amdhsa_float_round_mode_32 0
		.amdhsa_float_round_mode_16_64 0
		.amdhsa_float_denorm_mode_32 3
		.amdhsa_float_denorm_mode_16_64 3
		.amdhsa_dx10_clamp 1
		.amdhsa_ieee_mode 1
		.amdhsa_fp16_overflow 0
		.amdhsa_workgroup_processor_mode 1
		.amdhsa_memory_ordered 1
		.amdhsa_forward_progress 1
		.amdhsa_shared_vgpr_count 0
		.amdhsa_exception_fp_ieee_invalid_op 0
		.amdhsa_exception_fp_denorm_src 0
		.amdhsa_exception_fp_ieee_div_zero 0
		.amdhsa_exception_fp_ieee_overflow 0
		.amdhsa_exception_fp_ieee_underflow 0
		.amdhsa_exception_fp_ieee_inexact 0
		.amdhsa_exception_int_div_zero 0
	.end_amdhsa_kernel
	.section	.text._ZN12_GLOBAL__N_120geam_min_plus_kernelIdddLi4ELi64ELi128ELi128ELi4ELi64ELi4ELi4ELi64ELc78ELc78ELb0ELb0ELb0EdKPKdKPdEEviiiT16_PT17_ilS8_ilS6_S8_ilPT18_ili26rocblas_geam_ex_operation_,"axG",@progbits,_ZN12_GLOBAL__N_120geam_min_plus_kernelIdddLi4ELi64ELi128ELi128ELi4ELi64ELi4ELi4ELi64ELc78ELc78ELb0ELb0ELb0EdKPKdKPdEEviiiT16_PT17_ilS8_ilS6_S8_ilPT18_ili26rocblas_geam_ex_operation_,comdat
.Lfunc_end131:
	.size	_ZN12_GLOBAL__N_120geam_min_plus_kernelIdddLi4ELi64ELi128ELi128ELi4ELi64ELi4ELi4ELi64ELc78ELc78ELb0ELb0ELb0EdKPKdKPdEEviiiT16_PT17_ilS8_ilS6_S8_ilPT18_ili26rocblas_geam_ex_operation_, .Lfunc_end131-_ZN12_GLOBAL__N_120geam_min_plus_kernelIdddLi4ELi64ELi128ELi128ELi4ELi64ELi4ELi4ELi64ELc78ELc78ELb0ELb0ELb0EdKPKdKPdEEviiiT16_PT17_ilS8_ilS6_S8_ilPT18_ili26rocblas_geam_ex_operation_
                                        ; -- End function
	.set _ZN12_GLOBAL__N_120geam_min_plus_kernelIdddLi4ELi64ELi128ELi128ELi4ELi64ELi4ELi4ELi64ELc78ELc78ELb0ELb0ELb0EdKPKdKPdEEviiiT16_PT17_ilS8_ilS6_S8_ilPT18_ili26rocblas_geam_ex_operation_.num_vgpr, 227
	.set _ZN12_GLOBAL__N_120geam_min_plus_kernelIdddLi4ELi64ELi128ELi128ELi4ELi64ELi4ELi4ELi64ELc78ELc78ELb0ELb0ELb0EdKPKdKPdEEviiiT16_PT17_ilS8_ilS6_S8_ilPT18_ili26rocblas_geam_ex_operation_.num_agpr, 0
	.set _ZN12_GLOBAL__N_120geam_min_plus_kernelIdddLi4ELi64ELi128ELi128ELi4ELi64ELi4ELi4ELi64ELc78ELc78ELb0ELb0ELb0EdKPKdKPdEEviiiT16_PT17_ilS8_ilS6_S8_ilPT18_ili26rocblas_geam_ex_operation_.numbered_sgpr, 29
	.set _ZN12_GLOBAL__N_120geam_min_plus_kernelIdddLi4ELi64ELi128ELi128ELi4ELi64ELi4ELi4ELi64ELc78ELc78ELb0ELb0ELb0EdKPKdKPdEEviiiT16_PT17_ilS8_ilS6_S8_ilPT18_ili26rocblas_geam_ex_operation_.num_named_barrier, 0
	.set _ZN12_GLOBAL__N_120geam_min_plus_kernelIdddLi4ELi64ELi128ELi128ELi4ELi64ELi4ELi4ELi64ELc78ELc78ELb0ELb0ELb0EdKPKdKPdEEviiiT16_PT17_ilS8_ilS6_S8_ilPT18_ili26rocblas_geam_ex_operation_.private_seg_size, 528
	.set _ZN12_GLOBAL__N_120geam_min_plus_kernelIdddLi4ELi64ELi128ELi128ELi4ELi64ELi4ELi4ELi64ELc78ELc78ELb0ELb0ELb0EdKPKdKPdEEviiiT16_PT17_ilS8_ilS6_S8_ilPT18_ili26rocblas_geam_ex_operation_.uses_vcc, 1
	.set _ZN12_GLOBAL__N_120geam_min_plus_kernelIdddLi4ELi64ELi128ELi128ELi4ELi64ELi4ELi4ELi64ELc78ELc78ELb0ELb0ELb0EdKPKdKPdEEviiiT16_PT17_ilS8_ilS6_S8_ilPT18_ili26rocblas_geam_ex_operation_.uses_flat_scratch, 1
	.set _ZN12_GLOBAL__N_120geam_min_plus_kernelIdddLi4ELi64ELi128ELi128ELi4ELi64ELi4ELi4ELi64ELc78ELc78ELb0ELb0ELb0EdKPKdKPdEEviiiT16_PT17_ilS8_ilS6_S8_ilPT18_ili26rocblas_geam_ex_operation_.has_dyn_sized_stack, 0
	.set _ZN12_GLOBAL__N_120geam_min_plus_kernelIdddLi4ELi64ELi128ELi128ELi4ELi64ELi4ELi4ELi64ELc78ELc78ELb0ELb0ELb0EdKPKdKPdEEviiiT16_PT17_ilS8_ilS6_S8_ilPT18_ili26rocblas_geam_ex_operation_.has_recursion, 0
	.set _ZN12_GLOBAL__N_120geam_min_plus_kernelIdddLi4ELi64ELi128ELi128ELi4ELi64ELi4ELi4ELi64ELc78ELc78ELb0ELb0ELb0EdKPKdKPdEEviiiT16_PT17_ilS8_ilS6_S8_ilPT18_ili26rocblas_geam_ex_operation_.has_indirect_call, 0
	.section	.AMDGPU.csdata,"",@progbits
; Kernel info:
; codeLenInByte = 19344
; TotalNumSgprs: 31
; NumVgprs: 227
; ScratchSize: 528
; MemoryBound: 1
; FloatMode: 240
; IeeeMode: 1
; LDSByteSize: 16384 bytes/workgroup (compile time only)
; SGPRBlocks: 0
; VGPRBlocks: 28
; NumSGPRsForWavesPerEU: 31
; NumVGPRsForWavesPerEU: 227
; Occupancy: 4
; WaveLimiterHint : 1
; COMPUTE_PGM_RSRC2:SCRATCH_EN: 1
; COMPUTE_PGM_RSRC2:USER_SGPR: 6
; COMPUTE_PGM_RSRC2:TRAP_HANDLER: 0
; COMPUTE_PGM_RSRC2:TGID_X_EN: 1
; COMPUTE_PGM_RSRC2:TGID_Y_EN: 0
; COMPUTE_PGM_RSRC2:TGID_Z_EN: 1
; COMPUTE_PGM_RSRC2:TIDIG_COMP_CNT: 1
	.section	.text._ZN12_GLOBAL__N_120geam_min_plus_kernelIdddLi4ELi64ELi128ELi128ELi4ELi64ELi4ELi4ELi64ELc78ELc78ELb0ELb1ELb0EPKdKS2_KPdEEviiiT16_PT17_ilS8_ilS6_S8_ilPT18_ili26rocblas_geam_ex_operation_,"axG",@progbits,_ZN12_GLOBAL__N_120geam_min_plus_kernelIdddLi4ELi64ELi128ELi128ELi4ELi64ELi4ELi4ELi64ELc78ELc78ELb0ELb1ELb0EPKdKS2_KPdEEviiiT16_PT17_ilS8_ilS6_S8_ilPT18_ili26rocblas_geam_ex_operation_,comdat
	.globl	_ZN12_GLOBAL__N_120geam_min_plus_kernelIdddLi4ELi64ELi128ELi128ELi4ELi64ELi4ELi4ELi64ELc78ELc78ELb0ELb1ELb0EPKdKS2_KPdEEviiiT16_PT17_ilS8_ilS6_S8_ilPT18_ili26rocblas_geam_ex_operation_ ; -- Begin function _ZN12_GLOBAL__N_120geam_min_plus_kernelIdddLi4ELi64ELi128ELi128ELi4ELi64ELi4ELi4ELi64ELc78ELc78ELb0ELb1ELb0EPKdKS2_KPdEEviiiT16_PT17_ilS8_ilS6_S8_ilPT18_ili26rocblas_geam_ex_operation_
	.p2align	8
	.type	_ZN12_GLOBAL__N_120geam_min_plus_kernelIdddLi4ELi64ELi128ELi128ELi4ELi64ELi4ELi4ELi64ELc78ELc78ELb0ELb1ELb0EPKdKS2_KPdEEviiiT16_PT17_ilS8_ilS6_S8_ilPT18_ili26rocblas_geam_ex_operation_,@function
_ZN12_GLOBAL__N_120geam_min_plus_kernelIdddLi4ELi64ELi128ELi128ELi4ELi64ELi4ELi4ELi64ELc78ELc78ELb0ELb1ELb0EPKdKS2_KPdEEviiiT16_PT17_ilS8_ilS6_S8_ilPT18_ili26rocblas_geam_ex_operation_: ; @_ZN12_GLOBAL__N_120geam_min_plus_kernelIdddLi4ELi64ELi128ELi128ELi4ELi64ELi4ELi4ELi64ELc78ELc78ELb0ELb1ELb0EPKdKS2_KPdEEviiiT16_PT17_ilS8_ilS6_S8_ilPT18_ili26rocblas_geam_ex_operation_
; %bb.0:
	s_load_dwordx4 s[16:19], s[4:5], 0x10
	s_add_u32 s0, s0, s8
	s_mov_b32 s8, s7
	s_mov_b32 s9, 0
	s_addc_u32 s1, s1, 0
	s_lshl_b64 s[22:23], s[8:9], 3
	s_clause 0x1
	s_load_dwordx4 s[8:11], s[4:5], 0x28
	s_load_dwordx2 s[24:25], s[4:5], 0x50
	s_waitcnt lgkmcnt(0)
	s_add_u32 s12, s16, s22
	s_addc_u32 s13, s17, s23
	s_load_dwordx2 s[16:17], s[12:13], 0x0
	s_load_dwordx4 s[12:15], s[4:5], 0x40
	s_waitcnt lgkmcnt(0)
	v_cmp_eq_f64_e64 s20, s[16:17], 0
	v_cmp_neq_f64_e64 s7, s[16:17], 0
	s_add_u32 s26, s14, s22
	s_addc_u32 s27, s15, s23
	s_mov_b64 s[14:15], 0
	s_and_b32 vcc_lo, exec_lo, s20
	s_mov_b64 s[20:21], 0
	s_cbranch_vccnz .LBB132_2
; %bb.1:
	s_add_u32 s18, s18, s22
	s_addc_u32 s19, s19, s23
	s_lshl_b64 s[8:9], s[8:9], 3
	s_load_dwordx2 s[18:19], s[18:19], 0x0
	s_waitcnt lgkmcnt(0)
	s_add_u32 s20, s18, s8
	s_addc_u32 s21, s19, s9
.LBB132_2:
	s_load_dwordx2 s[38:39], s[26:27], 0x0
	s_andn2_b32 vcc_lo, exec_lo, s7
	s_cbranch_vccnz .LBB132_4
; %bb.3:
	s_add_u32 s8, s10, s22
	s_addc_u32 s9, s11, s23
	s_lshl_b64 s[10:11], s[12:13], 3
	s_load_dwordx2 s[8:9], s[8:9], 0x0
	s_waitcnt lgkmcnt(0)
	s_add_u32 s14, s8, s10
	s_addc_u32 s15, s9, s11
.LBB132_4:
	s_waitcnt lgkmcnt(0)
	v_cmp_eq_f64_e64 s7, s[38:39], 0
	v_cmp_neq_f64_e64 s46, s[38:39], 0
	s_load_dwordx4 s[8:11], s[4:5], 0x60
	s_mov_b64 s[44:45], 0
	s_and_b32 vcc_lo, exec_lo, s7
	s_cbranch_vccnz .LBB132_6
; %bb.5:
	s_add_u32 s12, s24, s22
	s_addc_u32 s13, s25, s23
	s_waitcnt lgkmcnt(0)
	s_lshl_b64 s[8:9], s[8:9], 3
	s_load_dwordx2 s[12:13], s[12:13], 0x0
	s_waitcnt lgkmcnt(0)
	s_add_u32 s44, s12, s8
	s_addc_u32 s45, s13, s9
.LBB132_6:
	s_load_dwordx4 s[40:43], s[4:5], 0x0
	s_waitcnt lgkmcnt(0)
	s_add_u32 s8, s10, s22
	s_addc_u32 s9, s11, s23
	s_load_dword s19, s[4:5], 0x20
	s_load_dwordx2 s[12:13], s[8:9], 0x0
	v_lshl_add_u32 v8, v1, 2, v0
	v_cmp_eq_f64_e64 s23, s[16:17], 0
	v_mov_b32_e32 v11, 0
	buffer_store_dword v11, off, s[0:3], 0 offset:4
	buffer_store_dword v11, off, s[0:3], 0
	buffer_store_dword v11, off, s[0:3], 0 offset:12
	buffer_store_dword v11, off, s[0:3], 0 offset:8
	;; [unrolled: 1-line block ×9, first 2 shown]
	v_lshrrev_b32_e32 v84, 6, v8
	v_and_b32_e32 v20, 63, v8
	buffer_store_dword v11, off, s[0:3], 0 offset:40
	buffer_store_dword v11, off, s[0:3], 0 offset:52
	;; [unrolled: 1-line block ×6, first 2 shown]
	s_add_i32 s7, s40, -1
	v_cmp_le_i32_e32 vcc_lo, s42, v84
	s_ashr_i32 s8, s7, 31
	buffer_store_dword v11, off, s[0:3], 0 offset:64
	buffer_store_dword v11, off, s[0:3], 0 offset:76
	;; [unrolled: 1-line block ×4, first 2 shown]
	s_lshr_b32 s8, s8, 25
	buffer_store_dword v11, off, s[0:3], 0 offset:80
	buffer_store_dword v11, off, s[0:3], 0 offset:92
	;; [unrolled: 1-line block ×9, first 2 shown]
	s_add_i32 s7, s7, s8
	buffer_store_dword v11, off, s[0:3], 0 offset:124
	buffer_store_dword v11, off, s[0:3], 0 offset:120
	;; [unrolled: 1-line block ×4, first 2 shown]
	s_ashr_i32 s7, s7, 7
	buffer_store_dword v11, off, s[0:3], 0 offset:140
	buffer_store_dword v11, off, s[0:3], 0 offset:136
	;; [unrolled: 1-line block ×4, first 2 shown]
	s_add_i32 s9, s7, 1
	s_not_b32 s7, s7
	v_cvt_f32_u32_e32 v2, s9
	buffer_store_dword v11, off, s[0:3], 0 offset:156
	buffer_store_dword v11, off, s[0:3], 0 offset:152
	buffer_store_dword v11, off, s[0:3], 0 offset:164
	buffer_store_dword v11, off, s[0:3], 0 offset:160
	buffer_store_dword v11, off, s[0:3], 0 offset:172
	v_rcp_iflag_f32_e32 v2, v2
	buffer_store_dword v11, off, s[0:3], 0 offset:168
	buffer_store_dword v11, off, s[0:3], 0 offset:180
	;; [unrolled: 1-line block ×73, first 2 shown]
	v_mul_f32_e32 v2, 0x4f7ffffe, v2
	buffer_store_dword v11, off, s[0:3], 0 offset:468
	buffer_store_dword v11, off, s[0:3], 0 offset:464
	;; [unrolled: 1-line block ×10, first 2 shown]
	v_cvt_u32_f32_e32 v2, v2
	buffer_store_dword v11, off, s[0:3], 0 offset:508
	buffer_store_dword v11, off, s[0:3], 0 offset:504
	v_readfirstlane_b32 s8, v2
	s_mul_i32 s7, s7, s8
	s_mul_hi_u32 s7, s8, s7
	s_add_i32 s8, s8, s7
	s_mul_hi_u32 s7, s6, s8
	s_mul_i32 s8, s7, s9
	s_add_i32 s10, s7, 1
	s_sub_i32 s8, s6, s8
	s_sub_i32 s11, s8, s9
	s_cmp_ge_u32 s8, s9
	s_cselect_b32 s7, s10, s7
	s_cselect_b32 s8, s11, s8
	s_add_i32 s10, s7, 1
	s_cmp_ge_u32 s8, s9
	s_cselect_b32 s8, s10, s7
	s_add_i32 s22, s42, -1
	s_mul_i32 s7, s8, s9
	v_min_i32_e32 v2, s22, v84
	s_sub_i32 s6, s6, s7
	s_lshl_b32 s11, s6, 7
	s_waitcnt lgkmcnt(0)
	v_mad_i64_i32 v[2:3], null, s19, v2, 0
	v_or_b32_e32 v6, s11, v20
	v_cmp_le_i32_e64 s6, s40, v6
	v_lshlrev_b64 v[4:5], 3, v[2:3]
	v_mov_b32_e32 v2, 0
	v_mov_b32_e32 v3, 0
	v_ashrrev_i32_e32 v7, 31, v6
	v_add_co_u32 v9, s7, s20, v4
	v_add_co_ci_u32_e64 v10, null, s21, v5, s7
	v_mov_b32_e32 v4, 0
	v_mov_b32_e32 v5, 0
	s_or_b32 s7, s6, vcc_lo
	s_nor_b32 s7, s23, s7
	s_and_saveexec_b32 s9, s7
	s_cbranch_execz .LBB132_8
; %bb.7:
	v_lshlrev_b64 v[4:5], 3, v[6:7]
	v_add_co_u32 v4, s7, v9, v4
	v_add_co_ci_u32_e64 v5, null, v10, v5, s7
	flat_load_dwordx2 v[4:5], v[4:5]
	s_waitcnt vmcnt(0) lgkmcnt(0)
	v_mul_f64 v[4:5], s[16:17], v[4:5]
.LBB132_8:
	s_or_b32 exec_lo, exec_lo, s9
	v_or_b32_e32 v11, 64, v6
	v_cmp_le_i32_e64 s7, s40, v11
	s_or_b32 s9, s7, vcc_lo
	s_nor_b32 s10, s23, s9
	s_and_saveexec_b32 s9, s10
	s_cbranch_execz .LBB132_10
; %bb.9:
	v_lshlrev_b64 v[2:3], 3, v[6:7]
	v_add_co_u32 v2, vcc_lo, v9, v2
	v_add_co_ci_u32_e64 v3, null, v10, v3, vcc_lo
	flat_load_dwordx2 v[2:3], v[2:3] offset:512
	s_waitcnt vmcnt(0) lgkmcnt(0)
	v_mul_f64 v[2:3], s[16:17], v[2:3]
.LBB132_10:
	s_or_b32 exec_lo, exec_lo, s9
	v_and_b32_e32 v85, 3, v0
	s_load_dword s24, s[4:5], 0x38
	v_lshrrev_b32_e32 v21, 2, v8
	s_lshl_b32 s18, s8, 7
	v_mov_b32_e32 v16, 0
	v_min_i32_e32 v9, s22, v85
	v_cmp_le_i32_e32 vcc_lo, s42, v85
	v_add_nc_u32_e32 v80, s18, v21
	v_mov_b32_e32 v18, 0
	v_mov_b32_e32 v17, 0
	v_ashrrev_i32_e32 v10, 31, v9
	v_mov_b32_e32 v19, 0
	v_cmp_le_i32_e64 s8, s41, v80
	v_lshlrev_b64 v[8:9], 3, v[9:10]
	v_add_co_u32 v8, s9, s14, v8
	v_add_co_ci_u32_e64 v9, null, s15, v9, s9
	s_or_b32 s9, vcc_lo, s8
	s_nor_b32 s9, s23, s9
	s_and_saveexec_b32 s10, s9
	s_cbranch_execz .LBB132_12
; %bb.11:
	s_waitcnt lgkmcnt(0)
	v_mad_i64_i32 v[10:11], null, v80, s24, 0
	v_lshlrev_b64 v[10:11], 3, v[10:11]
	v_add_co_u32 v10, s9, v8, v10
	v_add_co_ci_u32_e64 v11, null, v9, v11, s9
	flat_load_dwordx2 v[10:11], v[10:11]
	s_waitcnt vmcnt(0) lgkmcnt(0)
	v_mul_f64 v[18:19], s[16:17], v[10:11]
.LBB132_12:
	s_or_b32 exec_lo, exec_lo, s10
	v_add_nc_u32_e32 v81, 64, v80
	v_cmp_le_i32_e64 s9, s41, v81
	s_or_b32 s10, vcc_lo, s9
	s_nor_b32 s25, s23, s10
	s_and_saveexec_b32 s10, s25
	s_cbranch_execz .LBB132_14
; %bb.13:
	s_waitcnt lgkmcnt(0)
	v_mad_i64_i32 v[10:11], null, v81, s24, 0
	v_lshlrev_b64 v[10:11], 3, v[10:11]
	v_add_co_u32 v8, vcc_lo, v8, v10
	v_add_co_ci_u32_e64 v9, null, v9, v11, vcc_lo
	flat_load_dwordx2 v[8:9], v[8:9]
	s_waitcnt vmcnt(0) lgkmcnt(0)
	v_mul_f64 v[16:17], s[16:17], v[8:9]
.LBB132_14:
	s_or_b32 exec_lo, exec_lo, s10
	v_add_nc_u32_e32 v14, 4, v84
	v_mov_b32_e32 v10, 0
	v_mov_b32_e32 v11, 0
	v_min_i32_e32 v8, s22, v14
	v_cmp_le_i32_e32 vcc_lo, s42, v14
	v_mad_i64_i32 v[8:9], null, s19, v8, 0
	v_lshlrev_b64 v[12:13], 3, v[8:9]
	v_mov_b32_e32 v8, 0
	v_mov_b32_e32 v9, 0
	v_add_co_u32 v12, s10, s20, v12
	v_add_co_ci_u32_e64 v13, null, s21, v13, s10
	s_or_b32 s10, s6, vcc_lo
	s_nor_b32 s10, s23, s10
	s_and_saveexec_b32 s25, s10
	s_cbranch_execz .LBB132_16
; %bb.15:
	v_lshlrev_b64 v[10:11], 3, v[6:7]
	v_add_co_u32 v10, s10, v12, v10
	v_add_co_ci_u32_e64 v11, null, v13, v11, s10
	flat_load_dwordx2 v[10:11], v[10:11]
	s_waitcnt vmcnt(0) lgkmcnt(0)
	v_mul_f64 v[10:11], s[16:17], v[10:11]
.LBB132_16:
	s_or_b32 exec_lo, exec_lo, s25
	s_or_b32 s10, s7, vcc_lo
	s_nor_b32 s25, s23, s10
	s_and_saveexec_b32 s10, s25
	s_cbranch_execz .LBB132_18
; %bb.17:
	v_lshlrev_b64 v[8:9], 3, v[6:7]
	v_add_co_u32 v8, vcc_lo, v12, v8
	v_add_co_ci_u32_e64 v9, null, v13, v9, vcc_lo
	flat_load_dwordx2 v[8:9], v[8:9] offset:512
	s_waitcnt vmcnt(0) lgkmcnt(0)
	v_mul_f64 v[8:9], s[16:17], v[8:9]
.LBB132_18:
	s_or_b32 exec_lo, exec_lo, s10
	v_or_b32_e32 v24, 4, v85
	v_mov_b32_e32 v14, 0
	v_mov_b32_e32 v15, 0
	v_min_i32_e32 v12, s22, v24
	v_cmp_le_i32_e32 vcc_lo, s42, v24
	v_ashrrev_i32_e32 v13, 31, v12
	v_lshlrev_b64 v[22:23], 3, v[12:13]
	v_mov_b32_e32 v12, 0
	v_mov_b32_e32 v13, 0
	v_add_co_u32 v22, s10, s14, v22
	v_add_co_ci_u32_e64 v23, null, s15, v23, s10
	s_or_b32 s10, vcc_lo, s8
	s_nor_b32 s10, s23, s10
	s_and_saveexec_b32 s25, s10
	s_cbranch_execz .LBB132_20
; %bb.19:
	s_waitcnt lgkmcnt(0)
	v_mad_i64_i32 v[14:15], null, v80, s24, 0
	v_lshlrev_b64 v[14:15], 3, v[14:15]
	v_add_co_u32 v14, s10, v22, v14
	v_add_co_ci_u32_e64 v15, null, v23, v15, s10
	flat_load_dwordx2 v[14:15], v[14:15]
	s_waitcnt vmcnt(0) lgkmcnt(0)
	v_mul_f64 v[14:15], s[16:17], v[14:15]
.LBB132_20:
	s_or_b32 exec_lo, exec_lo, s25
	s_or_b32 s10, vcc_lo, s9
	s_nor_b32 s25, s23, s10
	s_and_saveexec_b32 s10, s25
	s_cbranch_execz .LBB132_22
; %bb.21:
	s_waitcnt lgkmcnt(0)
	v_mad_i64_i32 v[12:13], null, v81, s24, 0
	v_lshlrev_b64 v[12:13], 3, v[12:13]
	v_add_co_u32 v12, vcc_lo, v22, v12
	v_add_co_ci_u32_e64 v13, null, v23, v13, vcc_lo
	flat_load_dwordx2 v[12:13], v[12:13]
	s_waitcnt vmcnt(0) lgkmcnt(0)
	v_mul_f64 v[12:13], s[16:17], v[12:13]
.LBB132_22:
	s_or_b32 exec_lo, exec_lo, s10
	v_lshlrev_b32_e32 v22, 3, v85
	v_lshlrev_b32_e32 v20, 5, v20
	;; [unrolled: 1-line block ×3, first 2 shown]
	v_lshl_or_b32 v89, v1, 5, 0x2000
	s_mov_b32 s10, 0
	v_lshl_or_b32 v82, v21, 5, v22
	v_lshl_add_u32 v86, v84, 3, v20
	s_addk_i32 s10, 0x100
	s_mov_b32 s25, 0
	v_add_nc_u32_e32 v88, 0x2000, v82
	ds_write2st64_b64 v86, v[4:5], v[2:3] offset1:4
	ds_write2st64_b64 v82, v[18:19], v[16:17] offset0:16 offset1:20
	s_waitcnt lgkmcnt(0)
	s_waitcnt_vscnt null, 0x0
	s_barrier
	buffer_gl0_inv
.LBB132_23:                             ; =>This Loop Header: Depth=1
                                        ;     Child Loop BB132_24 Depth 2
	s_lshl_b32 s26, s25, 3
	s_mov_b32 s27, 0
	v_add_nc_u32_e32 v16, s26, v87
	v_add_nc_u32_e32 v83, s26, v89
	s_mov_b32 s26, -1
	ds_read2_b64 v[2:5], v16 offset1:16
	ds_read2_b64 v[20:23], v16 offset0:32 offset1:48
	ds_read2_b64 v[24:27], v16 offset0:64 offset1:80
	;; [unrolled: 1-line block ×4, first 2 shown]
	v_add_nc_u32_e32 v76, 0x800, v16
	ds_read2_b64 v[36:39], v16 offset0:160 offset1:176
	ds_read2_b64 v[40:43], v16 offset0:192 offset1:208
	;; [unrolled: 1-line block ×3, first 2 shown]
	ds_read2_b64 v[48:51], v76 offset1:16
	ds_read2_b64 v[52:55], v76 offset0:32 offset1:48
	ds_read2_b64 v[56:59], v76 offset0:64 offset1:80
	;; [unrolled: 1-line block ×6, first 2 shown]
	s_waitcnt lgkmcnt(9)
	v_max_f64 v[36:37], v[36:37], v[36:37]
	v_max_f64 v[38:39], v[38:39], v[38:39]
	;; [unrolled: 1-line block ×4, first 2 shown]
	ds_read2_b64 v[2:5], v76 offset0:224 offset1:240
	v_max_f64 v[20:21], v[20:21], v[20:21]
	v_max_f64 v[22:23], v[22:23], v[22:23]
	;; [unrolled: 1-line block ×8, first 2 shown]
	s_waitcnt lgkmcnt(9)
	v_max_f64 v[40:41], v[40:41], v[40:41]
	v_max_f64 v[42:43], v[42:43], v[42:43]
	s_waitcnt lgkmcnt(8)
	v_max_f64 v[44:45], v[44:45], v[44:45]
	v_max_f64 v[46:47], v[46:47], v[46:47]
	;; [unrolled: 3-line block ×10, first 2 shown]
	ds_read2st64_b64 v[2:5], v83 offset1:4
.LBB132_24:                             ;   Parent Loop BB132_23 Depth=1
                                        ; =>  This Inner Loop Header: Depth=2
	v_mov_b32_e32 v83, s27
	s_waitcnt lgkmcnt(0)
	v_max_f64 v[154:155], v[2:3], v[2:3]
	v_mov_b32_e32 v2, v4
	v_mov_b32_e32 v3, v5
	s_and_b32 vcc_lo, exec_lo, s26
	s_clause 0x3e
	buffer_load_dword v90, v83, s[0:3], 0 offen
	buffer_load_dword v91, v83, s[0:3], 0 offen offset:4
	buffer_load_dword v92, v83, s[0:3], 0 offen offset:8
	;; [unrolled: 1-line block ×63, first 2 shown]
	s_mov_b32 s26, 0
	s_mov_b32 s27, s10
	v_min_f64 v[156:157], v[16:17], v[154:155]
	v_min_f64 v[158:159], v[18:19], v[154:155]
	;; [unrolled: 1-line block ×32, first 2 shown]
	s_waitcnt vmcnt(62)
	v_add_f64 v[90:91], v[156:157], v[90:91]
	s_waitcnt vmcnt(60)
	v_add_f64 v[92:93], v[158:159], v[92:93]
	;; [unrolled: 2-line block ×32, first 2 shown]
	buffer_store_dword v90, v83, s[0:3], 0 offen
	buffer_store_dword v91, v83, s[0:3], 0 offen offset:4
	buffer_store_dword v92, v83, s[0:3], 0 offen offset:8
	;; [unrolled: 1-line block ×63, first 2 shown]
	s_cbranch_vccnz .LBB132_24
; %bb.25:                               ;   in Loop: Header=BB132_23 Depth=1
	s_add_i32 s25, s25, 1
	s_cmp_eq_u32 s25, 4
	s_cbranch_scc0 .LBB132_23
; %bb.26:
	v_lshl_add_u32 v90, v0, 5, 0x1000
	v_lshl_add_u32 v91, v1, 5, 0x3000
	s_cmp_lt_i32 s42, 9
	ds_write2st64_b64 v86, v[10:11], v[8:9] offset0:8 offset1:12
	ds_write2st64_b64 v82, v[14:15], v[12:13] offset0:24 offset1:28
	s_waitcnt lgkmcnt(0)
	s_waitcnt_vscnt null, 0x0
	s_barrier
	buffer_gl0_inv
	s_cbranch_scc1 .LBB132_53
; %bb.27:
	v_mad_i64_i32 v[2:3], null, v80, s24, 0
	v_mad_i64_i32 v[4:5], null, v81, s24, 0
	v_lshlrev_b64 v[70:71], 3, v[6:7]
	v_add_nc_u32_e32 v92, 0x1000, v86
	v_add_nc_u32_e32 v93, 0x3000, v82
	s_add_i32 s24, s42, -8
	v_lshlrev_b64 v[72:73], 3, v[2:3]
	s_or_b32 s25, s8, s23
	v_lshlrev_b64 v[74:75], 3, v[4:5]
	s_or_b32 s9, s9, s23
	s_mov_b32 s26, 8
	s_mov_b32 s27, 0
.LBB132_28:                             ; =>This Loop Header: Depth=1
                                        ;     Child Loop BB132_37 Depth 2
                                        ;       Child Loop BB132_38 Depth 3
                                        ;     Child Loop BB132_49 Depth 2
                                        ;       Child Loop BB132_50 Depth 3
	v_add_nc_u32_e32 v4, s26, v84
	v_mov_b32_e32 v6, 0
	v_mov_b32_e32 v8, 0
	;; [unrolled: 1-line block ×4, first 2 shown]
	v_min_i32_e32 v2, s22, v4
	v_cmp_le_i32_e32 vcc_lo, s42, v4
	v_mad_i64_i32 v[2:3], null, v2, s19, 0
	v_lshlrev_b64 v[2:3], 3, v[2:3]
	v_add_co_u32 v2, s8, s20, v2
	v_add_co_ci_u32_e64 v3, null, s21, v3, s8
	s_or_b32 s8, s6, vcc_lo
	s_nor_b32 s8, s23, s8
	s_and_saveexec_b32 s28, s8
	s_cbranch_execz .LBB132_30
; %bb.29:                               ;   in Loop: Header=BB132_28 Depth=1
	v_add_co_u32 v4, s8, v2, v70
	v_add_co_ci_u32_e64 v5, null, v3, v71, s8
	flat_load_dwordx2 v[4:5], v[4:5]
	s_waitcnt vmcnt(0) lgkmcnt(0)
	v_mul_f64 v[8:9], s[16:17], v[4:5]
.LBB132_30:                             ;   in Loop: Header=BB132_28 Depth=1
	s_or_b32 exec_lo, exec_lo, s28
	s_or_b32 s8, s7, vcc_lo
	s_nor_b32 s28, s23, s8
	s_and_saveexec_b32 s8, s28
	s_cbranch_execz .LBB132_32
; %bb.31:                               ;   in Loop: Header=BB132_28 Depth=1
	v_add_co_u32 v2, vcc_lo, v2, v70
	v_add_co_ci_u32_e64 v3, null, v3, v71, vcc_lo
	flat_load_dwordx2 v[2:3], v[2:3] offset:512
	s_waitcnt vmcnt(0) lgkmcnt(0)
	v_mul_f64 v[6:7], s[16:17], v[2:3]
.LBB132_32:                             ;   in Loop: Header=BB132_28 Depth=1
	s_or_b32 exec_lo, exec_lo, s8
	v_or_b32_e32 v94, s26, v85
	v_mov_b32_e32 v10, 0
	v_mov_b32_e32 v12, 0
	;; [unrolled: 1-line block ×4, first 2 shown]
	v_min_i32_e32 v2, s22, v94
	v_cmp_le_i32_e32 vcc_lo, s42, v94
	v_ashrrev_i32_e32 v3, 31, v2
	v_lshlrev_b64 v[2:3], 3, v[2:3]
	v_add_co_u32 v2, s8, s14, v2
	v_add_co_ci_u32_e64 v3, null, s15, v3, s8
	s_nor_b32 s8, vcc_lo, s25
	s_and_saveexec_b32 s28, s8
	s_cbranch_execz .LBB132_34
; %bb.33:                               ;   in Loop: Header=BB132_28 Depth=1
	v_add_co_u32 v4, s8, v2, v72
	v_add_co_ci_u32_e64 v5, null, v3, v73, s8
	flat_load_dwordx2 v[4:5], v[4:5]
	s_waitcnt vmcnt(0) lgkmcnt(0)
	v_mul_f64 v[12:13], s[16:17], v[4:5]
.LBB132_34:                             ;   in Loop: Header=BB132_28 Depth=1
	s_or_b32 exec_lo, exec_lo, s28
	s_nor_b32 s28, vcc_lo, s9
	s_and_saveexec_b32 s8, s28
	s_cbranch_execz .LBB132_36
; %bb.35:                               ;   in Loop: Header=BB132_28 Depth=1
	v_add_co_u32 v2, vcc_lo, v2, v74
	v_add_co_ci_u32_e64 v3, null, v3, v75, vcc_lo
	flat_load_dwordx2 v[2:3], v[2:3]
	s_waitcnt vmcnt(0) lgkmcnt(0)
	v_mul_f64 v[10:11], s[16:17], v[2:3]
.LBB132_36:                             ;   in Loop: Header=BB132_28 Depth=1
	s_or_b32 exec_lo, exec_lo, s8
	s_mov_b32 s8, 0
.LBB132_37:                             ;   Parent Loop BB132_28 Depth=1
                                        ; =>  This Loop Header: Depth=2
                                        ;       Child Loop BB132_38 Depth 3
	s_lshl_b32 s28, s8, 3
	s_mov_b32 s29, 0
	v_add_nc_u32_e32 v14, s28, v90
	v_add_nc_u32_e32 v95, s28, v91
	s_mov_b32 s28, -1
	ds_read2_b64 v[2:5], v14 offset1:16
	ds_read2_b64 v[18:21], v14 offset0:32 offset1:48
	ds_read2_b64 v[22:25], v14 offset0:64 offset1:80
	v_add_nc_u32_e32 v15, 0x800, v14
	ds_read2_b64 v[26:29], v14 offset0:96 offset1:112
	ds_read2_b64 v[30:33], v14 offset0:128 offset1:144
	;; [unrolled: 1-line block ×5, first 2 shown]
	ds_read2_b64 v[46:49], v15 offset1:16
	ds_read2_b64 v[50:53], v15 offset0:32 offset1:48
	ds_read2_b64 v[54:57], v15 offset0:64 offset1:80
	;; [unrolled: 1-line block ×7, first 2 shown]
	s_waitcnt lgkmcnt(11)
	v_max_f64 v[30:31], v[30:31], v[30:31]
	v_max_f64 v[32:33], v[32:33], v[32:33]
	s_waitcnt lgkmcnt(10)
	v_max_f64 v[34:35], v[34:35], v[34:35]
	v_max_f64 v[36:37], v[36:37], v[36:37]
	;; [unrolled: 3-line block ×3, first 2 shown]
	v_max_f64 v[14:15], v[2:3], v[2:3]
	v_max_f64 v[16:17], v[4:5], v[4:5]
	;; [unrolled: 1-line block ×8, first 2 shown]
	s_waitcnt lgkmcnt(8)
	v_max_f64 v[42:43], v[42:43], v[42:43]
	v_max_f64 v[44:45], v[44:45], v[44:45]
	s_waitcnt lgkmcnt(7)
	v_max_f64 v[46:47], v[46:47], v[46:47]
	v_max_f64 v[48:49], v[48:49], v[48:49]
	;; [unrolled: 3-line block ×9, first 2 shown]
	ds_read2st64_b64 v[2:5], v95 offset1:4
.LBB132_38:                             ;   Parent Loop BB132_28 Depth=1
                                        ;     Parent Loop BB132_37 Depth=2
                                        ; =>    This Inner Loop Header: Depth=3
	v_mov_b32_e32 v223, s29
	s_waitcnt lgkmcnt(0)
	v_max_f64 v[159:160], v[2:3], v[2:3]
	v_mov_b32_e32 v2, v4
	v_mov_b32_e32 v3, v5
	s_and_b32 vcc_lo, exec_lo, s28
	s_clause 0x3e
	buffer_load_dword v95, v223, s[0:3], 0 offen
	buffer_load_dword v96, v223, s[0:3], 0 offen offset:4
	buffer_load_dword v97, v223, s[0:3], 0 offen offset:8
	;; [unrolled: 1-line block ×63, first 2 shown]
	s_mov_b32 s28, 0
	s_mov_b32 s29, s10
	v_min_f64 v[161:162], v[14:15], v[159:160]
	v_min_f64 v[163:164], v[16:17], v[159:160]
	;; [unrolled: 1-line block ×32, first 2 shown]
	s_waitcnt vmcnt(62)
	v_add_f64 v[95:96], v[161:162], v[95:96]
	s_waitcnt vmcnt(60)
	v_add_f64 v[97:98], v[163:164], v[97:98]
	;; [unrolled: 2-line block ×32, first 2 shown]
	buffer_store_dword v95, v223, s[0:3], 0 offen
	buffer_store_dword v96, v223, s[0:3], 0 offen offset:4
	buffer_store_dword v97, v223, s[0:3], 0 offen offset:8
	;; [unrolled: 1-line block ×63, first 2 shown]
	s_cbranch_vccnz .LBB132_38
; %bb.39:                               ;   in Loop: Header=BB132_37 Depth=2
	s_add_i32 s8, s8, 1
	s_cmp_eq_u32 s8, 4
	s_cbranch_scc0 .LBB132_37
; %bb.40:                               ;   in Loop: Header=BB132_28 Depth=1
	v_add3_u32 v4, v84, s26, 4
	v_mov_b32_e32 v76, 0
	v_mov_b32_e32 v78, 0
	;; [unrolled: 1-line block ×4, first 2 shown]
	v_min_i32_e32 v2, s22, v4
	v_cmp_le_i32_e32 vcc_lo, s42, v4
	ds_write2st64_b64 v86, v[8:9], v[6:7] offset1:4
	ds_write2st64_b64 v88, v[12:13], v[10:11] offset1:4
	s_waitcnt lgkmcnt(0)
	s_waitcnt_vscnt null, 0x0
	s_barrier
	v_mad_i64_i32 v[2:3], null, v2, s19, 0
	buffer_gl0_inv
	v_lshlrev_b64 v[2:3], 3, v[2:3]
	v_add_co_u32 v2, s8, s20, v2
	v_add_co_ci_u32_e64 v3, null, s21, v3, s8
	s_or_b32 s8, s6, vcc_lo
	s_nor_b32 s8, s23, s8
	s_and_saveexec_b32 s28, s8
	s_cbranch_execz .LBB132_42
; %bb.41:                               ;   in Loop: Header=BB132_28 Depth=1
	v_add_co_u32 v4, s8, v2, v70
	v_add_co_ci_u32_e64 v5, null, v3, v71, s8
	flat_load_dwordx2 v[4:5], v[4:5]
	s_waitcnt vmcnt(0) lgkmcnt(0)
	v_mul_f64 v[78:79], s[16:17], v[4:5]
.LBB132_42:                             ;   in Loop: Header=BB132_28 Depth=1
	s_or_b32 exec_lo, exec_lo, s28
	s_or_b32 s8, s7, vcc_lo
	s_nor_b32 s28, s23, s8
	s_and_saveexec_b32 s8, s28
	s_cbranch_execz .LBB132_44
; %bb.43:                               ;   in Loop: Header=BB132_28 Depth=1
	v_add_co_u32 v2, vcc_lo, v2, v70
	v_add_co_ci_u32_e64 v3, null, v3, v71, vcc_lo
	flat_load_dwordx2 v[2:3], v[2:3] offset:512
	s_waitcnt vmcnt(0) lgkmcnt(0)
	v_mul_f64 v[76:77], s[16:17], v[2:3]
.LBB132_44:                             ;   in Loop: Header=BB132_28 Depth=1
	s_or_b32 exec_lo, exec_lo, s8
	v_or_b32_e32 v4, 4, v94
	v_mov_b32_e32 v80, 0
	v_mov_b32_e32 v82, 0
	;; [unrolled: 1-line block ×4, first 2 shown]
	v_min_i32_e32 v2, s22, v4
	v_cmp_le_i32_e32 vcc_lo, s42, v4
	v_ashrrev_i32_e32 v3, 31, v2
	v_lshlrev_b64 v[2:3], 3, v[2:3]
	v_add_co_u32 v2, s8, s14, v2
	v_add_co_ci_u32_e64 v3, null, s15, v3, s8
	s_nor_b32 s8, vcc_lo, s25
	s_and_saveexec_b32 s28, s8
	s_cbranch_execz .LBB132_46
; %bb.45:                               ;   in Loop: Header=BB132_28 Depth=1
	v_add_co_u32 v4, s8, v2, v72
	v_add_co_ci_u32_e64 v5, null, v3, v73, s8
	flat_load_dwordx2 v[4:5], v[4:5]
	s_waitcnt vmcnt(0) lgkmcnt(0)
	v_mul_f64 v[82:83], s[16:17], v[4:5]
.LBB132_46:                             ;   in Loop: Header=BB132_28 Depth=1
	s_or_b32 exec_lo, exec_lo, s28
	s_nor_b32 s28, vcc_lo, s9
	s_and_saveexec_b32 s8, s28
	s_cbranch_execz .LBB132_48
; %bb.47:                               ;   in Loop: Header=BB132_28 Depth=1
	v_add_co_u32 v2, vcc_lo, v2, v74
	v_add_co_ci_u32_e64 v3, null, v3, v75, vcc_lo
	flat_load_dwordx2 v[2:3], v[2:3]
	s_waitcnt vmcnt(0) lgkmcnt(0)
	v_mul_f64 v[80:81], s[16:17], v[2:3]
.LBB132_48:                             ;   in Loop: Header=BB132_28 Depth=1
	s_or_b32 exec_lo, exec_lo, s8
	s_mov_b32 s8, 0
.LBB132_49:                             ;   Parent Loop BB132_28 Depth=1
                                        ; =>  This Loop Header: Depth=2
                                        ;       Child Loop BB132_50 Depth 3
	s_lshl_b32 s28, s8, 3
	s_mov_b32 s29, 0
	v_add_nc_u32_e32 v30, s28, v87
	v_add_nc_u32_e32 v66, s28, v89
	s_mov_b32 s28, -1
	ds_read2_b64 v[2:5], v30 offset1:16
	ds_read2_b64 v[6:9], v30 offset0:32 offset1:48
	ds_read2_b64 v[10:13], v30 offset0:64 offset1:80
	;; [unrolled: 1-line block ×3, first 2 shown]
	v_add_nc_u32_e32 v62, 0x800, v30
	ds_read2_b64 v[18:21], v30 offset0:128 offset1:144
	ds_read2_b64 v[22:25], v30 offset0:160 offset1:176
	;; [unrolled: 1-line block ×4, first 2 shown]
	ds_read2_b64 v[34:37], v62 offset1:16
	ds_read2_b64 v[38:41], v62 offset0:32 offset1:48
	ds_read2_b64 v[42:45], v62 offset0:64 offset1:80
	;; [unrolled: 1-line block ×7, first 2 shown]
	ds_read2st64_b64 v[66:69], v66 offset1:4
.LBB132_50:                             ;   Parent Loop BB132_28 Depth=1
                                        ;     Parent Loop BB132_49 Depth=2
                                        ; =>    This Inner Loop Header: Depth=3
	v_mov_b32_e32 v94, s29
	s_waitcnt lgkmcnt(16)
	v_max_f64 v[159:160], v[2:3], v[2:3]
	s_waitcnt lgkmcnt(0)
	v_max_f64 v[161:162], v[66:67], v[66:67]
	v_max_f64 v[163:164], v[4:5], v[4:5]
	;; [unrolled: 1-line block ×3, first 2 shown]
	s_clause 0x3e
	buffer_load_dword v95, v94, s[0:3], 0 offen
	buffer_load_dword v96, v94, s[0:3], 0 offen offset:4
	buffer_load_dword v97, v94, s[0:3], 0 offen offset:8
	;; [unrolled: 1-line block ×63, first 2 shown]
	v_max_f64 v[167:168], v[8:9], v[8:9]
	v_max_f64 v[169:170], v[10:11], v[10:11]
	;; [unrolled: 1-line block ×29, first 2 shown]
	v_min_f64 v[159:160], v[159:160], v[161:162]
	v_min_f64 v[163:164], v[163:164], v[161:162]
	v_min_f64 v[165:166], v[165:166], v[161:162]
	v_min_f64 v[167:168], v[167:168], v[161:162]
	v_min_f64 v[169:170], v[169:170], v[161:162]
	v_min_f64 v[171:172], v[171:172], v[161:162]
	v_min_f64 v[173:174], v[173:174], v[161:162]
	v_min_f64 v[175:176], v[175:176], v[161:162]
	v_min_f64 v[177:178], v[177:178], v[161:162]
	v_min_f64 v[179:180], v[179:180], v[161:162]
	v_min_f64 v[181:182], v[181:182], v[161:162]
	v_min_f64 v[183:184], v[183:184], v[161:162]
	v_min_f64 v[185:186], v[185:186], v[161:162]
	v_min_f64 v[187:188], v[187:188], v[161:162]
	v_min_f64 v[189:190], v[189:190], v[161:162]
	v_min_f64 v[191:192], v[191:192], v[161:162]
	v_min_f64 v[193:194], v[193:194], v[161:162]
	v_min_f64 v[195:196], v[195:196], v[161:162]
	v_min_f64 v[197:198], v[197:198], v[161:162]
	v_min_f64 v[199:200], v[199:200], v[161:162]
	v_min_f64 v[201:202], v[201:202], v[161:162]
	v_min_f64 v[203:204], v[203:204], v[161:162]
	v_min_f64 v[205:206], v[205:206], v[161:162]
	v_min_f64 v[207:208], v[207:208], v[161:162]
	v_min_f64 v[209:210], v[209:210], v[161:162]
	v_min_f64 v[211:212], v[211:212], v[161:162]
	v_min_f64 v[213:214], v[213:214], v[161:162]
	v_min_f64 v[215:216], v[215:216], v[161:162]
	v_min_f64 v[217:218], v[217:218], v[161:162]
	v_min_f64 v[219:220], v[219:220], v[161:162]
	v_min_f64 v[221:222], v[221:222], v[161:162]
	v_min_f64 v[161:162], v[223:224], v[161:162]
	v_mov_b32_e32 v66, v68
	v_mov_b32_e32 v67, v69
	s_and_b32 vcc_lo, exec_lo, s28
	s_mov_b32 s28, 0
	s_mov_b32 s29, s10
	s_waitcnt vmcnt(62)
	v_add_f64 v[95:96], v[159:160], v[95:96]
	s_waitcnt vmcnt(60)
	v_add_f64 v[97:98], v[163:164], v[97:98]
	;; [unrolled: 2-line block ×32, first 2 shown]
	buffer_store_dword v95, v94, s[0:3], 0 offen
	buffer_store_dword v96, v94, s[0:3], 0 offen offset:4
	buffer_store_dword v97, v94, s[0:3], 0 offen offset:8
	;; [unrolled: 1-line block ×63, first 2 shown]
	s_cbranch_vccnz .LBB132_50
; %bb.51:                               ;   in Loop: Header=BB132_49 Depth=2
	s_add_i32 s8, s8, 1
	s_cmp_eq_u32 s8, 4
	s_cbranch_scc0 .LBB132_49
; %bb.52:                               ;   in Loop: Header=BB132_28 Depth=1
	s_add_i32 s27, s27, 8
	s_add_i32 s26, s26, 8
	s_cmp_ge_i32 s27, s24
	ds_write2st64_b64 v92, v[78:79], v[76:77] offset1:4
	ds_write2st64_b64 v93, v[82:83], v[80:81] offset1:4
	s_waitcnt lgkmcnt(0)
	s_waitcnt_vscnt null, 0x0
	s_barrier
	buffer_gl0_inv
	s_cbranch_scc0 .LBB132_28
.LBB132_53:
	s_mov_b32 s6, 0
.LBB132_54:                             ; =>This Loop Header: Depth=1
                                        ;     Child Loop BB132_55 Depth 2
	s_lshl_b32 s7, s6, 3
	s_mov_b32 s8, 0
	v_add_nc_u32_e32 v6, s7, v90
	v_add_nc_u32_e32 v70, s7, v91
	s_mov_b32 s7, -1
	ds_read2_b64 v[2:5], v6 offset1:16
	ds_read2_b64 v[10:13], v6 offset0:32 offset1:48
	ds_read2_b64 v[14:17], v6 offset0:64 offset1:80
	v_add_nc_u32_e32 v7, 0x800, v6
	ds_read2_b64 v[18:21], v6 offset0:96 offset1:112
	ds_read2_b64 v[22:25], v6 offset0:128 offset1:144
	;; [unrolled: 1-line block ×5, first 2 shown]
	ds_read2_b64 v[38:41], v7 offset1:16
	ds_read2_b64 v[42:45], v7 offset0:32 offset1:48
	ds_read2_b64 v[46:49], v7 offset0:64 offset1:80
	ds_read2_b64 v[50:53], v7 offset0:96 offset1:112
	ds_read2_b64 v[54:57], v7 offset0:128 offset1:144
	ds_read2_b64 v[58:61], v7 offset0:160 offset1:176
	ds_read2_b64 v[62:65], v7 offset0:192 offset1:208
	ds_read2_b64 v[66:69], v7 offset0:224 offset1:240
	s_waitcnt lgkmcnt(11)
	v_max_f64 v[22:23], v[22:23], v[22:23]
	v_max_f64 v[24:25], v[24:25], v[24:25]
	s_waitcnt lgkmcnt(10)
	v_max_f64 v[26:27], v[26:27], v[26:27]
	v_max_f64 v[28:29], v[28:29], v[28:29]
	;; [unrolled: 3-line block ×3, first 2 shown]
	v_max_f64 v[6:7], v[2:3], v[2:3]
	v_max_f64 v[8:9], v[4:5], v[4:5]
	;; [unrolled: 1-line block ×8, first 2 shown]
	s_waitcnt lgkmcnt(8)
	v_max_f64 v[34:35], v[34:35], v[34:35]
	v_max_f64 v[36:37], v[36:37], v[36:37]
	s_waitcnt lgkmcnt(7)
	v_max_f64 v[38:39], v[38:39], v[38:39]
	v_max_f64 v[40:41], v[40:41], v[40:41]
	;; [unrolled: 3-line block ×9, first 2 shown]
	ds_read2st64_b64 v[2:5], v70 offset1:4
.LBB132_55:                             ;   Parent Loop BB132_54 Depth=1
                                        ; =>  This Inner Loop Header: Depth=2
	v_mov_b32_e32 v200, s8
	s_waitcnt lgkmcnt(0)
	v_max_f64 v[136:137], v[2:3], v[2:3]
	v_mov_b32_e32 v2, v4
	v_mov_b32_e32 v3, v5
	s_and_b32 vcc_lo, exec_lo, s7
	s_clause 0x3e
	buffer_load_dword v70, v200, s[0:3], 0 offen
	buffer_load_dword v71, v200, s[0:3], 0 offen offset:4
	buffer_load_dword v72, v200, s[0:3], 0 offen offset:8
	;; [unrolled: 1-line block ×63, first 2 shown]
	s_mov_b32 s7, 0
	s_mov_b32 s8, s10
	v_min_f64 v[138:139], v[6:7], v[136:137]
	v_min_f64 v[140:141], v[8:9], v[136:137]
	;; [unrolled: 1-line block ×32, first 2 shown]
	s_waitcnt vmcnt(62)
	v_add_f64 v[70:71], v[138:139], v[70:71]
	s_waitcnt vmcnt(60)
	v_add_f64 v[72:73], v[140:141], v[72:73]
	;; [unrolled: 2-line block ×32, first 2 shown]
	buffer_store_dword v70, v200, s[0:3], 0 offen
	buffer_store_dword v71, v200, s[0:3], 0 offen offset:4
	buffer_store_dword v72, v200, s[0:3], 0 offen offset:8
	;; [unrolled: 1-line block ×63, first 2 shown]
	s_cbranch_vccnz .LBB132_55
; %bb.56:                               ;   in Loop: Header=BB132_54 Depth=1
	s_add_i32 s6, s6, 1
	s_cmp_eq_u32 s6, 4
	s_cbranch_scc0 .LBB132_54
; %bb.57:
	s_clause 0x2
	s_load_dword s43, s[4:5], 0x58
	s_load_dword s42, s[4:5], 0x70
	s_load_dwordx2 s[6:7], s[4:5], 0x78
	v_add_nc_u32_e32 v71, s18, v1
	v_add_nc_u32_e32 v0, s11, v0
	v_cndmask_b32_e64 v70, 0, 1, s46
	v_cmp_gt_i32_e64 s16, s41, v71
	v_cmp_gt_i32_e64 s4, s40, v0
	s_waitcnt lgkmcnt(0)
	v_mad_i64_i32 v[1:2], null, v71, s43, 0
	v_mad_i64_i32 v[3:4], null, v71, s42, 0
	s_lshl_b64 s[6:7], s[6:7], 3
	s_add_u32 s47, s12, s6
	s_addc_u32 s48, s13, s7
	v_lshlrev_b64 v[5:6], 3, v[1:2]
	v_ashrrev_i32_e32 v1, 31, v0
	v_lshlrev_b64 v[2:3], 3, v[3:4]
	s_and_b32 s6, s16, s4
	v_add_co_u32 v68, vcc_lo, s44, v5
	v_add_co_ci_u32_e64 v69, null, s45, v6, vcc_lo
	v_add_co_u32 v72, vcc_lo, s47, v2
	v_add_co_ci_u32_e64 v73, null, s48, v3, vcc_lo
	s_and_saveexec_b32 s5, s6
	s_cbranch_execz .LBB132_62
; %bb.58:
	s_clause 0x1
	buffer_load_dword v2, off, s[0:3], 0
	buffer_load_dword v3, off, s[0:3], 0 offset:4
	v_lshlrev_b64 v[4:5], 3, v[0:1]
	s_andn2_b32 vcc_lo, exec_lo, s46
	s_cbranch_vccnz .LBB132_60
; %bb.59:
	v_add_co_u32 v6, vcc_lo, v68, v4
	v_add_co_ci_u32_e64 v7, null, v69, v5, vcc_lo
	flat_load_dwordx2 v[6:7], v[6:7]
	s_waitcnt vmcnt(0) lgkmcnt(0)
	v_mul_f64 v[6:7], s[38:39], v[6:7]
	s_branch .LBB132_61
.LBB132_60:
	v_mov_b32_e32 v6, 0
	v_mov_b32_e32 v7, 0
.LBB132_61:
	s_waitcnt vmcnt(0)
	v_add_f64 v[2:3], v[2:3], v[6:7]
	v_add_co_u32 v4, vcc_lo, v72, v4
	v_add_co_ci_u32_e64 v5, null, v73, v5, vcc_lo
	flat_store_dwordx2 v[4:5], v[2:3]
.LBB132_62:
	s_or_b32 exec_lo, exec_lo, s5
	v_add_nc_u32_e32 v2, 4, v0
	v_cmp_gt_i32_e64 s5, s40, v2
	v_ashrrev_i32_e32 v3, 31, v2
	s_and_b32 s7, s16, s5
	s_and_saveexec_b32 s6, s7
	s_cbranch_execz .LBB132_67
; %bb.63:
	s_clause 0x1
	buffer_load_dword v4, off, s[0:3], 0 offset:8
	buffer_load_dword v5, off, s[0:3], 0 offset:12
	v_lshlrev_b64 v[6:7], 3, v[2:3]
	s_andn2_b32 vcc_lo, exec_lo, s46
	s_cbranch_vccnz .LBB132_65
; %bb.64:
	v_add_co_u32 v8, vcc_lo, v68, v6
	v_add_co_ci_u32_e64 v9, null, v69, v7, vcc_lo
	flat_load_dwordx2 v[8:9], v[8:9]
	s_waitcnt vmcnt(0) lgkmcnt(0)
	v_mul_f64 v[8:9], s[38:39], v[8:9]
	s_branch .LBB132_66
.LBB132_65:
	v_mov_b32_e32 v8, 0
	v_mov_b32_e32 v9, 0
.LBB132_66:
	s_waitcnt vmcnt(0)
	v_add_f64 v[4:5], v[4:5], v[8:9]
	v_add_co_u32 v6, vcc_lo, v72, v6
	v_add_co_ci_u32_e64 v7, null, v73, v7, vcc_lo
	flat_store_dwordx2 v[6:7], v[4:5]
.LBB132_67:
	s_or_b32 exec_lo, exec_lo, s6
	v_add_nc_u32_e32 v4, 8, v0
	v_cmp_gt_i32_e64 s6, s40, v4
	v_ashrrev_i32_e32 v5, 31, v4
	s_and_b32 s8, s16, s6
	s_and_saveexec_b32 s7, s8
	s_cbranch_execz .LBB132_72
; %bb.68:
	s_clause 0x1
	buffer_load_dword v6, off, s[0:3], 0 offset:16
	buffer_load_dword v7, off, s[0:3], 0 offset:20
	v_lshlrev_b64 v[8:9], 3, v[4:5]
	s_andn2_b32 vcc_lo, exec_lo, s46
	s_cbranch_vccnz .LBB132_70
; %bb.69:
	v_add_co_u32 v10, vcc_lo, v68, v8
	v_add_co_ci_u32_e64 v11, null, v69, v9, vcc_lo
	flat_load_dwordx2 v[10:11], v[10:11]
	s_waitcnt vmcnt(0) lgkmcnt(0)
	v_mul_f64 v[10:11], s[38:39], v[10:11]
	s_branch .LBB132_71
.LBB132_70:
	v_mov_b32_e32 v10, 0
	v_mov_b32_e32 v11, 0
.LBB132_71:
	s_waitcnt vmcnt(0)
	v_add_f64 v[6:7], v[6:7], v[10:11]
	v_add_co_u32 v8, vcc_lo, v72, v8
	v_add_co_ci_u32_e64 v9, null, v73, v9, vcc_lo
	flat_store_dwordx2 v[8:9], v[6:7]
.LBB132_72:
	;; [unrolled: 31-line block ×31, first 2 shown]
	s_or_b32 exec_lo, exec_lo, s16
	v_add_nc_u32_e32 v68, 64, v71
	v_mad_i64_i32 v[64:65], null, v68, s43, 0
	v_mad_i64_i32 v[66:67], null, v68, s42, 0
	v_cmp_gt_i32_e64 s16, s41, v68
	v_lshlrev_b64 v[64:65], 3, v[64:65]
	s_and_b32 s4, s16, s4
	v_lshlrev_b64 v[66:67], 3, v[66:67]
	v_add_co_u32 v71, vcc_lo, s44, v64
	v_add_co_ci_u32_e64 v72, null, s45, v65, vcc_lo
	v_add_co_u32 v68, vcc_lo, s47, v66
	v_add_co_ci_u32_e64 v69, null, s48, v67, vcc_lo
	s_and_saveexec_b32 s40, s4
	s_xor_b32 s4, exec_lo, s40
	s_cbranch_execnz .LBB132_250
; %bb.218:
	s_or_b32 exec_lo, exec_lo, s4
	s_and_b32 s5, s16, s5
	s_and_saveexec_b32 s4, s5
	s_cbranch_execnz .LBB132_254
.LBB132_219:
	s_or_b32 exec_lo, exec_lo, s4
	s_and_b32 s5, s16, s6
	s_and_saveexec_b32 s4, s5
	s_cbranch_execnz .LBB132_258
.LBB132_220:
	s_or_b32 exec_lo, exec_lo, s4
	s_and_b32 s5, s16, s7
	s_and_saveexec_b32 s4, s5
	s_cbranch_execnz .LBB132_262
.LBB132_221:
	s_or_b32 exec_lo, exec_lo, s4
	s_and_b32 s5, s16, s8
	s_and_saveexec_b32 s4, s5
	s_cbranch_execnz .LBB132_266
.LBB132_222:
	s_or_b32 exec_lo, exec_lo, s4
	s_and_b32 s5, s16, s9
	s_and_saveexec_b32 s4, s5
	s_cbranch_execnz .LBB132_270
.LBB132_223:
	s_or_b32 exec_lo, exec_lo, s4
	s_and_b32 s5, s16, s10
	s_and_saveexec_b32 s4, s5
	s_cbranch_execnz .LBB132_274
.LBB132_224:
	s_or_b32 exec_lo, exec_lo, s4
	s_and_b32 s5, s16, s11
	s_and_saveexec_b32 s4, s5
	s_cbranch_execnz .LBB132_278
.LBB132_225:
	s_or_b32 exec_lo, exec_lo, s4
	s_and_b32 s5, s16, s12
	s_and_saveexec_b32 s4, s5
	s_cbranch_execnz .LBB132_282
.LBB132_226:
	s_or_b32 exec_lo, exec_lo, s4
	s_and_b32 s5, s16, s13
	s_and_saveexec_b32 s4, s5
	s_cbranch_execnz .LBB132_286
.LBB132_227:
	s_or_b32 exec_lo, exec_lo, s4
	s_and_b32 s5, s16, s14
	s_and_saveexec_b32 s4, s5
	s_cbranch_execnz .LBB132_290
.LBB132_228:
	s_or_b32 exec_lo, exec_lo, s4
	s_and_b32 s5, s16, s15
	s_and_saveexec_b32 s4, s5
	s_cbranch_execnz .LBB132_294
.LBB132_229:
	s_or_b32 exec_lo, exec_lo, s4
	s_and_b32 s5, s16, s17
	s_and_saveexec_b32 s4, s5
	s_cbranch_execnz .LBB132_298
.LBB132_230:
	s_or_b32 exec_lo, exec_lo, s4
	s_and_b32 s5, s16, s18
	s_and_saveexec_b32 s4, s5
	s_cbranch_execnz .LBB132_302
.LBB132_231:
	s_or_b32 exec_lo, exec_lo, s4
	s_and_b32 s5, s16, s19
	s_and_saveexec_b32 s4, s5
	s_cbranch_execnz .LBB132_306
.LBB132_232:
	s_or_b32 exec_lo, exec_lo, s4
	s_and_b32 s5, s16, s20
	s_and_saveexec_b32 s4, s5
	s_cbranch_execnz .LBB132_310
.LBB132_233:
	s_or_b32 exec_lo, exec_lo, s4
	s_and_b32 s5, s16, s21
	s_and_saveexec_b32 s4, s5
	s_cbranch_execnz .LBB132_314
.LBB132_234:
	s_or_b32 exec_lo, exec_lo, s4
	s_and_b32 s5, s16, s22
	s_and_saveexec_b32 s4, s5
	s_cbranch_execnz .LBB132_318
.LBB132_235:
	s_or_b32 exec_lo, exec_lo, s4
	s_and_b32 s5, s16, s23
	s_and_saveexec_b32 s4, s5
	s_cbranch_execnz .LBB132_322
.LBB132_236:
	s_or_b32 exec_lo, exec_lo, s4
	s_and_b32 s5, s16, s24
	s_and_saveexec_b32 s4, s5
	s_cbranch_execnz .LBB132_326
.LBB132_237:
	s_or_b32 exec_lo, exec_lo, s4
	s_and_b32 s5, s16, s25
	s_and_saveexec_b32 s4, s5
	s_cbranch_execnz .LBB132_330
.LBB132_238:
	s_or_b32 exec_lo, exec_lo, s4
	s_and_b32 s5, s16, s26
	s_and_saveexec_b32 s4, s5
	s_cbranch_execnz .LBB132_334
.LBB132_239:
	s_or_b32 exec_lo, exec_lo, s4
	s_and_b32 s5, s16, s27
	s_and_saveexec_b32 s4, s5
	s_cbranch_execnz .LBB132_338
.LBB132_240:
	s_or_b32 exec_lo, exec_lo, s4
	s_and_b32 s5, s16, s28
	s_and_saveexec_b32 s4, s5
	s_cbranch_execnz .LBB132_342
.LBB132_241:
	s_or_b32 exec_lo, exec_lo, s4
	s_and_b32 s5, s16, s29
	s_and_saveexec_b32 s4, s5
	s_cbranch_execnz .LBB132_346
.LBB132_242:
	s_or_b32 exec_lo, exec_lo, s4
	s_and_b32 s5, s16, s30
	s_and_saveexec_b32 s4, s5
	s_cbranch_execnz .LBB132_350
.LBB132_243:
	s_or_b32 exec_lo, exec_lo, s4
	s_and_b32 s5, s16, s31
	s_and_saveexec_b32 s4, s5
	s_cbranch_execnz .LBB132_354
.LBB132_244:
	s_or_b32 exec_lo, exec_lo, s4
	s_and_b32 s5, s16, s33
	s_and_saveexec_b32 s4, s5
	s_cbranch_execnz .LBB132_358
.LBB132_245:
	s_or_b32 exec_lo, exec_lo, s4
	s_and_b32 s5, s16, s34
	s_and_saveexec_b32 s4, s5
	s_cbranch_execnz .LBB132_362
.LBB132_246:
	s_or_b32 exec_lo, exec_lo, s4
	s_and_b32 s5, s16, s35
	s_and_saveexec_b32 s4, s5
	s_cbranch_execnz .LBB132_366
.LBB132_247:
	s_or_b32 exec_lo, exec_lo, s4
	s_and_b32 s5, s16, s36
	s_and_saveexec_b32 s4, s5
	s_cbranch_execnz .LBB132_370
.LBB132_248:
	s_or_b32 exec_lo, exec_lo, s4
	s_and_b32 s4, s16, s37
	s_and_saveexec_b32 s5, s4
	s_cbranch_execnz .LBB132_374
.LBB132_249:
	s_endpgm
.LBB132_250:
	s_clause 0x1
	buffer_load_dword v64, off, s[0:3], 0 offset:256
	buffer_load_dword v65, off, s[0:3], 0 offset:260
	v_lshlrev_b64 v[0:1], 3, v[0:1]
	s_andn2_b32 vcc_lo, exec_lo, s46
	s_cbranch_vccnz .LBB132_252
; %bb.251:
	v_add_co_u32 v66, vcc_lo, v71, v0
	v_add_co_ci_u32_e64 v67, null, v72, v1, vcc_lo
	flat_load_dwordx2 v[66:67], v[66:67]
	s_waitcnt vmcnt(0) lgkmcnt(0)
	v_mul_f64 v[66:67], s[38:39], v[66:67]
	s_branch .LBB132_253
.LBB132_252:
	v_mov_b32_e32 v66, 0
	v_mov_b32_e32 v67, 0
.LBB132_253:
	s_waitcnt vmcnt(0)
	v_add_f64 v[64:65], v[64:65], v[66:67]
	v_add_co_u32 v0, vcc_lo, v68, v0
	v_add_co_ci_u32_e64 v1, null, v69, v1, vcc_lo
	flat_store_dwordx2 v[0:1], v[64:65]
	s_or_b32 exec_lo, exec_lo, s4
	s_and_b32 s5, s16, s5
	s_and_saveexec_b32 s4, s5
	s_cbranch_execz .LBB132_219
.LBB132_254:
	s_clause 0x1
	buffer_load_dword v0, off, s[0:3], 0 offset:264
	buffer_load_dword v1, off, s[0:3], 0 offset:268
	v_cmp_ne_u32_e32 vcc_lo, 1, v70
	v_lshlrev_b64 v[2:3], 3, v[2:3]
	s_cbranch_vccnz .LBB132_256
; %bb.255:
	v_add_co_u32 v64, vcc_lo, v71, v2
	v_add_co_ci_u32_e64 v65, null, v72, v3, vcc_lo
	flat_load_dwordx2 v[64:65], v[64:65]
	s_waitcnt vmcnt(0) lgkmcnt(0)
	v_mul_f64 v[64:65], s[38:39], v[64:65]
	s_branch .LBB132_257
.LBB132_256:
	v_mov_b32_e32 v64, 0
	v_mov_b32_e32 v65, 0
.LBB132_257:
	s_waitcnt vmcnt(0)
	v_add_f64 v[0:1], v[0:1], v[64:65]
	v_add_co_u32 v2, vcc_lo, v68, v2
	v_add_co_ci_u32_e64 v3, null, v69, v3, vcc_lo
	flat_store_dwordx2 v[2:3], v[0:1]
	s_or_b32 exec_lo, exec_lo, s4
	s_and_b32 s5, s16, s6
	s_and_saveexec_b32 s4, s5
	s_cbranch_execz .LBB132_220
.LBB132_258:
	s_clause 0x1
	buffer_load_dword v0, off, s[0:3], 0 offset:272
	buffer_load_dword v1, off, s[0:3], 0 offset:276
	v_cmp_ne_u32_e32 vcc_lo, 1, v70
	v_lshlrev_b64 v[2:3], 3, v[4:5]
	s_cbranch_vccnz .LBB132_260
; %bb.259:
	v_add_co_u32 v4, vcc_lo, v71, v2
	v_add_co_ci_u32_e64 v5, null, v72, v3, vcc_lo
	flat_load_dwordx2 v[4:5], v[4:5]
	s_waitcnt vmcnt(0) lgkmcnt(0)
	v_mul_f64 v[4:5], s[38:39], v[4:5]
	s_branch .LBB132_261
.LBB132_260:
	v_mov_b32_e32 v4, 0
	v_mov_b32_e32 v5, 0
.LBB132_261:
	s_waitcnt vmcnt(0)
	v_add_f64 v[0:1], v[0:1], v[4:5]
	v_add_co_u32 v2, vcc_lo, v68, v2
	v_add_co_ci_u32_e64 v3, null, v69, v3, vcc_lo
	flat_store_dwordx2 v[2:3], v[0:1]
	s_or_b32 exec_lo, exec_lo, s4
	s_and_b32 s5, s16, s7
	s_and_saveexec_b32 s4, s5
	s_cbranch_execz .LBB132_221
.LBB132_262:
	s_clause 0x1
	buffer_load_dword v0, off, s[0:3], 0 offset:280
	buffer_load_dword v1, off, s[0:3], 0 offset:284
	v_cmp_ne_u32_e32 vcc_lo, 1, v70
	v_lshlrev_b64 v[2:3], 3, v[6:7]
	s_cbranch_vccnz .LBB132_264
; %bb.263:
	v_add_co_u32 v4, vcc_lo, v71, v2
	v_add_co_ci_u32_e64 v5, null, v72, v3, vcc_lo
	flat_load_dwordx2 v[4:5], v[4:5]
	s_waitcnt vmcnt(0) lgkmcnt(0)
	v_mul_f64 v[4:5], s[38:39], v[4:5]
	s_branch .LBB132_265
.LBB132_264:
	v_mov_b32_e32 v4, 0
	v_mov_b32_e32 v5, 0
.LBB132_265:
	s_waitcnt vmcnt(0)
	v_add_f64 v[0:1], v[0:1], v[4:5]
	v_add_co_u32 v2, vcc_lo, v68, v2
	v_add_co_ci_u32_e64 v3, null, v69, v3, vcc_lo
	flat_store_dwordx2 v[2:3], v[0:1]
	s_or_b32 exec_lo, exec_lo, s4
	s_and_b32 s5, s16, s8
	s_and_saveexec_b32 s4, s5
	s_cbranch_execz .LBB132_222
.LBB132_266:
	s_clause 0x1
	buffer_load_dword v0, off, s[0:3], 0 offset:288
	buffer_load_dword v1, off, s[0:3], 0 offset:292
	v_cmp_ne_u32_e32 vcc_lo, 1, v70
	v_lshlrev_b64 v[2:3], 3, v[8:9]
	s_cbranch_vccnz .LBB132_268
; %bb.267:
	v_add_co_u32 v4, vcc_lo, v71, v2
	v_add_co_ci_u32_e64 v5, null, v72, v3, vcc_lo
	flat_load_dwordx2 v[4:5], v[4:5]
	s_waitcnt vmcnt(0) lgkmcnt(0)
	v_mul_f64 v[4:5], s[38:39], v[4:5]
	s_branch .LBB132_269
.LBB132_268:
	v_mov_b32_e32 v4, 0
	v_mov_b32_e32 v5, 0
.LBB132_269:
	s_waitcnt vmcnt(0)
	v_add_f64 v[0:1], v[0:1], v[4:5]
	v_add_co_u32 v2, vcc_lo, v68, v2
	v_add_co_ci_u32_e64 v3, null, v69, v3, vcc_lo
	flat_store_dwordx2 v[2:3], v[0:1]
	s_or_b32 exec_lo, exec_lo, s4
	s_and_b32 s5, s16, s9
	s_and_saveexec_b32 s4, s5
	s_cbranch_execz .LBB132_223
.LBB132_270:
	s_clause 0x1
	buffer_load_dword v0, off, s[0:3], 0 offset:296
	buffer_load_dword v1, off, s[0:3], 0 offset:300
	v_cmp_ne_u32_e32 vcc_lo, 1, v70
	v_lshlrev_b64 v[2:3], 3, v[10:11]
	s_cbranch_vccnz .LBB132_272
; %bb.271:
	v_add_co_u32 v4, vcc_lo, v71, v2
	v_add_co_ci_u32_e64 v5, null, v72, v3, vcc_lo
	flat_load_dwordx2 v[4:5], v[4:5]
	s_waitcnt vmcnt(0) lgkmcnt(0)
	v_mul_f64 v[4:5], s[38:39], v[4:5]
	s_branch .LBB132_273
.LBB132_272:
	v_mov_b32_e32 v4, 0
	v_mov_b32_e32 v5, 0
.LBB132_273:
	s_waitcnt vmcnt(0)
	v_add_f64 v[0:1], v[0:1], v[4:5]
	v_add_co_u32 v2, vcc_lo, v68, v2
	v_add_co_ci_u32_e64 v3, null, v69, v3, vcc_lo
	flat_store_dwordx2 v[2:3], v[0:1]
	s_or_b32 exec_lo, exec_lo, s4
	s_and_b32 s5, s16, s10
	s_and_saveexec_b32 s4, s5
	s_cbranch_execz .LBB132_224
.LBB132_274:
	s_clause 0x1
	buffer_load_dword v0, off, s[0:3], 0 offset:304
	buffer_load_dword v1, off, s[0:3], 0 offset:308
	v_cmp_ne_u32_e32 vcc_lo, 1, v70
	v_lshlrev_b64 v[2:3], 3, v[12:13]
	s_cbranch_vccnz .LBB132_276
; %bb.275:
	v_add_co_u32 v4, vcc_lo, v71, v2
	v_add_co_ci_u32_e64 v5, null, v72, v3, vcc_lo
	flat_load_dwordx2 v[4:5], v[4:5]
	s_waitcnt vmcnt(0) lgkmcnt(0)
	v_mul_f64 v[4:5], s[38:39], v[4:5]
	s_branch .LBB132_277
.LBB132_276:
	v_mov_b32_e32 v4, 0
	v_mov_b32_e32 v5, 0
.LBB132_277:
	s_waitcnt vmcnt(0)
	v_add_f64 v[0:1], v[0:1], v[4:5]
	v_add_co_u32 v2, vcc_lo, v68, v2
	v_add_co_ci_u32_e64 v3, null, v69, v3, vcc_lo
	flat_store_dwordx2 v[2:3], v[0:1]
	s_or_b32 exec_lo, exec_lo, s4
	s_and_b32 s5, s16, s11
	s_and_saveexec_b32 s4, s5
	s_cbranch_execz .LBB132_225
.LBB132_278:
	s_clause 0x1
	buffer_load_dword v0, off, s[0:3], 0 offset:312
	buffer_load_dword v1, off, s[0:3], 0 offset:316
	v_cmp_ne_u32_e32 vcc_lo, 1, v70
	v_lshlrev_b64 v[2:3], 3, v[14:15]
	s_cbranch_vccnz .LBB132_280
; %bb.279:
	v_add_co_u32 v4, vcc_lo, v71, v2
	v_add_co_ci_u32_e64 v5, null, v72, v3, vcc_lo
	flat_load_dwordx2 v[4:5], v[4:5]
	s_waitcnt vmcnt(0) lgkmcnt(0)
	v_mul_f64 v[4:5], s[38:39], v[4:5]
	s_branch .LBB132_281
.LBB132_280:
	v_mov_b32_e32 v4, 0
	v_mov_b32_e32 v5, 0
.LBB132_281:
	s_waitcnt vmcnt(0)
	v_add_f64 v[0:1], v[0:1], v[4:5]
	v_add_co_u32 v2, vcc_lo, v68, v2
	v_add_co_ci_u32_e64 v3, null, v69, v3, vcc_lo
	flat_store_dwordx2 v[2:3], v[0:1]
	s_or_b32 exec_lo, exec_lo, s4
	s_and_b32 s5, s16, s12
	s_and_saveexec_b32 s4, s5
	s_cbranch_execz .LBB132_226
.LBB132_282:
	s_clause 0x1
	buffer_load_dword v0, off, s[0:3], 0 offset:320
	buffer_load_dword v1, off, s[0:3], 0 offset:324
	v_cmp_ne_u32_e32 vcc_lo, 1, v70
	v_lshlrev_b64 v[2:3], 3, v[16:17]
	s_cbranch_vccnz .LBB132_284
; %bb.283:
	v_add_co_u32 v4, vcc_lo, v71, v2
	v_add_co_ci_u32_e64 v5, null, v72, v3, vcc_lo
	flat_load_dwordx2 v[4:5], v[4:5]
	s_waitcnt vmcnt(0) lgkmcnt(0)
	v_mul_f64 v[4:5], s[38:39], v[4:5]
	s_branch .LBB132_285
.LBB132_284:
	v_mov_b32_e32 v4, 0
	v_mov_b32_e32 v5, 0
.LBB132_285:
	s_waitcnt vmcnt(0)
	v_add_f64 v[0:1], v[0:1], v[4:5]
	v_add_co_u32 v2, vcc_lo, v68, v2
	v_add_co_ci_u32_e64 v3, null, v69, v3, vcc_lo
	flat_store_dwordx2 v[2:3], v[0:1]
	s_or_b32 exec_lo, exec_lo, s4
	s_and_b32 s5, s16, s13
	s_and_saveexec_b32 s4, s5
	s_cbranch_execz .LBB132_227
.LBB132_286:
	s_clause 0x1
	buffer_load_dword v0, off, s[0:3], 0 offset:328
	buffer_load_dword v1, off, s[0:3], 0 offset:332
	v_cmp_ne_u32_e32 vcc_lo, 1, v70
	v_lshlrev_b64 v[2:3], 3, v[18:19]
	s_cbranch_vccnz .LBB132_288
; %bb.287:
	v_add_co_u32 v4, vcc_lo, v71, v2
	v_add_co_ci_u32_e64 v5, null, v72, v3, vcc_lo
	flat_load_dwordx2 v[4:5], v[4:5]
	s_waitcnt vmcnt(0) lgkmcnt(0)
	v_mul_f64 v[4:5], s[38:39], v[4:5]
	s_branch .LBB132_289
.LBB132_288:
	v_mov_b32_e32 v4, 0
	v_mov_b32_e32 v5, 0
.LBB132_289:
	s_waitcnt vmcnt(0)
	v_add_f64 v[0:1], v[0:1], v[4:5]
	v_add_co_u32 v2, vcc_lo, v68, v2
	v_add_co_ci_u32_e64 v3, null, v69, v3, vcc_lo
	flat_store_dwordx2 v[2:3], v[0:1]
	s_or_b32 exec_lo, exec_lo, s4
	s_and_b32 s5, s16, s14
	s_and_saveexec_b32 s4, s5
	s_cbranch_execz .LBB132_228
.LBB132_290:
	s_clause 0x1
	buffer_load_dword v0, off, s[0:3], 0 offset:336
	buffer_load_dword v1, off, s[0:3], 0 offset:340
	v_cmp_ne_u32_e32 vcc_lo, 1, v70
	v_lshlrev_b64 v[2:3], 3, v[20:21]
	s_cbranch_vccnz .LBB132_292
; %bb.291:
	v_add_co_u32 v4, vcc_lo, v71, v2
	v_add_co_ci_u32_e64 v5, null, v72, v3, vcc_lo
	flat_load_dwordx2 v[4:5], v[4:5]
	s_waitcnt vmcnt(0) lgkmcnt(0)
	v_mul_f64 v[4:5], s[38:39], v[4:5]
	s_branch .LBB132_293
.LBB132_292:
	v_mov_b32_e32 v4, 0
	v_mov_b32_e32 v5, 0
.LBB132_293:
	s_waitcnt vmcnt(0)
	v_add_f64 v[0:1], v[0:1], v[4:5]
	v_add_co_u32 v2, vcc_lo, v68, v2
	v_add_co_ci_u32_e64 v3, null, v69, v3, vcc_lo
	flat_store_dwordx2 v[2:3], v[0:1]
	s_or_b32 exec_lo, exec_lo, s4
	s_and_b32 s5, s16, s15
	s_and_saveexec_b32 s4, s5
	s_cbranch_execz .LBB132_229
.LBB132_294:
	s_clause 0x1
	buffer_load_dword v0, off, s[0:3], 0 offset:344
	buffer_load_dword v1, off, s[0:3], 0 offset:348
	v_cmp_ne_u32_e32 vcc_lo, 1, v70
	v_lshlrev_b64 v[2:3], 3, v[22:23]
	s_cbranch_vccnz .LBB132_296
; %bb.295:
	v_add_co_u32 v4, vcc_lo, v71, v2
	v_add_co_ci_u32_e64 v5, null, v72, v3, vcc_lo
	flat_load_dwordx2 v[4:5], v[4:5]
	s_waitcnt vmcnt(0) lgkmcnt(0)
	v_mul_f64 v[4:5], s[38:39], v[4:5]
	s_branch .LBB132_297
.LBB132_296:
	v_mov_b32_e32 v4, 0
	v_mov_b32_e32 v5, 0
.LBB132_297:
	s_waitcnt vmcnt(0)
	v_add_f64 v[0:1], v[0:1], v[4:5]
	v_add_co_u32 v2, vcc_lo, v68, v2
	v_add_co_ci_u32_e64 v3, null, v69, v3, vcc_lo
	flat_store_dwordx2 v[2:3], v[0:1]
	s_or_b32 exec_lo, exec_lo, s4
	s_and_b32 s5, s16, s17
	s_and_saveexec_b32 s4, s5
	s_cbranch_execz .LBB132_230
.LBB132_298:
	s_clause 0x1
	buffer_load_dword v0, off, s[0:3], 0 offset:352
	buffer_load_dword v1, off, s[0:3], 0 offset:356
	v_cmp_ne_u32_e32 vcc_lo, 1, v70
	v_lshlrev_b64 v[2:3], 3, v[24:25]
	s_cbranch_vccnz .LBB132_300
; %bb.299:
	v_add_co_u32 v4, vcc_lo, v71, v2
	v_add_co_ci_u32_e64 v5, null, v72, v3, vcc_lo
	flat_load_dwordx2 v[4:5], v[4:5]
	s_waitcnt vmcnt(0) lgkmcnt(0)
	v_mul_f64 v[4:5], s[38:39], v[4:5]
	s_branch .LBB132_301
.LBB132_300:
	v_mov_b32_e32 v4, 0
	v_mov_b32_e32 v5, 0
.LBB132_301:
	s_waitcnt vmcnt(0)
	v_add_f64 v[0:1], v[0:1], v[4:5]
	v_add_co_u32 v2, vcc_lo, v68, v2
	v_add_co_ci_u32_e64 v3, null, v69, v3, vcc_lo
	flat_store_dwordx2 v[2:3], v[0:1]
	s_or_b32 exec_lo, exec_lo, s4
	s_and_b32 s5, s16, s18
	s_and_saveexec_b32 s4, s5
	s_cbranch_execz .LBB132_231
.LBB132_302:
	s_clause 0x1
	buffer_load_dword v0, off, s[0:3], 0 offset:360
	buffer_load_dword v1, off, s[0:3], 0 offset:364
	v_cmp_ne_u32_e32 vcc_lo, 1, v70
	v_lshlrev_b64 v[2:3], 3, v[26:27]
	s_cbranch_vccnz .LBB132_304
; %bb.303:
	v_add_co_u32 v4, vcc_lo, v71, v2
	v_add_co_ci_u32_e64 v5, null, v72, v3, vcc_lo
	flat_load_dwordx2 v[4:5], v[4:5]
	s_waitcnt vmcnt(0) lgkmcnt(0)
	v_mul_f64 v[4:5], s[38:39], v[4:5]
	s_branch .LBB132_305
.LBB132_304:
	v_mov_b32_e32 v4, 0
	v_mov_b32_e32 v5, 0
.LBB132_305:
	s_waitcnt vmcnt(0)
	v_add_f64 v[0:1], v[0:1], v[4:5]
	v_add_co_u32 v2, vcc_lo, v68, v2
	v_add_co_ci_u32_e64 v3, null, v69, v3, vcc_lo
	flat_store_dwordx2 v[2:3], v[0:1]
	s_or_b32 exec_lo, exec_lo, s4
	s_and_b32 s5, s16, s19
	s_and_saveexec_b32 s4, s5
	s_cbranch_execz .LBB132_232
.LBB132_306:
	s_clause 0x1
	buffer_load_dword v0, off, s[0:3], 0 offset:368
	buffer_load_dword v1, off, s[0:3], 0 offset:372
	v_cmp_ne_u32_e32 vcc_lo, 1, v70
	v_lshlrev_b64 v[2:3], 3, v[28:29]
	s_cbranch_vccnz .LBB132_308
; %bb.307:
	v_add_co_u32 v4, vcc_lo, v71, v2
	v_add_co_ci_u32_e64 v5, null, v72, v3, vcc_lo
	flat_load_dwordx2 v[4:5], v[4:5]
	s_waitcnt vmcnt(0) lgkmcnt(0)
	v_mul_f64 v[4:5], s[38:39], v[4:5]
	s_branch .LBB132_309
.LBB132_308:
	v_mov_b32_e32 v4, 0
	v_mov_b32_e32 v5, 0
.LBB132_309:
	s_waitcnt vmcnt(0)
	v_add_f64 v[0:1], v[0:1], v[4:5]
	v_add_co_u32 v2, vcc_lo, v68, v2
	v_add_co_ci_u32_e64 v3, null, v69, v3, vcc_lo
	flat_store_dwordx2 v[2:3], v[0:1]
	s_or_b32 exec_lo, exec_lo, s4
	s_and_b32 s5, s16, s20
	s_and_saveexec_b32 s4, s5
	s_cbranch_execz .LBB132_233
.LBB132_310:
	s_clause 0x1
	buffer_load_dword v0, off, s[0:3], 0 offset:376
	buffer_load_dword v1, off, s[0:3], 0 offset:380
	v_cmp_ne_u32_e32 vcc_lo, 1, v70
	v_lshlrev_b64 v[2:3], 3, v[30:31]
	s_cbranch_vccnz .LBB132_312
; %bb.311:
	v_add_co_u32 v4, vcc_lo, v71, v2
	v_add_co_ci_u32_e64 v5, null, v72, v3, vcc_lo
	flat_load_dwordx2 v[4:5], v[4:5]
	s_waitcnt vmcnt(0) lgkmcnt(0)
	v_mul_f64 v[4:5], s[38:39], v[4:5]
	s_branch .LBB132_313
.LBB132_312:
	v_mov_b32_e32 v4, 0
	v_mov_b32_e32 v5, 0
.LBB132_313:
	s_waitcnt vmcnt(0)
	v_add_f64 v[0:1], v[0:1], v[4:5]
	v_add_co_u32 v2, vcc_lo, v68, v2
	v_add_co_ci_u32_e64 v3, null, v69, v3, vcc_lo
	flat_store_dwordx2 v[2:3], v[0:1]
	s_or_b32 exec_lo, exec_lo, s4
	s_and_b32 s5, s16, s21
	s_and_saveexec_b32 s4, s5
	s_cbranch_execz .LBB132_234
.LBB132_314:
	s_clause 0x1
	buffer_load_dword v0, off, s[0:3], 0 offset:384
	buffer_load_dword v1, off, s[0:3], 0 offset:388
	v_cmp_ne_u32_e32 vcc_lo, 1, v70
	v_lshlrev_b64 v[2:3], 3, v[32:33]
	s_cbranch_vccnz .LBB132_316
; %bb.315:
	v_add_co_u32 v4, vcc_lo, v71, v2
	v_add_co_ci_u32_e64 v5, null, v72, v3, vcc_lo
	flat_load_dwordx2 v[4:5], v[4:5]
	s_waitcnt vmcnt(0) lgkmcnt(0)
	v_mul_f64 v[4:5], s[38:39], v[4:5]
	s_branch .LBB132_317
.LBB132_316:
	v_mov_b32_e32 v4, 0
	v_mov_b32_e32 v5, 0
.LBB132_317:
	s_waitcnt vmcnt(0)
	v_add_f64 v[0:1], v[0:1], v[4:5]
	v_add_co_u32 v2, vcc_lo, v68, v2
	v_add_co_ci_u32_e64 v3, null, v69, v3, vcc_lo
	flat_store_dwordx2 v[2:3], v[0:1]
	s_or_b32 exec_lo, exec_lo, s4
	s_and_b32 s5, s16, s22
	s_and_saveexec_b32 s4, s5
	s_cbranch_execz .LBB132_235
.LBB132_318:
	s_clause 0x1
	buffer_load_dword v0, off, s[0:3], 0 offset:392
	buffer_load_dword v1, off, s[0:3], 0 offset:396
	v_cmp_ne_u32_e32 vcc_lo, 1, v70
	v_lshlrev_b64 v[2:3], 3, v[34:35]
	s_cbranch_vccnz .LBB132_320
; %bb.319:
	v_add_co_u32 v4, vcc_lo, v71, v2
	v_add_co_ci_u32_e64 v5, null, v72, v3, vcc_lo
	flat_load_dwordx2 v[4:5], v[4:5]
	s_waitcnt vmcnt(0) lgkmcnt(0)
	v_mul_f64 v[4:5], s[38:39], v[4:5]
	s_branch .LBB132_321
.LBB132_320:
	v_mov_b32_e32 v4, 0
	v_mov_b32_e32 v5, 0
.LBB132_321:
	s_waitcnt vmcnt(0)
	v_add_f64 v[0:1], v[0:1], v[4:5]
	v_add_co_u32 v2, vcc_lo, v68, v2
	v_add_co_ci_u32_e64 v3, null, v69, v3, vcc_lo
	flat_store_dwordx2 v[2:3], v[0:1]
	s_or_b32 exec_lo, exec_lo, s4
	s_and_b32 s5, s16, s23
	s_and_saveexec_b32 s4, s5
	s_cbranch_execz .LBB132_236
.LBB132_322:
	s_clause 0x1
	buffer_load_dword v0, off, s[0:3], 0 offset:400
	buffer_load_dword v1, off, s[0:3], 0 offset:404
	v_cmp_ne_u32_e32 vcc_lo, 1, v70
	v_lshlrev_b64 v[2:3], 3, v[36:37]
	s_cbranch_vccnz .LBB132_324
; %bb.323:
	v_add_co_u32 v4, vcc_lo, v71, v2
	v_add_co_ci_u32_e64 v5, null, v72, v3, vcc_lo
	flat_load_dwordx2 v[4:5], v[4:5]
	s_waitcnt vmcnt(0) lgkmcnt(0)
	v_mul_f64 v[4:5], s[38:39], v[4:5]
	s_branch .LBB132_325
.LBB132_324:
	v_mov_b32_e32 v4, 0
	v_mov_b32_e32 v5, 0
.LBB132_325:
	s_waitcnt vmcnt(0)
	v_add_f64 v[0:1], v[0:1], v[4:5]
	v_add_co_u32 v2, vcc_lo, v68, v2
	v_add_co_ci_u32_e64 v3, null, v69, v3, vcc_lo
	flat_store_dwordx2 v[2:3], v[0:1]
	s_or_b32 exec_lo, exec_lo, s4
	s_and_b32 s5, s16, s24
	s_and_saveexec_b32 s4, s5
	s_cbranch_execz .LBB132_237
.LBB132_326:
	s_clause 0x1
	buffer_load_dword v0, off, s[0:3], 0 offset:408
	buffer_load_dword v1, off, s[0:3], 0 offset:412
	v_cmp_ne_u32_e32 vcc_lo, 1, v70
	v_lshlrev_b64 v[2:3], 3, v[38:39]
	s_cbranch_vccnz .LBB132_328
; %bb.327:
	v_add_co_u32 v4, vcc_lo, v71, v2
	v_add_co_ci_u32_e64 v5, null, v72, v3, vcc_lo
	flat_load_dwordx2 v[4:5], v[4:5]
	s_waitcnt vmcnt(0) lgkmcnt(0)
	v_mul_f64 v[4:5], s[38:39], v[4:5]
	s_branch .LBB132_329
.LBB132_328:
	v_mov_b32_e32 v4, 0
	v_mov_b32_e32 v5, 0
.LBB132_329:
	s_waitcnt vmcnt(0)
	v_add_f64 v[0:1], v[0:1], v[4:5]
	v_add_co_u32 v2, vcc_lo, v68, v2
	v_add_co_ci_u32_e64 v3, null, v69, v3, vcc_lo
	flat_store_dwordx2 v[2:3], v[0:1]
	s_or_b32 exec_lo, exec_lo, s4
	s_and_b32 s5, s16, s25
	s_and_saveexec_b32 s4, s5
	s_cbranch_execz .LBB132_238
.LBB132_330:
	s_clause 0x1
	buffer_load_dword v0, off, s[0:3], 0 offset:416
	buffer_load_dword v1, off, s[0:3], 0 offset:420
	v_cmp_ne_u32_e32 vcc_lo, 1, v70
	v_lshlrev_b64 v[2:3], 3, v[40:41]
	s_cbranch_vccnz .LBB132_332
; %bb.331:
	v_add_co_u32 v4, vcc_lo, v71, v2
	v_add_co_ci_u32_e64 v5, null, v72, v3, vcc_lo
	flat_load_dwordx2 v[4:5], v[4:5]
	s_waitcnt vmcnt(0) lgkmcnt(0)
	v_mul_f64 v[4:5], s[38:39], v[4:5]
	s_branch .LBB132_333
.LBB132_332:
	v_mov_b32_e32 v4, 0
	v_mov_b32_e32 v5, 0
.LBB132_333:
	s_waitcnt vmcnt(0)
	v_add_f64 v[0:1], v[0:1], v[4:5]
	v_add_co_u32 v2, vcc_lo, v68, v2
	v_add_co_ci_u32_e64 v3, null, v69, v3, vcc_lo
	flat_store_dwordx2 v[2:3], v[0:1]
	s_or_b32 exec_lo, exec_lo, s4
	s_and_b32 s5, s16, s26
	s_and_saveexec_b32 s4, s5
	s_cbranch_execz .LBB132_239
.LBB132_334:
	s_clause 0x1
	buffer_load_dword v0, off, s[0:3], 0 offset:424
	buffer_load_dword v1, off, s[0:3], 0 offset:428
	v_cmp_ne_u32_e32 vcc_lo, 1, v70
	v_lshlrev_b64 v[2:3], 3, v[42:43]
	s_cbranch_vccnz .LBB132_336
; %bb.335:
	v_add_co_u32 v4, vcc_lo, v71, v2
	v_add_co_ci_u32_e64 v5, null, v72, v3, vcc_lo
	flat_load_dwordx2 v[4:5], v[4:5]
	s_waitcnt vmcnt(0) lgkmcnt(0)
	v_mul_f64 v[4:5], s[38:39], v[4:5]
	s_branch .LBB132_337
.LBB132_336:
	v_mov_b32_e32 v4, 0
	v_mov_b32_e32 v5, 0
.LBB132_337:
	s_waitcnt vmcnt(0)
	v_add_f64 v[0:1], v[0:1], v[4:5]
	v_add_co_u32 v2, vcc_lo, v68, v2
	v_add_co_ci_u32_e64 v3, null, v69, v3, vcc_lo
	flat_store_dwordx2 v[2:3], v[0:1]
	s_or_b32 exec_lo, exec_lo, s4
	s_and_b32 s5, s16, s27
	s_and_saveexec_b32 s4, s5
	s_cbranch_execz .LBB132_240
.LBB132_338:
	s_clause 0x1
	buffer_load_dword v0, off, s[0:3], 0 offset:432
	buffer_load_dword v1, off, s[0:3], 0 offset:436
	v_cmp_ne_u32_e32 vcc_lo, 1, v70
	v_lshlrev_b64 v[2:3], 3, v[44:45]
	s_cbranch_vccnz .LBB132_340
; %bb.339:
	v_add_co_u32 v4, vcc_lo, v71, v2
	v_add_co_ci_u32_e64 v5, null, v72, v3, vcc_lo
	flat_load_dwordx2 v[4:5], v[4:5]
	s_waitcnt vmcnt(0) lgkmcnt(0)
	v_mul_f64 v[4:5], s[38:39], v[4:5]
	s_branch .LBB132_341
.LBB132_340:
	v_mov_b32_e32 v4, 0
	v_mov_b32_e32 v5, 0
.LBB132_341:
	s_waitcnt vmcnt(0)
	v_add_f64 v[0:1], v[0:1], v[4:5]
	v_add_co_u32 v2, vcc_lo, v68, v2
	v_add_co_ci_u32_e64 v3, null, v69, v3, vcc_lo
	flat_store_dwordx2 v[2:3], v[0:1]
	s_or_b32 exec_lo, exec_lo, s4
	s_and_b32 s5, s16, s28
	s_and_saveexec_b32 s4, s5
	s_cbranch_execz .LBB132_241
.LBB132_342:
	s_clause 0x1
	buffer_load_dword v0, off, s[0:3], 0 offset:440
	buffer_load_dword v1, off, s[0:3], 0 offset:444
	v_cmp_ne_u32_e32 vcc_lo, 1, v70
	v_lshlrev_b64 v[2:3], 3, v[46:47]
	s_cbranch_vccnz .LBB132_344
; %bb.343:
	v_add_co_u32 v4, vcc_lo, v71, v2
	v_add_co_ci_u32_e64 v5, null, v72, v3, vcc_lo
	flat_load_dwordx2 v[4:5], v[4:5]
	s_waitcnt vmcnt(0) lgkmcnt(0)
	v_mul_f64 v[4:5], s[38:39], v[4:5]
	s_branch .LBB132_345
.LBB132_344:
	v_mov_b32_e32 v4, 0
	v_mov_b32_e32 v5, 0
.LBB132_345:
	s_waitcnt vmcnt(0)
	v_add_f64 v[0:1], v[0:1], v[4:5]
	v_add_co_u32 v2, vcc_lo, v68, v2
	v_add_co_ci_u32_e64 v3, null, v69, v3, vcc_lo
	flat_store_dwordx2 v[2:3], v[0:1]
	s_or_b32 exec_lo, exec_lo, s4
	s_and_b32 s5, s16, s29
	s_and_saveexec_b32 s4, s5
	s_cbranch_execz .LBB132_242
.LBB132_346:
	s_clause 0x1
	buffer_load_dword v0, off, s[0:3], 0 offset:448
	buffer_load_dword v1, off, s[0:3], 0 offset:452
	v_cmp_ne_u32_e32 vcc_lo, 1, v70
	v_lshlrev_b64 v[2:3], 3, v[48:49]
	s_cbranch_vccnz .LBB132_348
; %bb.347:
	v_add_co_u32 v4, vcc_lo, v71, v2
	v_add_co_ci_u32_e64 v5, null, v72, v3, vcc_lo
	flat_load_dwordx2 v[4:5], v[4:5]
	s_waitcnt vmcnt(0) lgkmcnt(0)
	v_mul_f64 v[4:5], s[38:39], v[4:5]
	s_branch .LBB132_349
.LBB132_348:
	v_mov_b32_e32 v4, 0
	v_mov_b32_e32 v5, 0
.LBB132_349:
	s_waitcnt vmcnt(0)
	v_add_f64 v[0:1], v[0:1], v[4:5]
	v_add_co_u32 v2, vcc_lo, v68, v2
	v_add_co_ci_u32_e64 v3, null, v69, v3, vcc_lo
	flat_store_dwordx2 v[2:3], v[0:1]
	s_or_b32 exec_lo, exec_lo, s4
	s_and_b32 s5, s16, s30
	s_and_saveexec_b32 s4, s5
	s_cbranch_execz .LBB132_243
.LBB132_350:
	s_clause 0x1
	buffer_load_dword v0, off, s[0:3], 0 offset:456
	buffer_load_dword v1, off, s[0:3], 0 offset:460
	v_cmp_ne_u32_e32 vcc_lo, 1, v70
	v_lshlrev_b64 v[2:3], 3, v[50:51]
	s_cbranch_vccnz .LBB132_352
; %bb.351:
	v_add_co_u32 v4, vcc_lo, v71, v2
	v_add_co_ci_u32_e64 v5, null, v72, v3, vcc_lo
	flat_load_dwordx2 v[4:5], v[4:5]
	s_waitcnt vmcnt(0) lgkmcnt(0)
	v_mul_f64 v[4:5], s[38:39], v[4:5]
	s_branch .LBB132_353
.LBB132_352:
	v_mov_b32_e32 v4, 0
	v_mov_b32_e32 v5, 0
.LBB132_353:
	s_waitcnt vmcnt(0)
	v_add_f64 v[0:1], v[0:1], v[4:5]
	v_add_co_u32 v2, vcc_lo, v68, v2
	v_add_co_ci_u32_e64 v3, null, v69, v3, vcc_lo
	flat_store_dwordx2 v[2:3], v[0:1]
	s_or_b32 exec_lo, exec_lo, s4
	s_and_b32 s5, s16, s31
	s_and_saveexec_b32 s4, s5
	s_cbranch_execz .LBB132_244
.LBB132_354:
	s_clause 0x1
	buffer_load_dword v0, off, s[0:3], 0 offset:464
	buffer_load_dword v1, off, s[0:3], 0 offset:468
	v_cmp_ne_u32_e32 vcc_lo, 1, v70
	v_lshlrev_b64 v[2:3], 3, v[52:53]
	s_cbranch_vccnz .LBB132_356
; %bb.355:
	v_add_co_u32 v4, vcc_lo, v71, v2
	v_add_co_ci_u32_e64 v5, null, v72, v3, vcc_lo
	flat_load_dwordx2 v[4:5], v[4:5]
	s_waitcnt vmcnt(0) lgkmcnt(0)
	v_mul_f64 v[4:5], s[38:39], v[4:5]
	s_branch .LBB132_357
.LBB132_356:
	v_mov_b32_e32 v4, 0
	v_mov_b32_e32 v5, 0
.LBB132_357:
	s_waitcnt vmcnt(0)
	v_add_f64 v[0:1], v[0:1], v[4:5]
	v_add_co_u32 v2, vcc_lo, v68, v2
	v_add_co_ci_u32_e64 v3, null, v69, v3, vcc_lo
	flat_store_dwordx2 v[2:3], v[0:1]
	s_or_b32 exec_lo, exec_lo, s4
	s_and_b32 s5, s16, s33
	s_and_saveexec_b32 s4, s5
	s_cbranch_execz .LBB132_245
.LBB132_358:
	s_clause 0x1
	buffer_load_dword v0, off, s[0:3], 0 offset:472
	buffer_load_dword v1, off, s[0:3], 0 offset:476
	v_cmp_ne_u32_e32 vcc_lo, 1, v70
	v_lshlrev_b64 v[2:3], 3, v[54:55]
	s_cbranch_vccnz .LBB132_360
; %bb.359:
	v_add_co_u32 v4, vcc_lo, v71, v2
	v_add_co_ci_u32_e64 v5, null, v72, v3, vcc_lo
	flat_load_dwordx2 v[4:5], v[4:5]
	s_waitcnt vmcnt(0) lgkmcnt(0)
	v_mul_f64 v[4:5], s[38:39], v[4:5]
	s_branch .LBB132_361
.LBB132_360:
	v_mov_b32_e32 v4, 0
	v_mov_b32_e32 v5, 0
.LBB132_361:
	s_waitcnt vmcnt(0)
	v_add_f64 v[0:1], v[0:1], v[4:5]
	v_add_co_u32 v2, vcc_lo, v68, v2
	v_add_co_ci_u32_e64 v3, null, v69, v3, vcc_lo
	flat_store_dwordx2 v[2:3], v[0:1]
	s_or_b32 exec_lo, exec_lo, s4
	s_and_b32 s5, s16, s34
	s_and_saveexec_b32 s4, s5
	s_cbranch_execz .LBB132_246
.LBB132_362:
	s_clause 0x1
	buffer_load_dword v0, off, s[0:3], 0 offset:480
	buffer_load_dword v1, off, s[0:3], 0 offset:484
	v_cmp_ne_u32_e32 vcc_lo, 1, v70
	v_lshlrev_b64 v[2:3], 3, v[56:57]
	s_cbranch_vccnz .LBB132_364
; %bb.363:
	v_add_co_u32 v4, vcc_lo, v71, v2
	v_add_co_ci_u32_e64 v5, null, v72, v3, vcc_lo
	flat_load_dwordx2 v[4:5], v[4:5]
	s_waitcnt vmcnt(0) lgkmcnt(0)
	v_mul_f64 v[4:5], s[38:39], v[4:5]
	s_branch .LBB132_365
.LBB132_364:
	v_mov_b32_e32 v4, 0
	v_mov_b32_e32 v5, 0
.LBB132_365:
	s_waitcnt vmcnt(0)
	v_add_f64 v[0:1], v[0:1], v[4:5]
	v_add_co_u32 v2, vcc_lo, v68, v2
	v_add_co_ci_u32_e64 v3, null, v69, v3, vcc_lo
	flat_store_dwordx2 v[2:3], v[0:1]
	s_or_b32 exec_lo, exec_lo, s4
	s_and_b32 s5, s16, s35
	s_and_saveexec_b32 s4, s5
	s_cbranch_execz .LBB132_247
.LBB132_366:
	s_clause 0x1
	buffer_load_dword v0, off, s[0:3], 0 offset:488
	buffer_load_dword v1, off, s[0:3], 0 offset:492
	v_cmp_ne_u32_e32 vcc_lo, 1, v70
	v_lshlrev_b64 v[2:3], 3, v[58:59]
	s_cbranch_vccnz .LBB132_368
; %bb.367:
	v_add_co_u32 v4, vcc_lo, v71, v2
	v_add_co_ci_u32_e64 v5, null, v72, v3, vcc_lo
	flat_load_dwordx2 v[4:5], v[4:5]
	s_waitcnt vmcnt(0) lgkmcnt(0)
	v_mul_f64 v[4:5], s[38:39], v[4:5]
	s_branch .LBB132_369
.LBB132_368:
	v_mov_b32_e32 v4, 0
	v_mov_b32_e32 v5, 0
.LBB132_369:
	s_waitcnt vmcnt(0)
	v_add_f64 v[0:1], v[0:1], v[4:5]
	v_add_co_u32 v2, vcc_lo, v68, v2
	v_add_co_ci_u32_e64 v3, null, v69, v3, vcc_lo
	flat_store_dwordx2 v[2:3], v[0:1]
	s_or_b32 exec_lo, exec_lo, s4
	s_and_b32 s5, s16, s36
	s_and_saveexec_b32 s4, s5
	s_cbranch_execz .LBB132_248
.LBB132_370:
	s_clause 0x1
	buffer_load_dword v0, off, s[0:3], 0 offset:496
	buffer_load_dword v1, off, s[0:3], 0 offset:500
	v_cmp_ne_u32_e32 vcc_lo, 1, v70
	v_lshlrev_b64 v[2:3], 3, v[60:61]
	s_cbranch_vccnz .LBB132_372
; %bb.371:
	v_add_co_u32 v4, vcc_lo, v71, v2
	v_add_co_ci_u32_e64 v5, null, v72, v3, vcc_lo
	flat_load_dwordx2 v[4:5], v[4:5]
	s_waitcnt vmcnt(0) lgkmcnt(0)
	v_mul_f64 v[4:5], s[38:39], v[4:5]
	s_branch .LBB132_373
.LBB132_372:
	v_mov_b32_e32 v4, 0
	v_mov_b32_e32 v5, 0
.LBB132_373:
	s_waitcnt vmcnt(0)
	v_add_f64 v[0:1], v[0:1], v[4:5]
	v_add_co_u32 v2, vcc_lo, v68, v2
	v_add_co_ci_u32_e64 v3, null, v69, v3, vcc_lo
	flat_store_dwordx2 v[2:3], v[0:1]
	s_or_b32 exec_lo, exec_lo, s4
	s_and_b32 s4, s16, s37
	s_and_saveexec_b32 s5, s4
	s_cbranch_execz .LBB132_249
.LBB132_374:
	s_clause 0x1
	buffer_load_dword v0, off, s[0:3], 0 offset:504
	buffer_load_dword v1, off, s[0:3], 0 offset:508
	v_cmp_ne_u32_e32 vcc_lo, 1, v70
	v_lshlrev_b64 v[2:3], 3, v[62:63]
	s_cbranch_vccnz .LBB132_376
; %bb.375:
	v_add_co_u32 v4, vcc_lo, v71, v2
	v_add_co_ci_u32_e64 v5, null, v72, v3, vcc_lo
	flat_load_dwordx2 v[4:5], v[4:5]
	s_waitcnt vmcnt(0) lgkmcnt(0)
	v_mul_f64 v[4:5], s[38:39], v[4:5]
	s_branch .LBB132_377
.LBB132_376:
	v_mov_b32_e32 v4, 0
	v_mov_b32_e32 v5, 0
.LBB132_377:
	s_waitcnt vmcnt(0)
	v_add_f64 v[0:1], v[0:1], v[4:5]
	v_add_co_u32 v2, vcc_lo, v68, v2
	v_add_co_ci_u32_e64 v3, null, v69, v3, vcc_lo
	flat_store_dwordx2 v[2:3], v[0:1]
	s_endpgm
	.section	.rodata,"a",@progbits
	.p2align	6, 0x0
	.amdhsa_kernel _ZN12_GLOBAL__N_120geam_min_plus_kernelIdddLi4ELi64ELi128ELi128ELi4ELi64ELi4ELi4ELi64ELc78ELc78ELb0ELb1ELb0EPKdKS2_KPdEEviiiT16_PT17_ilS8_ilS6_S8_ilPT18_ili26rocblas_geam_ex_operation_
		.amdhsa_group_segment_fixed_size 16384
		.amdhsa_private_segment_fixed_size 528
		.amdhsa_kernarg_size 136
		.amdhsa_user_sgpr_count 6
		.amdhsa_user_sgpr_private_segment_buffer 1
		.amdhsa_user_sgpr_dispatch_ptr 0
		.amdhsa_user_sgpr_queue_ptr 0
		.amdhsa_user_sgpr_kernarg_segment_ptr 1
		.amdhsa_user_sgpr_dispatch_id 0
		.amdhsa_user_sgpr_flat_scratch_init 0
		.amdhsa_user_sgpr_private_segment_size 0
		.amdhsa_wavefront_size32 1
		.amdhsa_uses_dynamic_stack 0
		.amdhsa_system_sgpr_private_segment_wavefront_offset 1
		.amdhsa_system_sgpr_workgroup_id_x 1
		.amdhsa_system_sgpr_workgroup_id_y 0
		.amdhsa_system_sgpr_workgroup_id_z 1
		.amdhsa_system_sgpr_workgroup_info 0
		.amdhsa_system_vgpr_workitem_id 1
		.amdhsa_next_free_vgpr 225
		.amdhsa_next_free_sgpr 50
		.amdhsa_reserve_vcc 1
		.amdhsa_reserve_flat_scratch 0
		.amdhsa_float_round_mode_32 0
		.amdhsa_float_round_mode_16_64 0
		.amdhsa_float_denorm_mode_32 3
		.amdhsa_float_denorm_mode_16_64 3
		.amdhsa_dx10_clamp 1
		.amdhsa_ieee_mode 1
		.amdhsa_fp16_overflow 0
		.amdhsa_workgroup_processor_mode 1
		.amdhsa_memory_ordered 1
		.amdhsa_forward_progress 1
		.amdhsa_shared_vgpr_count 0
		.amdhsa_exception_fp_ieee_invalid_op 0
		.amdhsa_exception_fp_denorm_src 0
		.amdhsa_exception_fp_ieee_div_zero 0
		.amdhsa_exception_fp_ieee_overflow 0
		.amdhsa_exception_fp_ieee_underflow 0
		.amdhsa_exception_fp_ieee_inexact 0
		.amdhsa_exception_int_div_zero 0
	.end_amdhsa_kernel
	.section	.text._ZN12_GLOBAL__N_120geam_min_plus_kernelIdddLi4ELi64ELi128ELi128ELi4ELi64ELi4ELi4ELi64ELc78ELc78ELb0ELb1ELb0EPKdKS2_KPdEEviiiT16_PT17_ilS8_ilS6_S8_ilPT18_ili26rocblas_geam_ex_operation_,"axG",@progbits,_ZN12_GLOBAL__N_120geam_min_plus_kernelIdddLi4ELi64ELi128ELi128ELi4ELi64ELi4ELi4ELi64ELc78ELc78ELb0ELb1ELb0EPKdKS2_KPdEEviiiT16_PT17_ilS8_ilS6_S8_ilPT18_ili26rocblas_geam_ex_operation_,comdat
.Lfunc_end132:
	.size	_ZN12_GLOBAL__N_120geam_min_plus_kernelIdddLi4ELi64ELi128ELi128ELi4ELi64ELi4ELi4ELi64ELc78ELc78ELb0ELb1ELb0EPKdKS2_KPdEEviiiT16_PT17_ilS8_ilS6_S8_ilPT18_ili26rocblas_geam_ex_operation_, .Lfunc_end132-_ZN12_GLOBAL__N_120geam_min_plus_kernelIdddLi4ELi64ELi128ELi128ELi4ELi64ELi4ELi4ELi64ELc78ELc78ELb0ELb1ELb0EPKdKS2_KPdEEviiiT16_PT17_ilS8_ilS6_S8_ilPT18_ili26rocblas_geam_ex_operation_
                                        ; -- End function
	.set _ZN12_GLOBAL__N_120geam_min_plus_kernelIdddLi4ELi64ELi128ELi128ELi4ELi64ELi4ELi4ELi64ELc78ELc78ELb0ELb1ELb0EPKdKS2_KPdEEviiiT16_PT17_ilS8_ilS6_S8_ilPT18_ili26rocblas_geam_ex_operation_.num_vgpr, 225
	.set _ZN12_GLOBAL__N_120geam_min_plus_kernelIdddLi4ELi64ELi128ELi128ELi4ELi64ELi4ELi4ELi64ELc78ELc78ELb0ELb1ELb0EPKdKS2_KPdEEviiiT16_PT17_ilS8_ilS6_S8_ilPT18_ili26rocblas_geam_ex_operation_.num_agpr, 0
	.set _ZN12_GLOBAL__N_120geam_min_plus_kernelIdddLi4ELi64ELi128ELi128ELi4ELi64ELi4ELi4ELi64ELc78ELc78ELb0ELb1ELb0EPKdKS2_KPdEEviiiT16_PT17_ilS8_ilS6_S8_ilPT18_ili26rocblas_geam_ex_operation_.numbered_sgpr, 50
	.set _ZN12_GLOBAL__N_120geam_min_plus_kernelIdddLi4ELi64ELi128ELi128ELi4ELi64ELi4ELi4ELi64ELc78ELc78ELb0ELb1ELb0EPKdKS2_KPdEEviiiT16_PT17_ilS8_ilS6_S8_ilPT18_ili26rocblas_geam_ex_operation_.num_named_barrier, 0
	.set _ZN12_GLOBAL__N_120geam_min_plus_kernelIdddLi4ELi64ELi128ELi128ELi4ELi64ELi4ELi4ELi64ELc78ELc78ELb0ELb1ELb0EPKdKS2_KPdEEviiiT16_PT17_ilS8_ilS6_S8_ilPT18_ili26rocblas_geam_ex_operation_.private_seg_size, 528
	.set _ZN12_GLOBAL__N_120geam_min_plus_kernelIdddLi4ELi64ELi128ELi128ELi4ELi64ELi4ELi4ELi64ELc78ELc78ELb0ELb1ELb0EPKdKS2_KPdEEviiiT16_PT17_ilS8_ilS6_S8_ilPT18_ili26rocblas_geam_ex_operation_.uses_vcc, 1
	.set _ZN12_GLOBAL__N_120geam_min_plus_kernelIdddLi4ELi64ELi128ELi128ELi4ELi64ELi4ELi4ELi64ELc78ELc78ELb0ELb1ELb0EPKdKS2_KPdEEviiiT16_PT17_ilS8_ilS6_S8_ilPT18_ili26rocblas_geam_ex_operation_.uses_flat_scratch, 0
	.set _ZN12_GLOBAL__N_120geam_min_plus_kernelIdddLi4ELi64ELi128ELi128ELi4ELi64ELi4ELi4ELi64ELc78ELc78ELb0ELb1ELb0EPKdKS2_KPdEEviiiT16_PT17_ilS8_ilS6_S8_ilPT18_ili26rocblas_geam_ex_operation_.has_dyn_sized_stack, 0
	.set _ZN12_GLOBAL__N_120geam_min_plus_kernelIdddLi4ELi64ELi128ELi128ELi4ELi64ELi4ELi4ELi64ELc78ELc78ELb0ELb1ELb0EPKdKS2_KPdEEviiiT16_PT17_ilS8_ilS6_S8_ilPT18_ili26rocblas_geam_ex_operation_.has_recursion, 0
	.set _ZN12_GLOBAL__N_120geam_min_plus_kernelIdddLi4ELi64ELi128ELi128ELi4ELi64ELi4ELi4ELi64ELc78ELc78ELb0ELb1ELb0EPKdKS2_KPdEEviiiT16_PT17_ilS8_ilS6_S8_ilPT18_ili26rocblas_geam_ex_operation_.has_indirect_call, 0
	.section	.AMDGPU.csdata,"",@progbits
; Kernel info:
; codeLenInByte = 22044
; TotalNumSgprs: 52
; NumVgprs: 225
; ScratchSize: 528
; MemoryBound: 0
; FloatMode: 240
; IeeeMode: 1
; LDSByteSize: 16384 bytes/workgroup (compile time only)
; SGPRBlocks: 0
; VGPRBlocks: 28
; NumSGPRsForWavesPerEU: 52
; NumVGPRsForWavesPerEU: 225
; Occupancy: 4
; WaveLimiterHint : 1
; COMPUTE_PGM_RSRC2:SCRATCH_EN: 1
; COMPUTE_PGM_RSRC2:USER_SGPR: 6
; COMPUTE_PGM_RSRC2:TRAP_HANDLER: 0
; COMPUTE_PGM_RSRC2:TGID_X_EN: 1
; COMPUTE_PGM_RSRC2:TGID_Y_EN: 0
; COMPUTE_PGM_RSRC2:TGID_Z_EN: 1
; COMPUTE_PGM_RSRC2:TIDIG_COMP_CNT: 1
	.section	.text._ZN12_GLOBAL__N_120geam_min_plus_kernelIdddLi4ELi64ELi128ELi128ELi4ELi64ELi4ELi4ELi64ELc78ELc78ELb1ELb1ELb0EdKPKdKPdEEviiiT16_PT17_ilS8_ilS6_S8_ilPT18_ili26rocblas_geam_ex_operation_,"axG",@progbits,_ZN12_GLOBAL__N_120geam_min_plus_kernelIdddLi4ELi64ELi128ELi128ELi4ELi64ELi4ELi4ELi64ELc78ELc78ELb1ELb1ELb0EdKPKdKPdEEviiiT16_PT17_ilS8_ilS6_S8_ilPT18_ili26rocblas_geam_ex_operation_,comdat
	.globl	_ZN12_GLOBAL__N_120geam_min_plus_kernelIdddLi4ELi64ELi128ELi128ELi4ELi64ELi4ELi4ELi64ELc78ELc78ELb1ELb1ELb0EdKPKdKPdEEviiiT16_PT17_ilS8_ilS6_S8_ilPT18_ili26rocblas_geam_ex_operation_ ; -- Begin function _ZN12_GLOBAL__N_120geam_min_plus_kernelIdddLi4ELi64ELi128ELi128ELi4ELi64ELi4ELi4ELi64ELc78ELc78ELb1ELb1ELb0EdKPKdKPdEEviiiT16_PT17_ilS8_ilS6_S8_ilPT18_ili26rocblas_geam_ex_operation_
	.p2align	8
	.type	_ZN12_GLOBAL__N_120geam_min_plus_kernelIdddLi4ELi64ELi128ELi128ELi4ELi64ELi4ELi4ELi64ELc78ELc78ELb1ELb1ELb0EdKPKdKPdEEviiiT16_PT17_ilS8_ilS6_S8_ilPT18_ili26rocblas_geam_ex_operation_,@function
_ZN12_GLOBAL__N_120geam_min_plus_kernelIdddLi4ELi64ELi128ELi128ELi4ELi64ELi4ELi4ELi64ELc78ELc78ELb1ELb1ELb0EdKPKdKPdEEviiiT16_PT17_ilS8_ilS6_S8_ilPT18_ili26rocblas_geam_ex_operation_: ; @_ZN12_GLOBAL__N_120geam_min_plus_kernelIdddLi4ELi64ELi128ELi128ELi4ELi64ELi4ELi4ELi64ELc78ELc78ELb1ELb1ELb0EdKPKdKPdEEviiiT16_PT17_ilS8_ilS6_S8_ilPT18_ili26rocblas_geam_ex_operation_
; %bb.0:
	s_add_u32 s0, s0, s8
	s_clause 0x1
	s_load_dwordx4 s[12:15], s[4:5], 0x10
	s_load_dwordx4 s[8:11], s[4:5], 0x28
	s_mov_b32 s18, s7
	s_addc_u32 s1, s1, 0
	s_mov_b64 s[16:17], 0
	s_waitcnt lgkmcnt(0)
	v_cmp_eq_f64_e64 s7, s[12:13], 0
	s_and_b32 vcc_lo, exec_lo, s7
	s_cbranch_vccnz .LBB133_2
; %bb.1:
	s_mov_b32 s19, 0
	s_lshl_b64 s[12:13], s[18:19], 3
	s_add_u32 s12, s14, s12
	s_addc_u32 s13, s15, s13
	s_lshl_b64 s[8:9], s[8:9], 3
	s_load_dwordx2 s[12:13], s[12:13], 0x0
	s_waitcnt lgkmcnt(0)
	s_add_u32 s16, s12, s8
	s_addc_u32 s17, s13, s9
.LBB133_2:
	s_clause 0x1
	s_load_dwordx4 s[36:39], s[4:5], 0x40
	s_load_dwordx2 s[12:13], s[4:5], 0x50
	s_andn2_b32 vcc_lo, exec_lo, s7
	s_mov_b32 s19, 0
	s_cbranch_vccnz .LBB133_4
; %bb.3:
	s_mov_b32 s7, s19
	s_mov_b64 s[44:45], 0
	s_andn2_b32 vcc_lo, exec_lo, s7
	s_mov_b64 s[14:15], 0
	s_cbranch_vccz .LBB133_5
	s_branch .LBB133_6
.LBB133_4:
	s_mov_b64 s[44:45], 0
	s_mov_b64 s[14:15], 0
.LBB133_5:
	s_lshl_b64 s[8:9], s[18:19], 3
	s_add_u32 s8, s10, s8
	s_addc_u32 s9, s11, s9
	s_waitcnt lgkmcnt(0)
	s_lshl_b64 s[10:11], s[36:37], 3
	s_load_dwordx2 s[8:9], s[8:9], 0x0
	s_waitcnt lgkmcnt(0)
	s_add_u32 s14, s8, s10
	s_addc_u32 s15, s9, s11
.LBB133_6:
	s_waitcnt lgkmcnt(0)
	v_cmp_eq_f64_e64 s7, s[38:39], 0
	v_cmp_neq_f64_e64 s46, s[38:39], 0
	s_load_dwordx4 s[8:11], s[4:5], 0x60
	s_and_b32 vcc_lo, exec_lo, s7
	s_cbranch_vccnz .LBB133_8
; %bb.7:
	s_lshl_b64 s[20:21], s[18:19], 3
	s_add_u32 s12, s12, s20
	s_addc_u32 s13, s13, s21
	s_waitcnt lgkmcnt(0)
	s_lshl_b64 s[8:9], s[8:9], 3
	s_load_dwordx2 s[12:13], s[12:13], 0x0
	s_waitcnt lgkmcnt(0)
	s_add_u32 s44, s12, s8
	s_addc_u32 s45, s13, s9
.LBB133_8:
	s_load_dwordx4 s[40:43], s[4:5], 0x0
	s_waitcnt lgkmcnt(0)
	s_lshl_b64 s[8:9], s[18:19], 3
	v_lshl_add_u32 v8, v1, 2, v0
	s_add_u32 s8, s10, s8
	s_addc_u32 s9, s11, s9
	s_load_dword s20, s[4:5], 0x20
	s_load_dwordx2 s[12:13], s[8:9], 0x0
	v_mov_b32_e32 v4, 0
	v_lshrrev_b32_e32 v86, 6, v8
	v_and_b32_e32 v20, 63, v8
	v_mov_b32_e32 v11, 0
	v_mov_b32_e32 v5, 0
	buffer_store_dword v11, off, s[0:3], 0 offset:4
	buffer_store_dword v11, off, s[0:3], 0
	buffer_store_dword v11, off, s[0:3], 0 offset:12
	buffer_store_dword v11, off, s[0:3], 0 offset:8
	buffer_store_dword v11, off, s[0:3], 0 offset:20
	buffer_store_dword v11, off, s[0:3], 0 offset:16
	buffer_store_dword v11, off, s[0:3], 0 offset:28
	buffer_store_dword v11, off, s[0:3], 0 offset:24
	buffer_store_dword v11, off, s[0:3], 0 offset:36
	buffer_store_dword v11, off, s[0:3], 0 offset:32
	buffer_store_dword v11, off, s[0:3], 0 offset:44
	buffer_store_dword v11, off, s[0:3], 0 offset:40
	buffer_store_dword v11, off, s[0:3], 0 offset:52
	buffer_store_dword v11, off, s[0:3], 0 offset:48
	buffer_store_dword v11, off, s[0:3], 0 offset:60
	s_add_i32 s7, s40, -1
	v_cmp_le_i32_e32 vcc_lo, s42, v86
	s_ashr_i32 s8, s7, 31
	buffer_store_dword v11, off, s[0:3], 0 offset:56
	s_lshr_b32 s8, s8, 25
	buffer_store_dword v11, off, s[0:3], 0 offset:68
	buffer_store_dword v11, off, s[0:3], 0 offset:64
	;; [unrolled: 1-line block ×4, first 2 shown]
	s_add_i32 s7, s7, s8
	buffer_store_dword v11, off, s[0:3], 0 offset:84
	buffer_store_dword v11, off, s[0:3], 0 offset:80
	;; [unrolled: 1-line block ×9, first 2 shown]
	s_ashr_i32 s7, s7, 7
	buffer_store_dword v11, off, s[0:3], 0 offset:112
	buffer_store_dword v11, off, s[0:3], 0 offset:124
	;; [unrolled: 1-line block ×4, first 2 shown]
	s_add_i32 s9, s7, 1
	s_not_b32 s7, s7
	v_cvt_f32_u32_e32 v2, s9
	buffer_store_dword v11, off, s[0:3], 0 offset:128
	buffer_store_dword v11, off, s[0:3], 0 offset:140
	;; [unrolled: 1-line block ×8, first 2 shown]
	v_rcp_iflag_f32_e32 v2, v2
	buffer_store_dword v11, off, s[0:3], 0 offset:160
	buffer_store_dword v11, off, s[0:3], 0 offset:172
	;; [unrolled: 1-line block ×9, first 2 shown]
	v_mul_f32_e32 v2, 0x4f7ffffe, v2
	buffer_store_dword v11, off, s[0:3], 0 offset:204
	buffer_store_dword v11, off, s[0:3], 0 offset:200
	;; [unrolled: 1-line block ×77, first 2 shown]
	v_cvt_u32_f32_e32 v2, v2
	buffer_store_dword v11, off, s[0:3], 0 offset:504
	v_readfirstlane_b32 s8, v2
	s_waitcnt lgkmcnt(0)
	v_mad_i64_i32 v[2:3], null, s20, v86, 0
	s_mul_i32 s7, s7, s8
	s_mul_hi_u32 s7, s8, s7
	v_lshlrev_b64 v[2:3], 3, v[2:3]
	s_add_i32 s8, s8, s7
	s_mul_hi_u32 s7, s6, s8
	s_mul_i32 s8, s7, s9
	s_add_i32 s10, s7, 1
	s_sub_i32 s8, s6, s8
	s_sub_i32 s11, s8, s9
	s_cmp_ge_u32 s8, s9
	s_cselect_b32 s7, s10, s7
	s_cselect_b32 s8, s11, s8
	s_add_i32 s10, s7, 1
	s_cmp_ge_u32 s8, s9
	s_cselect_b32 s8, s10, s7
	s_mul_i32 s7, s8, s9
	s_sub_i32 s6, s6, s7
	s_lshl_b32 s11, s6, 7
	v_add_co_u32 v9, s6, s16, v2
	v_or_b32_e32 v6, s11, v20
	v_add_co_ci_u32_e64 v10, null, s17, v3, s6
	v_mov_b32_e32 v2, 0
	v_mov_b32_e32 v3, 0
	v_cmp_le_i32_e64 s6, s40, v6
	v_ashrrev_i32_e32 v7, 31, v6
	s_nor_b32 s7, s6, vcc_lo
	s_and_saveexec_b32 s9, s7
	s_cbranch_execz .LBB133_10
; %bb.9:
	v_lshlrev_b64 v[4:5], 3, v[6:7]
	v_add_co_u32 v4, s7, v9, v4
	v_add_co_ci_u32_e64 v5, null, v10, v5, s7
	flat_load_dwordx2 v[4:5], v[4:5]
.LBB133_10:
	s_or_b32 exec_lo, exec_lo, s9
	v_or_b32_e32 v11, 64, v6
	s_ashr_i32 s21, s20, 31
	v_cmp_le_i32_e64 s7, s40, v11
	s_nor_b32 s10, s7, vcc_lo
	s_and_saveexec_b32 s9, s10
	s_cbranch_execz .LBB133_12
; %bb.11:
	v_lshlrev_b64 v[2:3], 3, v[6:7]
	v_add_co_u32 v2, vcc_lo, v9, v2
	v_add_co_ci_u32_e64 v3, null, v10, v3, vcc_lo
	flat_load_dwordx2 v[2:3], v[2:3] offset:512
.LBB133_12:
	s_or_b32 exec_lo, exec_lo, s9
	s_load_dword s22, s[4:5], 0x38
	v_lshrrev_b32_e32 v21, 2, v8
	v_and_b32_e32 v87, 3, v0
	s_lshl_b32 s18, s8, 7
	v_mov_b32_e32 v16, 0
	v_mov_b32_e32 v18, 0
	v_add_nc_u32_e32 v80, s18, v21
	v_lshlrev_b32_e32 v22, 3, v87
	v_cmp_le_i32_e32 vcc_lo, s42, v87
	v_mov_b32_e32 v17, 0
	v_mov_b32_e32 v19, 0
	v_cmp_le_i32_e64 s8, s41, v80
	v_add_co_u32 v23, s9, s14, v22
	v_add_co_ci_u32_e64 v24, null, s15, 0, s9
	s_nor_b32 s9, vcc_lo, s8
	s_and_saveexec_b32 s10, s9
	s_cbranch_execz .LBB133_14
; %bb.13:
	s_waitcnt lgkmcnt(0)
	v_mad_i64_i32 v[8:9], null, v80, s22, 0
	v_lshlrev_b64 v[8:9], 3, v[8:9]
	v_add_co_u32 v8, s9, v23, v8
	v_add_co_ci_u32_e64 v9, null, v24, v9, s9
	flat_load_dwordx2 v[18:19], v[8:9]
.LBB133_14:
	s_or_b32 exec_lo, exec_lo, s10
	v_add_nc_u32_e32 v81, 64, v80
	v_cmp_le_i32_e64 s9, s41, v81
	s_nor_b32 s19, vcc_lo, s9
	s_and_saveexec_b32 s10, s19
	s_cbranch_execz .LBB133_16
; %bb.15:
	s_waitcnt lgkmcnt(0)
	v_mad_i64_i32 v[8:9], null, v81, s22, 0
	v_lshlrev_b64 v[8:9], 3, v[8:9]
	v_add_co_u32 v8, vcc_lo, v23, v8
	v_add_co_ci_u32_e64 v9, null, v24, v9, vcc_lo
	flat_load_dwordx2 v[16:17], v[8:9]
.LBB133_16:
	s_or_b32 exec_lo, exec_lo, s10
	v_add_nc_u32_e32 v14, 4, v86
	v_mad_u64_u32 v[8:9], null, s20, v14, 0
	v_cmp_le_i32_e32 vcc_lo, s42, v14
	v_mad_u64_u32 v[9:10], null, s21, v14, v[9:10]
	v_mov_b32_e32 v10, 0
	v_mov_b32_e32 v11, 0
	v_lshlrev_b64 v[12:13], 3, v[8:9]
	v_mov_b32_e32 v8, 0
	v_mov_b32_e32 v9, 0
	v_add_co_u32 v12, s10, s16, v12
	v_add_co_ci_u32_e64 v13, null, s17, v13, s10
	s_nor_b32 s10, s6, vcc_lo
	s_and_saveexec_b32 s19, s10
	s_cbranch_execz .LBB133_18
; %bb.17:
	v_lshlrev_b64 v[10:11], 3, v[6:7]
	v_add_co_u32 v10, s10, v12, v10
	v_add_co_ci_u32_e64 v11, null, v13, v11, s10
	flat_load_dwordx2 v[10:11], v[10:11]
.LBB133_18:
	s_or_b32 exec_lo, exec_lo, s19
	s_nor_b32 s19, s7, vcc_lo
	s_and_saveexec_b32 s10, s19
	s_cbranch_execz .LBB133_20
; %bb.19:
	v_lshlrev_b64 v[8:9], 3, v[6:7]
	v_add_co_u32 v8, vcc_lo, v12, v8
	v_add_co_ci_u32_e64 v9, null, v13, v9, vcc_lo
	flat_load_dwordx2 v[8:9], v[8:9] offset:512
.LBB133_20:
	s_or_b32 exec_lo, exec_lo, s10
	v_or_b32_e32 v12, 4, v87
	v_mov_b32_e32 v14, 0
	v_mov_b32_e32 v15, 0
	v_cmp_le_i32_e32 vcc_lo, s42, v12
	v_mov_b32_e32 v12, 0
	v_mov_b32_e32 v13, 0
	s_nor_b32 s10, vcc_lo, s8
	s_and_saveexec_b32 s19, s10
	s_cbranch_execz .LBB133_22
; %bb.21:
	s_waitcnt lgkmcnt(0)
	v_mad_i64_i32 v[14:15], null, v80, s22, 0
	v_lshlrev_b64 v[14:15], 3, v[14:15]
	v_add_co_u32 v14, s10, v23, v14
	v_add_co_ci_u32_e64 v15, null, v24, v15, s10
	flat_load_dwordx2 v[14:15], v[14:15] offset:32
.LBB133_22:
	s_or_b32 exec_lo, exec_lo, s19
	s_nor_b32 s19, vcc_lo, s9
	s_and_saveexec_b32 s10, s19
	s_cbranch_execz .LBB133_24
; %bb.23:
	s_waitcnt lgkmcnt(0)
	v_mad_i64_i32 v[12:13], null, v81, s22, 0
	v_lshlrev_b64 v[12:13], 3, v[12:13]
	v_add_co_u32 v12, vcc_lo, v23, v12
	v_add_co_ci_u32_e64 v13, null, v24, v13, vcc_lo
	flat_load_dwordx2 v[12:13], v[12:13] offset:32
.LBB133_24:
	s_or_b32 exec_lo, exec_lo, s10
	v_lshlrev_b32_e32 v20, 5, v20
	v_lshl_or_b32 v82, v21, 5, v22
	v_lshlrev_b32_e32 v88, 5, v0
	v_lshl_or_b32 v90, v1, 5, 0x2000
	s_mov_b32 s19, 0
	v_lshl_add_u32 v89, v86, 3, v20
	v_add_nc_u32_e32 v91, 0x2000, v82
	s_addk_i32 s19, 0x100
	s_mov_b32 s10, 0
	s_waitcnt vmcnt(0) lgkmcnt(0)
	ds_write2st64_b64 v82, v[18:19], v[16:17] offset0:16 offset1:20
	ds_write2st64_b64 v89, v[4:5], v[2:3] offset1:4
	s_waitcnt lgkmcnt(0)
	s_waitcnt_vscnt null, 0x0
	s_barrier
	buffer_gl0_inv
.LBB133_25:                             ; =>This Loop Header: Depth=1
                                        ;     Child Loop BB133_26 Depth 2
	s_lshl_b32 s23, s10, 3
	s_mov_b32 s24, 0
	v_add_nc_u32_e32 v16, s23, v88
	v_add_nc_u32_e32 v83, s23, v90
	s_mov_b32 s23, -1
	ds_read2_b64 v[2:5], v16 offset1:16
	ds_read2_b64 v[20:23], v16 offset0:32 offset1:48
	ds_read2_b64 v[24:27], v16 offset0:64 offset1:80
	;; [unrolled: 1-line block ×4, first 2 shown]
	v_add_nc_u32_e32 v76, 0x800, v16
	ds_read2_b64 v[36:39], v16 offset0:160 offset1:176
	ds_read2_b64 v[40:43], v16 offset0:192 offset1:208
	;; [unrolled: 1-line block ×3, first 2 shown]
	ds_read2_b64 v[48:51], v76 offset1:16
	ds_read2_b64 v[52:55], v76 offset0:32 offset1:48
	ds_read2_b64 v[56:59], v76 offset0:64 offset1:80
	ds_read2_b64 v[60:63], v76 offset0:96 offset1:112
	ds_read2_b64 v[64:67], v76 offset0:128 offset1:144
	ds_read2_b64 v[68:71], v76 offset0:160 offset1:176
	ds_read2_b64 v[72:75], v76 offset0:192 offset1:208
	s_waitcnt lgkmcnt(9)
	v_max_f64 v[36:37], v[36:37], v[36:37]
	v_max_f64 v[38:39], v[38:39], v[38:39]
	;; [unrolled: 1-line block ×4, first 2 shown]
	ds_read2_b64 v[2:5], v76 offset0:224 offset1:240
	v_max_f64 v[20:21], v[20:21], v[20:21]
	v_max_f64 v[22:23], v[22:23], v[22:23]
	;; [unrolled: 1-line block ×8, first 2 shown]
	s_waitcnt lgkmcnt(9)
	v_max_f64 v[40:41], v[40:41], v[40:41]
	v_max_f64 v[42:43], v[42:43], v[42:43]
	s_waitcnt lgkmcnt(8)
	v_max_f64 v[44:45], v[44:45], v[44:45]
	v_max_f64 v[46:47], v[46:47], v[46:47]
	;; [unrolled: 3-line block ×10, first 2 shown]
	ds_read2st64_b64 v[2:5], v83 offset1:4
.LBB133_26:                             ;   Parent Loop BB133_25 Depth=1
                                        ; =>  This Inner Loop Header: Depth=2
	v_mov_b32_e32 v85, s24
	s_waitcnt lgkmcnt(0)
	v_max_f64 v[154:155], v[2:3], v[2:3]
	v_mov_b32_e32 v2, v4
	v_mov_b32_e32 v3, v5
	s_and_b32 vcc_lo, exec_lo, s23
	s_clause 0x3e
	buffer_load_dword v83, v85, s[0:3], 0 offen
	buffer_load_dword v84, v85, s[0:3], 0 offen offset:4
	buffer_load_dword v92, v85, s[0:3], 0 offen offset:8
	;; [unrolled: 1-line block ×63, first 2 shown]
	s_mov_b32 s23, 0
	s_mov_b32 s24, s19
	v_min_f64 v[156:157], v[16:17], v[154:155]
	v_min_f64 v[158:159], v[18:19], v[154:155]
	;; [unrolled: 1-line block ×32, first 2 shown]
	s_waitcnt vmcnt(62)
	v_add_f64 v[83:84], v[156:157], v[83:84]
	s_waitcnt vmcnt(60)
	v_add_f64 v[92:93], v[158:159], v[92:93]
	;; [unrolled: 2-line block ×32, first 2 shown]
	buffer_store_dword v83, v85, s[0:3], 0 offen
	buffer_store_dword v84, v85, s[0:3], 0 offen offset:4
	buffer_store_dword v92, v85, s[0:3], 0 offen offset:8
	;; [unrolled: 1-line block ×63, first 2 shown]
	s_cbranch_vccnz .LBB133_26
; %bb.27:                               ;   in Loop: Header=BB133_25 Depth=1
	s_add_i32 s10, s10, 1
	s_cmp_eq_u32 s10, 4
	s_cbranch_scc0 .LBB133_25
; %bb.28:
	v_lshl_add_u32 v92, v0, 5, 0x1000
	v_lshl_add_u32 v93, v1, 5, 0x3000
	s_cmp_lt_i32 s42, 9
	ds_write2st64_b64 v89, v[10:11], v[8:9] offset0:8 offset1:12
	ds_write2st64_b64 v82, v[14:15], v[12:13] offset0:24 offset1:28
	s_waitcnt lgkmcnt(0)
	s_waitcnt_vscnt null, 0x0
	s_barrier
	buffer_gl0_inv
	s_cbranch_scc1 .LBB133_55
; %bb.29:
	v_mad_i64_i32 v[2:3], null, v80, s22, 0
	v_mad_i64_i32 v[4:5], null, v81, s22, 0
	v_lshlrev_b64 v[70:71], 3, v[6:7]
	v_add_nc_u32_e32 v94, 0x1000, v89
	v_add_nc_u32_e32 v95, 0x3000, v82
	v_mov_b32_e32 v77, 0
	v_lshlrev_b64 v[72:73], 3, v[2:3]
	s_add_i32 s22, s42, -8
	v_lshlrev_b64 v[74:75], 3, v[4:5]
	s_mov_b32 s23, 8
	s_mov_b32 s24, 0
.LBB133_30:                             ; =>This Loop Header: Depth=1
                                        ;     Child Loop BB133_39 Depth 2
                                        ;       Child Loop BB133_40 Depth 3
                                        ;     Child Loop BB133_51 Depth 2
                                        ;       Child Loop BB133_52 Depth 3
	v_add_nc_u32_e32 v5, s23, v86
	v_mov_b32_e32 v6, 0
	v_mov_b32_e32 v8, 0
	;; [unrolled: 1-line block ×4, first 2 shown]
	v_mad_u64_u32 v[2:3], null, v5, s20, 0
	v_cmp_le_i32_e32 vcc_lo, s42, v5
	v_mad_u64_u32 v[3:4], null, v5, s21, v[3:4]
	v_lshlrev_b64 v[2:3], 3, v[2:3]
	v_add_co_u32 v2, s10, s16, v2
	v_add_co_ci_u32_e64 v3, null, s17, v3, s10
	s_nor_b32 s10, s6, vcc_lo
	s_and_saveexec_b32 s25, s10
	s_cbranch_execz .LBB133_32
; %bb.31:                               ;   in Loop: Header=BB133_30 Depth=1
	v_add_co_u32 v4, s10, v2, v70
	v_add_co_ci_u32_e64 v5, null, v3, v71, s10
	flat_load_dwordx2 v[8:9], v[4:5]
.LBB133_32:                             ;   in Loop: Header=BB133_30 Depth=1
	s_or_b32 exec_lo, exec_lo, s25
	s_nor_b32 s25, s7, vcc_lo
	s_and_saveexec_b32 s10, s25
	s_cbranch_execz .LBB133_34
; %bb.33:                               ;   in Loop: Header=BB133_30 Depth=1
	v_add_co_u32 v2, vcc_lo, v2, v70
	v_add_co_ci_u32_e64 v3, null, v3, v71, vcc_lo
	flat_load_dwordx2 v[6:7], v[2:3] offset:512
.LBB133_34:                             ;   in Loop: Header=BB133_30 Depth=1
	s_or_b32 exec_lo, exec_lo, s10
	v_or_b32_e32 v76, s23, v87
	v_mov_b32_e32 v10, 0
	v_mov_b32_e32 v12, 0
	;; [unrolled: 1-line block ×4, first 2 shown]
	v_lshlrev_b64 v[2:3], 3, v[76:77]
	v_cmp_le_i32_e32 vcc_lo, s42, v76
	v_add_co_u32 v96, s10, s14, v2
	v_add_co_ci_u32_e64 v97, null, s15, v3, s10
	s_nor_b32 s10, s8, vcc_lo
	s_and_saveexec_b32 s25, s10
	s_cbranch_execz .LBB133_36
; %bb.35:                               ;   in Loop: Header=BB133_30 Depth=1
	v_add_co_u32 v2, s10, v96, v72
	v_add_co_ci_u32_e64 v3, null, v97, v73, s10
	flat_load_dwordx2 v[12:13], v[2:3]
.LBB133_36:                             ;   in Loop: Header=BB133_30 Depth=1
	s_or_b32 exec_lo, exec_lo, s25
	s_nor_b32 s25, s9, vcc_lo
	s_and_saveexec_b32 s10, s25
	s_cbranch_execz .LBB133_38
; %bb.37:                               ;   in Loop: Header=BB133_30 Depth=1
	v_add_co_u32 v2, vcc_lo, v96, v74
	v_add_co_ci_u32_e64 v3, null, v97, v75, vcc_lo
	flat_load_dwordx2 v[10:11], v[2:3]
.LBB133_38:                             ;   in Loop: Header=BB133_30 Depth=1
	s_or_b32 exec_lo, exec_lo, s10
	s_mov_b32 s10, 0
.LBB133_39:                             ;   Parent Loop BB133_30 Depth=1
                                        ; =>  This Loop Header: Depth=2
                                        ;       Child Loop BB133_40 Depth 3
	s_lshl_b32 s25, s10, 3
	s_mov_b32 s26, 0
	v_add_nc_u32_e32 v14, s25, v92
	v_add_nc_u32_e32 v98, s25, v93
	s_mov_b32 s25, -1
	ds_read2_b64 v[2:5], v14 offset1:16
	ds_read2_b64 v[18:21], v14 offset0:32 offset1:48
	ds_read2_b64 v[22:25], v14 offset0:64 offset1:80
	v_add_nc_u32_e32 v15, 0x800, v14
	ds_read2_b64 v[26:29], v14 offset0:96 offset1:112
	ds_read2_b64 v[30:33], v14 offset0:128 offset1:144
	;; [unrolled: 1-line block ×5, first 2 shown]
	ds_read2_b64 v[46:49], v15 offset1:16
	ds_read2_b64 v[50:53], v15 offset0:32 offset1:48
	ds_read2_b64 v[54:57], v15 offset0:64 offset1:80
	;; [unrolled: 1-line block ×7, first 2 shown]
	s_waitcnt lgkmcnt(11)
	v_max_f64 v[30:31], v[30:31], v[30:31]
	v_max_f64 v[32:33], v[32:33], v[32:33]
	s_waitcnt lgkmcnt(10)
	v_max_f64 v[34:35], v[34:35], v[34:35]
	v_max_f64 v[36:37], v[36:37], v[36:37]
	;; [unrolled: 3-line block ×3, first 2 shown]
	v_max_f64 v[14:15], v[2:3], v[2:3]
	v_max_f64 v[16:17], v[4:5], v[4:5]
	;; [unrolled: 1-line block ×8, first 2 shown]
	s_waitcnt lgkmcnt(8)
	v_max_f64 v[42:43], v[42:43], v[42:43]
	v_max_f64 v[44:45], v[44:45], v[44:45]
	s_waitcnt lgkmcnt(7)
	v_max_f64 v[46:47], v[46:47], v[46:47]
	v_max_f64 v[48:49], v[48:49], v[48:49]
	;; [unrolled: 3-line block ×9, first 2 shown]
	ds_read2st64_b64 v[2:5], v98 offset1:4
.LBB133_40:                             ;   Parent Loop BB133_30 Depth=1
                                        ;     Parent Loop BB133_39 Depth=2
                                        ; =>    This Inner Loop Header: Depth=3
	v_mov_b32_e32 v226, s26
	s_waitcnt lgkmcnt(0)
	v_max_f64 v[162:163], v[2:3], v[2:3]
	v_mov_b32_e32 v2, v4
	v_mov_b32_e32 v3, v5
	s_and_b32 vcc_lo, exec_lo, s25
	s_clause 0x3e
	buffer_load_dword v98, v226, s[0:3], 0 offen
	buffer_load_dword v99, v226, s[0:3], 0 offen offset:4
	buffer_load_dword v100, v226, s[0:3], 0 offen offset:8
	;; [unrolled: 1-line block ×63, first 2 shown]
	s_mov_b32 s25, 0
	s_mov_b32 s26, s19
	v_min_f64 v[164:165], v[14:15], v[162:163]
	v_min_f64 v[166:167], v[16:17], v[162:163]
	;; [unrolled: 1-line block ×32, first 2 shown]
	s_waitcnt vmcnt(62)
	v_add_f64 v[98:99], v[164:165], v[98:99]
	s_waitcnt vmcnt(60)
	v_add_f64 v[100:101], v[166:167], v[100:101]
	;; [unrolled: 2-line block ×32, first 2 shown]
	buffer_store_dword v98, v226, s[0:3], 0 offen
	buffer_store_dword v99, v226, s[0:3], 0 offen offset:4
	buffer_store_dword v100, v226, s[0:3], 0 offen offset:8
	;; [unrolled: 1-line block ×63, first 2 shown]
	s_cbranch_vccnz .LBB133_40
; %bb.41:                               ;   in Loop: Header=BB133_39 Depth=2
	s_add_i32 s10, s10, 1
	s_cmp_eq_u32 s10, 4
	s_cbranch_scc0 .LBB133_39
; %bb.42:                               ;   in Loop: Header=BB133_30 Depth=1
	v_add3_u32 v5, v86, s23, 4
	v_mov_b32_e32 v78, 0
	v_mov_b32_e32 v80, 0
	v_mov_b32_e32 v79, 0
	v_mov_b32_e32 v81, 0
	v_mad_u64_u32 v[2:3], null, v5, s20, 0
	v_cmp_le_i32_e32 vcc_lo, s42, v5
	ds_write2st64_b64 v89, v[8:9], v[6:7] offset1:4
	ds_write2st64_b64 v91, v[12:13], v[10:11] offset1:4
	s_waitcnt lgkmcnt(0)
	s_waitcnt_vscnt null, 0x0
	s_barrier
	buffer_gl0_inv
	v_mad_u64_u32 v[3:4], null, v5, s21, v[3:4]
	v_lshlrev_b64 v[2:3], 3, v[2:3]
	v_add_co_u32 v2, s10, s16, v2
	v_add_co_ci_u32_e64 v3, null, s17, v3, s10
	s_nor_b32 s10, s6, vcc_lo
	s_and_saveexec_b32 s25, s10
	s_cbranch_execz .LBB133_44
; %bb.43:                               ;   in Loop: Header=BB133_30 Depth=1
	v_add_co_u32 v4, s10, v2, v70
	v_add_co_ci_u32_e64 v5, null, v3, v71, s10
	flat_load_dwordx2 v[80:81], v[4:5]
.LBB133_44:                             ;   in Loop: Header=BB133_30 Depth=1
	s_or_b32 exec_lo, exec_lo, s25
	s_nor_b32 s25, s7, vcc_lo
	s_and_saveexec_b32 s10, s25
	s_cbranch_execz .LBB133_46
; %bb.45:                               ;   in Loop: Header=BB133_30 Depth=1
	v_add_co_u32 v2, vcc_lo, v2, v70
	v_add_co_ci_u32_e64 v3, null, v3, v71, vcc_lo
	flat_load_dwordx2 v[78:79], v[2:3] offset:512
.LBB133_46:                             ;   in Loop: Header=BB133_30 Depth=1
	s_or_b32 exec_lo, exec_lo, s10
	v_or_b32_e32 v2, 4, v76
	v_mov_b32_e32 v82, 0
	v_mov_b32_e32 v84, 0
	;; [unrolled: 1-line block ×4, first 2 shown]
	v_cmp_le_i32_e32 vcc_lo, s42, v2
	s_nor_b32 s10, s8, vcc_lo
	s_and_saveexec_b32 s25, s10
	s_cbranch_execz .LBB133_48
; %bb.47:                               ;   in Loop: Header=BB133_30 Depth=1
	v_add_co_u32 v2, s10, v96, v72
	v_add_co_ci_u32_e64 v3, null, v97, v73, s10
	flat_load_dwordx2 v[84:85], v[2:3] offset:32
.LBB133_48:                             ;   in Loop: Header=BB133_30 Depth=1
	s_or_b32 exec_lo, exec_lo, s25
	s_nor_b32 s25, s9, vcc_lo
	s_and_saveexec_b32 s10, s25
	s_cbranch_execz .LBB133_50
; %bb.49:                               ;   in Loop: Header=BB133_30 Depth=1
	v_add_co_u32 v2, vcc_lo, v96, v74
	v_add_co_ci_u32_e64 v3, null, v97, v75, vcc_lo
	flat_load_dwordx2 v[82:83], v[2:3] offset:32
.LBB133_50:                             ;   in Loop: Header=BB133_30 Depth=1
	s_or_b32 exec_lo, exec_lo, s10
	s_mov_b32 s10, 0
.LBB133_51:                             ;   Parent Loop BB133_30 Depth=1
                                        ; =>  This Loop Header: Depth=2
                                        ;       Child Loop BB133_52 Depth 3
	s_lshl_b32 s25, s10, 3
	s_mov_b32 s26, 0
	v_add_nc_u32_e32 v30, s25, v88
	v_add_nc_u32_e32 v66, s25, v90
	s_mov_b32 s25, -1
	ds_read2_b64 v[2:5], v30 offset1:16
	ds_read2_b64 v[6:9], v30 offset0:32 offset1:48
	ds_read2_b64 v[10:13], v30 offset0:64 offset1:80
	;; [unrolled: 1-line block ×3, first 2 shown]
	v_add_nc_u32_e32 v62, 0x800, v30
	ds_read2_b64 v[18:21], v30 offset0:128 offset1:144
	ds_read2_b64 v[22:25], v30 offset0:160 offset1:176
	;; [unrolled: 1-line block ×4, first 2 shown]
	ds_read2_b64 v[34:37], v62 offset1:16
	ds_read2_b64 v[38:41], v62 offset0:32 offset1:48
	ds_read2_b64 v[42:45], v62 offset0:64 offset1:80
	;; [unrolled: 1-line block ×7, first 2 shown]
	ds_read2st64_b64 v[66:69], v66 offset1:4
.LBB133_52:                             ;   Parent Loop BB133_30 Depth=1
                                        ;     Parent Loop BB133_51 Depth=2
                                        ; =>    This Inner Loop Header: Depth=3
	v_mov_b32_e32 v76, s26
	s_waitcnt lgkmcnt(16)
	v_max_f64 v[160:161], v[2:3], v[2:3]
	s_waitcnt lgkmcnt(0)
	v_max_f64 v[162:163], v[66:67], v[66:67]
	v_max_f64 v[164:165], v[4:5], v[4:5]
	;; [unrolled: 1-line block ×3, first 2 shown]
	s_clause 0x3e
	buffer_load_dword v96, v76, s[0:3], 0 offen
	buffer_load_dword v97, v76, s[0:3], 0 offen offset:4
	buffer_load_dword v98, v76, s[0:3], 0 offen offset:8
	;; [unrolled: 1-line block ×63, first 2 shown]
	v_max_f64 v[168:169], v[8:9], v[8:9]
	v_max_f64 v[170:171], v[10:11], v[10:11]
	;; [unrolled: 1-line block ×29, first 2 shown]
	v_min_f64 v[160:161], v[160:161], v[162:163]
	v_min_f64 v[164:165], v[164:165], v[162:163]
	;; [unrolled: 1-line block ×32, first 2 shown]
	v_mov_b32_e32 v66, v68
	v_mov_b32_e32 v67, v69
	s_and_b32 vcc_lo, exec_lo, s25
	s_mov_b32 s25, 0
	s_mov_b32 s26, s19
	s_waitcnt vmcnt(62)
	v_add_f64 v[96:97], v[160:161], v[96:97]
	s_waitcnt vmcnt(60)
	v_add_f64 v[98:99], v[164:165], v[98:99]
	;; [unrolled: 2-line block ×32, first 2 shown]
	buffer_store_dword v96, v76, s[0:3], 0 offen
	buffer_store_dword v97, v76, s[0:3], 0 offen offset:4
	buffer_store_dword v98, v76, s[0:3], 0 offen offset:8
	;; [unrolled: 1-line block ×63, first 2 shown]
	s_cbranch_vccnz .LBB133_52
; %bb.53:                               ;   in Loop: Header=BB133_51 Depth=2
	s_add_i32 s10, s10, 1
	s_cmp_eq_u32 s10, 4
	s_cbranch_scc0 .LBB133_51
; %bb.54:                               ;   in Loop: Header=BB133_30 Depth=1
	s_add_i32 s24, s24, 8
	s_add_i32 s23, s23, 8
	s_cmp_ge_i32 s24, s22
	ds_write2st64_b64 v94, v[80:81], v[78:79] offset1:4
	ds_write2st64_b64 v95, v[84:85], v[82:83] offset1:4
	s_waitcnt lgkmcnt(0)
	s_waitcnt_vscnt null, 0x0
	s_barrier
	buffer_gl0_inv
	s_cbranch_scc0 .LBB133_30
.LBB133_55:
	s_mov_b32 s6, 0
.LBB133_56:                             ; =>This Loop Header: Depth=1
                                        ;     Child Loop BB133_57 Depth 2
	s_lshl_b32 s7, s6, 3
	s_mov_b32 s8, 0
	v_add_nc_u32_e32 v6, s7, v92
	v_add_nc_u32_e32 v70, s7, v93
	s_mov_b32 s7, -1
	ds_read2_b64 v[2:5], v6 offset1:16
	ds_read2_b64 v[10:13], v6 offset0:32 offset1:48
	ds_read2_b64 v[14:17], v6 offset0:64 offset1:80
	v_add_nc_u32_e32 v7, 0x800, v6
	ds_read2_b64 v[18:21], v6 offset0:96 offset1:112
	ds_read2_b64 v[22:25], v6 offset0:128 offset1:144
	;; [unrolled: 1-line block ×5, first 2 shown]
	ds_read2_b64 v[38:41], v7 offset1:16
	ds_read2_b64 v[42:45], v7 offset0:32 offset1:48
	ds_read2_b64 v[46:49], v7 offset0:64 offset1:80
	;; [unrolled: 1-line block ×7, first 2 shown]
	s_waitcnt lgkmcnt(11)
	v_max_f64 v[22:23], v[22:23], v[22:23]
	v_max_f64 v[24:25], v[24:25], v[24:25]
	s_waitcnt lgkmcnt(10)
	v_max_f64 v[26:27], v[26:27], v[26:27]
	v_max_f64 v[28:29], v[28:29], v[28:29]
	;; [unrolled: 3-line block ×3, first 2 shown]
	v_max_f64 v[6:7], v[2:3], v[2:3]
	v_max_f64 v[8:9], v[4:5], v[4:5]
	;; [unrolled: 1-line block ×8, first 2 shown]
	s_waitcnt lgkmcnt(8)
	v_max_f64 v[34:35], v[34:35], v[34:35]
	v_max_f64 v[36:37], v[36:37], v[36:37]
	s_waitcnt lgkmcnt(7)
	v_max_f64 v[38:39], v[38:39], v[38:39]
	v_max_f64 v[40:41], v[40:41], v[40:41]
	;; [unrolled: 3-line block ×9, first 2 shown]
	ds_read2st64_b64 v[2:5], v70 offset1:4
.LBB133_57:                             ;   Parent Loop BB133_56 Depth=1
                                        ; =>  This Inner Loop Header: Depth=2
	v_mov_b32_e32 v200, s8
	s_waitcnt lgkmcnt(0)
	v_max_f64 v[136:137], v[2:3], v[2:3]
	v_mov_b32_e32 v2, v4
	v_mov_b32_e32 v3, v5
	s_and_b32 vcc_lo, exec_lo, s7
	s_clause 0x3e
	buffer_load_dword v70, v200, s[0:3], 0 offen
	buffer_load_dword v71, v200, s[0:3], 0 offen offset:4
	buffer_load_dword v72, v200, s[0:3], 0 offen offset:8
	;; [unrolled: 1-line block ×63, first 2 shown]
	s_mov_b32 s7, 0
	s_mov_b32 s8, s19
	v_min_f64 v[138:139], v[6:7], v[136:137]
	v_min_f64 v[140:141], v[8:9], v[136:137]
	;; [unrolled: 1-line block ×32, first 2 shown]
	s_waitcnt vmcnt(62)
	v_add_f64 v[70:71], v[138:139], v[70:71]
	s_waitcnt vmcnt(60)
	v_add_f64 v[72:73], v[140:141], v[72:73]
	;; [unrolled: 2-line block ×32, first 2 shown]
	buffer_store_dword v70, v200, s[0:3], 0 offen
	buffer_store_dword v71, v200, s[0:3], 0 offen offset:4
	buffer_store_dword v72, v200, s[0:3], 0 offen offset:8
	buffer_store_dword v73, v200, s[0:3], 0 offen offset:12
	buffer_store_dword v74, v200, s[0:3], 0 offen offset:16
	buffer_store_dword v75, v200, s[0:3], 0 offen offset:20
	buffer_store_dword v76, v200, s[0:3], 0 offen offset:24
	buffer_store_dword v77, v200, s[0:3], 0 offen offset:28
	buffer_store_dword v78, v200, s[0:3], 0 offen offset:32
	buffer_store_dword v79, v200, s[0:3], 0 offen offset:36
	buffer_store_dword v80, v200, s[0:3], 0 offen offset:40
	buffer_store_dword v81, v200, s[0:3], 0 offen offset:44
	buffer_store_dword v82, v200, s[0:3], 0 offen offset:48
	buffer_store_dword v83, v200, s[0:3], 0 offen offset:52
	buffer_store_dword v84, v200, s[0:3], 0 offen offset:56
	buffer_store_dword v85, v200, s[0:3], 0 offen offset:60
	buffer_store_dword v87, v200, s[0:3], 0 offen offset:68
	buffer_store_dword v86, v200, s[0:3], 0 offen offset:64
	buffer_store_dword v89, v200, s[0:3], 0 offen offset:76
	buffer_store_dword v88, v200, s[0:3], 0 offen offset:72
	buffer_store_dword v91, v200, s[0:3], 0 offen offset:84
	buffer_store_dword v90, v200, s[0:3], 0 offen offset:80
	buffer_store_dword v95, v200, s[0:3], 0 offen offset:92
	buffer_store_dword v94, v200, s[0:3], 0 offen offset:88
	buffer_store_dword v97, v200, s[0:3], 0 offen offset:100
	buffer_store_dword v96, v200, s[0:3], 0 offen offset:96
	buffer_store_dword v99, v200, s[0:3], 0 offen offset:108
	buffer_store_dword v98, v200, s[0:3], 0 offen offset:104
	buffer_store_dword v101, v200, s[0:3], 0 offen offset:116
	buffer_store_dword v100, v200, s[0:3], 0 offen offset:112
	buffer_store_dword v103, v200, s[0:3], 0 offen offset:124
	buffer_store_dword v102, v200, s[0:3], 0 offen offset:120
	buffer_store_dword v105, v200, s[0:3], 0 offen offset:132
	buffer_store_dword v104, v200, s[0:3], 0 offen offset:128
	buffer_store_dword v107, v200, s[0:3], 0 offen offset:140
	buffer_store_dword v106, v200, s[0:3], 0 offen offset:136
	buffer_store_dword v109, v200, s[0:3], 0 offen offset:148
	buffer_store_dword v108, v200, s[0:3], 0 offen offset:144
	buffer_store_dword v111, v200, s[0:3], 0 offen offset:156
	buffer_store_dword v110, v200, s[0:3], 0 offen offset:152
	buffer_store_dword v113, v200, s[0:3], 0 offen offset:164
	buffer_store_dword v112, v200, s[0:3], 0 offen offset:160
	buffer_store_dword v115, v200, s[0:3], 0 offen offset:172
	buffer_store_dword v114, v200, s[0:3], 0 offen offset:168
	buffer_store_dword v117, v200, s[0:3], 0 offen offset:180
	buffer_store_dword v116, v200, s[0:3], 0 offen offset:176
	buffer_store_dword v119, v200, s[0:3], 0 offen offset:188
	buffer_store_dword v118, v200, s[0:3], 0 offen offset:184
	buffer_store_dword v121, v200, s[0:3], 0 offen offset:196
	buffer_store_dword v120, v200, s[0:3], 0 offen offset:192
	buffer_store_dword v123, v200, s[0:3], 0 offen offset:204
	buffer_store_dword v122, v200, s[0:3], 0 offen offset:200
	buffer_store_dword v125, v200, s[0:3], 0 offen offset:212
	buffer_store_dword v124, v200, s[0:3], 0 offen offset:208
	buffer_store_dword v127, v200, s[0:3], 0 offen offset:220
	buffer_store_dword v126, v200, s[0:3], 0 offen offset:216
	buffer_store_dword v129, v200, s[0:3], 0 offen offset:228
	buffer_store_dword v128, v200, s[0:3], 0 offen offset:224
	buffer_store_dword v131, v200, s[0:3], 0 offen offset:236
	buffer_store_dword v130, v200, s[0:3], 0 offen offset:232
	buffer_store_dword v133, v200, s[0:3], 0 offen offset:244
	buffer_store_dword v132, v200, s[0:3], 0 offen offset:240
	buffer_store_dword v135, v200, s[0:3], 0 offen offset:252
	buffer_store_dword v134, v200, s[0:3], 0 offen offset:248
	s_cbranch_vccnz .LBB133_57
; %bb.58:                               ;   in Loop: Header=BB133_56 Depth=1
	s_add_i32 s6, s6, 1
	s_cmp_eq_u32 s6, 4
	s_cbranch_scc0 .LBB133_56
; %bb.59:
	s_clause 0x2
	s_load_dword s43, s[4:5], 0x58
	s_load_dword s42, s[4:5], 0x70
	s_load_dwordx2 s[6:7], s[4:5], 0x78
	v_add_nc_u32_e32 v71, s18, v1
	v_add_nc_u32_e32 v0, s11, v0
	v_cndmask_b32_e64 v70, 0, 1, s46
	v_cmp_gt_i32_e64 s16, s41, v71
	v_cmp_gt_i32_e64 s4, s40, v0
	s_waitcnt lgkmcnt(0)
	v_mad_i64_i32 v[1:2], null, v71, s43, 0
	v_mad_i64_i32 v[3:4], null, v71, s42, 0
	s_lshl_b64 s[6:7], s[6:7], 3
	s_add_u32 s47, s12, s6
	s_addc_u32 s48, s13, s7
	v_lshlrev_b64 v[5:6], 3, v[1:2]
	v_ashrrev_i32_e32 v1, 31, v0
	v_lshlrev_b64 v[2:3], 3, v[3:4]
	s_and_b32 s6, s16, s4
	v_add_co_u32 v68, vcc_lo, s44, v5
	v_add_co_ci_u32_e64 v69, null, s45, v6, vcc_lo
	v_add_co_u32 v72, vcc_lo, s47, v2
	v_add_co_ci_u32_e64 v73, null, s48, v3, vcc_lo
	s_and_saveexec_b32 s5, s6
	s_cbranch_execz .LBB133_64
; %bb.60:
	s_clause 0x1
	buffer_load_dword v2, off, s[0:3], 0
	buffer_load_dword v3, off, s[0:3], 0 offset:4
	v_lshlrev_b64 v[4:5], 3, v[0:1]
	s_andn2_b32 vcc_lo, exec_lo, s46
	s_cbranch_vccnz .LBB133_62
; %bb.61:
	v_add_co_u32 v6, vcc_lo, v68, v4
	v_add_co_ci_u32_e64 v7, null, v69, v5, vcc_lo
	flat_load_dwordx2 v[6:7], v[6:7]
	s_waitcnt vmcnt(0) lgkmcnt(0)
	v_mul_f64 v[6:7], s[38:39], v[6:7]
	s_branch .LBB133_63
.LBB133_62:
	v_mov_b32_e32 v6, 0
	v_mov_b32_e32 v7, 0
.LBB133_63:
	s_waitcnt vmcnt(0)
	v_add_f64 v[2:3], v[2:3], v[6:7]
	v_add_co_u32 v4, vcc_lo, v72, v4
	v_add_co_ci_u32_e64 v5, null, v73, v5, vcc_lo
	flat_store_dwordx2 v[4:5], v[2:3]
.LBB133_64:
	s_or_b32 exec_lo, exec_lo, s5
	v_add_nc_u32_e32 v2, 4, v0
	v_cmp_gt_i32_e64 s5, s40, v2
	v_ashrrev_i32_e32 v3, 31, v2
	s_and_b32 s7, s16, s5
	s_and_saveexec_b32 s6, s7
	s_cbranch_execz .LBB133_69
; %bb.65:
	s_clause 0x1
	buffer_load_dword v4, off, s[0:3], 0 offset:8
	buffer_load_dword v5, off, s[0:3], 0 offset:12
	v_lshlrev_b64 v[6:7], 3, v[2:3]
	s_andn2_b32 vcc_lo, exec_lo, s46
	s_cbranch_vccnz .LBB133_67
; %bb.66:
	v_add_co_u32 v8, vcc_lo, v68, v6
	v_add_co_ci_u32_e64 v9, null, v69, v7, vcc_lo
	flat_load_dwordx2 v[8:9], v[8:9]
	s_waitcnt vmcnt(0) lgkmcnt(0)
	v_mul_f64 v[8:9], s[38:39], v[8:9]
	s_branch .LBB133_68
.LBB133_67:
	v_mov_b32_e32 v8, 0
	v_mov_b32_e32 v9, 0
.LBB133_68:
	s_waitcnt vmcnt(0)
	v_add_f64 v[4:5], v[4:5], v[8:9]
	v_add_co_u32 v6, vcc_lo, v72, v6
	v_add_co_ci_u32_e64 v7, null, v73, v7, vcc_lo
	flat_store_dwordx2 v[6:7], v[4:5]
.LBB133_69:
	s_or_b32 exec_lo, exec_lo, s6
	v_add_nc_u32_e32 v4, 8, v0
	v_cmp_gt_i32_e64 s6, s40, v4
	v_ashrrev_i32_e32 v5, 31, v4
	s_and_b32 s8, s16, s6
	s_and_saveexec_b32 s7, s8
	s_cbranch_execz .LBB133_74
; %bb.70:
	s_clause 0x1
	buffer_load_dword v6, off, s[0:3], 0 offset:16
	buffer_load_dword v7, off, s[0:3], 0 offset:20
	v_lshlrev_b64 v[8:9], 3, v[4:5]
	s_andn2_b32 vcc_lo, exec_lo, s46
	s_cbranch_vccnz .LBB133_72
; %bb.71:
	v_add_co_u32 v10, vcc_lo, v68, v8
	v_add_co_ci_u32_e64 v11, null, v69, v9, vcc_lo
	flat_load_dwordx2 v[10:11], v[10:11]
	s_waitcnt vmcnt(0) lgkmcnt(0)
	v_mul_f64 v[10:11], s[38:39], v[10:11]
	s_branch .LBB133_73
.LBB133_72:
	v_mov_b32_e32 v10, 0
	v_mov_b32_e32 v11, 0
.LBB133_73:
	s_waitcnt vmcnt(0)
	v_add_f64 v[6:7], v[6:7], v[10:11]
	v_add_co_u32 v8, vcc_lo, v72, v8
	v_add_co_ci_u32_e64 v9, null, v73, v9, vcc_lo
	flat_store_dwordx2 v[8:9], v[6:7]
.LBB133_74:
	;; [unrolled: 31-line block ×31, first 2 shown]
	s_or_b32 exec_lo, exec_lo, s16
	v_add_nc_u32_e32 v68, 64, v71
	v_mad_i64_i32 v[64:65], null, v68, s43, 0
	v_mad_i64_i32 v[66:67], null, v68, s42, 0
	v_cmp_gt_i32_e64 s16, s41, v68
	v_lshlrev_b64 v[64:65], 3, v[64:65]
	s_and_b32 s4, s16, s4
	v_lshlrev_b64 v[66:67], 3, v[66:67]
	v_add_co_u32 v71, vcc_lo, s44, v64
	v_add_co_ci_u32_e64 v72, null, s45, v65, vcc_lo
	v_add_co_u32 v68, vcc_lo, s47, v66
	v_add_co_ci_u32_e64 v69, null, s48, v67, vcc_lo
	s_and_saveexec_b32 s40, s4
	s_xor_b32 s4, exec_lo, s40
	s_cbranch_execnz .LBB133_252
; %bb.220:
	s_or_b32 exec_lo, exec_lo, s4
	s_and_b32 s5, s16, s5
	s_and_saveexec_b32 s4, s5
	s_cbranch_execnz .LBB133_256
.LBB133_221:
	s_or_b32 exec_lo, exec_lo, s4
	s_and_b32 s5, s16, s6
	s_and_saveexec_b32 s4, s5
	s_cbranch_execnz .LBB133_260
.LBB133_222:
	s_or_b32 exec_lo, exec_lo, s4
	s_and_b32 s5, s16, s7
	s_and_saveexec_b32 s4, s5
	s_cbranch_execnz .LBB133_264
.LBB133_223:
	s_or_b32 exec_lo, exec_lo, s4
	s_and_b32 s5, s16, s8
	s_and_saveexec_b32 s4, s5
	s_cbranch_execnz .LBB133_268
.LBB133_224:
	s_or_b32 exec_lo, exec_lo, s4
	s_and_b32 s5, s16, s9
	s_and_saveexec_b32 s4, s5
	s_cbranch_execnz .LBB133_272
.LBB133_225:
	s_or_b32 exec_lo, exec_lo, s4
	s_and_b32 s5, s16, s10
	s_and_saveexec_b32 s4, s5
	s_cbranch_execnz .LBB133_276
.LBB133_226:
	s_or_b32 exec_lo, exec_lo, s4
	s_and_b32 s5, s16, s11
	s_and_saveexec_b32 s4, s5
	s_cbranch_execnz .LBB133_280
.LBB133_227:
	s_or_b32 exec_lo, exec_lo, s4
	s_and_b32 s5, s16, s12
	s_and_saveexec_b32 s4, s5
	s_cbranch_execnz .LBB133_284
.LBB133_228:
	s_or_b32 exec_lo, exec_lo, s4
	s_and_b32 s5, s16, s13
	s_and_saveexec_b32 s4, s5
	s_cbranch_execnz .LBB133_288
.LBB133_229:
	s_or_b32 exec_lo, exec_lo, s4
	s_and_b32 s5, s16, s14
	s_and_saveexec_b32 s4, s5
	s_cbranch_execnz .LBB133_292
.LBB133_230:
	s_or_b32 exec_lo, exec_lo, s4
	s_and_b32 s5, s16, s15
	s_and_saveexec_b32 s4, s5
	s_cbranch_execnz .LBB133_296
.LBB133_231:
	s_or_b32 exec_lo, exec_lo, s4
	s_and_b32 s5, s16, s17
	s_and_saveexec_b32 s4, s5
	s_cbranch_execnz .LBB133_300
.LBB133_232:
	s_or_b32 exec_lo, exec_lo, s4
	s_and_b32 s5, s16, s18
	s_and_saveexec_b32 s4, s5
	s_cbranch_execnz .LBB133_304
.LBB133_233:
	s_or_b32 exec_lo, exec_lo, s4
	s_and_b32 s5, s16, s19
	s_and_saveexec_b32 s4, s5
	s_cbranch_execnz .LBB133_308
.LBB133_234:
	s_or_b32 exec_lo, exec_lo, s4
	s_and_b32 s5, s16, s20
	s_and_saveexec_b32 s4, s5
	s_cbranch_execnz .LBB133_312
.LBB133_235:
	s_or_b32 exec_lo, exec_lo, s4
	s_and_b32 s5, s16, s21
	s_and_saveexec_b32 s4, s5
	s_cbranch_execnz .LBB133_316
.LBB133_236:
	s_or_b32 exec_lo, exec_lo, s4
	s_and_b32 s5, s16, s22
	s_and_saveexec_b32 s4, s5
	s_cbranch_execnz .LBB133_320
.LBB133_237:
	s_or_b32 exec_lo, exec_lo, s4
	s_and_b32 s5, s16, s23
	s_and_saveexec_b32 s4, s5
	s_cbranch_execnz .LBB133_324
.LBB133_238:
	s_or_b32 exec_lo, exec_lo, s4
	s_and_b32 s5, s16, s24
	s_and_saveexec_b32 s4, s5
	s_cbranch_execnz .LBB133_328
.LBB133_239:
	s_or_b32 exec_lo, exec_lo, s4
	s_and_b32 s5, s16, s25
	s_and_saveexec_b32 s4, s5
	s_cbranch_execnz .LBB133_332
.LBB133_240:
	s_or_b32 exec_lo, exec_lo, s4
	s_and_b32 s5, s16, s26
	s_and_saveexec_b32 s4, s5
	s_cbranch_execnz .LBB133_336
.LBB133_241:
	s_or_b32 exec_lo, exec_lo, s4
	s_and_b32 s5, s16, s27
	s_and_saveexec_b32 s4, s5
	s_cbranch_execnz .LBB133_340
.LBB133_242:
	s_or_b32 exec_lo, exec_lo, s4
	s_and_b32 s5, s16, s28
	s_and_saveexec_b32 s4, s5
	s_cbranch_execnz .LBB133_344
.LBB133_243:
	s_or_b32 exec_lo, exec_lo, s4
	s_and_b32 s5, s16, s29
	s_and_saveexec_b32 s4, s5
	s_cbranch_execnz .LBB133_348
.LBB133_244:
	s_or_b32 exec_lo, exec_lo, s4
	s_and_b32 s5, s16, s30
	s_and_saveexec_b32 s4, s5
	s_cbranch_execnz .LBB133_352
.LBB133_245:
	s_or_b32 exec_lo, exec_lo, s4
	s_and_b32 s5, s16, s31
	s_and_saveexec_b32 s4, s5
	s_cbranch_execnz .LBB133_356
.LBB133_246:
	s_or_b32 exec_lo, exec_lo, s4
	s_and_b32 s5, s16, s33
	s_and_saveexec_b32 s4, s5
	s_cbranch_execnz .LBB133_360
.LBB133_247:
	s_or_b32 exec_lo, exec_lo, s4
	s_and_b32 s5, s16, s34
	s_and_saveexec_b32 s4, s5
	s_cbranch_execnz .LBB133_364
.LBB133_248:
	s_or_b32 exec_lo, exec_lo, s4
	s_and_b32 s5, s16, s35
	s_and_saveexec_b32 s4, s5
	s_cbranch_execnz .LBB133_368
.LBB133_249:
	s_or_b32 exec_lo, exec_lo, s4
	s_and_b32 s5, s16, s36
	s_and_saveexec_b32 s4, s5
	s_cbranch_execnz .LBB133_372
.LBB133_250:
	s_or_b32 exec_lo, exec_lo, s4
	s_and_b32 s4, s16, s37
	s_and_saveexec_b32 s5, s4
	s_cbranch_execnz .LBB133_376
.LBB133_251:
	s_endpgm
.LBB133_252:
	s_clause 0x1
	buffer_load_dword v64, off, s[0:3], 0 offset:256
	buffer_load_dword v65, off, s[0:3], 0 offset:260
	v_lshlrev_b64 v[0:1], 3, v[0:1]
	s_andn2_b32 vcc_lo, exec_lo, s46
	s_cbranch_vccnz .LBB133_254
; %bb.253:
	v_add_co_u32 v66, vcc_lo, v71, v0
	v_add_co_ci_u32_e64 v67, null, v72, v1, vcc_lo
	flat_load_dwordx2 v[66:67], v[66:67]
	s_waitcnt vmcnt(0) lgkmcnt(0)
	v_mul_f64 v[66:67], s[38:39], v[66:67]
	s_branch .LBB133_255
.LBB133_254:
	v_mov_b32_e32 v66, 0
	v_mov_b32_e32 v67, 0
.LBB133_255:
	s_waitcnt vmcnt(0)
	v_add_f64 v[64:65], v[64:65], v[66:67]
	v_add_co_u32 v0, vcc_lo, v68, v0
	v_add_co_ci_u32_e64 v1, null, v69, v1, vcc_lo
	flat_store_dwordx2 v[0:1], v[64:65]
	s_or_b32 exec_lo, exec_lo, s4
	s_and_b32 s5, s16, s5
	s_and_saveexec_b32 s4, s5
	s_cbranch_execz .LBB133_221
.LBB133_256:
	s_clause 0x1
	buffer_load_dword v0, off, s[0:3], 0 offset:264
	buffer_load_dword v1, off, s[0:3], 0 offset:268
	v_cmp_ne_u32_e32 vcc_lo, 1, v70
	v_lshlrev_b64 v[2:3], 3, v[2:3]
	s_cbranch_vccnz .LBB133_258
; %bb.257:
	v_add_co_u32 v64, vcc_lo, v71, v2
	v_add_co_ci_u32_e64 v65, null, v72, v3, vcc_lo
	flat_load_dwordx2 v[64:65], v[64:65]
	s_waitcnt vmcnt(0) lgkmcnt(0)
	v_mul_f64 v[64:65], s[38:39], v[64:65]
	s_branch .LBB133_259
.LBB133_258:
	v_mov_b32_e32 v64, 0
	v_mov_b32_e32 v65, 0
.LBB133_259:
	s_waitcnt vmcnt(0)
	v_add_f64 v[0:1], v[0:1], v[64:65]
	v_add_co_u32 v2, vcc_lo, v68, v2
	v_add_co_ci_u32_e64 v3, null, v69, v3, vcc_lo
	flat_store_dwordx2 v[2:3], v[0:1]
	s_or_b32 exec_lo, exec_lo, s4
	s_and_b32 s5, s16, s6
	s_and_saveexec_b32 s4, s5
	s_cbranch_execz .LBB133_222
.LBB133_260:
	s_clause 0x1
	buffer_load_dword v0, off, s[0:3], 0 offset:272
	buffer_load_dword v1, off, s[0:3], 0 offset:276
	v_cmp_ne_u32_e32 vcc_lo, 1, v70
	v_lshlrev_b64 v[2:3], 3, v[4:5]
	s_cbranch_vccnz .LBB133_262
; %bb.261:
	v_add_co_u32 v4, vcc_lo, v71, v2
	v_add_co_ci_u32_e64 v5, null, v72, v3, vcc_lo
	flat_load_dwordx2 v[4:5], v[4:5]
	s_waitcnt vmcnt(0) lgkmcnt(0)
	v_mul_f64 v[4:5], s[38:39], v[4:5]
	s_branch .LBB133_263
.LBB133_262:
	v_mov_b32_e32 v4, 0
	v_mov_b32_e32 v5, 0
.LBB133_263:
	s_waitcnt vmcnt(0)
	v_add_f64 v[0:1], v[0:1], v[4:5]
	v_add_co_u32 v2, vcc_lo, v68, v2
	v_add_co_ci_u32_e64 v3, null, v69, v3, vcc_lo
	flat_store_dwordx2 v[2:3], v[0:1]
	s_or_b32 exec_lo, exec_lo, s4
	s_and_b32 s5, s16, s7
	s_and_saveexec_b32 s4, s5
	s_cbranch_execz .LBB133_223
.LBB133_264:
	s_clause 0x1
	buffer_load_dword v0, off, s[0:3], 0 offset:280
	buffer_load_dword v1, off, s[0:3], 0 offset:284
	v_cmp_ne_u32_e32 vcc_lo, 1, v70
	v_lshlrev_b64 v[2:3], 3, v[6:7]
	s_cbranch_vccnz .LBB133_266
; %bb.265:
	v_add_co_u32 v4, vcc_lo, v71, v2
	v_add_co_ci_u32_e64 v5, null, v72, v3, vcc_lo
	flat_load_dwordx2 v[4:5], v[4:5]
	s_waitcnt vmcnt(0) lgkmcnt(0)
	v_mul_f64 v[4:5], s[38:39], v[4:5]
	s_branch .LBB133_267
.LBB133_266:
	v_mov_b32_e32 v4, 0
	v_mov_b32_e32 v5, 0
.LBB133_267:
	s_waitcnt vmcnt(0)
	v_add_f64 v[0:1], v[0:1], v[4:5]
	v_add_co_u32 v2, vcc_lo, v68, v2
	v_add_co_ci_u32_e64 v3, null, v69, v3, vcc_lo
	flat_store_dwordx2 v[2:3], v[0:1]
	s_or_b32 exec_lo, exec_lo, s4
	s_and_b32 s5, s16, s8
	s_and_saveexec_b32 s4, s5
	s_cbranch_execz .LBB133_224
.LBB133_268:
	s_clause 0x1
	buffer_load_dword v0, off, s[0:3], 0 offset:288
	buffer_load_dword v1, off, s[0:3], 0 offset:292
	v_cmp_ne_u32_e32 vcc_lo, 1, v70
	v_lshlrev_b64 v[2:3], 3, v[8:9]
	s_cbranch_vccnz .LBB133_270
; %bb.269:
	v_add_co_u32 v4, vcc_lo, v71, v2
	v_add_co_ci_u32_e64 v5, null, v72, v3, vcc_lo
	flat_load_dwordx2 v[4:5], v[4:5]
	s_waitcnt vmcnt(0) lgkmcnt(0)
	v_mul_f64 v[4:5], s[38:39], v[4:5]
	s_branch .LBB133_271
.LBB133_270:
	v_mov_b32_e32 v4, 0
	v_mov_b32_e32 v5, 0
.LBB133_271:
	s_waitcnt vmcnt(0)
	v_add_f64 v[0:1], v[0:1], v[4:5]
	v_add_co_u32 v2, vcc_lo, v68, v2
	v_add_co_ci_u32_e64 v3, null, v69, v3, vcc_lo
	flat_store_dwordx2 v[2:3], v[0:1]
	s_or_b32 exec_lo, exec_lo, s4
	s_and_b32 s5, s16, s9
	s_and_saveexec_b32 s4, s5
	s_cbranch_execz .LBB133_225
.LBB133_272:
	s_clause 0x1
	buffer_load_dword v0, off, s[0:3], 0 offset:296
	buffer_load_dword v1, off, s[0:3], 0 offset:300
	v_cmp_ne_u32_e32 vcc_lo, 1, v70
	v_lshlrev_b64 v[2:3], 3, v[10:11]
	s_cbranch_vccnz .LBB133_274
; %bb.273:
	v_add_co_u32 v4, vcc_lo, v71, v2
	v_add_co_ci_u32_e64 v5, null, v72, v3, vcc_lo
	flat_load_dwordx2 v[4:5], v[4:5]
	s_waitcnt vmcnt(0) lgkmcnt(0)
	v_mul_f64 v[4:5], s[38:39], v[4:5]
	s_branch .LBB133_275
.LBB133_274:
	v_mov_b32_e32 v4, 0
	v_mov_b32_e32 v5, 0
.LBB133_275:
	s_waitcnt vmcnt(0)
	v_add_f64 v[0:1], v[0:1], v[4:5]
	v_add_co_u32 v2, vcc_lo, v68, v2
	v_add_co_ci_u32_e64 v3, null, v69, v3, vcc_lo
	flat_store_dwordx2 v[2:3], v[0:1]
	s_or_b32 exec_lo, exec_lo, s4
	s_and_b32 s5, s16, s10
	s_and_saveexec_b32 s4, s5
	s_cbranch_execz .LBB133_226
.LBB133_276:
	s_clause 0x1
	buffer_load_dword v0, off, s[0:3], 0 offset:304
	buffer_load_dword v1, off, s[0:3], 0 offset:308
	v_cmp_ne_u32_e32 vcc_lo, 1, v70
	v_lshlrev_b64 v[2:3], 3, v[12:13]
	s_cbranch_vccnz .LBB133_278
; %bb.277:
	v_add_co_u32 v4, vcc_lo, v71, v2
	v_add_co_ci_u32_e64 v5, null, v72, v3, vcc_lo
	flat_load_dwordx2 v[4:5], v[4:5]
	s_waitcnt vmcnt(0) lgkmcnt(0)
	v_mul_f64 v[4:5], s[38:39], v[4:5]
	s_branch .LBB133_279
.LBB133_278:
	v_mov_b32_e32 v4, 0
	v_mov_b32_e32 v5, 0
.LBB133_279:
	s_waitcnt vmcnt(0)
	v_add_f64 v[0:1], v[0:1], v[4:5]
	v_add_co_u32 v2, vcc_lo, v68, v2
	v_add_co_ci_u32_e64 v3, null, v69, v3, vcc_lo
	flat_store_dwordx2 v[2:3], v[0:1]
	s_or_b32 exec_lo, exec_lo, s4
	s_and_b32 s5, s16, s11
	s_and_saveexec_b32 s4, s5
	s_cbranch_execz .LBB133_227
.LBB133_280:
	s_clause 0x1
	buffer_load_dword v0, off, s[0:3], 0 offset:312
	buffer_load_dword v1, off, s[0:3], 0 offset:316
	v_cmp_ne_u32_e32 vcc_lo, 1, v70
	v_lshlrev_b64 v[2:3], 3, v[14:15]
	s_cbranch_vccnz .LBB133_282
; %bb.281:
	v_add_co_u32 v4, vcc_lo, v71, v2
	v_add_co_ci_u32_e64 v5, null, v72, v3, vcc_lo
	flat_load_dwordx2 v[4:5], v[4:5]
	s_waitcnt vmcnt(0) lgkmcnt(0)
	v_mul_f64 v[4:5], s[38:39], v[4:5]
	s_branch .LBB133_283
.LBB133_282:
	v_mov_b32_e32 v4, 0
	v_mov_b32_e32 v5, 0
.LBB133_283:
	s_waitcnt vmcnt(0)
	v_add_f64 v[0:1], v[0:1], v[4:5]
	v_add_co_u32 v2, vcc_lo, v68, v2
	v_add_co_ci_u32_e64 v3, null, v69, v3, vcc_lo
	flat_store_dwordx2 v[2:3], v[0:1]
	s_or_b32 exec_lo, exec_lo, s4
	s_and_b32 s5, s16, s12
	s_and_saveexec_b32 s4, s5
	s_cbranch_execz .LBB133_228
.LBB133_284:
	s_clause 0x1
	buffer_load_dword v0, off, s[0:3], 0 offset:320
	buffer_load_dword v1, off, s[0:3], 0 offset:324
	v_cmp_ne_u32_e32 vcc_lo, 1, v70
	v_lshlrev_b64 v[2:3], 3, v[16:17]
	s_cbranch_vccnz .LBB133_286
; %bb.285:
	v_add_co_u32 v4, vcc_lo, v71, v2
	v_add_co_ci_u32_e64 v5, null, v72, v3, vcc_lo
	flat_load_dwordx2 v[4:5], v[4:5]
	s_waitcnt vmcnt(0) lgkmcnt(0)
	v_mul_f64 v[4:5], s[38:39], v[4:5]
	s_branch .LBB133_287
.LBB133_286:
	v_mov_b32_e32 v4, 0
	v_mov_b32_e32 v5, 0
.LBB133_287:
	s_waitcnt vmcnt(0)
	v_add_f64 v[0:1], v[0:1], v[4:5]
	v_add_co_u32 v2, vcc_lo, v68, v2
	v_add_co_ci_u32_e64 v3, null, v69, v3, vcc_lo
	flat_store_dwordx2 v[2:3], v[0:1]
	s_or_b32 exec_lo, exec_lo, s4
	s_and_b32 s5, s16, s13
	s_and_saveexec_b32 s4, s5
	s_cbranch_execz .LBB133_229
.LBB133_288:
	s_clause 0x1
	buffer_load_dword v0, off, s[0:3], 0 offset:328
	buffer_load_dword v1, off, s[0:3], 0 offset:332
	v_cmp_ne_u32_e32 vcc_lo, 1, v70
	v_lshlrev_b64 v[2:3], 3, v[18:19]
	s_cbranch_vccnz .LBB133_290
; %bb.289:
	v_add_co_u32 v4, vcc_lo, v71, v2
	v_add_co_ci_u32_e64 v5, null, v72, v3, vcc_lo
	flat_load_dwordx2 v[4:5], v[4:5]
	s_waitcnt vmcnt(0) lgkmcnt(0)
	v_mul_f64 v[4:5], s[38:39], v[4:5]
	s_branch .LBB133_291
.LBB133_290:
	v_mov_b32_e32 v4, 0
	v_mov_b32_e32 v5, 0
.LBB133_291:
	s_waitcnt vmcnt(0)
	v_add_f64 v[0:1], v[0:1], v[4:5]
	v_add_co_u32 v2, vcc_lo, v68, v2
	v_add_co_ci_u32_e64 v3, null, v69, v3, vcc_lo
	flat_store_dwordx2 v[2:3], v[0:1]
	s_or_b32 exec_lo, exec_lo, s4
	s_and_b32 s5, s16, s14
	s_and_saveexec_b32 s4, s5
	s_cbranch_execz .LBB133_230
.LBB133_292:
	s_clause 0x1
	buffer_load_dword v0, off, s[0:3], 0 offset:336
	buffer_load_dword v1, off, s[0:3], 0 offset:340
	v_cmp_ne_u32_e32 vcc_lo, 1, v70
	v_lshlrev_b64 v[2:3], 3, v[20:21]
	s_cbranch_vccnz .LBB133_294
; %bb.293:
	v_add_co_u32 v4, vcc_lo, v71, v2
	v_add_co_ci_u32_e64 v5, null, v72, v3, vcc_lo
	flat_load_dwordx2 v[4:5], v[4:5]
	s_waitcnt vmcnt(0) lgkmcnt(0)
	v_mul_f64 v[4:5], s[38:39], v[4:5]
	s_branch .LBB133_295
.LBB133_294:
	v_mov_b32_e32 v4, 0
	v_mov_b32_e32 v5, 0
.LBB133_295:
	s_waitcnt vmcnt(0)
	v_add_f64 v[0:1], v[0:1], v[4:5]
	v_add_co_u32 v2, vcc_lo, v68, v2
	v_add_co_ci_u32_e64 v3, null, v69, v3, vcc_lo
	flat_store_dwordx2 v[2:3], v[0:1]
	s_or_b32 exec_lo, exec_lo, s4
	s_and_b32 s5, s16, s15
	s_and_saveexec_b32 s4, s5
	s_cbranch_execz .LBB133_231
.LBB133_296:
	s_clause 0x1
	buffer_load_dword v0, off, s[0:3], 0 offset:344
	buffer_load_dword v1, off, s[0:3], 0 offset:348
	v_cmp_ne_u32_e32 vcc_lo, 1, v70
	v_lshlrev_b64 v[2:3], 3, v[22:23]
	s_cbranch_vccnz .LBB133_298
; %bb.297:
	v_add_co_u32 v4, vcc_lo, v71, v2
	v_add_co_ci_u32_e64 v5, null, v72, v3, vcc_lo
	flat_load_dwordx2 v[4:5], v[4:5]
	s_waitcnt vmcnt(0) lgkmcnt(0)
	v_mul_f64 v[4:5], s[38:39], v[4:5]
	s_branch .LBB133_299
.LBB133_298:
	v_mov_b32_e32 v4, 0
	v_mov_b32_e32 v5, 0
.LBB133_299:
	s_waitcnt vmcnt(0)
	v_add_f64 v[0:1], v[0:1], v[4:5]
	v_add_co_u32 v2, vcc_lo, v68, v2
	v_add_co_ci_u32_e64 v3, null, v69, v3, vcc_lo
	flat_store_dwordx2 v[2:3], v[0:1]
	s_or_b32 exec_lo, exec_lo, s4
	s_and_b32 s5, s16, s17
	s_and_saveexec_b32 s4, s5
	s_cbranch_execz .LBB133_232
.LBB133_300:
	s_clause 0x1
	buffer_load_dword v0, off, s[0:3], 0 offset:352
	buffer_load_dword v1, off, s[0:3], 0 offset:356
	v_cmp_ne_u32_e32 vcc_lo, 1, v70
	v_lshlrev_b64 v[2:3], 3, v[24:25]
	s_cbranch_vccnz .LBB133_302
; %bb.301:
	v_add_co_u32 v4, vcc_lo, v71, v2
	v_add_co_ci_u32_e64 v5, null, v72, v3, vcc_lo
	flat_load_dwordx2 v[4:5], v[4:5]
	s_waitcnt vmcnt(0) lgkmcnt(0)
	v_mul_f64 v[4:5], s[38:39], v[4:5]
	s_branch .LBB133_303
.LBB133_302:
	v_mov_b32_e32 v4, 0
	v_mov_b32_e32 v5, 0
.LBB133_303:
	s_waitcnt vmcnt(0)
	v_add_f64 v[0:1], v[0:1], v[4:5]
	v_add_co_u32 v2, vcc_lo, v68, v2
	v_add_co_ci_u32_e64 v3, null, v69, v3, vcc_lo
	flat_store_dwordx2 v[2:3], v[0:1]
	s_or_b32 exec_lo, exec_lo, s4
	s_and_b32 s5, s16, s18
	s_and_saveexec_b32 s4, s5
	s_cbranch_execz .LBB133_233
.LBB133_304:
	s_clause 0x1
	buffer_load_dword v0, off, s[0:3], 0 offset:360
	buffer_load_dword v1, off, s[0:3], 0 offset:364
	v_cmp_ne_u32_e32 vcc_lo, 1, v70
	v_lshlrev_b64 v[2:3], 3, v[26:27]
	s_cbranch_vccnz .LBB133_306
; %bb.305:
	v_add_co_u32 v4, vcc_lo, v71, v2
	v_add_co_ci_u32_e64 v5, null, v72, v3, vcc_lo
	flat_load_dwordx2 v[4:5], v[4:5]
	s_waitcnt vmcnt(0) lgkmcnt(0)
	v_mul_f64 v[4:5], s[38:39], v[4:5]
	s_branch .LBB133_307
.LBB133_306:
	v_mov_b32_e32 v4, 0
	v_mov_b32_e32 v5, 0
.LBB133_307:
	s_waitcnt vmcnt(0)
	v_add_f64 v[0:1], v[0:1], v[4:5]
	v_add_co_u32 v2, vcc_lo, v68, v2
	v_add_co_ci_u32_e64 v3, null, v69, v3, vcc_lo
	flat_store_dwordx2 v[2:3], v[0:1]
	s_or_b32 exec_lo, exec_lo, s4
	s_and_b32 s5, s16, s19
	s_and_saveexec_b32 s4, s5
	s_cbranch_execz .LBB133_234
.LBB133_308:
	s_clause 0x1
	buffer_load_dword v0, off, s[0:3], 0 offset:368
	buffer_load_dword v1, off, s[0:3], 0 offset:372
	v_cmp_ne_u32_e32 vcc_lo, 1, v70
	v_lshlrev_b64 v[2:3], 3, v[28:29]
	s_cbranch_vccnz .LBB133_310
; %bb.309:
	v_add_co_u32 v4, vcc_lo, v71, v2
	v_add_co_ci_u32_e64 v5, null, v72, v3, vcc_lo
	flat_load_dwordx2 v[4:5], v[4:5]
	s_waitcnt vmcnt(0) lgkmcnt(0)
	v_mul_f64 v[4:5], s[38:39], v[4:5]
	s_branch .LBB133_311
.LBB133_310:
	v_mov_b32_e32 v4, 0
	v_mov_b32_e32 v5, 0
.LBB133_311:
	s_waitcnt vmcnt(0)
	v_add_f64 v[0:1], v[0:1], v[4:5]
	v_add_co_u32 v2, vcc_lo, v68, v2
	v_add_co_ci_u32_e64 v3, null, v69, v3, vcc_lo
	flat_store_dwordx2 v[2:3], v[0:1]
	s_or_b32 exec_lo, exec_lo, s4
	s_and_b32 s5, s16, s20
	s_and_saveexec_b32 s4, s5
	s_cbranch_execz .LBB133_235
.LBB133_312:
	s_clause 0x1
	buffer_load_dword v0, off, s[0:3], 0 offset:376
	buffer_load_dword v1, off, s[0:3], 0 offset:380
	v_cmp_ne_u32_e32 vcc_lo, 1, v70
	v_lshlrev_b64 v[2:3], 3, v[30:31]
	s_cbranch_vccnz .LBB133_314
; %bb.313:
	v_add_co_u32 v4, vcc_lo, v71, v2
	v_add_co_ci_u32_e64 v5, null, v72, v3, vcc_lo
	flat_load_dwordx2 v[4:5], v[4:5]
	s_waitcnt vmcnt(0) lgkmcnt(0)
	v_mul_f64 v[4:5], s[38:39], v[4:5]
	s_branch .LBB133_315
.LBB133_314:
	v_mov_b32_e32 v4, 0
	v_mov_b32_e32 v5, 0
.LBB133_315:
	s_waitcnt vmcnt(0)
	v_add_f64 v[0:1], v[0:1], v[4:5]
	v_add_co_u32 v2, vcc_lo, v68, v2
	v_add_co_ci_u32_e64 v3, null, v69, v3, vcc_lo
	flat_store_dwordx2 v[2:3], v[0:1]
	s_or_b32 exec_lo, exec_lo, s4
	s_and_b32 s5, s16, s21
	s_and_saveexec_b32 s4, s5
	s_cbranch_execz .LBB133_236
.LBB133_316:
	s_clause 0x1
	buffer_load_dword v0, off, s[0:3], 0 offset:384
	buffer_load_dword v1, off, s[0:3], 0 offset:388
	v_cmp_ne_u32_e32 vcc_lo, 1, v70
	v_lshlrev_b64 v[2:3], 3, v[32:33]
	s_cbranch_vccnz .LBB133_318
; %bb.317:
	v_add_co_u32 v4, vcc_lo, v71, v2
	v_add_co_ci_u32_e64 v5, null, v72, v3, vcc_lo
	flat_load_dwordx2 v[4:5], v[4:5]
	s_waitcnt vmcnt(0) lgkmcnt(0)
	v_mul_f64 v[4:5], s[38:39], v[4:5]
	s_branch .LBB133_319
.LBB133_318:
	v_mov_b32_e32 v4, 0
	v_mov_b32_e32 v5, 0
.LBB133_319:
	s_waitcnt vmcnt(0)
	v_add_f64 v[0:1], v[0:1], v[4:5]
	v_add_co_u32 v2, vcc_lo, v68, v2
	v_add_co_ci_u32_e64 v3, null, v69, v3, vcc_lo
	flat_store_dwordx2 v[2:3], v[0:1]
	s_or_b32 exec_lo, exec_lo, s4
	s_and_b32 s5, s16, s22
	s_and_saveexec_b32 s4, s5
	s_cbranch_execz .LBB133_237
.LBB133_320:
	s_clause 0x1
	buffer_load_dword v0, off, s[0:3], 0 offset:392
	buffer_load_dword v1, off, s[0:3], 0 offset:396
	v_cmp_ne_u32_e32 vcc_lo, 1, v70
	v_lshlrev_b64 v[2:3], 3, v[34:35]
	s_cbranch_vccnz .LBB133_322
; %bb.321:
	v_add_co_u32 v4, vcc_lo, v71, v2
	v_add_co_ci_u32_e64 v5, null, v72, v3, vcc_lo
	flat_load_dwordx2 v[4:5], v[4:5]
	s_waitcnt vmcnt(0) lgkmcnt(0)
	v_mul_f64 v[4:5], s[38:39], v[4:5]
	s_branch .LBB133_323
.LBB133_322:
	v_mov_b32_e32 v4, 0
	v_mov_b32_e32 v5, 0
.LBB133_323:
	s_waitcnt vmcnt(0)
	v_add_f64 v[0:1], v[0:1], v[4:5]
	v_add_co_u32 v2, vcc_lo, v68, v2
	v_add_co_ci_u32_e64 v3, null, v69, v3, vcc_lo
	flat_store_dwordx2 v[2:3], v[0:1]
	s_or_b32 exec_lo, exec_lo, s4
	s_and_b32 s5, s16, s23
	s_and_saveexec_b32 s4, s5
	s_cbranch_execz .LBB133_238
.LBB133_324:
	s_clause 0x1
	buffer_load_dword v0, off, s[0:3], 0 offset:400
	buffer_load_dword v1, off, s[0:3], 0 offset:404
	v_cmp_ne_u32_e32 vcc_lo, 1, v70
	v_lshlrev_b64 v[2:3], 3, v[36:37]
	s_cbranch_vccnz .LBB133_326
; %bb.325:
	v_add_co_u32 v4, vcc_lo, v71, v2
	v_add_co_ci_u32_e64 v5, null, v72, v3, vcc_lo
	flat_load_dwordx2 v[4:5], v[4:5]
	s_waitcnt vmcnt(0) lgkmcnt(0)
	v_mul_f64 v[4:5], s[38:39], v[4:5]
	s_branch .LBB133_327
.LBB133_326:
	v_mov_b32_e32 v4, 0
	v_mov_b32_e32 v5, 0
.LBB133_327:
	s_waitcnt vmcnt(0)
	v_add_f64 v[0:1], v[0:1], v[4:5]
	v_add_co_u32 v2, vcc_lo, v68, v2
	v_add_co_ci_u32_e64 v3, null, v69, v3, vcc_lo
	flat_store_dwordx2 v[2:3], v[0:1]
	s_or_b32 exec_lo, exec_lo, s4
	s_and_b32 s5, s16, s24
	s_and_saveexec_b32 s4, s5
	s_cbranch_execz .LBB133_239
.LBB133_328:
	s_clause 0x1
	buffer_load_dword v0, off, s[0:3], 0 offset:408
	buffer_load_dword v1, off, s[0:3], 0 offset:412
	v_cmp_ne_u32_e32 vcc_lo, 1, v70
	v_lshlrev_b64 v[2:3], 3, v[38:39]
	s_cbranch_vccnz .LBB133_330
; %bb.329:
	v_add_co_u32 v4, vcc_lo, v71, v2
	v_add_co_ci_u32_e64 v5, null, v72, v3, vcc_lo
	flat_load_dwordx2 v[4:5], v[4:5]
	s_waitcnt vmcnt(0) lgkmcnt(0)
	v_mul_f64 v[4:5], s[38:39], v[4:5]
	s_branch .LBB133_331
.LBB133_330:
	v_mov_b32_e32 v4, 0
	v_mov_b32_e32 v5, 0
.LBB133_331:
	s_waitcnt vmcnt(0)
	v_add_f64 v[0:1], v[0:1], v[4:5]
	v_add_co_u32 v2, vcc_lo, v68, v2
	v_add_co_ci_u32_e64 v3, null, v69, v3, vcc_lo
	flat_store_dwordx2 v[2:3], v[0:1]
	s_or_b32 exec_lo, exec_lo, s4
	s_and_b32 s5, s16, s25
	s_and_saveexec_b32 s4, s5
	s_cbranch_execz .LBB133_240
.LBB133_332:
	s_clause 0x1
	buffer_load_dword v0, off, s[0:3], 0 offset:416
	buffer_load_dword v1, off, s[0:3], 0 offset:420
	v_cmp_ne_u32_e32 vcc_lo, 1, v70
	v_lshlrev_b64 v[2:3], 3, v[40:41]
	s_cbranch_vccnz .LBB133_334
; %bb.333:
	v_add_co_u32 v4, vcc_lo, v71, v2
	v_add_co_ci_u32_e64 v5, null, v72, v3, vcc_lo
	flat_load_dwordx2 v[4:5], v[4:5]
	s_waitcnt vmcnt(0) lgkmcnt(0)
	v_mul_f64 v[4:5], s[38:39], v[4:5]
	s_branch .LBB133_335
.LBB133_334:
	v_mov_b32_e32 v4, 0
	v_mov_b32_e32 v5, 0
.LBB133_335:
	s_waitcnt vmcnt(0)
	v_add_f64 v[0:1], v[0:1], v[4:5]
	v_add_co_u32 v2, vcc_lo, v68, v2
	v_add_co_ci_u32_e64 v3, null, v69, v3, vcc_lo
	flat_store_dwordx2 v[2:3], v[0:1]
	s_or_b32 exec_lo, exec_lo, s4
	s_and_b32 s5, s16, s26
	s_and_saveexec_b32 s4, s5
	s_cbranch_execz .LBB133_241
.LBB133_336:
	s_clause 0x1
	buffer_load_dword v0, off, s[0:3], 0 offset:424
	buffer_load_dword v1, off, s[0:3], 0 offset:428
	v_cmp_ne_u32_e32 vcc_lo, 1, v70
	v_lshlrev_b64 v[2:3], 3, v[42:43]
	s_cbranch_vccnz .LBB133_338
; %bb.337:
	v_add_co_u32 v4, vcc_lo, v71, v2
	v_add_co_ci_u32_e64 v5, null, v72, v3, vcc_lo
	flat_load_dwordx2 v[4:5], v[4:5]
	s_waitcnt vmcnt(0) lgkmcnt(0)
	v_mul_f64 v[4:5], s[38:39], v[4:5]
	s_branch .LBB133_339
.LBB133_338:
	v_mov_b32_e32 v4, 0
	v_mov_b32_e32 v5, 0
.LBB133_339:
	s_waitcnt vmcnt(0)
	v_add_f64 v[0:1], v[0:1], v[4:5]
	v_add_co_u32 v2, vcc_lo, v68, v2
	v_add_co_ci_u32_e64 v3, null, v69, v3, vcc_lo
	flat_store_dwordx2 v[2:3], v[0:1]
	s_or_b32 exec_lo, exec_lo, s4
	s_and_b32 s5, s16, s27
	s_and_saveexec_b32 s4, s5
	s_cbranch_execz .LBB133_242
.LBB133_340:
	s_clause 0x1
	buffer_load_dword v0, off, s[0:3], 0 offset:432
	buffer_load_dword v1, off, s[0:3], 0 offset:436
	v_cmp_ne_u32_e32 vcc_lo, 1, v70
	v_lshlrev_b64 v[2:3], 3, v[44:45]
	s_cbranch_vccnz .LBB133_342
; %bb.341:
	v_add_co_u32 v4, vcc_lo, v71, v2
	v_add_co_ci_u32_e64 v5, null, v72, v3, vcc_lo
	flat_load_dwordx2 v[4:5], v[4:5]
	s_waitcnt vmcnt(0) lgkmcnt(0)
	v_mul_f64 v[4:5], s[38:39], v[4:5]
	s_branch .LBB133_343
.LBB133_342:
	v_mov_b32_e32 v4, 0
	v_mov_b32_e32 v5, 0
.LBB133_343:
	s_waitcnt vmcnt(0)
	v_add_f64 v[0:1], v[0:1], v[4:5]
	v_add_co_u32 v2, vcc_lo, v68, v2
	v_add_co_ci_u32_e64 v3, null, v69, v3, vcc_lo
	flat_store_dwordx2 v[2:3], v[0:1]
	s_or_b32 exec_lo, exec_lo, s4
	s_and_b32 s5, s16, s28
	s_and_saveexec_b32 s4, s5
	s_cbranch_execz .LBB133_243
.LBB133_344:
	s_clause 0x1
	buffer_load_dword v0, off, s[0:3], 0 offset:440
	buffer_load_dword v1, off, s[0:3], 0 offset:444
	v_cmp_ne_u32_e32 vcc_lo, 1, v70
	v_lshlrev_b64 v[2:3], 3, v[46:47]
	s_cbranch_vccnz .LBB133_346
; %bb.345:
	v_add_co_u32 v4, vcc_lo, v71, v2
	v_add_co_ci_u32_e64 v5, null, v72, v3, vcc_lo
	flat_load_dwordx2 v[4:5], v[4:5]
	s_waitcnt vmcnt(0) lgkmcnt(0)
	v_mul_f64 v[4:5], s[38:39], v[4:5]
	s_branch .LBB133_347
.LBB133_346:
	v_mov_b32_e32 v4, 0
	v_mov_b32_e32 v5, 0
.LBB133_347:
	s_waitcnt vmcnt(0)
	v_add_f64 v[0:1], v[0:1], v[4:5]
	v_add_co_u32 v2, vcc_lo, v68, v2
	v_add_co_ci_u32_e64 v3, null, v69, v3, vcc_lo
	flat_store_dwordx2 v[2:3], v[0:1]
	s_or_b32 exec_lo, exec_lo, s4
	s_and_b32 s5, s16, s29
	s_and_saveexec_b32 s4, s5
	s_cbranch_execz .LBB133_244
.LBB133_348:
	s_clause 0x1
	buffer_load_dword v0, off, s[0:3], 0 offset:448
	buffer_load_dword v1, off, s[0:3], 0 offset:452
	v_cmp_ne_u32_e32 vcc_lo, 1, v70
	v_lshlrev_b64 v[2:3], 3, v[48:49]
	s_cbranch_vccnz .LBB133_350
; %bb.349:
	v_add_co_u32 v4, vcc_lo, v71, v2
	v_add_co_ci_u32_e64 v5, null, v72, v3, vcc_lo
	flat_load_dwordx2 v[4:5], v[4:5]
	s_waitcnt vmcnt(0) lgkmcnt(0)
	v_mul_f64 v[4:5], s[38:39], v[4:5]
	s_branch .LBB133_351
.LBB133_350:
	v_mov_b32_e32 v4, 0
	v_mov_b32_e32 v5, 0
.LBB133_351:
	s_waitcnt vmcnt(0)
	v_add_f64 v[0:1], v[0:1], v[4:5]
	v_add_co_u32 v2, vcc_lo, v68, v2
	v_add_co_ci_u32_e64 v3, null, v69, v3, vcc_lo
	flat_store_dwordx2 v[2:3], v[0:1]
	s_or_b32 exec_lo, exec_lo, s4
	s_and_b32 s5, s16, s30
	s_and_saveexec_b32 s4, s5
	s_cbranch_execz .LBB133_245
.LBB133_352:
	s_clause 0x1
	buffer_load_dword v0, off, s[0:3], 0 offset:456
	buffer_load_dword v1, off, s[0:3], 0 offset:460
	v_cmp_ne_u32_e32 vcc_lo, 1, v70
	v_lshlrev_b64 v[2:3], 3, v[50:51]
	s_cbranch_vccnz .LBB133_354
; %bb.353:
	v_add_co_u32 v4, vcc_lo, v71, v2
	v_add_co_ci_u32_e64 v5, null, v72, v3, vcc_lo
	flat_load_dwordx2 v[4:5], v[4:5]
	s_waitcnt vmcnt(0) lgkmcnt(0)
	v_mul_f64 v[4:5], s[38:39], v[4:5]
	s_branch .LBB133_355
.LBB133_354:
	v_mov_b32_e32 v4, 0
	v_mov_b32_e32 v5, 0
.LBB133_355:
	s_waitcnt vmcnt(0)
	v_add_f64 v[0:1], v[0:1], v[4:5]
	v_add_co_u32 v2, vcc_lo, v68, v2
	v_add_co_ci_u32_e64 v3, null, v69, v3, vcc_lo
	flat_store_dwordx2 v[2:3], v[0:1]
	s_or_b32 exec_lo, exec_lo, s4
	s_and_b32 s5, s16, s31
	s_and_saveexec_b32 s4, s5
	s_cbranch_execz .LBB133_246
.LBB133_356:
	s_clause 0x1
	buffer_load_dword v0, off, s[0:3], 0 offset:464
	buffer_load_dword v1, off, s[0:3], 0 offset:468
	v_cmp_ne_u32_e32 vcc_lo, 1, v70
	v_lshlrev_b64 v[2:3], 3, v[52:53]
	s_cbranch_vccnz .LBB133_358
; %bb.357:
	v_add_co_u32 v4, vcc_lo, v71, v2
	v_add_co_ci_u32_e64 v5, null, v72, v3, vcc_lo
	flat_load_dwordx2 v[4:5], v[4:5]
	s_waitcnt vmcnt(0) lgkmcnt(0)
	v_mul_f64 v[4:5], s[38:39], v[4:5]
	s_branch .LBB133_359
.LBB133_358:
	v_mov_b32_e32 v4, 0
	v_mov_b32_e32 v5, 0
.LBB133_359:
	s_waitcnt vmcnt(0)
	v_add_f64 v[0:1], v[0:1], v[4:5]
	v_add_co_u32 v2, vcc_lo, v68, v2
	v_add_co_ci_u32_e64 v3, null, v69, v3, vcc_lo
	flat_store_dwordx2 v[2:3], v[0:1]
	s_or_b32 exec_lo, exec_lo, s4
	s_and_b32 s5, s16, s33
	s_and_saveexec_b32 s4, s5
	s_cbranch_execz .LBB133_247
.LBB133_360:
	s_clause 0x1
	buffer_load_dword v0, off, s[0:3], 0 offset:472
	buffer_load_dword v1, off, s[0:3], 0 offset:476
	v_cmp_ne_u32_e32 vcc_lo, 1, v70
	v_lshlrev_b64 v[2:3], 3, v[54:55]
	s_cbranch_vccnz .LBB133_362
; %bb.361:
	v_add_co_u32 v4, vcc_lo, v71, v2
	v_add_co_ci_u32_e64 v5, null, v72, v3, vcc_lo
	flat_load_dwordx2 v[4:5], v[4:5]
	s_waitcnt vmcnt(0) lgkmcnt(0)
	v_mul_f64 v[4:5], s[38:39], v[4:5]
	s_branch .LBB133_363
.LBB133_362:
	v_mov_b32_e32 v4, 0
	v_mov_b32_e32 v5, 0
.LBB133_363:
	s_waitcnt vmcnt(0)
	v_add_f64 v[0:1], v[0:1], v[4:5]
	v_add_co_u32 v2, vcc_lo, v68, v2
	v_add_co_ci_u32_e64 v3, null, v69, v3, vcc_lo
	flat_store_dwordx2 v[2:3], v[0:1]
	s_or_b32 exec_lo, exec_lo, s4
	s_and_b32 s5, s16, s34
	s_and_saveexec_b32 s4, s5
	s_cbranch_execz .LBB133_248
.LBB133_364:
	s_clause 0x1
	buffer_load_dword v0, off, s[0:3], 0 offset:480
	buffer_load_dword v1, off, s[0:3], 0 offset:484
	v_cmp_ne_u32_e32 vcc_lo, 1, v70
	v_lshlrev_b64 v[2:3], 3, v[56:57]
	s_cbranch_vccnz .LBB133_366
; %bb.365:
	v_add_co_u32 v4, vcc_lo, v71, v2
	v_add_co_ci_u32_e64 v5, null, v72, v3, vcc_lo
	flat_load_dwordx2 v[4:5], v[4:5]
	s_waitcnt vmcnt(0) lgkmcnt(0)
	v_mul_f64 v[4:5], s[38:39], v[4:5]
	s_branch .LBB133_367
.LBB133_366:
	v_mov_b32_e32 v4, 0
	v_mov_b32_e32 v5, 0
.LBB133_367:
	s_waitcnt vmcnt(0)
	v_add_f64 v[0:1], v[0:1], v[4:5]
	v_add_co_u32 v2, vcc_lo, v68, v2
	v_add_co_ci_u32_e64 v3, null, v69, v3, vcc_lo
	flat_store_dwordx2 v[2:3], v[0:1]
	s_or_b32 exec_lo, exec_lo, s4
	s_and_b32 s5, s16, s35
	s_and_saveexec_b32 s4, s5
	s_cbranch_execz .LBB133_249
.LBB133_368:
	s_clause 0x1
	buffer_load_dword v0, off, s[0:3], 0 offset:488
	buffer_load_dword v1, off, s[0:3], 0 offset:492
	v_cmp_ne_u32_e32 vcc_lo, 1, v70
	v_lshlrev_b64 v[2:3], 3, v[58:59]
	s_cbranch_vccnz .LBB133_370
; %bb.369:
	v_add_co_u32 v4, vcc_lo, v71, v2
	v_add_co_ci_u32_e64 v5, null, v72, v3, vcc_lo
	flat_load_dwordx2 v[4:5], v[4:5]
	s_waitcnt vmcnt(0) lgkmcnt(0)
	v_mul_f64 v[4:5], s[38:39], v[4:5]
	s_branch .LBB133_371
.LBB133_370:
	v_mov_b32_e32 v4, 0
	v_mov_b32_e32 v5, 0
.LBB133_371:
	s_waitcnt vmcnt(0)
	v_add_f64 v[0:1], v[0:1], v[4:5]
	v_add_co_u32 v2, vcc_lo, v68, v2
	v_add_co_ci_u32_e64 v3, null, v69, v3, vcc_lo
	flat_store_dwordx2 v[2:3], v[0:1]
	s_or_b32 exec_lo, exec_lo, s4
	s_and_b32 s5, s16, s36
	s_and_saveexec_b32 s4, s5
	s_cbranch_execz .LBB133_250
.LBB133_372:
	s_clause 0x1
	buffer_load_dword v0, off, s[0:3], 0 offset:496
	buffer_load_dword v1, off, s[0:3], 0 offset:500
	v_cmp_ne_u32_e32 vcc_lo, 1, v70
	v_lshlrev_b64 v[2:3], 3, v[60:61]
	s_cbranch_vccnz .LBB133_374
; %bb.373:
	v_add_co_u32 v4, vcc_lo, v71, v2
	v_add_co_ci_u32_e64 v5, null, v72, v3, vcc_lo
	flat_load_dwordx2 v[4:5], v[4:5]
	s_waitcnt vmcnt(0) lgkmcnt(0)
	v_mul_f64 v[4:5], s[38:39], v[4:5]
	s_branch .LBB133_375
.LBB133_374:
	v_mov_b32_e32 v4, 0
	v_mov_b32_e32 v5, 0
.LBB133_375:
	s_waitcnt vmcnt(0)
	v_add_f64 v[0:1], v[0:1], v[4:5]
	v_add_co_u32 v2, vcc_lo, v68, v2
	v_add_co_ci_u32_e64 v3, null, v69, v3, vcc_lo
	flat_store_dwordx2 v[2:3], v[0:1]
	s_or_b32 exec_lo, exec_lo, s4
	s_and_b32 s4, s16, s37
	s_and_saveexec_b32 s5, s4
	s_cbranch_execz .LBB133_251
.LBB133_376:
	s_clause 0x1
	buffer_load_dword v0, off, s[0:3], 0 offset:504
	buffer_load_dword v1, off, s[0:3], 0 offset:508
	v_cmp_ne_u32_e32 vcc_lo, 1, v70
	v_lshlrev_b64 v[2:3], 3, v[62:63]
	s_cbranch_vccnz .LBB133_378
; %bb.377:
	v_add_co_u32 v4, vcc_lo, v71, v2
	v_add_co_ci_u32_e64 v5, null, v72, v3, vcc_lo
	flat_load_dwordx2 v[4:5], v[4:5]
	s_waitcnt vmcnt(0) lgkmcnt(0)
	v_mul_f64 v[4:5], s[38:39], v[4:5]
	s_branch .LBB133_379
.LBB133_378:
	v_mov_b32_e32 v4, 0
	v_mov_b32_e32 v5, 0
.LBB133_379:
	s_waitcnt vmcnt(0)
	v_add_f64 v[0:1], v[0:1], v[4:5]
	v_add_co_u32 v2, vcc_lo, v68, v2
	v_add_co_ci_u32_e64 v3, null, v69, v3, vcc_lo
	flat_store_dwordx2 v[2:3], v[0:1]
	s_endpgm
	.section	.rodata,"a",@progbits
	.p2align	6, 0x0
	.amdhsa_kernel _ZN12_GLOBAL__N_120geam_min_plus_kernelIdddLi4ELi64ELi128ELi128ELi4ELi64ELi4ELi4ELi64ELc78ELc78ELb1ELb1ELb0EdKPKdKPdEEviiiT16_PT17_ilS8_ilS6_S8_ilPT18_ili26rocblas_geam_ex_operation_
		.amdhsa_group_segment_fixed_size 16384
		.amdhsa_private_segment_fixed_size 528
		.amdhsa_kernarg_size 136
		.amdhsa_user_sgpr_count 6
		.amdhsa_user_sgpr_private_segment_buffer 1
		.amdhsa_user_sgpr_dispatch_ptr 0
		.amdhsa_user_sgpr_queue_ptr 0
		.amdhsa_user_sgpr_kernarg_segment_ptr 1
		.amdhsa_user_sgpr_dispatch_id 0
		.amdhsa_user_sgpr_flat_scratch_init 0
		.amdhsa_user_sgpr_private_segment_size 0
		.amdhsa_wavefront_size32 1
		.amdhsa_uses_dynamic_stack 0
		.amdhsa_system_sgpr_private_segment_wavefront_offset 1
		.amdhsa_system_sgpr_workgroup_id_x 1
		.amdhsa_system_sgpr_workgroup_id_y 0
		.amdhsa_system_sgpr_workgroup_id_z 1
		.amdhsa_system_sgpr_workgroup_info 0
		.amdhsa_system_vgpr_workitem_id 1
		.amdhsa_next_free_vgpr 227
		.amdhsa_next_free_sgpr 50
		.amdhsa_reserve_vcc 1
		.amdhsa_reserve_flat_scratch 0
		.amdhsa_float_round_mode_32 0
		.amdhsa_float_round_mode_16_64 0
		.amdhsa_float_denorm_mode_32 3
		.amdhsa_float_denorm_mode_16_64 3
		.amdhsa_dx10_clamp 1
		.amdhsa_ieee_mode 1
		.amdhsa_fp16_overflow 0
		.amdhsa_workgroup_processor_mode 1
		.amdhsa_memory_ordered 1
		.amdhsa_forward_progress 1
		.amdhsa_shared_vgpr_count 0
		.amdhsa_exception_fp_ieee_invalid_op 0
		.amdhsa_exception_fp_denorm_src 0
		.amdhsa_exception_fp_ieee_div_zero 0
		.amdhsa_exception_fp_ieee_overflow 0
		.amdhsa_exception_fp_ieee_underflow 0
		.amdhsa_exception_fp_ieee_inexact 0
		.amdhsa_exception_int_div_zero 0
	.end_amdhsa_kernel
	.section	.text._ZN12_GLOBAL__N_120geam_min_plus_kernelIdddLi4ELi64ELi128ELi128ELi4ELi64ELi4ELi4ELi64ELc78ELc78ELb1ELb1ELb0EdKPKdKPdEEviiiT16_PT17_ilS8_ilS6_S8_ilPT18_ili26rocblas_geam_ex_operation_,"axG",@progbits,_ZN12_GLOBAL__N_120geam_min_plus_kernelIdddLi4ELi64ELi128ELi128ELi4ELi64ELi4ELi4ELi64ELc78ELc78ELb1ELb1ELb0EdKPKdKPdEEviiiT16_PT17_ilS8_ilS6_S8_ilPT18_ili26rocblas_geam_ex_operation_,comdat
.Lfunc_end133:
	.size	_ZN12_GLOBAL__N_120geam_min_plus_kernelIdddLi4ELi64ELi128ELi128ELi4ELi64ELi4ELi4ELi64ELc78ELc78ELb1ELb1ELb0EdKPKdKPdEEviiiT16_PT17_ilS8_ilS6_S8_ilPT18_ili26rocblas_geam_ex_operation_, .Lfunc_end133-_ZN12_GLOBAL__N_120geam_min_plus_kernelIdddLi4ELi64ELi128ELi128ELi4ELi64ELi4ELi4ELi64ELc78ELc78ELb1ELb1ELb0EdKPKdKPdEEviiiT16_PT17_ilS8_ilS6_S8_ilPT18_ili26rocblas_geam_ex_operation_
                                        ; -- End function
	.set _ZN12_GLOBAL__N_120geam_min_plus_kernelIdddLi4ELi64ELi128ELi128ELi4ELi64ELi4ELi4ELi64ELc78ELc78ELb1ELb1ELb0EdKPKdKPdEEviiiT16_PT17_ilS8_ilS6_S8_ilPT18_ili26rocblas_geam_ex_operation_.num_vgpr, 227
	.set _ZN12_GLOBAL__N_120geam_min_plus_kernelIdddLi4ELi64ELi128ELi128ELi4ELi64ELi4ELi4ELi64ELc78ELc78ELb1ELb1ELb0EdKPKdKPdEEviiiT16_PT17_ilS8_ilS6_S8_ilPT18_ili26rocblas_geam_ex_operation_.num_agpr, 0
	.set _ZN12_GLOBAL__N_120geam_min_plus_kernelIdddLi4ELi64ELi128ELi128ELi4ELi64ELi4ELi4ELi64ELc78ELc78ELb1ELb1ELb0EdKPKdKPdEEviiiT16_PT17_ilS8_ilS6_S8_ilPT18_ili26rocblas_geam_ex_operation_.numbered_sgpr, 50
	.set _ZN12_GLOBAL__N_120geam_min_plus_kernelIdddLi4ELi64ELi128ELi128ELi4ELi64ELi4ELi4ELi64ELc78ELc78ELb1ELb1ELb0EdKPKdKPdEEviiiT16_PT17_ilS8_ilS6_S8_ilPT18_ili26rocblas_geam_ex_operation_.num_named_barrier, 0
	.set _ZN12_GLOBAL__N_120geam_min_plus_kernelIdddLi4ELi64ELi128ELi128ELi4ELi64ELi4ELi4ELi64ELc78ELc78ELb1ELb1ELb0EdKPKdKPdEEviiiT16_PT17_ilS8_ilS6_S8_ilPT18_ili26rocblas_geam_ex_operation_.private_seg_size, 528
	.set _ZN12_GLOBAL__N_120geam_min_plus_kernelIdddLi4ELi64ELi128ELi128ELi4ELi64ELi4ELi4ELi64ELc78ELc78ELb1ELb1ELb0EdKPKdKPdEEviiiT16_PT17_ilS8_ilS6_S8_ilPT18_ili26rocblas_geam_ex_operation_.uses_vcc, 1
	.set _ZN12_GLOBAL__N_120geam_min_plus_kernelIdddLi4ELi64ELi128ELi128ELi4ELi64ELi4ELi4ELi64ELc78ELc78ELb1ELb1ELb0EdKPKdKPdEEviiiT16_PT17_ilS8_ilS6_S8_ilPT18_ili26rocblas_geam_ex_operation_.uses_flat_scratch, 0
	.set _ZN12_GLOBAL__N_120geam_min_plus_kernelIdddLi4ELi64ELi128ELi128ELi4ELi64ELi4ELi4ELi64ELc78ELc78ELb1ELb1ELb0EdKPKdKPdEEviiiT16_PT17_ilS8_ilS6_S8_ilPT18_ili26rocblas_geam_ex_operation_.has_dyn_sized_stack, 0
	.set _ZN12_GLOBAL__N_120geam_min_plus_kernelIdddLi4ELi64ELi128ELi128ELi4ELi64ELi4ELi4ELi64ELc78ELc78ELb1ELb1ELb0EdKPKdKPdEEviiiT16_PT17_ilS8_ilS6_S8_ilPT18_ili26rocblas_geam_ex_operation_.has_recursion, 0
	.set _ZN12_GLOBAL__N_120geam_min_plus_kernelIdddLi4ELi64ELi128ELi128ELi4ELi64ELi4ELi4ELi64ELc78ELc78ELb1ELb1ELb0EdKPKdKPdEEviiiT16_PT17_ilS8_ilS6_S8_ilPT18_ili26rocblas_geam_ex_operation_.has_indirect_call, 0
	.section	.AMDGPU.csdata,"",@progbits
; Kernel info:
; codeLenInByte = 21720
; TotalNumSgprs: 52
; NumVgprs: 227
; ScratchSize: 528
; MemoryBound: 0
; FloatMode: 240
; IeeeMode: 1
; LDSByteSize: 16384 bytes/workgroup (compile time only)
; SGPRBlocks: 0
; VGPRBlocks: 28
; NumSGPRsForWavesPerEU: 52
; NumVGPRsForWavesPerEU: 227
; Occupancy: 4
; WaveLimiterHint : 1
; COMPUTE_PGM_RSRC2:SCRATCH_EN: 1
; COMPUTE_PGM_RSRC2:USER_SGPR: 6
; COMPUTE_PGM_RSRC2:TRAP_HANDLER: 0
; COMPUTE_PGM_RSRC2:TGID_X_EN: 1
; COMPUTE_PGM_RSRC2:TGID_Y_EN: 0
; COMPUTE_PGM_RSRC2:TGID_Z_EN: 1
; COMPUTE_PGM_RSRC2:TIDIG_COMP_CNT: 1
	.section	.text._ZN12_GLOBAL__N_120geam_min_plus_kernelIdddLi4ELi64ELi128ELi128ELi4ELi64ELi4ELi4ELi64ELc78ELc78ELb0ELb1ELb0EdKPKdKPdEEviiiT16_PT17_ilS8_ilS6_S8_ilPT18_ili26rocblas_geam_ex_operation_,"axG",@progbits,_ZN12_GLOBAL__N_120geam_min_plus_kernelIdddLi4ELi64ELi128ELi128ELi4ELi64ELi4ELi4ELi64ELc78ELc78ELb0ELb1ELb0EdKPKdKPdEEviiiT16_PT17_ilS8_ilS6_S8_ilPT18_ili26rocblas_geam_ex_operation_,comdat
	.globl	_ZN12_GLOBAL__N_120geam_min_plus_kernelIdddLi4ELi64ELi128ELi128ELi4ELi64ELi4ELi4ELi64ELc78ELc78ELb0ELb1ELb0EdKPKdKPdEEviiiT16_PT17_ilS8_ilS6_S8_ilPT18_ili26rocblas_geam_ex_operation_ ; -- Begin function _ZN12_GLOBAL__N_120geam_min_plus_kernelIdddLi4ELi64ELi128ELi128ELi4ELi64ELi4ELi4ELi64ELc78ELc78ELb0ELb1ELb0EdKPKdKPdEEviiiT16_PT17_ilS8_ilS6_S8_ilPT18_ili26rocblas_geam_ex_operation_
	.p2align	8
	.type	_ZN12_GLOBAL__N_120geam_min_plus_kernelIdddLi4ELi64ELi128ELi128ELi4ELi64ELi4ELi4ELi64ELc78ELc78ELb0ELb1ELb0EdKPKdKPdEEviiiT16_PT17_ilS8_ilS6_S8_ilPT18_ili26rocblas_geam_ex_operation_,@function
_ZN12_GLOBAL__N_120geam_min_plus_kernelIdddLi4ELi64ELi128ELi128ELi4ELi64ELi4ELi4ELi64ELc78ELc78ELb0ELb1ELb0EdKPKdKPdEEviiiT16_PT17_ilS8_ilS6_S8_ilPT18_ili26rocblas_geam_ex_operation_: ; @_ZN12_GLOBAL__N_120geam_min_plus_kernelIdddLi4ELi64ELi128ELi128ELi4ELi64ELi4ELi4ELi64ELc78ELc78ELb0ELb1ELb0EdKPKdKPdEEviiiT16_PT17_ilS8_ilS6_S8_ilPT18_ili26rocblas_geam_ex_operation_
; %bb.0:
	s_add_u32 s0, s0, s8
	s_clause 0x1
	s_load_dwordx4 s[12:15], s[4:5], 0x10
	s_load_dwordx4 s[8:11], s[4:5], 0x28
	s_mov_b32 s20, s7
	s_addc_u32 s1, s1, 0
	s_mov_b64 s[16:17], 0
	s_waitcnt lgkmcnt(0)
	v_cmp_eq_f64_e64 s7, s[12:13], 0
	s_and_b32 vcc_lo, exec_lo, s7
	s_cbranch_vccnz .LBB134_2
; %bb.1:
	s_mov_b32 s21, 0
	s_lshl_b64 s[16:17], s[20:21], 3
	s_add_u32 s14, s14, s16
	s_addc_u32 s15, s15, s17
	s_lshl_b64 s[8:9], s[8:9], 3
	s_load_dwordx2 s[14:15], s[14:15], 0x0
	s_waitcnt lgkmcnt(0)
	s_add_u32 s16, s14, s8
	s_addc_u32 s17, s15, s9
.LBB134_2:
	s_clause 0x1
	s_load_dwordx4 s[36:39], s[4:5], 0x40
	s_load_dwordx2 s[14:15], s[4:5], 0x50
	s_andn2_b32 vcc_lo, exec_lo, s7
	s_mov_b32 s21, 0
	s_cbranch_vccnz .LBB134_4
; %bb.3:
	s_mov_b32 s7, s21
	s_mov_b64 s[44:45], 0
	s_andn2_b32 vcc_lo, exec_lo, s7
	s_mov_b64 s[18:19], 0
	s_cbranch_vccz .LBB134_5
	s_branch .LBB134_6
.LBB134_4:
	s_mov_b64 s[44:45], 0
	s_mov_b64 s[18:19], 0
.LBB134_5:
	s_lshl_b64 s[8:9], s[20:21], 3
	s_add_u32 s8, s10, s8
	s_addc_u32 s9, s11, s9
	s_waitcnt lgkmcnt(0)
	s_lshl_b64 s[10:11], s[36:37], 3
	s_load_dwordx2 s[8:9], s[8:9], 0x0
	s_waitcnt lgkmcnt(0)
	s_add_u32 s18, s8, s10
	s_addc_u32 s19, s9, s11
.LBB134_6:
	s_waitcnt lgkmcnt(0)
	v_cmp_eq_f64_e64 s7, s[38:39], 0
	v_cmp_neq_f64_e64 s46, s[38:39], 0
	s_load_dwordx4 s[8:11], s[4:5], 0x60
	s_and_b32 vcc_lo, exec_lo, s7
	s_cbranch_vccnz .LBB134_8
; %bb.7:
	s_lshl_b64 s[22:23], s[20:21], 3
	s_add_u32 s14, s14, s22
	s_addc_u32 s15, s15, s23
	s_waitcnt lgkmcnt(0)
	s_lshl_b64 s[8:9], s[8:9], 3
	s_load_dwordx2 s[14:15], s[14:15], 0x0
	s_waitcnt lgkmcnt(0)
	s_add_u32 s44, s14, s8
	s_addc_u32 s45, s15, s9
.LBB134_8:
	s_load_dwordx4 s[40:43], s[4:5], 0x0
	s_waitcnt lgkmcnt(0)
	s_lshl_b64 s[8:9], s[20:21], 3
	v_lshl_add_u32 v8, v1, 2, v0
	s_add_u32 s8, s10, s8
	s_addc_u32 s9, s11, s9
	s_load_dword s21, s[4:5], 0x20
	s_load_dwordx2 s[14:15], s[8:9], 0x0
	v_cmp_eq_f64_e64 s23, s[12:13], 0
	v_lshrrev_b32_e32 v84, 6, v8
	v_and_b32_e32 v20, 63, v8
	v_mov_b32_e32 v11, 0
	buffer_store_dword v11, off, s[0:3], 0 offset:4
	buffer_store_dword v11, off, s[0:3], 0
	buffer_store_dword v11, off, s[0:3], 0 offset:12
	buffer_store_dword v11, off, s[0:3], 0 offset:8
	buffer_store_dword v11, off, s[0:3], 0 offset:20
	buffer_store_dword v11, off, s[0:3], 0 offset:16
	buffer_store_dword v11, off, s[0:3], 0 offset:28
	buffer_store_dword v11, off, s[0:3], 0 offset:24
	buffer_store_dword v11, off, s[0:3], 0 offset:36
	buffer_store_dword v11, off, s[0:3], 0 offset:32
	buffer_store_dword v11, off, s[0:3], 0 offset:44
	buffer_store_dword v11, off, s[0:3], 0 offset:40
	buffer_store_dword v11, off, s[0:3], 0 offset:52
	buffer_store_dword v11, off, s[0:3], 0 offset:48
	buffer_store_dword v11, off, s[0:3], 0 offset:60
	s_add_i32 s7, s40, -1
	v_cmp_le_i32_e32 vcc_lo, s42, v84
	s_ashr_i32 s8, s7, 31
	buffer_store_dword v11, off, s[0:3], 0 offset:56
	s_lshr_b32 s8, s8, 25
	buffer_store_dword v11, off, s[0:3], 0 offset:68
	buffer_store_dword v11, off, s[0:3], 0 offset:64
	;; [unrolled: 1-line block ×4, first 2 shown]
	s_add_i32 s7, s7, s8
	buffer_store_dword v11, off, s[0:3], 0 offset:84
	buffer_store_dword v11, off, s[0:3], 0 offset:80
	;; [unrolled: 1-line block ×9, first 2 shown]
	s_ashr_i32 s7, s7, 7
	buffer_store_dword v11, off, s[0:3], 0 offset:112
	buffer_store_dword v11, off, s[0:3], 0 offset:124
	;; [unrolled: 1-line block ×4, first 2 shown]
	s_add_i32 s9, s7, 1
	s_not_b32 s7, s7
	v_cvt_f32_u32_e32 v2, s9
	buffer_store_dword v11, off, s[0:3], 0 offset:128
	buffer_store_dword v11, off, s[0:3], 0 offset:140
	;; [unrolled: 1-line block ×8, first 2 shown]
	v_rcp_iflag_f32_e32 v2, v2
	buffer_store_dword v11, off, s[0:3], 0 offset:160
	buffer_store_dword v11, off, s[0:3], 0 offset:172
	;; [unrolled: 1-line block ×9, first 2 shown]
	v_mul_f32_e32 v2, 0x4f7ffffe, v2
	buffer_store_dword v11, off, s[0:3], 0 offset:204
	buffer_store_dword v11, off, s[0:3], 0 offset:200
	;; [unrolled: 1-line block ×75, first 2 shown]
	v_cvt_u32_f32_e32 v2, v2
	buffer_store_dword v11, off, s[0:3], 0 offset:496
	buffer_store_dword v11, off, s[0:3], 0 offset:508
	;; [unrolled: 1-line block ×3, first 2 shown]
	v_readfirstlane_b32 s8, v2
	s_mul_i32 s7, s7, s8
	s_mul_hi_u32 s7, s8, s7
	s_add_i32 s8, s8, s7
	s_mul_hi_u32 s7, s6, s8
	s_mul_i32 s8, s7, s9
	s_add_i32 s10, s7, 1
	s_sub_i32 s8, s6, s8
	s_sub_i32 s11, s8, s9
	s_cmp_ge_u32 s8, s9
	s_cselect_b32 s7, s10, s7
	s_cselect_b32 s8, s11, s8
	s_add_i32 s10, s7, 1
	s_cmp_ge_u32 s8, s9
	s_cselect_b32 s8, s10, s7
	s_add_i32 s22, s42, -1
	s_mul_i32 s7, s8, s9
	v_min_i32_e32 v2, s22, v84
	s_sub_i32 s6, s6, s7
	s_lshl_b32 s11, s6, 7
	s_waitcnt lgkmcnt(0)
	v_mad_i64_i32 v[2:3], null, s21, v2, 0
	v_or_b32_e32 v6, s11, v20
	v_cmp_le_i32_e64 s6, s40, v6
	v_lshlrev_b64 v[4:5], 3, v[2:3]
	v_mov_b32_e32 v2, 0
	v_mov_b32_e32 v3, 0
	v_ashrrev_i32_e32 v7, 31, v6
	v_add_co_u32 v9, s7, s16, v4
	v_add_co_ci_u32_e64 v10, null, s17, v5, s7
	v_mov_b32_e32 v4, 0
	v_mov_b32_e32 v5, 0
	s_or_b32 s7, s6, vcc_lo
	s_nor_b32 s7, s23, s7
	s_and_saveexec_b32 s9, s7
	s_cbranch_execz .LBB134_10
; %bb.9:
	v_lshlrev_b64 v[4:5], 3, v[6:7]
	v_add_co_u32 v4, s7, v9, v4
	v_add_co_ci_u32_e64 v5, null, v10, v5, s7
	flat_load_dwordx2 v[4:5], v[4:5]
	s_waitcnt vmcnt(0) lgkmcnt(0)
	v_mul_f64 v[4:5], s[12:13], v[4:5]
.LBB134_10:
	s_or_b32 exec_lo, exec_lo, s9
	v_or_b32_e32 v11, 64, v6
	v_cmp_le_i32_e64 s7, s40, v11
	s_or_b32 s9, s7, vcc_lo
	s_nor_b32 s10, s23, s9
	s_and_saveexec_b32 s9, s10
	s_cbranch_execz .LBB134_12
; %bb.11:
	v_lshlrev_b64 v[2:3], 3, v[6:7]
	v_add_co_u32 v2, vcc_lo, v9, v2
	v_add_co_ci_u32_e64 v3, null, v10, v3, vcc_lo
	flat_load_dwordx2 v[2:3], v[2:3] offset:512
	s_waitcnt vmcnt(0) lgkmcnt(0)
	v_mul_f64 v[2:3], s[12:13], v[2:3]
.LBB134_12:
	s_or_b32 exec_lo, exec_lo, s9
	v_and_b32_e32 v85, 3, v0
	s_load_dword s24, s[4:5], 0x38
	v_lshrrev_b32_e32 v21, 2, v8
	s_lshl_b32 s20, s8, 7
	v_mov_b32_e32 v16, 0
	v_min_i32_e32 v9, s22, v85
	v_cmp_le_i32_e32 vcc_lo, s42, v85
	v_add_nc_u32_e32 v80, s20, v21
	v_mov_b32_e32 v18, 0
	v_mov_b32_e32 v17, 0
	v_ashrrev_i32_e32 v10, 31, v9
	v_mov_b32_e32 v19, 0
	v_cmp_le_i32_e64 s8, s41, v80
	v_lshlrev_b64 v[8:9], 3, v[9:10]
	v_add_co_u32 v8, s9, s18, v8
	v_add_co_ci_u32_e64 v9, null, s19, v9, s9
	s_or_b32 s9, vcc_lo, s8
	s_nor_b32 s9, s23, s9
	s_and_saveexec_b32 s10, s9
	s_cbranch_execz .LBB134_14
; %bb.13:
	s_waitcnt lgkmcnt(0)
	v_mad_i64_i32 v[10:11], null, v80, s24, 0
	v_lshlrev_b64 v[10:11], 3, v[10:11]
	v_add_co_u32 v10, s9, v8, v10
	v_add_co_ci_u32_e64 v11, null, v9, v11, s9
	flat_load_dwordx2 v[10:11], v[10:11]
	s_waitcnt vmcnt(0) lgkmcnt(0)
	v_mul_f64 v[18:19], s[12:13], v[10:11]
.LBB134_14:
	s_or_b32 exec_lo, exec_lo, s10
	v_add_nc_u32_e32 v81, 64, v80
	v_cmp_le_i32_e64 s9, s41, v81
	s_or_b32 s10, vcc_lo, s9
	s_nor_b32 s25, s23, s10
	s_and_saveexec_b32 s10, s25
	s_cbranch_execz .LBB134_16
; %bb.15:
	s_waitcnt lgkmcnt(0)
	v_mad_i64_i32 v[10:11], null, v81, s24, 0
	v_lshlrev_b64 v[10:11], 3, v[10:11]
	v_add_co_u32 v8, vcc_lo, v8, v10
	v_add_co_ci_u32_e64 v9, null, v9, v11, vcc_lo
	flat_load_dwordx2 v[8:9], v[8:9]
	s_waitcnt vmcnt(0) lgkmcnt(0)
	v_mul_f64 v[16:17], s[12:13], v[8:9]
.LBB134_16:
	s_or_b32 exec_lo, exec_lo, s10
	v_add_nc_u32_e32 v14, 4, v84
	v_mov_b32_e32 v10, 0
	v_mov_b32_e32 v11, 0
	v_min_i32_e32 v8, s22, v14
	v_cmp_le_i32_e32 vcc_lo, s42, v14
	v_mad_i64_i32 v[8:9], null, s21, v8, 0
	v_lshlrev_b64 v[12:13], 3, v[8:9]
	v_mov_b32_e32 v8, 0
	v_mov_b32_e32 v9, 0
	v_add_co_u32 v12, s10, s16, v12
	v_add_co_ci_u32_e64 v13, null, s17, v13, s10
	s_or_b32 s10, s6, vcc_lo
	s_nor_b32 s10, s23, s10
	s_and_saveexec_b32 s25, s10
	s_cbranch_execz .LBB134_18
; %bb.17:
	v_lshlrev_b64 v[10:11], 3, v[6:7]
	v_add_co_u32 v10, s10, v12, v10
	v_add_co_ci_u32_e64 v11, null, v13, v11, s10
	flat_load_dwordx2 v[10:11], v[10:11]
	s_waitcnt vmcnt(0) lgkmcnt(0)
	v_mul_f64 v[10:11], s[12:13], v[10:11]
.LBB134_18:
	s_or_b32 exec_lo, exec_lo, s25
	s_or_b32 s10, s7, vcc_lo
	s_nor_b32 s25, s23, s10
	s_and_saveexec_b32 s10, s25
	s_cbranch_execz .LBB134_20
; %bb.19:
	v_lshlrev_b64 v[8:9], 3, v[6:7]
	v_add_co_u32 v8, vcc_lo, v12, v8
	v_add_co_ci_u32_e64 v9, null, v13, v9, vcc_lo
	flat_load_dwordx2 v[8:9], v[8:9] offset:512
	s_waitcnt vmcnt(0) lgkmcnt(0)
	v_mul_f64 v[8:9], s[12:13], v[8:9]
.LBB134_20:
	s_or_b32 exec_lo, exec_lo, s10
	v_or_b32_e32 v24, 4, v85
	v_mov_b32_e32 v14, 0
	v_mov_b32_e32 v15, 0
	v_min_i32_e32 v12, s22, v24
	v_cmp_le_i32_e32 vcc_lo, s42, v24
	v_ashrrev_i32_e32 v13, 31, v12
	v_lshlrev_b64 v[22:23], 3, v[12:13]
	v_mov_b32_e32 v12, 0
	v_mov_b32_e32 v13, 0
	v_add_co_u32 v22, s10, s18, v22
	v_add_co_ci_u32_e64 v23, null, s19, v23, s10
	s_or_b32 s10, vcc_lo, s8
	s_nor_b32 s10, s23, s10
	s_and_saveexec_b32 s25, s10
	s_cbranch_execz .LBB134_22
; %bb.21:
	s_waitcnt lgkmcnt(0)
	v_mad_i64_i32 v[14:15], null, v80, s24, 0
	v_lshlrev_b64 v[14:15], 3, v[14:15]
	v_add_co_u32 v14, s10, v22, v14
	v_add_co_ci_u32_e64 v15, null, v23, v15, s10
	flat_load_dwordx2 v[14:15], v[14:15]
	s_waitcnt vmcnt(0) lgkmcnt(0)
	v_mul_f64 v[14:15], s[12:13], v[14:15]
.LBB134_22:
	s_or_b32 exec_lo, exec_lo, s25
	s_or_b32 s10, vcc_lo, s9
	s_nor_b32 s25, s23, s10
	s_and_saveexec_b32 s10, s25
	s_cbranch_execz .LBB134_24
; %bb.23:
	s_waitcnt lgkmcnt(0)
	v_mad_i64_i32 v[12:13], null, v81, s24, 0
	v_lshlrev_b64 v[12:13], 3, v[12:13]
	v_add_co_u32 v12, vcc_lo, v22, v12
	v_add_co_ci_u32_e64 v13, null, v23, v13, vcc_lo
	flat_load_dwordx2 v[12:13], v[12:13]
	s_waitcnt vmcnt(0) lgkmcnt(0)
	v_mul_f64 v[12:13], s[12:13], v[12:13]
.LBB134_24:
	s_or_b32 exec_lo, exec_lo, s10
	v_lshlrev_b32_e32 v22, 3, v85
	v_lshlrev_b32_e32 v20, 5, v20
	;; [unrolled: 1-line block ×3, first 2 shown]
	v_lshl_or_b32 v89, v1, 5, 0x2000
	s_mov_b32 s10, 0
	v_lshl_or_b32 v82, v21, 5, v22
	v_lshl_add_u32 v86, v84, 3, v20
	s_addk_i32 s10, 0x100
	s_mov_b32 s25, 0
	v_add_nc_u32_e32 v88, 0x2000, v82
	ds_write2st64_b64 v86, v[4:5], v[2:3] offset1:4
	ds_write2st64_b64 v82, v[18:19], v[16:17] offset0:16 offset1:20
	s_waitcnt lgkmcnt(0)
	s_waitcnt_vscnt null, 0x0
	s_barrier
	buffer_gl0_inv
.LBB134_25:                             ; =>This Loop Header: Depth=1
                                        ;     Child Loop BB134_26 Depth 2
	s_lshl_b32 s26, s25, 3
	s_mov_b32 s27, 0
	v_add_nc_u32_e32 v16, s26, v87
	v_add_nc_u32_e32 v83, s26, v89
	s_mov_b32 s26, -1
	ds_read2_b64 v[2:5], v16 offset1:16
	ds_read2_b64 v[20:23], v16 offset0:32 offset1:48
	ds_read2_b64 v[24:27], v16 offset0:64 offset1:80
	;; [unrolled: 1-line block ×4, first 2 shown]
	v_add_nc_u32_e32 v76, 0x800, v16
	ds_read2_b64 v[36:39], v16 offset0:160 offset1:176
	ds_read2_b64 v[40:43], v16 offset0:192 offset1:208
	;; [unrolled: 1-line block ×3, first 2 shown]
	ds_read2_b64 v[48:51], v76 offset1:16
	ds_read2_b64 v[52:55], v76 offset0:32 offset1:48
	ds_read2_b64 v[56:59], v76 offset0:64 offset1:80
	;; [unrolled: 1-line block ×6, first 2 shown]
	s_waitcnt lgkmcnt(9)
	v_max_f64 v[36:37], v[36:37], v[36:37]
	v_max_f64 v[38:39], v[38:39], v[38:39]
	;; [unrolled: 1-line block ×4, first 2 shown]
	ds_read2_b64 v[2:5], v76 offset0:224 offset1:240
	v_max_f64 v[20:21], v[20:21], v[20:21]
	v_max_f64 v[22:23], v[22:23], v[22:23]
	;; [unrolled: 1-line block ×8, first 2 shown]
	s_waitcnt lgkmcnt(9)
	v_max_f64 v[40:41], v[40:41], v[40:41]
	v_max_f64 v[42:43], v[42:43], v[42:43]
	s_waitcnt lgkmcnt(8)
	v_max_f64 v[44:45], v[44:45], v[44:45]
	v_max_f64 v[46:47], v[46:47], v[46:47]
	;; [unrolled: 3-line block ×10, first 2 shown]
	ds_read2st64_b64 v[2:5], v83 offset1:4
.LBB134_26:                             ;   Parent Loop BB134_25 Depth=1
                                        ; =>  This Inner Loop Header: Depth=2
	v_mov_b32_e32 v83, s27
	s_waitcnt lgkmcnt(0)
	v_max_f64 v[154:155], v[2:3], v[2:3]
	v_mov_b32_e32 v2, v4
	v_mov_b32_e32 v3, v5
	s_and_b32 vcc_lo, exec_lo, s26
	s_clause 0x3e
	buffer_load_dword v90, v83, s[0:3], 0 offen
	buffer_load_dword v91, v83, s[0:3], 0 offen offset:4
	buffer_load_dword v92, v83, s[0:3], 0 offen offset:8
	;; [unrolled: 1-line block ×63, first 2 shown]
	s_mov_b32 s26, 0
	s_mov_b32 s27, s10
	v_min_f64 v[156:157], v[16:17], v[154:155]
	v_min_f64 v[158:159], v[18:19], v[154:155]
	;; [unrolled: 1-line block ×32, first 2 shown]
	s_waitcnt vmcnt(62)
	v_add_f64 v[90:91], v[156:157], v[90:91]
	s_waitcnt vmcnt(60)
	v_add_f64 v[92:93], v[158:159], v[92:93]
	;; [unrolled: 2-line block ×32, first 2 shown]
	buffer_store_dword v90, v83, s[0:3], 0 offen
	buffer_store_dword v91, v83, s[0:3], 0 offen offset:4
	buffer_store_dword v92, v83, s[0:3], 0 offen offset:8
	;; [unrolled: 1-line block ×63, first 2 shown]
	s_cbranch_vccnz .LBB134_26
; %bb.27:                               ;   in Loop: Header=BB134_25 Depth=1
	s_add_i32 s25, s25, 1
	s_cmp_eq_u32 s25, 4
	s_cbranch_scc0 .LBB134_25
; %bb.28:
	v_lshl_add_u32 v90, v0, 5, 0x1000
	v_lshl_add_u32 v91, v1, 5, 0x3000
	s_cmp_lt_i32 s42, 9
	ds_write2st64_b64 v86, v[10:11], v[8:9] offset0:8 offset1:12
	ds_write2st64_b64 v82, v[14:15], v[12:13] offset0:24 offset1:28
	s_waitcnt lgkmcnt(0)
	s_waitcnt_vscnt null, 0x0
	s_barrier
	buffer_gl0_inv
	s_cbranch_scc1 .LBB134_55
; %bb.29:
	v_mad_i64_i32 v[2:3], null, v80, s24, 0
	v_mad_i64_i32 v[4:5], null, v81, s24, 0
	v_lshlrev_b64 v[70:71], 3, v[6:7]
	v_add_nc_u32_e32 v92, 0x1000, v86
	v_add_nc_u32_e32 v93, 0x3000, v82
	s_add_i32 s24, s42, -8
	v_lshlrev_b64 v[72:73], 3, v[2:3]
	s_or_b32 s25, s8, s23
	v_lshlrev_b64 v[74:75], 3, v[4:5]
	s_or_b32 s9, s9, s23
	s_mov_b32 s26, 8
	s_mov_b32 s27, 0
.LBB134_30:                             ; =>This Loop Header: Depth=1
                                        ;     Child Loop BB134_39 Depth 2
                                        ;       Child Loop BB134_40 Depth 3
                                        ;     Child Loop BB134_51 Depth 2
                                        ;       Child Loop BB134_52 Depth 3
	v_add_nc_u32_e32 v4, s26, v84
	v_mov_b32_e32 v6, 0
	v_mov_b32_e32 v8, 0
	v_mov_b32_e32 v7, 0
	v_mov_b32_e32 v9, 0
	v_min_i32_e32 v2, s22, v4
	v_cmp_le_i32_e32 vcc_lo, s42, v4
	v_mad_i64_i32 v[2:3], null, v2, s21, 0
	v_lshlrev_b64 v[2:3], 3, v[2:3]
	v_add_co_u32 v2, s8, s16, v2
	v_add_co_ci_u32_e64 v3, null, s17, v3, s8
	s_or_b32 s8, s6, vcc_lo
	s_nor_b32 s8, s23, s8
	s_and_saveexec_b32 s28, s8
	s_cbranch_execz .LBB134_32
; %bb.31:                               ;   in Loop: Header=BB134_30 Depth=1
	v_add_co_u32 v4, s8, v2, v70
	v_add_co_ci_u32_e64 v5, null, v3, v71, s8
	flat_load_dwordx2 v[4:5], v[4:5]
	s_waitcnt vmcnt(0) lgkmcnt(0)
	v_mul_f64 v[8:9], s[12:13], v[4:5]
.LBB134_32:                             ;   in Loop: Header=BB134_30 Depth=1
	s_or_b32 exec_lo, exec_lo, s28
	s_or_b32 s8, s7, vcc_lo
	s_nor_b32 s28, s23, s8
	s_and_saveexec_b32 s8, s28
	s_cbranch_execz .LBB134_34
; %bb.33:                               ;   in Loop: Header=BB134_30 Depth=1
	v_add_co_u32 v2, vcc_lo, v2, v70
	v_add_co_ci_u32_e64 v3, null, v3, v71, vcc_lo
	flat_load_dwordx2 v[2:3], v[2:3] offset:512
	s_waitcnt vmcnt(0) lgkmcnt(0)
	v_mul_f64 v[6:7], s[12:13], v[2:3]
.LBB134_34:                             ;   in Loop: Header=BB134_30 Depth=1
	s_or_b32 exec_lo, exec_lo, s8
	v_or_b32_e32 v94, s26, v85
	v_mov_b32_e32 v10, 0
	v_mov_b32_e32 v12, 0
	;; [unrolled: 1-line block ×4, first 2 shown]
	v_min_i32_e32 v2, s22, v94
	v_cmp_le_i32_e32 vcc_lo, s42, v94
	v_ashrrev_i32_e32 v3, 31, v2
	v_lshlrev_b64 v[2:3], 3, v[2:3]
	v_add_co_u32 v2, s8, s18, v2
	v_add_co_ci_u32_e64 v3, null, s19, v3, s8
	s_nor_b32 s8, vcc_lo, s25
	s_and_saveexec_b32 s28, s8
	s_cbranch_execz .LBB134_36
; %bb.35:                               ;   in Loop: Header=BB134_30 Depth=1
	v_add_co_u32 v4, s8, v2, v72
	v_add_co_ci_u32_e64 v5, null, v3, v73, s8
	flat_load_dwordx2 v[4:5], v[4:5]
	s_waitcnt vmcnt(0) lgkmcnt(0)
	v_mul_f64 v[12:13], s[12:13], v[4:5]
.LBB134_36:                             ;   in Loop: Header=BB134_30 Depth=1
	s_or_b32 exec_lo, exec_lo, s28
	s_nor_b32 s28, vcc_lo, s9
	s_and_saveexec_b32 s8, s28
	s_cbranch_execz .LBB134_38
; %bb.37:                               ;   in Loop: Header=BB134_30 Depth=1
	v_add_co_u32 v2, vcc_lo, v2, v74
	v_add_co_ci_u32_e64 v3, null, v3, v75, vcc_lo
	flat_load_dwordx2 v[2:3], v[2:3]
	s_waitcnt vmcnt(0) lgkmcnt(0)
	v_mul_f64 v[10:11], s[12:13], v[2:3]
.LBB134_38:                             ;   in Loop: Header=BB134_30 Depth=1
	s_or_b32 exec_lo, exec_lo, s8
	s_mov_b32 s8, 0
.LBB134_39:                             ;   Parent Loop BB134_30 Depth=1
                                        ; =>  This Loop Header: Depth=2
                                        ;       Child Loop BB134_40 Depth 3
	s_lshl_b32 s28, s8, 3
	s_mov_b32 s29, 0
	v_add_nc_u32_e32 v14, s28, v90
	v_add_nc_u32_e32 v95, s28, v91
	s_mov_b32 s28, -1
	ds_read2_b64 v[2:5], v14 offset1:16
	ds_read2_b64 v[18:21], v14 offset0:32 offset1:48
	ds_read2_b64 v[22:25], v14 offset0:64 offset1:80
	v_add_nc_u32_e32 v15, 0x800, v14
	ds_read2_b64 v[26:29], v14 offset0:96 offset1:112
	ds_read2_b64 v[30:33], v14 offset0:128 offset1:144
	;; [unrolled: 1-line block ×5, first 2 shown]
	ds_read2_b64 v[46:49], v15 offset1:16
	ds_read2_b64 v[50:53], v15 offset0:32 offset1:48
	ds_read2_b64 v[54:57], v15 offset0:64 offset1:80
	;; [unrolled: 1-line block ×7, first 2 shown]
	s_waitcnt lgkmcnt(11)
	v_max_f64 v[30:31], v[30:31], v[30:31]
	v_max_f64 v[32:33], v[32:33], v[32:33]
	s_waitcnt lgkmcnt(10)
	v_max_f64 v[34:35], v[34:35], v[34:35]
	v_max_f64 v[36:37], v[36:37], v[36:37]
	;; [unrolled: 3-line block ×3, first 2 shown]
	v_max_f64 v[14:15], v[2:3], v[2:3]
	v_max_f64 v[16:17], v[4:5], v[4:5]
	v_max_f64 v[18:19], v[18:19], v[18:19]
	v_max_f64 v[20:21], v[20:21], v[20:21]
	v_max_f64 v[22:23], v[22:23], v[22:23]
	v_max_f64 v[24:25], v[24:25], v[24:25]
	v_max_f64 v[26:27], v[26:27], v[26:27]
	v_max_f64 v[28:29], v[28:29], v[28:29]
	s_waitcnt lgkmcnt(8)
	v_max_f64 v[42:43], v[42:43], v[42:43]
	v_max_f64 v[44:45], v[44:45], v[44:45]
	s_waitcnt lgkmcnt(7)
	v_max_f64 v[46:47], v[46:47], v[46:47]
	v_max_f64 v[48:49], v[48:49], v[48:49]
	;; [unrolled: 3-line block ×9, first 2 shown]
	ds_read2st64_b64 v[2:5], v95 offset1:4
.LBB134_40:                             ;   Parent Loop BB134_30 Depth=1
                                        ;     Parent Loop BB134_39 Depth=2
                                        ; =>    This Inner Loop Header: Depth=3
	v_mov_b32_e32 v223, s29
	s_waitcnt lgkmcnt(0)
	v_max_f64 v[159:160], v[2:3], v[2:3]
	v_mov_b32_e32 v2, v4
	v_mov_b32_e32 v3, v5
	s_and_b32 vcc_lo, exec_lo, s28
	s_clause 0x3e
	buffer_load_dword v95, v223, s[0:3], 0 offen
	buffer_load_dword v96, v223, s[0:3], 0 offen offset:4
	buffer_load_dword v97, v223, s[0:3], 0 offen offset:8
	;; [unrolled: 1-line block ×63, first 2 shown]
	s_mov_b32 s28, 0
	s_mov_b32 s29, s10
	v_min_f64 v[161:162], v[14:15], v[159:160]
	v_min_f64 v[163:164], v[16:17], v[159:160]
	;; [unrolled: 1-line block ×32, first 2 shown]
	s_waitcnt vmcnt(62)
	v_add_f64 v[95:96], v[161:162], v[95:96]
	s_waitcnt vmcnt(60)
	v_add_f64 v[97:98], v[163:164], v[97:98]
	;; [unrolled: 2-line block ×32, first 2 shown]
	buffer_store_dword v95, v223, s[0:3], 0 offen
	buffer_store_dword v96, v223, s[0:3], 0 offen offset:4
	buffer_store_dword v97, v223, s[0:3], 0 offen offset:8
	;; [unrolled: 1-line block ×63, first 2 shown]
	s_cbranch_vccnz .LBB134_40
; %bb.41:                               ;   in Loop: Header=BB134_39 Depth=2
	s_add_i32 s8, s8, 1
	s_cmp_eq_u32 s8, 4
	s_cbranch_scc0 .LBB134_39
; %bb.42:                               ;   in Loop: Header=BB134_30 Depth=1
	v_add3_u32 v4, v84, s26, 4
	v_mov_b32_e32 v76, 0
	v_mov_b32_e32 v78, 0
	;; [unrolled: 1-line block ×4, first 2 shown]
	v_min_i32_e32 v2, s22, v4
	v_cmp_le_i32_e32 vcc_lo, s42, v4
	ds_write2st64_b64 v86, v[8:9], v[6:7] offset1:4
	ds_write2st64_b64 v88, v[12:13], v[10:11] offset1:4
	s_waitcnt lgkmcnt(0)
	s_waitcnt_vscnt null, 0x0
	s_barrier
	v_mad_i64_i32 v[2:3], null, v2, s21, 0
	buffer_gl0_inv
	v_lshlrev_b64 v[2:3], 3, v[2:3]
	v_add_co_u32 v2, s8, s16, v2
	v_add_co_ci_u32_e64 v3, null, s17, v3, s8
	s_or_b32 s8, s6, vcc_lo
	s_nor_b32 s8, s23, s8
	s_and_saveexec_b32 s28, s8
	s_cbranch_execz .LBB134_44
; %bb.43:                               ;   in Loop: Header=BB134_30 Depth=1
	v_add_co_u32 v4, s8, v2, v70
	v_add_co_ci_u32_e64 v5, null, v3, v71, s8
	flat_load_dwordx2 v[4:5], v[4:5]
	s_waitcnt vmcnt(0) lgkmcnt(0)
	v_mul_f64 v[78:79], s[12:13], v[4:5]
.LBB134_44:                             ;   in Loop: Header=BB134_30 Depth=1
	s_or_b32 exec_lo, exec_lo, s28
	s_or_b32 s8, s7, vcc_lo
	s_nor_b32 s28, s23, s8
	s_and_saveexec_b32 s8, s28
	s_cbranch_execz .LBB134_46
; %bb.45:                               ;   in Loop: Header=BB134_30 Depth=1
	v_add_co_u32 v2, vcc_lo, v2, v70
	v_add_co_ci_u32_e64 v3, null, v3, v71, vcc_lo
	flat_load_dwordx2 v[2:3], v[2:3] offset:512
	s_waitcnt vmcnt(0) lgkmcnt(0)
	v_mul_f64 v[76:77], s[12:13], v[2:3]
.LBB134_46:                             ;   in Loop: Header=BB134_30 Depth=1
	s_or_b32 exec_lo, exec_lo, s8
	v_or_b32_e32 v4, 4, v94
	v_mov_b32_e32 v80, 0
	v_mov_b32_e32 v82, 0
	;; [unrolled: 1-line block ×4, first 2 shown]
	v_min_i32_e32 v2, s22, v4
	v_cmp_le_i32_e32 vcc_lo, s42, v4
	v_ashrrev_i32_e32 v3, 31, v2
	v_lshlrev_b64 v[2:3], 3, v[2:3]
	v_add_co_u32 v2, s8, s18, v2
	v_add_co_ci_u32_e64 v3, null, s19, v3, s8
	s_nor_b32 s8, vcc_lo, s25
	s_and_saveexec_b32 s28, s8
	s_cbranch_execz .LBB134_48
; %bb.47:                               ;   in Loop: Header=BB134_30 Depth=1
	v_add_co_u32 v4, s8, v2, v72
	v_add_co_ci_u32_e64 v5, null, v3, v73, s8
	flat_load_dwordx2 v[4:5], v[4:5]
	s_waitcnt vmcnt(0) lgkmcnt(0)
	v_mul_f64 v[82:83], s[12:13], v[4:5]
.LBB134_48:                             ;   in Loop: Header=BB134_30 Depth=1
	s_or_b32 exec_lo, exec_lo, s28
	s_nor_b32 s28, vcc_lo, s9
	s_and_saveexec_b32 s8, s28
	s_cbranch_execz .LBB134_50
; %bb.49:                               ;   in Loop: Header=BB134_30 Depth=1
	v_add_co_u32 v2, vcc_lo, v2, v74
	v_add_co_ci_u32_e64 v3, null, v3, v75, vcc_lo
	flat_load_dwordx2 v[2:3], v[2:3]
	s_waitcnt vmcnt(0) lgkmcnt(0)
	v_mul_f64 v[80:81], s[12:13], v[2:3]
.LBB134_50:                             ;   in Loop: Header=BB134_30 Depth=1
	s_or_b32 exec_lo, exec_lo, s8
	s_mov_b32 s8, 0
.LBB134_51:                             ;   Parent Loop BB134_30 Depth=1
                                        ; =>  This Loop Header: Depth=2
                                        ;       Child Loop BB134_52 Depth 3
	s_lshl_b32 s28, s8, 3
	s_mov_b32 s29, 0
	v_add_nc_u32_e32 v30, s28, v87
	v_add_nc_u32_e32 v66, s28, v89
	s_mov_b32 s28, -1
	ds_read2_b64 v[2:5], v30 offset1:16
	ds_read2_b64 v[6:9], v30 offset0:32 offset1:48
	ds_read2_b64 v[10:13], v30 offset0:64 offset1:80
	;; [unrolled: 1-line block ×3, first 2 shown]
	v_add_nc_u32_e32 v62, 0x800, v30
	ds_read2_b64 v[18:21], v30 offset0:128 offset1:144
	ds_read2_b64 v[22:25], v30 offset0:160 offset1:176
	;; [unrolled: 1-line block ×4, first 2 shown]
	ds_read2_b64 v[34:37], v62 offset1:16
	ds_read2_b64 v[38:41], v62 offset0:32 offset1:48
	ds_read2_b64 v[42:45], v62 offset0:64 offset1:80
	;; [unrolled: 1-line block ×7, first 2 shown]
	ds_read2st64_b64 v[66:69], v66 offset1:4
.LBB134_52:                             ;   Parent Loop BB134_30 Depth=1
                                        ;     Parent Loop BB134_51 Depth=2
                                        ; =>    This Inner Loop Header: Depth=3
	v_mov_b32_e32 v94, s29
	s_waitcnt lgkmcnt(16)
	v_max_f64 v[159:160], v[2:3], v[2:3]
	s_waitcnt lgkmcnt(0)
	v_max_f64 v[161:162], v[66:67], v[66:67]
	v_max_f64 v[163:164], v[4:5], v[4:5]
	;; [unrolled: 1-line block ×3, first 2 shown]
	s_clause 0x3e
	buffer_load_dword v95, v94, s[0:3], 0 offen
	buffer_load_dword v96, v94, s[0:3], 0 offen offset:4
	buffer_load_dword v97, v94, s[0:3], 0 offen offset:8
	;; [unrolled: 1-line block ×63, first 2 shown]
	v_max_f64 v[167:168], v[8:9], v[8:9]
	v_max_f64 v[169:170], v[10:11], v[10:11]
	;; [unrolled: 1-line block ×29, first 2 shown]
	v_min_f64 v[159:160], v[159:160], v[161:162]
	v_min_f64 v[163:164], v[163:164], v[161:162]
	;; [unrolled: 1-line block ×32, first 2 shown]
	v_mov_b32_e32 v66, v68
	v_mov_b32_e32 v67, v69
	s_and_b32 vcc_lo, exec_lo, s28
	s_mov_b32 s28, 0
	s_mov_b32 s29, s10
	s_waitcnt vmcnt(62)
	v_add_f64 v[95:96], v[159:160], v[95:96]
	s_waitcnt vmcnt(60)
	v_add_f64 v[97:98], v[163:164], v[97:98]
	;; [unrolled: 2-line block ×32, first 2 shown]
	buffer_store_dword v95, v94, s[0:3], 0 offen
	buffer_store_dword v96, v94, s[0:3], 0 offen offset:4
	buffer_store_dword v97, v94, s[0:3], 0 offen offset:8
	;; [unrolled: 1-line block ×63, first 2 shown]
	s_cbranch_vccnz .LBB134_52
; %bb.53:                               ;   in Loop: Header=BB134_51 Depth=2
	s_add_i32 s8, s8, 1
	s_cmp_eq_u32 s8, 4
	s_cbranch_scc0 .LBB134_51
; %bb.54:                               ;   in Loop: Header=BB134_30 Depth=1
	s_add_i32 s27, s27, 8
	s_add_i32 s26, s26, 8
	s_cmp_ge_i32 s27, s24
	ds_write2st64_b64 v92, v[78:79], v[76:77] offset1:4
	ds_write2st64_b64 v93, v[82:83], v[80:81] offset1:4
	s_waitcnt lgkmcnt(0)
	s_waitcnt_vscnt null, 0x0
	s_barrier
	buffer_gl0_inv
	s_cbranch_scc0 .LBB134_30
.LBB134_55:
	s_mov_b32 s6, 0
.LBB134_56:                             ; =>This Loop Header: Depth=1
                                        ;     Child Loop BB134_57 Depth 2
	s_lshl_b32 s7, s6, 3
	s_mov_b32 s8, 0
	v_add_nc_u32_e32 v6, s7, v90
	v_add_nc_u32_e32 v70, s7, v91
	s_mov_b32 s7, -1
	ds_read2_b64 v[2:5], v6 offset1:16
	ds_read2_b64 v[10:13], v6 offset0:32 offset1:48
	ds_read2_b64 v[14:17], v6 offset0:64 offset1:80
	v_add_nc_u32_e32 v7, 0x800, v6
	ds_read2_b64 v[18:21], v6 offset0:96 offset1:112
	ds_read2_b64 v[22:25], v6 offset0:128 offset1:144
	;; [unrolled: 1-line block ×5, first 2 shown]
	ds_read2_b64 v[38:41], v7 offset1:16
	ds_read2_b64 v[42:45], v7 offset0:32 offset1:48
	ds_read2_b64 v[46:49], v7 offset0:64 offset1:80
	;; [unrolled: 1-line block ×7, first 2 shown]
	s_waitcnt lgkmcnt(11)
	v_max_f64 v[22:23], v[22:23], v[22:23]
	v_max_f64 v[24:25], v[24:25], v[24:25]
	s_waitcnt lgkmcnt(10)
	v_max_f64 v[26:27], v[26:27], v[26:27]
	v_max_f64 v[28:29], v[28:29], v[28:29]
	;; [unrolled: 3-line block ×3, first 2 shown]
	v_max_f64 v[6:7], v[2:3], v[2:3]
	v_max_f64 v[8:9], v[4:5], v[4:5]
	;; [unrolled: 1-line block ×8, first 2 shown]
	s_waitcnt lgkmcnt(8)
	v_max_f64 v[34:35], v[34:35], v[34:35]
	v_max_f64 v[36:37], v[36:37], v[36:37]
	s_waitcnt lgkmcnt(7)
	v_max_f64 v[38:39], v[38:39], v[38:39]
	v_max_f64 v[40:41], v[40:41], v[40:41]
	;; [unrolled: 3-line block ×9, first 2 shown]
	ds_read2st64_b64 v[2:5], v70 offset1:4
.LBB134_57:                             ;   Parent Loop BB134_56 Depth=1
                                        ; =>  This Inner Loop Header: Depth=2
	v_mov_b32_e32 v200, s8
	s_waitcnt lgkmcnt(0)
	v_max_f64 v[136:137], v[2:3], v[2:3]
	v_mov_b32_e32 v2, v4
	v_mov_b32_e32 v3, v5
	s_and_b32 vcc_lo, exec_lo, s7
	s_clause 0x3e
	buffer_load_dword v70, v200, s[0:3], 0 offen
	buffer_load_dword v71, v200, s[0:3], 0 offen offset:4
	buffer_load_dword v72, v200, s[0:3], 0 offen offset:8
	buffer_load_dword v73, v200, s[0:3], 0 offen offset:12
	buffer_load_dword v74, v200, s[0:3], 0 offen offset:16
	buffer_load_dword v75, v200, s[0:3], 0 offen offset:20
	buffer_load_dword v76, v200, s[0:3], 0 offen offset:24
	buffer_load_dword v77, v200, s[0:3], 0 offen offset:28
	buffer_load_dword v78, v200, s[0:3], 0 offen offset:32
	buffer_load_dword v79, v200, s[0:3], 0 offen offset:36
	buffer_load_dword v80, v200, s[0:3], 0 offen offset:40
	buffer_load_dword v81, v200, s[0:3], 0 offen offset:44
	buffer_load_dword v82, v200, s[0:3], 0 offen offset:48
	buffer_load_dword v83, v200, s[0:3], 0 offen offset:52
	buffer_load_dword v84, v200, s[0:3], 0 offen offset:56
	buffer_load_dword v85, v200, s[0:3], 0 offen offset:60
	buffer_load_dword v87, v200, s[0:3], 0 offen offset:68
	buffer_load_dword v88, v200, s[0:3], 0 offen offset:72
	buffer_load_dword v89, v200, s[0:3], 0 offen offset:76
	buffer_load_dword v92, v200, s[0:3], 0 offen offset:80
	buffer_load_dword v93, v200, s[0:3], 0 offen offset:84
	buffer_load_dword v94, v200, s[0:3], 0 offen offset:88
	buffer_load_dword v95, v200, s[0:3], 0 offen offset:92
	buffer_load_dword v86, v200, s[0:3], 0 offen offset:64
	buffer_load_dword v96, v200, s[0:3], 0 offen offset:96
	buffer_load_dword v97, v200, s[0:3], 0 offen offset:100
	buffer_load_dword v98, v200, s[0:3], 0 offen offset:104
	buffer_load_dword v99, v200, s[0:3], 0 offen offset:108
	buffer_load_dword v100, v200, s[0:3], 0 offen offset:112
	buffer_load_dword v101, v200, s[0:3], 0 offen offset:116
	buffer_load_dword v102, v200, s[0:3], 0 offen offset:120
	buffer_load_dword v103, v200, s[0:3], 0 offen offset:124
	buffer_load_dword v104, v200, s[0:3], 0 offen offset:128
	buffer_load_dword v105, v200, s[0:3], 0 offen offset:132
	buffer_load_dword v106, v200, s[0:3], 0 offen offset:136
	buffer_load_dword v107, v200, s[0:3], 0 offen offset:140
	buffer_load_dword v108, v200, s[0:3], 0 offen offset:144
	buffer_load_dword v109, v200, s[0:3], 0 offen offset:148
	buffer_load_dword v110, v200, s[0:3], 0 offen offset:152
	buffer_load_dword v111, v200, s[0:3], 0 offen offset:156
	buffer_load_dword v112, v200, s[0:3], 0 offen offset:160
	buffer_load_dword v113, v200, s[0:3], 0 offen offset:164
	buffer_load_dword v114, v200, s[0:3], 0 offen offset:168
	buffer_load_dword v115, v200, s[0:3], 0 offen offset:172
	buffer_load_dword v116, v200, s[0:3], 0 offen offset:176
	buffer_load_dword v117, v200, s[0:3], 0 offen offset:180
	buffer_load_dword v118, v200, s[0:3], 0 offen offset:184
	buffer_load_dword v119, v200, s[0:3], 0 offen offset:188
	buffer_load_dword v120, v200, s[0:3], 0 offen offset:192
	buffer_load_dword v121, v200, s[0:3], 0 offen offset:196
	buffer_load_dword v122, v200, s[0:3], 0 offen offset:200
	buffer_load_dword v123, v200, s[0:3], 0 offen offset:204
	buffer_load_dword v124, v200, s[0:3], 0 offen offset:208
	buffer_load_dword v125, v200, s[0:3], 0 offen offset:212
	buffer_load_dword v126, v200, s[0:3], 0 offen offset:216
	buffer_load_dword v127, v200, s[0:3], 0 offen offset:220
	buffer_load_dword v128, v200, s[0:3], 0 offen offset:224
	buffer_load_dword v129, v200, s[0:3], 0 offen offset:228
	buffer_load_dword v130, v200, s[0:3], 0 offen offset:232
	buffer_load_dword v131, v200, s[0:3], 0 offen offset:236
	buffer_load_dword v132, v200, s[0:3], 0 offen offset:240
	buffer_load_dword v133, v200, s[0:3], 0 offen offset:244
	buffer_load_dword v134, v200, s[0:3], 0 offen offset:248
	buffer_load_dword v135, v200, s[0:3], 0 offen offset:252
	s_mov_b32 s7, 0
	s_mov_b32 s8, s10
	v_min_f64 v[138:139], v[6:7], v[136:137]
	v_min_f64 v[140:141], v[8:9], v[136:137]
	;; [unrolled: 1-line block ×32, first 2 shown]
	s_waitcnt vmcnt(62)
	v_add_f64 v[70:71], v[138:139], v[70:71]
	s_waitcnt vmcnt(60)
	v_add_f64 v[72:73], v[140:141], v[72:73]
	;; [unrolled: 2-line block ×32, first 2 shown]
	buffer_store_dword v70, v200, s[0:3], 0 offen
	buffer_store_dword v71, v200, s[0:3], 0 offen offset:4
	buffer_store_dword v72, v200, s[0:3], 0 offen offset:8
	;; [unrolled: 1-line block ×63, first 2 shown]
	s_cbranch_vccnz .LBB134_57
; %bb.58:                               ;   in Loop: Header=BB134_56 Depth=1
	s_add_i32 s6, s6, 1
	s_cmp_eq_u32 s6, 4
	s_cbranch_scc0 .LBB134_56
; %bb.59:
	s_clause 0x2
	s_load_dword s43, s[4:5], 0x58
	s_load_dword s42, s[4:5], 0x70
	s_load_dwordx2 s[6:7], s[4:5], 0x78
	v_add_nc_u32_e32 v71, s20, v1
	v_add_nc_u32_e32 v0, s11, v0
	v_cndmask_b32_e64 v70, 0, 1, s46
	v_cmp_gt_i32_e64 s16, s41, v71
	v_cmp_gt_i32_e64 s4, s40, v0
	s_waitcnt lgkmcnt(0)
	v_mad_i64_i32 v[1:2], null, v71, s43, 0
	v_mad_i64_i32 v[3:4], null, v71, s42, 0
	s_lshl_b64 s[6:7], s[6:7], 3
	s_add_u32 s47, s14, s6
	s_addc_u32 s48, s15, s7
	v_lshlrev_b64 v[5:6], 3, v[1:2]
	v_ashrrev_i32_e32 v1, 31, v0
	v_lshlrev_b64 v[2:3], 3, v[3:4]
	s_and_b32 s6, s16, s4
	v_add_co_u32 v68, vcc_lo, s44, v5
	v_add_co_ci_u32_e64 v69, null, s45, v6, vcc_lo
	v_add_co_u32 v72, vcc_lo, s47, v2
	v_add_co_ci_u32_e64 v73, null, s48, v3, vcc_lo
	s_and_saveexec_b32 s5, s6
	s_cbranch_execz .LBB134_64
; %bb.60:
	s_clause 0x1
	buffer_load_dword v2, off, s[0:3], 0
	buffer_load_dword v3, off, s[0:3], 0 offset:4
	v_lshlrev_b64 v[4:5], 3, v[0:1]
	s_andn2_b32 vcc_lo, exec_lo, s46
	s_cbranch_vccnz .LBB134_62
; %bb.61:
	v_add_co_u32 v6, vcc_lo, v68, v4
	v_add_co_ci_u32_e64 v7, null, v69, v5, vcc_lo
	flat_load_dwordx2 v[6:7], v[6:7]
	s_waitcnt vmcnt(0) lgkmcnt(0)
	v_mul_f64 v[6:7], s[38:39], v[6:7]
	s_branch .LBB134_63
.LBB134_62:
	v_mov_b32_e32 v6, 0
	v_mov_b32_e32 v7, 0
.LBB134_63:
	s_waitcnt vmcnt(0)
	v_add_f64 v[2:3], v[2:3], v[6:7]
	v_add_co_u32 v4, vcc_lo, v72, v4
	v_add_co_ci_u32_e64 v5, null, v73, v5, vcc_lo
	flat_store_dwordx2 v[4:5], v[2:3]
.LBB134_64:
	s_or_b32 exec_lo, exec_lo, s5
	v_add_nc_u32_e32 v2, 4, v0
	v_cmp_gt_i32_e64 s5, s40, v2
	v_ashrrev_i32_e32 v3, 31, v2
	s_and_b32 s7, s16, s5
	s_and_saveexec_b32 s6, s7
	s_cbranch_execz .LBB134_69
; %bb.65:
	s_clause 0x1
	buffer_load_dword v4, off, s[0:3], 0 offset:8
	buffer_load_dword v5, off, s[0:3], 0 offset:12
	v_lshlrev_b64 v[6:7], 3, v[2:3]
	s_andn2_b32 vcc_lo, exec_lo, s46
	s_cbranch_vccnz .LBB134_67
; %bb.66:
	v_add_co_u32 v8, vcc_lo, v68, v6
	v_add_co_ci_u32_e64 v9, null, v69, v7, vcc_lo
	flat_load_dwordx2 v[8:9], v[8:9]
	s_waitcnt vmcnt(0) lgkmcnt(0)
	v_mul_f64 v[8:9], s[38:39], v[8:9]
	s_branch .LBB134_68
.LBB134_67:
	v_mov_b32_e32 v8, 0
	v_mov_b32_e32 v9, 0
.LBB134_68:
	s_waitcnt vmcnt(0)
	v_add_f64 v[4:5], v[4:5], v[8:9]
	v_add_co_u32 v6, vcc_lo, v72, v6
	v_add_co_ci_u32_e64 v7, null, v73, v7, vcc_lo
	flat_store_dwordx2 v[6:7], v[4:5]
.LBB134_69:
	s_or_b32 exec_lo, exec_lo, s6
	v_add_nc_u32_e32 v4, 8, v0
	v_cmp_gt_i32_e64 s6, s40, v4
	v_ashrrev_i32_e32 v5, 31, v4
	s_and_b32 s8, s16, s6
	s_and_saveexec_b32 s7, s8
	s_cbranch_execz .LBB134_74
; %bb.70:
	s_clause 0x1
	buffer_load_dword v6, off, s[0:3], 0 offset:16
	buffer_load_dword v7, off, s[0:3], 0 offset:20
	v_lshlrev_b64 v[8:9], 3, v[4:5]
	s_andn2_b32 vcc_lo, exec_lo, s46
	s_cbranch_vccnz .LBB134_72
; %bb.71:
	v_add_co_u32 v10, vcc_lo, v68, v8
	v_add_co_ci_u32_e64 v11, null, v69, v9, vcc_lo
	flat_load_dwordx2 v[10:11], v[10:11]
	s_waitcnt vmcnt(0) lgkmcnt(0)
	v_mul_f64 v[10:11], s[38:39], v[10:11]
	s_branch .LBB134_73
.LBB134_72:
	v_mov_b32_e32 v10, 0
	v_mov_b32_e32 v11, 0
.LBB134_73:
	s_waitcnt vmcnt(0)
	v_add_f64 v[6:7], v[6:7], v[10:11]
	v_add_co_u32 v8, vcc_lo, v72, v8
	v_add_co_ci_u32_e64 v9, null, v73, v9, vcc_lo
	flat_store_dwordx2 v[8:9], v[6:7]
.LBB134_74:
	;; [unrolled: 31-line block ×31, first 2 shown]
	s_or_b32 exec_lo, exec_lo, s16
	v_add_nc_u32_e32 v68, 64, v71
	v_mad_i64_i32 v[64:65], null, v68, s43, 0
	v_mad_i64_i32 v[66:67], null, v68, s42, 0
	v_cmp_gt_i32_e64 s16, s41, v68
	v_lshlrev_b64 v[64:65], 3, v[64:65]
	s_and_b32 s4, s16, s4
	v_lshlrev_b64 v[66:67], 3, v[66:67]
	v_add_co_u32 v71, vcc_lo, s44, v64
	v_add_co_ci_u32_e64 v72, null, s45, v65, vcc_lo
	v_add_co_u32 v68, vcc_lo, s47, v66
	v_add_co_ci_u32_e64 v69, null, s48, v67, vcc_lo
	s_and_saveexec_b32 s40, s4
	s_xor_b32 s4, exec_lo, s40
	s_cbranch_execnz .LBB134_252
; %bb.220:
	s_or_b32 exec_lo, exec_lo, s4
	s_and_b32 s5, s16, s5
	s_and_saveexec_b32 s4, s5
	s_cbranch_execnz .LBB134_256
.LBB134_221:
	s_or_b32 exec_lo, exec_lo, s4
	s_and_b32 s5, s16, s6
	s_and_saveexec_b32 s4, s5
	s_cbranch_execnz .LBB134_260
.LBB134_222:
	s_or_b32 exec_lo, exec_lo, s4
	s_and_b32 s5, s16, s7
	s_and_saveexec_b32 s4, s5
	s_cbranch_execnz .LBB134_264
.LBB134_223:
	s_or_b32 exec_lo, exec_lo, s4
	s_and_b32 s5, s16, s8
	s_and_saveexec_b32 s4, s5
	s_cbranch_execnz .LBB134_268
.LBB134_224:
	s_or_b32 exec_lo, exec_lo, s4
	s_and_b32 s5, s16, s9
	s_and_saveexec_b32 s4, s5
	s_cbranch_execnz .LBB134_272
.LBB134_225:
	s_or_b32 exec_lo, exec_lo, s4
	s_and_b32 s5, s16, s10
	s_and_saveexec_b32 s4, s5
	s_cbranch_execnz .LBB134_276
.LBB134_226:
	s_or_b32 exec_lo, exec_lo, s4
	s_and_b32 s5, s16, s11
	s_and_saveexec_b32 s4, s5
	s_cbranch_execnz .LBB134_280
.LBB134_227:
	s_or_b32 exec_lo, exec_lo, s4
	s_and_b32 s5, s16, s12
	s_and_saveexec_b32 s4, s5
	s_cbranch_execnz .LBB134_284
.LBB134_228:
	s_or_b32 exec_lo, exec_lo, s4
	s_and_b32 s5, s16, s13
	s_and_saveexec_b32 s4, s5
	s_cbranch_execnz .LBB134_288
.LBB134_229:
	s_or_b32 exec_lo, exec_lo, s4
	s_and_b32 s5, s16, s14
	s_and_saveexec_b32 s4, s5
	s_cbranch_execnz .LBB134_292
.LBB134_230:
	s_or_b32 exec_lo, exec_lo, s4
	s_and_b32 s5, s16, s15
	s_and_saveexec_b32 s4, s5
	s_cbranch_execnz .LBB134_296
.LBB134_231:
	s_or_b32 exec_lo, exec_lo, s4
	s_and_b32 s5, s16, s17
	s_and_saveexec_b32 s4, s5
	s_cbranch_execnz .LBB134_300
.LBB134_232:
	s_or_b32 exec_lo, exec_lo, s4
	s_and_b32 s5, s16, s18
	s_and_saveexec_b32 s4, s5
	s_cbranch_execnz .LBB134_304
.LBB134_233:
	s_or_b32 exec_lo, exec_lo, s4
	s_and_b32 s5, s16, s19
	s_and_saveexec_b32 s4, s5
	s_cbranch_execnz .LBB134_308
.LBB134_234:
	s_or_b32 exec_lo, exec_lo, s4
	s_and_b32 s5, s16, s20
	s_and_saveexec_b32 s4, s5
	s_cbranch_execnz .LBB134_312
.LBB134_235:
	s_or_b32 exec_lo, exec_lo, s4
	s_and_b32 s5, s16, s21
	s_and_saveexec_b32 s4, s5
	s_cbranch_execnz .LBB134_316
.LBB134_236:
	s_or_b32 exec_lo, exec_lo, s4
	s_and_b32 s5, s16, s22
	s_and_saveexec_b32 s4, s5
	s_cbranch_execnz .LBB134_320
.LBB134_237:
	s_or_b32 exec_lo, exec_lo, s4
	s_and_b32 s5, s16, s23
	s_and_saveexec_b32 s4, s5
	s_cbranch_execnz .LBB134_324
.LBB134_238:
	s_or_b32 exec_lo, exec_lo, s4
	s_and_b32 s5, s16, s24
	s_and_saveexec_b32 s4, s5
	s_cbranch_execnz .LBB134_328
.LBB134_239:
	s_or_b32 exec_lo, exec_lo, s4
	s_and_b32 s5, s16, s25
	s_and_saveexec_b32 s4, s5
	s_cbranch_execnz .LBB134_332
.LBB134_240:
	s_or_b32 exec_lo, exec_lo, s4
	s_and_b32 s5, s16, s26
	s_and_saveexec_b32 s4, s5
	s_cbranch_execnz .LBB134_336
.LBB134_241:
	s_or_b32 exec_lo, exec_lo, s4
	s_and_b32 s5, s16, s27
	s_and_saveexec_b32 s4, s5
	s_cbranch_execnz .LBB134_340
.LBB134_242:
	s_or_b32 exec_lo, exec_lo, s4
	s_and_b32 s5, s16, s28
	s_and_saveexec_b32 s4, s5
	s_cbranch_execnz .LBB134_344
.LBB134_243:
	s_or_b32 exec_lo, exec_lo, s4
	s_and_b32 s5, s16, s29
	s_and_saveexec_b32 s4, s5
	s_cbranch_execnz .LBB134_348
.LBB134_244:
	s_or_b32 exec_lo, exec_lo, s4
	s_and_b32 s5, s16, s30
	s_and_saveexec_b32 s4, s5
	s_cbranch_execnz .LBB134_352
.LBB134_245:
	s_or_b32 exec_lo, exec_lo, s4
	s_and_b32 s5, s16, s31
	s_and_saveexec_b32 s4, s5
	s_cbranch_execnz .LBB134_356
.LBB134_246:
	s_or_b32 exec_lo, exec_lo, s4
	s_and_b32 s5, s16, s33
	s_and_saveexec_b32 s4, s5
	s_cbranch_execnz .LBB134_360
.LBB134_247:
	s_or_b32 exec_lo, exec_lo, s4
	s_and_b32 s5, s16, s34
	s_and_saveexec_b32 s4, s5
	s_cbranch_execnz .LBB134_364
.LBB134_248:
	s_or_b32 exec_lo, exec_lo, s4
	s_and_b32 s5, s16, s35
	s_and_saveexec_b32 s4, s5
	s_cbranch_execnz .LBB134_368
.LBB134_249:
	s_or_b32 exec_lo, exec_lo, s4
	s_and_b32 s5, s16, s36
	s_and_saveexec_b32 s4, s5
	s_cbranch_execnz .LBB134_372
.LBB134_250:
	s_or_b32 exec_lo, exec_lo, s4
	s_and_b32 s4, s16, s37
	s_and_saveexec_b32 s5, s4
	s_cbranch_execnz .LBB134_376
.LBB134_251:
	s_endpgm
.LBB134_252:
	s_clause 0x1
	buffer_load_dword v64, off, s[0:3], 0 offset:256
	buffer_load_dword v65, off, s[0:3], 0 offset:260
	v_lshlrev_b64 v[0:1], 3, v[0:1]
	s_andn2_b32 vcc_lo, exec_lo, s46
	s_cbranch_vccnz .LBB134_254
; %bb.253:
	v_add_co_u32 v66, vcc_lo, v71, v0
	v_add_co_ci_u32_e64 v67, null, v72, v1, vcc_lo
	flat_load_dwordx2 v[66:67], v[66:67]
	s_waitcnt vmcnt(0) lgkmcnt(0)
	v_mul_f64 v[66:67], s[38:39], v[66:67]
	s_branch .LBB134_255
.LBB134_254:
	v_mov_b32_e32 v66, 0
	v_mov_b32_e32 v67, 0
.LBB134_255:
	s_waitcnt vmcnt(0)
	v_add_f64 v[64:65], v[64:65], v[66:67]
	v_add_co_u32 v0, vcc_lo, v68, v0
	v_add_co_ci_u32_e64 v1, null, v69, v1, vcc_lo
	flat_store_dwordx2 v[0:1], v[64:65]
	s_or_b32 exec_lo, exec_lo, s4
	s_and_b32 s5, s16, s5
	s_and_saveexec_b32 s4, s5
	s_cbranch_execz .LBB134_221
.LBB134_256:
	s_clause 0x1
	buffer_load_dword v0, off, s[0:3], 0 offset:264
	buffer_load_dword v1, off, s[0:3], 0 offset:268
	v_cmp_ne_u32_e32 vcc_lo, 1, v70
	v_lshlrev_b64 v[2:3], 3, v[2:3]
	s_cbranch_vccnz .LBB134_258
; %bb.257:
	v_add_co_u32 v64, vcc_lo, v71, v2
	v_add_co_ci_u32_e64 v65, null, v72, v3, vcc_lo
	flat_load_dwordx2 v[64:65], v[64:65]
	s_waitcnt vmcnt(0) lgkmcnt(0)
	v_mul_f64 v[64:65], s[38:39], v[64:65]
	s_branch .LBB134_259
.LBB134_258:
	v_mov_b32_e32 v64, 0
	v_mov_b32_e32 v65, 0
.LBB134_259:
	s_waitcnt vmcnt(0)
	v_add_f64 v[0:1], v[0:1], v[64:65]
	v_add_co_u32 v2, vcc_lo, v68, v2
	v_add_co_ci_u32_e64 v3, null, v69, v3, vcc_lo
	flat_store_dwordx2 v[2:3], v[0:1]
	s_or_b32 exec_lo, exec_lo, s4
	s_and_b32 s5, s16, s6
	s_and_saveexec_b32 s4, s5
	s_cbranch_execz .LBB134_222
.LBB134_260:
	s_clause 0x1
	buffer_load_dword v0, off, s[0:3], 0 offset:272
	buffer_load_dword v1, off, s[0:3], 0 offset:276
	v_cmp_ne_u32_e32 vcc_lo, 1, v70
	v_lshlrev_b64 v[2:3], 3, v[4:5]
	s_cbranch_vccnz .LBB134_262
; %bb.261:
	v_add_co_u32 v4, vcc_lo, v71, v2
	v_add_co_ci_u32_e64 v5, null, v72, v3, vcc_lo
	flat_load_dwordx2 v[4:5], v[4:5]
	s_waitcnt vmcnt(0) lgkmcnt(0)
	v_mul_f64 v[4:5], s[38:39], v[4:5]
	s_branch .LBB134_263
.LBB134_262:
	v_mov_b32_e32 v4, 0
	v_mov_b32_e32 v5, 0
.LBB134_263:
	s_waitcnt vmcnt(0)
	v_add_f64 v[0:1], v[0:1], v[4:5]
	v_add_co_u32 v2, vcc_lo, v68, v2
	v_add_co_ci_u32_e64 v3, null, v69, v3, vcc_lo
	flat_store_dwordx2 v[2:3], v[0:1]
	s_or_b32 exec_lo, exec_lo, s4
	s_and_b32 s5, s16, s7
	s_and_saveexec_b32 s4, s5
	s_cbranch_execz .LBB134_223
.LBB134_264:
	s_clause 0x1
	buffer_load_dword v0, off, s[0:3], 0 offset:280
	buffer_load_dword v1, off, s[0:3], 0 offset:284
	v_cmp_ne_u32_e32 vcc_lo, 1, v70
	v_lshlrev_b64 v[2:3], 3, v[6:7]
	s_cbranch_vccnz .LBB134_266
; %bb.265:
	v_add_co_u32 v4, vcc_lo, v71, v2
	v_add_co_ci_u32_e64 v5, null, v72, v3, vcc_lo
	flat_load_dwordx2 v[4:5], v[4:5]
	s_waitcnt vmcnt(0) lgkmcnt(0)
	v_mul_f64 v[4:5], s[38:39], v[4:5]
	s_branch .LBB134_267
.LBB134_266:
	v_mov_b32_e32 v4, 0
	v_mov_b32_e32 v5, 0
.LBB134_267:
	s_waitcnt vmcnt(0)
	v_add_f64 v[0:1], v[0:1], v[4:5]
	v_add_co_u32 v2, vcc_lo, v68, v2
	v_add_co_ci_u32_e64 v3, null, v69, v3, vcc_lo
	flat_store_dwordx2 v[2:3], v[0:1]
	s_or_b32 exec_lo, exec_lo, s4
	s_and_b32 s5, s16, s8
	s_and_saveexec_b32 s4, s5
	s_cbranch_execz .LBB134_224
.LBB134_268:
	s_clause 0x1
	buffer_load_dword v0, off, s[0:3], 0 offset:288
	buffer_load_dword v1, off, s[0:3], 0 offset:292
	v_cmp_ne_u32_e32 vcc_lo, 1, v70
	v_lshlrev_b64 v[2:3], 3, v[8:9]
	s_cbranch_vccnz .LBB134_270
; %bb.269:
	v_add_co_u32 v4, vcc_lo, v71, v2
	v_add_co_ci_u32_e64 v5, null, v72, v3, vcc_lo
	flat_load_dwordx2 v[4:5], v[4:5]
	s_waitcnt vmcnt(0) lgkmcnt(0)
	v_mul_f64 v[4:5], s[38:39], v[4:5]
	s_branch .LBB134_271
.LBB134_270:
	v_mov_b32_e32 v4, 0
	v_mov_b32_e32 v5, 0
.LBB134_271:
	s_waitcnt vmcnt(0)
	v_add_f64 v[0:1], v[0:1], v[4:5]
	v_add_co_u32 v2, vcc_lo, v68, v2
	v_add_co_ci_u32_e64 v3, null, v69, v3, vcc_lo
	flat_store_dwordx2 v[2:3], v[0:1]
	s_or_b32 exec_lo, exec_lo, s4
	s_and_b32 s5, s16, s9
	s_and_saveexec_b32 s4, s5
	s_cbranch_execz .LBB134_225
.LBB134_272:
	s_clause 0x1
	buffer_load_dword v0, off, s[0:3], 0 offset:296
	buffer_load_dword v1, off, s[0:3], 0 offset:300
	v_cmp_ne_u32_e32 vcc_lo, 1, v70
	v_lshlrev_b64 v[2:3], 3, v[10:11]
	s_cbranch_vccnz .LBB134_274
; %bb.273:
	v_add_co_u32 v4, vcc_lo, v71, v2
	v_add_co_ci_u32_e64 v5, null, v72, v3, vcc_lo
	flat_load_dwordx2 v[4:5], v[4:5]
	s_waitcnt vmcnt(0) lgkmcnt(0)
	v_mul_f64 v[4:5], s[38:39], v[4:5]
	s_branch .LBB134_275
.LBB134_274:
	v_mov_b32_e32 v4, 0
	v_mov_b32_e32 v5, 0
.LBB134_275:
	s_waitcnt vmcnt(0)
	v_add_f64 v[0:1], v[0:1], v[4:5]
	v_add_co_u32 v2, vcc_lo, v68, v2
	v_add_co_ci_u32_e64 v3, null, v69, v3, vcc_lo
	flat_store_dwordx2 v[2:3], v[0:1]
	s_or_b32 exec_lo, exec_lo, s4
	s_and_b32 s5, s16, s10
	s_and_saveexec_b32 s4, s5
	s_cbranch_execz .LBB134_226
.LBB134_276:
	s_clause 0x1
	buffer_load_dword v0, off, s[0:3], 0 offset:304
	buffer_load_dword v1, off, s[0:3], 0 offset:308
	v_cmp_ne_u32_e32 vcc_lo, 1, v70
	v_lshlrev_b64 v[2:3], 3, v[12:13]
	s_cbranch_vccnz .LBB134_278
; %bb.277:
	v_add_co_u32 v4, vcc_lo, v71, v2
	v_add_co_ci_u32_e64 v5, null, v72, v3, vcc_lo
	flat_load_dwordx2 v[4:5], v[4:5]
	s_waitcnt vmcnt(0) lgkmcnt(0)
	v_mul_f64 v[4:5], s[38:39], v[4:5]
	s_branch .LBB134_279
.LBB134_278:
	v_mov_b32_e32 v4, 0
	v_mov_b32_e32 v5, 0
.LBB134_279:
	s_waitcnt vmcnt(0)
	v_add_f64 v[0:1], v[0:1], v[4:5]
	v_add_co_u32 v2, vcc_lo, v68, v2
	v_add_co_ci_u32_e64 v3, null, v69, v3, vcc_lo
	flat_store_dwordx2 v[2:3], v[0:1]
	s_or_b32 exec_lo, exec_lo, s4
	s_and_b32 s5, s16, s11
	s_and_saveexec_b32 s4, s5
	s_cbranch_execz .LBB134_227
.LBB134_280:
	s_clause 0x1
	buffer_load_dword v0, off, s[0:3], 0 offset:312
	buffer_load_dword v1, off, s[0:3], 0 offset:316
	v_cmp_ne_u32_e32 vcc_lo, 1, v70
	v_lshlrev_b64 v[2:3], 3, v[14:15]
	s_cbranch_vccnz .LBB134_282
; %bb.281:
	v_add_co_u32 v4, vcc_lo, v71, v2
	v_add_co_ci_u32_e64 v5, null, v72, v3, vcc_lo
	flat_load_dwordx2 v[4:5], v[4:5]
	s_waitcnt vmcnt(0) lgkmcnt(0)
	v_mul_f64 v[4:5], s[38:39], v[4:5]
	s_branch .LBB134_283
.LBB134_282:
	v_mov_b32_e32 v4, 0
	v_mov_b32_e32 v5, 0
.LBB134_283:
	s_waitcnt vmcnt(0)
	v_add_f64 v[0:1], v[0:1], v[4:5]
	v_add_co_u32 v2, vcc_lo, v68, v2
	v_add_co_ci_u32_e64 v3, null, v69, v3, vcc_lo
	flat_store_dwordx2 v[2:3], v[0:1]
	s_or_b32 exec_lo, exec_lo, s4
	s_and_b32 s5, s16, s12
	s_and_saveexec_b32 s4, s5
	s_cbranch_execz .LBB134_228
.LBB134_284:
	s_clause 0x1
	buffer_load_dword v0, off, s[0:3], 0 offset:320
	buffer_load_dword v1, off, s[0:3], 0 offset:324
	v_cmp_ne_u32_e32 vcc_lo, 1, v70
	v_lshlrev_b64 v[2:3], 3, v[16:17]
	s_cbranch_vccnz .LBB134_286
; %bb.285:
	v_add_co_u32 v4, vcc_lo, v71, v2
	v_add_co_ci_u32_e64 v5, null, v72, v3, vcc_lo
	flat_load_dwordx2 v[4:5], v[4:5]
	s_waitcnt vmcnt(0) lgkmcnt(0)
	v_mul_f64 v[4:5], s[38:39], v[4:5]
	s_branch .LBB134_287
.LBB134_286:
	v_mov_b32_e32 v4, 0
	v_mov_b32_e32 v5, 0
.LBB134_287:
	s_waitcnt vmcnt(0)
	v_add_f64 v[0:1], v[0:1], v[4:5]
	v_add_co_u32 v2, vcc_lo, v68, v2
	v_add_co_ci_u32_e64 v3, null, v69, v3, vcc_lo
	flat_store_dwordx2 v[2:3], v[0:1]
	s_or_b32 exec_lo, exec_lo, s4
	s_and_b32 s5, s16, s13
	s_and_saveexec_b32 s4, s5
	s_cbranch_execz .LBB134_229
.LBB134_288:
	s_clause 0x1
	buffer_load_dword v0, off, s[0:3], 0 offset:328
	buffer_load_dword v1, off, s[0:3], 0 offset:332
	v_cmp_ne_u32_e32 vcc_lo, 1, v70
	v_lshlrev_b64 v[2:3], 3, v[18:19]
	s_cbranch_vccnz .LBB134_290
; %bb.289:
	v_add_co_u32 v4, vcc_lo, v71, v2
	v_add_co_ci_u32_e64 v5, null, v72, v3, vcc_lo
	flat_load_dwordx2 v[4:5], v[4:5]
	s_waitcnt vmcnt(0) lgkmcnt(0)
	v_mul_f64 v[4:5], s[38:39], v[4:5]
	s_branch .LBB134_291
.LBB134_290:
	v_mov_b32_e32 v4, 0
	v_mov_b32_e32 v5, 0
.LBB134_291:
	s_waitcnt vmcnt(0)
	v_add_f64 v[0:1], v[0:1], v[4:5]
	v_add_co_u32 v2, vcc_lo, v68, v2
	v_add_co_ci_u32_e64 v3, null, v69, v3, vcc_lo
	flat_store_dwordx2 v[2:3], v[0:1]
	s_or_b32 exec_lo, exec_lo, s4
	s_and_b32 s5, s16, s14
	s_and_saveexec_b32 s4, s5
	s_cbranch_execz .LBB134_230
.LBB134_292:
	s_clause 0x1
	buffer_load_dword v0, off, s[0:3], 0 offset:336
	buffer_load_dword v1, off, s[0:3], 0 offset:340
	v_cmp_ne_u32_e32 vcc_lo, 1, v70
	v_lshlrev_b64 v[2:3], 3, v[20:21]
	s_cbranch_vccnz .LBB134_294
; %bb.293:
	v_add_co_u32 v4, vcc_lo, v71, v2
	v_add_co_ci_u32_e64 v5, null, v72, v3, vcc_lo
	flat_load_dwordx2 v[4:5], v[4:5]
	s_waitcnt vmcnt(0) lgkmcnt(0)
	v_mul_f64 v[4:5], s[38:39], v[4:5]
	s_branch .LBB134_295
.LBB134_294:
	v_mov_b32_e32 v4, 0
	v_mov_b32_e32 v5, 0
.LBB134_295:
	s_waitcnt vmcnt(0)
	v_add_f64 v[0:1], v[0:1], v[4:5]
	v_add_co_u32 v2, vcc_lo, v68, v2
	v_add_co_ci_u32_e64 v3, null, v69, v3, vcc_lo
	flat_store_dwordx2 v[2:3], v[0:1]
	s_or_b32 exec_lo, exec_lo, s4
	s_and_b32 s5, s16, s15
	s_and_saveexec_b32 s4, s5
	s_cbranch_execz .LBB134_231
.LBB134_296:
	s_clause 0x1
	buffer_load_dword v0, off, s[0:3], 0 offset:344
	buffer_load_dword v1, off, s[0:3], 0 offset:348
	v_cmp_ne_u32_e32 vcc_lo, 1, v70
	v_lshlrev_b64 v[2:3], 3, v[22:23]
	s_cbranch_vccnz .LBB134_298
; %bb.297:
	v_add_co_u32 v4, vcc_lo, v71, v2
	v_add_co_ci_u32_e64 v5, null, v72, v3, vcc_lo
	flat_load_dwordx2 v[4:5], v[4:5]
	s_waitcnt vmcnt(0) lgkmcnt(0)
	v_mul_f64 v[4:5], s[38:39], v[4:5]
	s_branch .LBB134_299
.LBB134_298:
	v_mov_b32_e32 v4, 0
	v_mov_b32_e32 v5, 0
.LBB134_299:
	s_waitcnt vmcnt(0)
	v_add_f64 v[0:1], v[0:1], v[4:5]
	v_add_co_u32 v2, vcc_lo, v68, v2
	v_add_co_ci_u32_e64 v3, null, v69, v3, vcc_lo
	flat_store_dwordx2 v[2:3], v[0:1]
	s_or_b32 exec_lo, exec_lo, s4
	s_and_b32 s5, s16, s17
	s_and_saveexec_b32 s4, s5
	s_cbranch_execz .LBB134_232
.LBB134_300:
	s_clause 0x1
	buffer_load_dword v0, off, s[0:3], 0 offset:352
	buffer_load_dword v1, off, s[0:3], 0 offset:356
	v_cmp_ne_u32_e32 vcc_lo, 1, v70
	v_lshlrev_b64 v[2:3], 3, v[24:25]
	s_cbranch_vccnz .LBB134_302
; %bb.301:
	v_add_co_u32 v4, vcc_lo, v71, v2
	v_add_co_ci_u32_e64 v5, null, v72, v3, vcc_lo
	flat_load_dwordx2 v[4:5], v[4:5]
	s_waitcnt vmcnt(0) lgkmcnt(0)
	v_mul_f64 v[4:5], s[38:39], v[4:5]
	s_branch .LBB134_303
.LBB134_302:
	v_mov_b32_e32 v4, 0
	v_mov_b32_e32 v5, 0
.LBB134_303:
	s_waitcnt vmcnt(0)
	v_add_f64 v[0:1], v[0:1], v[4:5]
	v_add_co_u32 v2, vcc_lo, v68, v2
	v_add_co_ci_u32_e64 v3, null, v69, v3, vcc_lo
	flat_store_dwordx2 v[2:3], v[0:1]
	s_or_b32 exec_lo, exec_lo, s4
	s_and_b32 s5, s16, s18
	s_and_saveexec_b32 s4, s5
	s_cbranch_execz .LBB134_233
.LBB134_304:
	s_clause 0x1
	buffer_load_dword v0, off, s[0:3], 0 offset:360
	buffer_load_dword v1, off, s[0:3], 0 offset:364
	v_cmp_ne_u32_e32 vcc_lo, 1, v70
	v_lshlrev_b64 v[2:3], 3, v[26:27]
	s_cbranch_vccnz .LBB134_306
; %bb.305:
	v_add_co_u32 v4, vcc_lo, v71, v2
	v_add_co_ci_u32_e64 v5, null, v72, v3, vcc_lo
	flat_load_dwordx2 v[4:5], v[4:5]
	s_waitcnt vmcnt(0) lgkmcnt(0)
	v_mul_f64 v[4:5], s[38:39], v[4:5]
	s_branch .LBB134_307
.LBB134_306:
	v_mov_b32_e32 v4, 0
	v_mov_b32_e32 v5, 0
.LBB134_307:
	s_waitcnt vmcnt(0)
	v_add_f64 v[0:1], v[0:1], v[4:5]
	v_add_co_u32 v2, vcc_lo, v68, v2
	v_add_co_ci_u32_e64 v3, null, v69, v3, vcc_lo
	flat_store_dwordx2 v[2:3], v[0:1]
	s_or_b32 exec_lo, exec_lo, s4
	s_and_b32 s5, s16, s19
	s_and_saveexec_b32 s4, s5
	s_cbranch_execz .LBB134_234
.LBB134_308:
	s_clause 0x1
	buffer_load_dword v0, off, s[0:3], 0 offset:368
	buffer_load_dword v1, off, s[0:3], 0 offset:372
	v_cmp_ne_u32_e32 vcc_lo, 1, v70
	v_lshlrev_b64 v[2:3], 3, v[28:29]
	s_cbranch_vccnz .LBB134_310
; %bb.309:
	v_add_co_u32 v4, vcc_lo, v71, v2
	v_add_co_ci_u32_e64 v5, null, v72, v3, vcc_lo
	flat_load_dwordx2 v[4:5], v[4:5]
	s_waitcnt vmcnt(0) lgkmcnt(0)
	v_mul_f64 v[4:5], s[38:39], v[4:5]
	s_branch .LBB134_311
.LBB134_310:
	v_mov_b32_e32 v4, 0
	v_mov_b32_e32 v5, 0
.LBB134_311:
	s_waitcnt vmcnt(0)
	v_add_f64 v[0:1], v[0:1], v[4:5]
	v_add_co_u32 v2, vcc_lo, v68, v2
	v_add_co_ci_u32_e64 v3, null, v69, v3, vcc_lo
	flat_store_dwordx2 v[2:3], v[0:1]
	s_or_b32 exec_lo, exec_lo, s4
	s_and_b32 s5, s16, s20
	s_and_saveexec_b32 s4, s5
	s_cbranch_execz .LBB134_235
.LBB134_312:
	s_clause 0x1
	buffer_load_dword v0, off, s[0:3], 0 offset:376
	buffer_load_dword v1, off, s[0:3], 0 offset:380
	v_cmp_ne_u32_e32 vcc_lo, 1, v70
	v_lshlrev_b64 v[2:3], 3, v[30:31]
	s_cbranch_vccnz .LBB134_314
; %bb.313:
	v_add_co_u32 v4, vcc_lo, v71, v2
	v_add_co_ci_u32_e64 v5, null, v72, v3, vcc_lo
	flat_load_dwordx2 v[4:5], v[4:5]
	s_waitcnt vmcnt(0) lgkmcnt(0)
	v_mul_f64 v[4:5], s[38:39], v[4:5]
	s_branch .LBB134_315
.LBB134_314:
	v_mov_b32_e32 v4, 0
	v_mov_b32_e32 v5, 0
.LBB134_315:
	s_waitcnt vmcnt(0)
	v_add_f64 v[0:1], v[0:1], v[4:5]
	v_add_co_u32 v2, vcc_lo, v68, v2
	v_add_co_ci_u32_e64 v3, null, v69, v3, vcc_lo
	flat_store_dwordx2 v[2:3], v[0:1]
	s_or_b32 exec_lo, exec_lo, s4
	s_and_b32 s5, s16, s21
	s_and_saveexec_b32 s4, s5
	s_cbranch_execz .LBB134_236
.LBB134_316:
	s_clause 0x1
	buffer_load_dword v0, off, s[0:3], 0 offset:384
	buffer_load_dword v1, off, s[0:3], 0 offset:388
	v_cmp_ne_u32_e32 vcc_lo, 1, v70
	v_lshlrev_b64 v[2:3], 3, v[32:33]
	s_cbranch_vccnz .LBB134_318
; %bb.317:
	v_add_co_u32 v4, vcc_lo, v71, v2
	v_add_co_ci_u32_e64 v5, null, v72, v3, vcc_lo
	flat_load_dwordx2 v[4:5], v[4:5]
	s_waitcnt vmcnt(0) lgkmcnt(0)
	v_mul_f64 v[4:5], s[38:39], v[4:5]
	s_branch .LBB134_319
.LBB134_318:
	v_mov_b32_e32 v4, 0
	v_mov_b32_e32 v5, 0
.LBB134_319:
	s_waitcnt vmcnt(0)
	v_add_f64 v[0:1], v[0:1], v[4:5]
	v_add_co_u32 v2, vcc_lo, v68, v2
	v_add_co_ci_u32_e64 v3, null, v69, v3, vcc_lo
	flat_store_dwordx2 v[2:3], v[0:1]
	s_or_b32 exec_lo, exec_lo, s4
	s_and_b32 s5, s16, s22
	s_and_saveexec_b32 s4, s5
	s_cbranch_execz .LBB134_237
.LBB134_320:
	s_clause 0x1
	buffer_load_dword v0, off, s[0:3], 0 offset:392
	buffer_load_dword v1, off, s[0:3], 0 offset:396
	v_cmp_ne_u32_e32 vcc_lo, 1, v70
	v_lshlrev_b64 v[2:3], 3, v[34:35]
	s_cbranch_vccnz .LBB134_322
; %bb.321:
	v_add_co_u32 v4, vcc_lo, v71, v2
	v_add_co_ci_u32_e64 v5, null, v72, v3, vcc_lo
	flat_load_dwordx2 v[4:5], v[4:5]
	s_waitcnt vmcnt(0) lgkmcnt(0)
	v_mul_f64 v[4:5], s[38:39], v[4:5]
	s_branch .LBB134_323
.LBB134_322:
	v_mov_b32_e32 v4, 0
	v_mov_b32_e32 v5, 0
.LBB134_323:
	s_waitcnt vmcnt(0)
	v_add_f64 v[0:1], v[0:1], v[4:5]
	v_add_co_u32 v2, vcc_lo, v68, v2
	v_add_co_ci_u32_e64 v3, null, v69, v3, vcc_lo
	flat_store_dwordx2 v[2:3], v[0:1]
	s_or_b32 exec_lo, exec_lo, s4
	s_and_b32 s5, s16, s23
	s_and_saveexec_b32 s4, s5
	s_cbranch_execz .LBB134_238
.LBB134_324:
	s_clause 0x1
	buffer_load_dword v0, off, s[0:3], 0 offset:400
	buffer_load_dword v1, off, s[0:3], 0 offset:404
	v_cmp_ne_u32_e32 vcc_lo, 1, v70
	v_lshlrev_b64 v[2:3], 3, v[36:37]
	s_cbranch_vccnz .LBB134_326
; %bb.325:
	v_add_co_u32 v4, vcc_lo, v71, v2
	v_add_co_ci_u32_e64 v5, null, v72, v3, vcc_lo
	flat_load_dwordx2 v[4:5], v[4:5]
	s_waitcnt vmcnt(0) lgkmcnt(0)
	v_mul_f64 v[4:5], s[38:39], v[4:5]
	s_branch .LBB134_327
.LBB134_326:
	v_mov_b32_e32 v4, 0
	v_mov_b32_e32 v5, 0
.LBB134_327:
	s_waitcnt vmcnt(0)
	v_add_f64 v[0:1], v[0:1], v[4:5]
	v_add_co_u32 v2, vcc_lo, v68, v2
	v_add_co_ci_u32_e64 v3, null, v69, v3, vcc_lo
	flat_store_dwordx2 v[2:3], v[0:1]
	s_or_b32 exec_lo, exec_lo, s4
	s_and_b32 s5, s16, s24
	s_and_saveexec_b32 s4, s5
	s_cbranch_execz .LBB134_239
.LBB134_328:
	s_clause 0x1
	buffer_load_dword v0, off, s[0:3], 0 offset:408
	buffer_load_dword v1, off, s[0:3], 0 offset:412
	v_cmp_ne_u32_e32 vcc_lo, 1, v70
	v_lshlrev_b64 v[2:3], 3, v[38:39]
	s_cbranch_vccnz .LBB134_330
; %bb.329:
	v_add_co_u32 v4, vcc_lo, v71, v2
	v_add_co_ci_u32_e64 v5, null, v72, v3, vcc_lo
	flat_load_dwordx2 v[4:5], v[4:5]
	s_waitcnt vmcnt(0) lgkmcnt(0)
	v_mul_f64 v[4:5], s[38:39], v[4:5]
	s_branch .LBB134_331
.LBB134_330:
	v_mov_b32_e32 v4, 0
	v_mov_b32_e32 v5, 0
.LBB134_331:
	s_waitcnt vmcnt(0)
	v_add_f64 v[0:1], v[0:1], v[4:5]
	v_add_co_u32 v2, vcc_lo, v68, v2
	v_add_co_ci_u32_e64 v3, null, v69, v3, vcc_lo
	flat_store_dwordx2 v[2:3], v[0:1]
	s_or_b32 exec_lo, exec_lo, s4
	s_and_b32 s5, s16, s25
	s_and_saveexec_b32 s4, s5
	s_cbranch_execz .LBB134_240
.LBB134_332:
	s_clause 0x1
	buffer_load_dword v0, off, s[0:3], 0 offset:416
	buffer_load_dword v1, off, s[0:3], 0 offset:420
	v_cmp_ne_u32_e32 vcc_lo, 1, v70
	v_lshlrev_b64 v[2:3], 3, v[40:41]
	s_cbranch_vccnz .LBB134_334
; %bb.333:
	v_add_co_u32 v4, vcc_lo, v71, v2
	v_add_co_ci_u32_e64 v5, null, v72, v3, vcc_lo
	flat_load_dwordx2 v[4:5], v[4:5]
	s_waitcnt vmcnt(0) lgkmcnt(0)
	v_mul_f64 v[4:5], s[38:39], v[4:5]
	s_branch .LBB134_335
.LBB134_334:
	v_mov_b32_e32 v4, 0
	v_mov_b32_e32 v5, 0
.LBB134_335:
	s_waitcnt vmcnt(0)
	v_add_f64 v[0:1], v[0:1], v[4:5]
	v_add_co_u32 v2, vcc_lo, v68, v2
	v_add_co_ci_u32_e64 v3, null, v69, v3, vcc_lo
	flat_store_dwordx2 v[2:3], v[0:1]
	s_or_b32 exec_lo, exec_lo, s4
	s_and_b32 s5, s16, s26
	s_and_saveexec_b32 s4, s5
	s_cbranch_execz .LBB134_241
.LBB134_336:
	s_clause 0x1
	buffer_load_dword v0, off, s[0:3], 0 offset:424
	buffer_load_dword v1, off, s[0:3], 0 offset:428
	v_cmp_ne_u32_e32 vcc_lo, 1, v70
	v_lshlrev_b64 v[2:3], 3, v[42:43]
	s_cbranch_vccnz .LBB134_338
; %bb.337:
	v_add_co_u32 v4, vcc_lo, v71, v2
	v_add_co_ci_u32_e64 v5, null, v72, v3, vcc_lo
	flat_load_dwordx2 v[4:5], v[4:5]
	s_waitcnt vmcnt(0) lgkmcnt(0)
	v_mul_f64 v[4:5], s[38:39], v[4:5]
	s_branch .LBB134_339
.LBB134_338:
	v_mov_b32_e32 v4, 0
	v_mov_b32_e32 v5, 0
.LBB134_339:
	s_waitcnt vmcnt(0)
	v_add_f64 v[0:1], v[0:1], v[4:5]
	v_add_co_u32 v2, vcc_lo, v68, v2
	v_add_co_ci_u32_e64 v3, null, v69, v3, vcc_lo
	flat_store_dwordx2 v[2:3], v[0:1]
	s_or_b32 exec_lo, exec_lo, s4
	s_and_b32 s5, s16, s27
	s_and_saveexec_b32 s4, s5
	s_cbranch_execz .LBB134_242
.LBB134_340:
	s_clause 0x1
	buffer_load_dword v0, off, s[0:3], 0 offset:432
	buffer_load_dword v1, off, s[0:3], 0 offset:436
	v_cmp_ne_u32_e32 vcc_lo, 1, v70
	v_lshlrev_b64 v[2:3], 3, v[44:45]
	s_cbranch_vccnz .LBB134_342
; %bb.341:
	v_add_co_u32 v4, vcc_lo, v71, v2
	v_add_co_ci_u32_e64 v5, null, v72, v3, vcc_lo
	flat_load_dwordx2 v[4:5], v[4:5]
	s_waitcnt vmcnt(0) lgkmcnt(0)
	v_mul_f64 v[4:5], s[38:39], v[4:5]
	s_branch .LBB134_343
.LBB134_342:
	v_mov_b32_e32 v4, 0
	v_mov_b32_e32 v5, 0
.LBB134_343:
	s_waitcnt vmcnt(0)
	v_add_f64 v[0:1], v[0:1], v[4:5]
	v_add_co_u32 v2, vcc_lo, v68, v2
	v_add_co_ci_u32_e64 v3, null, v69, v3, vcc_lo
	flat_store_dwordx2 v[2:3], v[0:1]
	s_or_b32 exec_lo, exec_lo, s4
	s_and_b32 s5, s16, s28
	s_and_saveexec_b32 s4, s5
	s_cbranch_execz .LBB134_243
.LBB134_344:
	s_clause 0x1
	buffer_load_dword v0, off, s[0:3], 0 offset:440
	buffer_load_dword v1, off, s[0:3], 0 offset:444
	v_cmp_ne_u32_e32 vcc_lo, 1, v70
	v_lshlrev_b64 v[2:3], 3, v[46:47]
	s_cbranch_vccnz .LBB134_346
; %bb.345:
	v_add_co_u32 v4, vcc_lo, v71, v2
	v_add_co_ci_u32_e64 v5, null, v72, v3, vcc_lo
	flat_load_dwordx2 v[4:5], v[4:5]
	s_waitcnt vmcnt(0) lgkmcnt(0)
	v_mul_f64 v[4:5], s[38:39], v[4:5]
	s_branch .LBB134_347
.LBB134_346:
	v_mov_b32_e32 v4, 0
	v_mov_b32_e32 v5, 0
.LBB134_347:
	s_waitcnt vmcnt(0)
	v_add_f64 v[0:1], v[0:1], v[4:5]
	v_add_co_u32 v2, vcc_lo, v68, v2
	v_add_co_ci_u32_e64 v3, null, v69, v3, vcc_lo
	flat_store_dwordx2 v[2:3], v[0:1]
	s_or_b32 exec_lo, exec_lo, s4
	s_and_b32 s5, s16, s29
	s_and_saveexec_b32 s4, s5
	s_cbranch_execz .LBB134_244
.LBB134_348:
	s_clause 0x1
	buffer_load_dword v0, off, s[0:3], 0 offset:448
	buffer_load_dword v1, off, s[0:3], 0 offset:452
	v_cmp_ne_u32_e32 vcc_lo, 1, v70
	v_lshlrev_b64 v[2:3], 3, v[48:49]
	s_cbranch_vccnz .LBB134_350
; %bb.349:
	v_add_co_u32 v4, vcc_lo, v71, v2
	v_add_co_ci_u32_e64 v5, null, v72, v3, vcc_lo
	flat_load_dwordx2 v[4:5], v[4:5]
	s_waitcnt vmcnt(0) lgkmcnt(0)
	v_mul_f64 v[4:5], s[38:39], v[4:5]
	s_branch .LBB134_351
.LBB134_350:
	v_mov_b32_e32 v4, 0
	v_mov_b32_e32 v5, 0
.LBB134_351:
	s_waitcnt vmcnt(0)
	v_add_f64 v[0:1], v[0:1], v[4:5]
	v_add_co_u32 v2, vcc_lo, v68, v2
	v_add_co_ci_u32_e64 v3, null, v69, v3, vcc_lo
	flat_store_dwordx2 v[2:3], v[0:1]
	s_or_b32 exec_lo, exec_lo, s4
	s_and_b32 s5, s16, s30
	s_and_saveexec_b32 s4, s5
	s_cbranch_execz .LBB134_245
.LBB134_352:
	s_clause 0x1
	buffer_load_dword v0, off, s[0:3], 0 offset:456
	buffer_load_dword v1, off, s[0:3], 0 offset:460
	v_cmp_ne_u32_e32 vcc_lo, 1, v70
	v_lshlrev_b64 v[2:3], 3, v[50:51]
	s_cbranch_vccnz .LBB134_354
; %bb.353:
	v_add_co_u32 v4, vcc_lo, v71, v2
	v_add_co_ci_u32_e64 v5, null, v72, v3, vcc_lo
	flat_load_dwordx2 v[4:5], v[4:5]
	s_waitcnt vmcnt(0) lgkmcnt(0)
	v_mul_f64 v[4:5], s[38:39], v[4:5]
	s_branch .LBB134_355
.LBB134_354:
	v_mov_b32_e32 v4, 0
	v_mov_b32_e32 v5, 0
.LBB134_355:
	s_waitcnt vmcnt(0)
	v_add_f64 v[0:1], v[0:1], v[4:5]
	v_add_co_u32 v2, vcc_lo, v68, v2
	v_add_co_ci_u32_e64 v3, null, v69, v3, vcc_lo
	flat_store_dwordx2 v[2:3], v[0:1]
	s_or_b32 exec_lo, exec_lo, s4
	s_and_b32 s5, s16, s31
	s_and_saveexec_b32 s4, s5
	s_cbranch_execz .LBB134_246
.LBB134_356:
	s_clause 0x1
	buffer_load_dword v0, off, s[0:3], 0 offset:464
	buffer_load_dword v1, off, s[0:3], 0 offset:468
	v_cmp_ne_u32_e32 vcc_lo, 1, v70
	v_lshlrev_b64 v[2:3], 3, v[52:53]
	s_cbranch_vccnz .LBB134_358
; %bb.357:
	v_add_co_u32 v4, vcc_lo, v71, v2
	v_add_co_ci_u32_e64 v5, null, v72, v3, vcc_lo
	flat_load_dwordx2 v[4:5], v[4:5]
	s_waitcnt vmcnt(0) lgkmcnt(0)
	v_mul_f64 v[4:5], s[38:39], v[4:5]
	s_branch .LBB134_359
.LBB134_358:
	v_mov_b32_e32 v4, 0
	v_mov_b32_e32 v5, 0
.LBB134_359:
	s_waitcnt vmcnt(0)
	v_add_f64 v[0:1], v[0:1], v[4:5]
	v_add_co_u32 v2, vcc_lo, v68, v2
	v_add_co_ci_u32_e64 v3, null, v69, v3, vcc_lo
	flat_store_dwordx2 v[2:3], v[0:1]
	s_or_b32 exec_lo, exec_lo, s4
	s_and_b32 s5, s16, s33
	s_and_saveexec_b32 s4, s5
	s_cbranch_execz .LBB134_247
.LBB134_360:
	s_clause 0x1
	buffer_load_dword v0, off, s[0:3], 0 offset:472
	buffer_load_dword v1, off, s[0:3], 0 offset:476
	v_cmp_ne_u32_e32 vcc_lo, 1, v70
	v_lshlrev_b64 v[2:3], 3, v[54:55]
	s_cbranch_vccnz .LBB134_362
; %bb.361:
	v_add_co_u32 v4, vcc_lo, v71, v2
	v_add_co_ci_u32_e64 v5, null, v72, v3, vcc_lo
	flat_load_dwordx2 v[4:5], v[4:5]
	s_waitcnt vmcnt(0) lgkmcnt(0)
	v_mul_f64 v[4:5], s[38:39], v[4:5]
	s_branch .LBB134_363
.LBB134_362:
	v_mov_b32_e32 v4, 0
	v_mov_b32_e32 v5, 0
.LBB134_363:
	s_waitcnt vmcnt(0)
	v_add_f64 v[0:1], v[0:1], v[4:5]
	v_add_co_u32 v2, vcc_lo, v68, v2
	v_add_co_ci_u32_e64 v3, null, v69, v3, vcc_lo
	flat_store_dwordx2 v[2:3], v[0:1]
	s_or_b32 exec_lo, exec_lo, s4
	s_and_b32 s5, s16, s34
	s_and_saveexec_b32 s4, s5
	s_cbranch_execz .LBB134_248
.LBB134_364:
	s_clause 0x1
	buffer_load_dword v0, off, s[0:3], 0 offset:480
	buffer_load_dword v1, off, s[0:3], 0 offset:484
	v_cmp_ne_u32_e32 vcc_lo, 1, v70
	v_lshlrev_b64 v[2:3], 3, v[56:57]
	s_cbranch_vccnz .LBB134_366
; %bb.365:
	v_add_co_u32 v4, vcc_lo, v71, v2
	v_add_co_ci_u32_e64 v5, null, v72, v3, vcc_lo
	flat_load_dwordx2 v[4:5], v[4:5]
	s_waitcnt vmcnt(0) lgkmcnt(0)
	v_mul_f64 v[4:5], s[38:39], v[4:5]
	s_branch .LBB134_367
.LBB134_366:
	v_mov_b32_e32 v4, 0
	v_mov_b32_e32 v5, 0
.LBB134_367:
	s_waitcnt vmcnt(0)
	v_add_f64 v[0:1], v[0:1], v[4:5]
	v_add_co_u32 v2, vcc_lo, v68, v2
	v_add_co_ci_u32_e64 v3, null, v69, v3, vcc_lo
	flat_store_dwordx2 v[2:3], v[0:1]
	s_or_b32 exec_lo, exec_lo, s4
	s_and_b32 s5, s16, s35
	s_and_saveexec_b32 s4, s5
	s_cbranch_execz .LBB134_249
.LBB134_368:
	s_clause 0x1
	buffer_load_dword v0, off, s[0:3], 0 offset:488
	buffer_load_dword v1, off, s[0:3], 0 offset:492
	v_cmp_ne_u32_e32 vcc_lo, 1, v70
	v_lshlrev_b64 v[2:3], 3, v[58:59]
	s_cbranch_vccnz .LBB134_370
; %bb.369:
	v_add_co_u32 v4, vcc_lo, v71, v2
	v_add_co_ci_u32_e64 v5, null, v72, v3, vcc_lo
	flat_load_dwordx2 v[4:5], v[4:5]
	s_waitcnt vmcnt(0) lgkmcnt(0)
	v_mul_f64 v[4:5], s[38:39], v[4:5]
	s_branch .LBB134_371
.LBB134_370:
	v_mov_b32_e32 v4, 0
	v_mov_b32_e32 v5, 0
.LBB134_371:
	s_waitcnt vmcnt(0)
	v_add_f64 v[0:1], v[0:1], v[4:5]
	v_add_co_u32 v2, vcc_lo, v68, v2
	v_add_co_ci_u32_e64 v3, null, v69, v3, vcc_lo
	flat_store_dwordx2 v[2:3], v[0:1]
	s_or_b32 exec_lo, exec_lo, s4
	s_and_b32 s5, s16, s36
	s_and_saveexec_b32 s4, s5
	s_cbranch_execz .LBB134_250
.LBB134_372:
	s_clause 0x1
	buffer_load_dword v0, off, s[0:3], 0 offset:496
	buffer_load_dword v1, off, s[0:3], 0 offset:500
	v_cmp_ne_u32_e32 vcc_lo, 1, v70
	v_lshlrev_b64 v[2:3], 3, v[60:61]
	s_cbranch_vccnz .LBB134_374
; %bb.373:
	v_add_co_u32 v4, vcc_lo, v71, v2
	v_add_co_ci_u32_e64 v5, null, v72, v3, vcc_lo
	flat_load_dwordx2 v[4:5], v[4:5]
	s_waitcnt vmcnt(0) lgkmcnt(0)
	v_mul_f64 v[4:5], s[38:39], v[4:5]
	s_branch .LBB134_375
.LBB134_374:
	v_mov_b32_e32 v4, 0
	v_mov_b32_e32 v5, 0
.LBB134_375:
	s_waitcnt vmcnt(0)
	v_add_f64 v[0:1], v[0:1], v[4:5]
	v_add_co_u32 v2, vcc_lo, v68, v2
	v_add_co_ci_u32_e64 v3, null, v69, v3, vcc_lo
	flat_store_dwordx2 v[2:3], v[0:1]
	s_or_b32 exec_lo, exec_lo, s4
	s_and_b32 s4, s16, s37
	s_and_saveexec_b32 s5, s4
	s_cbranch_execz .LBB134_251
.LBB134_376:
	s_clause 0x1
	buffer_load_dword v0, off, s[0:3], 0 offset:504
	buffer_load_dword v1, off, s[0:3], 0 offset:508
	v_cmp_ne_u32_e32 vcc_lo, 1, v70
	v_lshlrev_b64 v[2:3], 3, v[62:63]
	s_cbranch_vccnz .LBB134_378
; %bb.377:
	v_add_co_u32 v4, vcc_lo, v71, v2
	v_add_co_ci_u32_e64 v5, null, v72, v3, vcc_lo
	flat_load_dwordx2 v[4:5], v[4:5]
	s_waitcnt vmcnt(0) lgkmcnt(0)
	v_mul_f64 v[4:5], s[38:39], v[4:5]
	s_branch .LBB134_379
.LBB134_378:
	v_mov_b32_e32 v4, 0
	v_mov_b32_e32 v5, 0
.LBB134_379:
	s_waitcnt vmcnt(0)
	v_add_f64 v[0:1], v[0:1], v[4:5]
	v_add_co_u32 v2, vcc_lo, v68, v2
	v_add_co_ci_u32_e64 v3, null, v69, v3, vcc_lo
	flat_store_dwordx2 v[2:3], v[0:1]
	s_endpgm
	.section	.rodata,"a",@progbits
	.p2align	6, 0x0
	.amdhsa_kernel _ZN12_GLOBAL__N_120geam_min_plus_kernelIdddLi4ELi64ELi128ELi128ELi4ELi64ELi4ELi4ELi64ELc78ELc78ELb0ELb1ELb0EdKPKdKPdEEviiiT16_PT17_ilS8_ilS6_S8_ilPT18_ili26rocblas_geam_ex_operation_
		.amdhsa_group_segment_fixed_size 16384
		.amdhsa_private_segment_fixed_size 528
		.amdhsa_kernarg_size 136
		.amdhsa_user_sgpr_count 6
		.amdhsa_user_sgpr_private_segment_buffer 1
		.amdhsa_user_sgpr_dispatch_ptr 0
		.amdhsa_user_sgpr_queue_ptr 0
		.amdhsa_user_sgpr_kernarg_segment_ptr 1
		.amdhsa_user_sgpr_dispatch_id 0
		.amdhsa_user_sgpr_flat_scratch_init 0
		.amdhsa_user_sgpr_private_segment_size 0
		.amdhsa_wavefront_size32 1
		.amdhsa_uses_dynamic_stack 0
		.amdhsa_system_sgpr_private_segment_wavefront_offset 1
		.amdhsa_system_sgpr_workgroup_id_x 1
		.amdhsa_system_sgpr_workgroup_id_y 0
		.amdhsa_system_sgpr_workgroup_id_z 1
		.amdhsa_system_sgpr_workgroup_info 0
		.amdhsa_system_vgpr_workitem_id 1
		.amdhsa_next_free_vgpr 225
		.amdhsa_next_free_sgpr 50
		.amdhsa_reserve_vcc 1
		.amdhsa_reserve_flat_scratch 0
		.amdhsa_float_round_mode_32 0
		.amdhsa_float_round_mode_16_64 0
		.amdhsa_float_denorm_mode_32 3
		.amdhsa_float_denorm_mode_16_64 3
		.amdhsa_dx10_clamp 1
		.amdhsa_ieee_mode 1
		.amdhsa_fp16_overflow 0
		.amdhsa_workgroup_processor_mode 1
		.amdhsa_memory_ordered 1
		.amdhsa_forward_progress 1
		.amdhsa_shared_vgpr_count 0
		.amdhsa_exception_fp_ieee_invalid_op 0
		.amdhsa_exception_fp_denorm_src 0
		.amdhsa_exception_fp_ieee_div_zero 0
		.amdhsa_exception_fp_ieee_overflow 0
		.amdhsa_exception_fp_ieee_underflow 0
		.amdhsa_exception_fp_ieee_inexact 0
		.amdhsa_exception_int_div_zero 0
	.end_amdhsa_kernel
	.section	.text._ZN12_GLOBAL__N_120geam_min_plus_kernelIdddLi4ELi64ELi128ELi128ELi4ELi64ELi4ELi4ELi64ELc78ELc78ELb0ELb1ELb0EdKPKdKPdEEviiiT16_PT17_ilS8_ilS6_S8_ilPT18_ili26rocblas_geam_ex_operation_,"axG",@progbits,_ZN12_GLOBAL__N_120geam_min_plus_kernelIdddLi4ELi64ELi128ELi128ELi4ELi64ELi4ELi4ELi64ELc78ELc78ELb0ELb1ELb0EdKPKdKPdEEviiiT16_PT17_ilS8_ilS6_S8_ilPT18_ili26rocblas_geam_ex_operation_,comdat
.Lfunc_end134:
	.size	_ZN12_GLOBAL__N_120geam_min_plus_kernelIdddLi4ELi64ELi128ELi128ELi4ELi64ELi4ELi4ELi64ELc78ELc78ELb0ELb1ELb0EdKPKdKPdEEviiiT16_PT17_ilS8_ilS6_S8_ilPT18_ili26rocblas_geam_ex_operation_, .Lfunc_end134-_ZN12_GLOBAL__N_120geam_min_plus_kernelIdddLi4ELi64ELi128ELi128ELi4ELi64ELi4ELi4ELi64ELc78ELc78ELb0ELb1ELb0EdKPKdKPdEEviiiT16_PT17_ilS8_ilS6_S8_ilPT18_ili26rocblas_geam_ex_operation_
                                        ; -- End function
	.set _ZN12_GLOBAL__N_120geam_min_plus_kernelIdddLi4ELi64ELi128ELi128ELi4ELi64ELi4ELi4ELi64ELc78ELc78ELb0ELb1ELb0EdKPKdKPdEEviiiT16_PT17_ilS8_ilS6_S8_ilPT18_ili26rocblas_geam_ex_operation_.num_vgpr, 225
	.set _ZN12_GLOBAL__N_120geam_min_plus_kernelIdddLi4ELi64ELi128ELi128ELi4ELi64ELi4ELi4ELi64ELc78ELc78ELb0ELb1ELb0EdKPKdKPdEEviiiT16_PT17_ilS8_ilS6_S8_ilPT18_ili26rocblas_geam_ex_operation_.num_agpr, 0
	.set _ZN12_GLOBAL__N_120geam_min_plus_kernelIdddLi4ELi64ELi128ELi128ELi4ELi64ELi4ELi4ELi64ELc78ELc78ELb0ELb1ELb0EdKPKdKPdEEviiiT16_PT17_ilS8_ilS6_S8_ilPT18_ili26rocblas_geam_ex_operation_.numbered_sgpr, 50
	.set _ZN12_GLOBAL__N_120geam_min_plus_kernelIdddLi4ELi64ELi128ELi128ELi4ELi64ELi4ELi4ELi64ELc78ELc78ELb0ELb1ELb0EdKPKdKPdEEviiiT16_PT17_ilS8_ilS6_S8_ilPT18_ili26rocblas_geam_ex_operation_.num_named_barrier, 0
	.set _ZN12_GLOBAL__N_120geam_min_plus_kernelIdddLi4ELi64ELi128ELi128ELi4ELi64ELi4ELi4ELi64ELc78ELc78ELb0ELb1ELb0EdKPKdKPdEEviiiT16_PT17_ilS8_ilS6_S8_ilPT18_ili26rocblas_geam_ex_operation_.private_seg_size, 528
	.set _ZN12_GLOBAL__N_120geam_min_plus_kernelIdddLi4ELi64ELi128ELi128ELi4ELi64ELi4ELi4ELi64ELc78ELc78ELb0ELb1ELb0EdKPKdKPdEEviiiT16_PT17_ilS8_ilS6_S8_ilPT18_ili26rocblas_geam_ex_operation_.uses_vcc, 1
	.set _ZN12_GLOBAL__N_120geam_min_plus_kernelIdddLi4ELi64ELi128ELi128ELi4ELi64ELi4ELi4ELi64ELc78ELc78ELb0ELb1ELb0EdKPKdKPdEEviiiT16_PT17_ilS8_ilS6_S8_ilPT18_ili26rocblas_geam_ex_operation_.uses_flat_scratch, 0
	.set _ZN12_GLOBAL__N_120geam_min_plus_kernelIdddLi4ELi64ELi128ELi128ELi4ELi64ELi4ELi4ELi64ELc78ELc78ELb0ELb1ELb0EdKPKdKPdEEviiiT16_PT17_ilS8_ilS6_S8_ilPT18_ili26rocblas_geam_ex_operation_.has_dyn_sized_stack, 0
	.set _ZN12_GLOBAL__N_120geam_min_plus_kernelIdddLi4ELi64ELi128ELi128ELi4ELi64ELi4ELi4ELi64ELc78ELc78ELb0ELb1ELb0EdKPKdKPdEEviiiT16_PT17_ilS8_ilS6_S8_ilPT18_ili26rocblas_geam_ex_operation_.has_recursion, 0
	.set _ZN12_GLOBAL__N_120geam_min_plus_kernelIdddLi4ELi64ELi128ELi128ELi4ELi64ELi4ELi4ELi64ELc78ELc78ELb0ELb1ELb0EdKPKdKPdEEviiiT16_PT17_ilS8_ilS6_S8_ilPT18_ili26rocblas_geam_ex_operation_.has_indirect_call, 0
	.section	.AMDGPU.csdata,"",@progbits
; Kernel info:
; codeLenInByte = 22048
; TotalNumSgprs: 52
; NumVgprs: 225
; ScratchSize: 528
; MemoryBound: 0
; FloatMode: 240
; IeeeMode: 1
; LDSByteSize: 16384 bytes/workgroup (compile time only)
; SGPRBlocks: 0
; VGPRBlocks: 28
; NumSGPRsForWavesPerEU: 52
; NumVGPRsForWavesPerEU: 225
; Occupancy: 4
; WaveLimiterHint : 1
; COMPUTE_PGM_RSRC2:SCRATCH_EN: 1
; COMPUTE_PGM_RSRC2:USER_SGPR: 6
; COMPUTE_PGM_RSRC2:TRAP_HANDLER: 0
; COMPUTE_PGM_RSRC2:TGID_X_EN: 1
; COMPUTE_PGM_RSRC2:TGID_Y_EN: 0
; COMPUTE_PGM_RSRC2:TGID_Z_EN: 1
; COMPUTE_PGM_RSRC2:TIDIG_COMP_CNT: 1
	.section	.text._ZN12_GLOBAL__N_120geam_min_plus_kernelIdddLi4ELi64ELi128ELi128ELi4ELi4ELi64ELi4ELi64ELc84ELc78ELb0ELb0ELb0EPKdKS2_KPdEEviiiT16_PT17_ilS8_ilS6_S8_ilPT18_ili26rocblas_geam_ex_operation_,"axG",@progbits,_ZN12_GLOBAL__N_120geam_min_plus_kernelIdddLi4ELi64ELi128ELi128ELi4ELi4ELi64ELi4ELi64ELc84ELc78ELb0ELb0ELb0EPKdKS2_KPdEEviiiT16_PT17_ilS8_ilS6_S8_ilPT18_ili26rocblas_geam_ex_operation_,comdat
	.globl	_ZN12_GLOBAL__N_120geam_min_plus_kernelIdddLi4ELi64ELi128ELi128ELi4ELi4ELi64ELi4ELi64ELc84ELc78ELb0ELb0ELb0EPKdKS2_KPdEEviiiT16_PT17_ilS8_ilS6_S8_ilPT18_ili26rocblas_geam_ex_operation_ ; -- Begin function _ZN12_GLOBAL__N_120geam_min_plus_kernelIdddLi4ELi64ELi128ELi128ELi4ELi4ELi64ELi4ELi64ELc84ELc78ELb0ELb0ELb0EPKdKS2_KPdEEviiiT16_PT17_ilS8_ilS6_S8_ilPT18_ili26rocblas_geam_ex_operation_
	.p2align	8
	.type	_ZN12_GLOBAL__N_120geam_min_plus_kernelIdddLi4ELi64ELi128ELi128ELi4ELi4ELi64ELi4ELi64ELc84ELc78ELb0ELb0ELb0EPKdKS2_KPdEEviiiT16_PT17_ilS8_ilS6_S8_ilPT18_ili26rocblas_geam_ex_operation_,@function
_ZN12_GLOBAL__N_120geam_min_plus_kernelIdddLi4ELi64ELi128ELi128ELi4ELi4ELi64ELi4ELi64ELc84ELc78ELb0ELb0ELb0EPKdKS2_KPdEEviiiT16_PT17_ilS8_ilS6_S8_ilPT18_ili26rocblas_geam_ex_operation_: ; @_ZN12_GLOBAL__N_120geam_min_plus_kernelIdddLi4ELi64ELi128ELi128ELi4ELi4ELi64ELi4ELi64ELc84ELc78ELb0ELb0ELb0EPKdKS2_KPdEEviiiT16_PT17_ilS8_ilS6_S8_ilPT18_ili26rocblas_geam_ex_operation_
; %bb.0:
	s_load_dwordx4 s[16:19], s[4:5], 0x10
	s_add_u32 s0, s0, s8
	s_mov_b32 s8, s7
	s_mov_b32 s9, 0
	s_addc_u32 s1, s1, 0
	s_lshl_b64 s[24:25], s[8:9], 3
	s_clause 0x1
	s_load_dwordx4 s[8:11], s[4:5], 0x28
	s_load_dwordx2 s[26:27], s[4:5], 0x50
	s_mov_b64 s[20:21], 0
	s_mov_b64 s[22:23], 0
	s_waitcnt lgkmcnt(0)
	s_add_u32 s12, s16, s24
	s_addc_u32 s13, s17, s25
	s_load_dwordx2 s[16:17], s[12:13], 0x0
	s_load_dwordx4 s[12:15], s[4:5], 0x40
	s_waitcnt lgkmcnt(0)
	v_cmp_eq_f64_e64 s7, s[16:17], 0
	v_cmp_neq_f64_e64 s28, s[16:17], 0
	s_add_u32 s14, s14, s24
	s_addc_u32 s15, s15, s25
	s_and_b32 vcc_lo, exec_lo, s7
	s_cbranch_vccnz .LBB135_2
; %bb.1:
	s_add_u32 s18, s18, s24
	s_addc_u32 s19, s19, s25
	s_lshl_b64 s[8:9], s[8:9], 3
	s_load_dwordx2 s[18:19], s[18:19], 0x0
	s_waitcnt lgkmcnt(0)
	s_add_u32 s22, s18, s8
	s_addc_u32 s23, s19, s9
.LBB135_2:
	s_load_dwordx2 s[14:15], s[14:15], 0x0
	v_cndmask_b32_e64 v2, 0, 1, s28
	s_andn2_b32 vcc_lo, exec_lo, s28
	v_cmp_ne_u32_e64 s7, 1, v2
	s_cbranch_vccnz .LBB135_4
; %bb.3:
	s_add_u32 s8, s10, s24
	s_addc_u32 s9, s11, s25
	s_lshl_b64 s[10:11], s[12:13], 3
	s_load_dwordx2 s[8:9], s[8:9], 0x0
	s_waitcnt lgkmcnt(0)
	s_add_u32 s20, s8, s10
	s_addc_u32 s21, s9, s11
.LBB135_4:
	s_waitcnt lgkmcnt(0)
	v_cmp_eq_f64_e64 s12, s[14:15], 0
	s_load_dwordx4 s[8:11], s[4:5], 0x60
	s_and_b32 vcc_lo, exec_lo, s12
	s_mov_b64 s[12:13], 0
	s_cbranch_vccnz .LBB135_6
; %bb.5:
	s_add_u32 s12, s26, s24
	s_addc_u32 s13, s27, s25
	s_waitcnt lgkmcnt(0)
	s_lshl_b64 s[8:9], s[8:9], 3
	s_load_dwordx2 s[12:13], s[12:13], 0x0
	s_waitcnt lgkmcnt(0)
	s_add_u32 s12, s12, s8
	s_addc_u32 s13, s13, s9
.LBB135_6:
	s_clause 0x1
	s_load_dword s18, s[4:5], 0x0
	s_load_dword s19, s[4:5], 0x20
	s_waitcnt lgkmcnt(0)
	s_add_u32 s8, s10, s24
	s_addc_u32 s9, s11, s25
	v_lshrrev_b32_e32 v2, 2, v0
	s_load_dwordx2 s[8:9], s[8:9], 0x0
	v_and_b32_e32 v90, 3, v0
	v_mov_b32_e32 v4, 0
	v_mov_b32_e32 v6, 0
	v_add_nc_u32_e32 v78, v2, v1
	v_mov_b32_e32 v5, 0
	v_lshlrev_b32_e32 v80, 3, v90
	buffer_store_dword v6, off, s[0:3], 0 offset:4
	buffer_store_dword v6, off, s[0:3], 0
	buffer_store_dword v6, off, s[0:3], 0 offset:12
	buffer_store_dword v6, off, s[0:3], 0 offset:8
	;; [unrolled: 1-line block ×15, first 2 shown]
	s_add_i32 s10, s18, -1
	buffer_store_dword v6, off, s[0:3], 0 offset:64
	buffer_store_dword v6, off, s[0:3], 0 offset:76
	;; [unrolled: 1-line block ×4, first 2 shown]
	s_ashr_i32 s11, s10, 31
	buffer_store_dword v6, off, s[0:3], 0 offset:80
	buffer_store_dword v6, off, s[0:3], 0 offset:92
	;; [unrolled: 1-line block ×9, first 2 shown]
	s_lshr_b32 s11, s11, 25
	buffer_store_dword v6, off, s[0:3], 0 offset:124
	buffer_store_dword v6, off, s[0:3], 0 offset:120
	;; [unrolled: 1-line block ×4, first 2 shown]
	s_add_i32 s10, s10, s11
	buffer_store_dword v6, off, s[0:3], 0 offset:140
	buffer_store_dword v6, off, s[0:3], 0 offset:136
	;; [unrolled: 1-line block ×4, first 2 shown]
	s_ashr_i32 s10, s10, 7
	buffer_store_dword v6, off, s[0:3], 0 offset:156
	buffer_store_dword v6, off, s[0:3], 0 offset:152
	s_add_i32 s11, s10, 1
	s_not_b32 s10, s10
	v_cvt_f32_u32_e32 v2, s11
	buffer_store_dword v6, off, s[0:3], 0 offset:164
	buffer_store_dword v6, off, s[0:3], 0 offset:160
	;; [unrolled: 1-line block ×4, first 2 shown]
	v_rcp_iflag_f32_e32 v2, v2
	buffer_store_dword v6, off, s[0:3], 0 offset:180
	buffer_store_dword v6, off, s[0:3], 0 offset:176
	;; [unrolled: 1-line block ×82, first 2 shown]
	v_mul_f32_e32 v2, 0x4f7ffffe, v2
	buffer_store_dword v6, off, s[0:3], 0 offset:508
	buffer_store_dword v6, off, s[0:3], 0 offset:504
	v_cvt_u32_f32_e32 v2, v2
	v_readfirstlane_b32 s18, v2
	v_mov_b32_e32 v2, 0
	v_mov_b32_e32 v3, 0
	s_mul_i32 s10, s10, s18
	s_mul_hi_u32 s10, s18, s10
	s_add_i32 s18, s18, s10
	s_mul_hi_u32 s10, s6, s18
	s_mul_i32 s18, s10, s11
	s_add_i32 s24, s10, 1
	s_sub_i32 s18, s6, s18
	s_sub_i32 s25, s18, s11
	s_cmp_ge_u32 s18, s11
	s_cselect_b32 s10, s24, s10
	s_cselect_b32 s18, s25, s18
	s_add_i32 s24, s10, 1
	s_cmp_ge_u32 s18, s11
	s_cselect_b32 s10, s24, s10
	s_and_b32 vcc_lo, exec_lo, s7
	s_mul_i32 s11, s10, s11
	s_sub_i32 s6, s6, s11
	v_add_co_u32 v18, s11, s22, v80
	s_lshl_b32 s6, s6, 7
	v_add_co_ci_u32_e64 v19, null, s23, 0, s11
	v_add_nc_u32_e32 v79, s6, v78
	s_cbranch_vccnz .LBB135_8
; %bb.7:
	v_mad_i64_i32 v[2:3], null, v79, s19, 0
	v_lshlrev_b64 v[2:3], 3, v[2:3]
	v_add_co_u32 v2, vcc_lo, v18, v2
	v_add_co_ci_u32_e64 v3, null, v19, v3, vcc_lo
	flat_load_dwordx2 v[2:3], v[2:3]
	s_waitcnt vmcnt(0) lgkmcnt(0)
	v_mul_f64 v[2:3], s[16:17], v[2:3]
.LBB135_8:
	s_load_dword s24, s[4:5], 0x38
	s_lshl_b32 s10, s10, 7
	v_mov_b32_e32 v14, 0
	v_add_nc_u32_e32 v81, s10, v78
	v_mov_b32_e32 v16, 0
	v_add_nc_u32_e32 v83, 64, v79
	v_mov_b32_e32 v15, 0
	v_mov_b32_e32 v17, 0
	v_add_nc_u32_e32 v82, 64, v81
	s_and_b32 vcc_lo, exec_lo, s7
	s_cbranch_vccnz .LBB135_10
; %bb.9:
	v_mad_i64_i32 v[4:5], null, v83, s19, 0
	s_waitcnt lgkmcnt(0)
	v_mad_i64_i32 v[6:7], null, v81, s24, 0
	v_mad_i64_i32 v[8:9], null, v82, s24, 0
	v_add_co_u32 v10, s11, s20, v80
	v_lshlrev_b64 v[4:5], 3, v[4:5]
	v_add_co_ci_u32_e64 v11, null, s21, 0, s11
	v_lshlrev_b64 v[6:7], 3, v[6:7]
	v_lshlrev_b64 v[8:9], 3, v[8:9]
	v_add_co_u32 v4, vcc_lo, v18, v4
	v_add_co_ci_u32_e64 v5, null, v19, v5, vcc_lo
	v_add_co_u32 v6, vcc_lo, v10, v6
	v_add_co_ci_u32_e64 v7, null, v11, v7, vcc_lo
	;; [unrolled: 2-line block ×3, first 2 shown]
	flat_load_dwordx2 v[4:5], v[4:5]
	s_clause 0x1
	flat_load_dwordx2 v[6:7], v[6:7]
	flat_load_dwordx2 v[8:9], v[8:9]
	s_waitcnt vmcnt(2) lgkmcnt(2)
	v_mul_f64 v[4:5], s[16:17], v[4:5]
	s_waitcnt vmcnt(1) lgkmcnt(1)
	v_mul_f64 v[14:15], s[16:17], v[6:7]
	;; [unrolled: 2-line block ×3, first 2 shown]
.LBB135_10:
	v_mov_b32_e32 v8, 0
	v_mov_b32_e32 v6, 0
	;; [unrolled: 1-line block ×4, first 2 shown]
	s_and_b32 vcc_lo, exec_lo, s7
	s_cbranch_vccnz .LBB135_12
; %bb.11:
	v_mad_i64_i32 v[6:7], null, v79, s19, 0
	v_lshlrev_b64 v[6:7], 3, v[6:7]
	v_add_co_u32 v6, vcc_lo, v18, v6
	v_add_co_ci_u32_e64 v7, null, v19, v7, vcc_lo
	flat_load_dwordx2 v[6:7], v[6:7] offset:32
	s_waitcnt vmcnt(0) lgkmcnt(0)
	v_mul_f64 v[6:7], s[16:17], v[6:7]
.LBB135_12:
	v_mov_b32_e32 v10, 0
	v_mov_b32_e32 v12, 0
	v_mov_b32_e32 v11, 0
	v_mov_b32_e32 v13, 0
	s_and_b32 vcc_lo, exec_lo, s7
	s_cbranch_vccnz .LBB135_14
; %bb.13:
	v_mad_i64_i32 v[8:9], null, v83, s19, 0
	s_waitcnt lgkmcnt(0)
	v_mad_i64_i32 v[10:11], null, v81, s24, 0
	v_mad_i64_i32 v[12:13], null, v82, s24, 0
	v_lshlrev_b64 v[8:9], 3, v[8:9]
	v_lshlrev_b64 v[10:11], 3, v[10:11]
	;; [unrolled: 1-line block ×3, first 2 shown]
	v_add_co_u32 v8, vcc_lo, v18, v8
	v_add_co_u32 v18, s11, s20, v80
	v_add_co_ci_u32_e64 v9, null, v19, v9, vcc_lo
	v_add_co_ci_u32_e64 v19, null, s21, 0, s11
	v_add_co_u32 v10, vcc_lo, v18, v10
	v_add_co_ci_u32_e64 v11, null, v19, v11, vcc_lo
	v_add_co_u32 v12, vcc_lo, v18, v12
	v_add_co_ci_u32_e64 v13, null, v19, v13, vcc_lo
	flat_load_dwordx2 v[8:9], v[8:9] offset:32
	s_clause 0x1
	flat_load_dwordx2 v[10:11], v[10:11] offset:32
	flat_load_dwordx2 v[12:13], v[12:13] offset:32
	s_waitcnt vmcnt(2) lgkmcnt(2)
	v_mul_f64 v[8:9], s[16:17], v[8:9]
	s_waitcnt vmcnt(1) lgkmcnt(1)
	v_mul_f64 v[10:11], s[16:17], v[10:11]
	;; [unrolled: 2-line block ×3, first 2 shown]
.LBB135_14:
	v_cmp_neq_f64_e64 s11, s[14:15], 0
	v_lshlrev_b32_e32 v18, 5, v78
	v_lshlrev_b32_e32 v93, 5, v0
	v_lshl_or_b32 v94, v1, 5, 0x2000
	s_mov_b32 s18, 0
	s_mov_b32 s25, 0
	v_lshl_or_b32 v91, v90, 3, v18
	s_addk_i32 s18, 0x100
	v_add_nc_u32_e32 v92, 0x2000, v91
	ds_write2st64_b64 v91, v[2:3], v[4:5] offset1:4
	ds_write2st64_b64 v91, v[14:15], v[16:17] offset0:16 offset1:20
	s_waitcnt lgkmcnt(0)
	s_waitcnt_vscnt null, 0x0
	s_barrier
	buffer_gl0_inv
.LBB135_15:                             ; =>This Loop Header: Depth=1
                                        ;     Child Loop BB135_16 Depth 2
	s_lshl_b32 s26, s25, 3
	s_mov_b32 s27, 0
	v_add_nc_u32_e32 v14, s26, v93
	v_add_nc_u32_e32 v84, s26, v94
	s_mov_b32 s26, -1
	ds_read2_b64 v[2:5], v14 offset1:16
	ds_read2_b64 v[18:21], v14 offset0:32 offset1:48
	ds_read2_b64 v[22:25], v14 offset0:64 offset1:80
	;; [unrolled: 1-line block ×4, first 2 shown]
	v_add_nc_u32_e32 v74, 0x800, v14
	ds_read2_b64 v[34:37], v14 offset0:160 offset1:176
	ds_read2_b64 v[38:41], v14 offset0:192 offset1:208
	;; [unrolled: 1-line block ×3, first 2 shown]
	ds_read2_b64 v[46:49], v74 offset1:16
	ds_read2_b64 v[50:53], v74 offset0:32 offset1:48
	ds_read2_b64 v[54:57], v74 offset0:64 offset1:80
	;; [unrolled: 1-line block ×6, first 2 shown]
	s_waitcnt lgkmcnt(9)
	v_max_f64 v[34:35], v[34:35], v[34:35]
	v_max_f64 v[36:37], v[36:37], v[36:37]
	;; [unrolled: 1-line block ×4, first 2 shown]
	ds_read2_b64 v[2:5], v74 offset0:224 offset1:240
	v_max_f64 v[18:19], v[18:19], v[18:19]
	v_max_f64 v[20:21], v[20:21], v[20:21]
	v_max_f64 v[22:23], v[22:23], v[22:23]
	v_max_f64 v[24:25], v[24:25], v[24:25]
	v_max_f64 v[26:27], v[26:27], v[26:27]
	v_max_f64 v[28:29], v[28:29], v[28:29]
	v_max_f64 v[30:31], v[30:31], v[30:31]
	v_max_f64 v[32:33], v[32:33], v[32:33]
	s_waitcnt lgkmcnt(9)
	v_max_f64 v[38:39], v[38:39], v[38:39]
	v_max_f64 v[40:41], v[40:41], v[40:41]
	s_waitcnt lgkmcnt(8)
	v_max_f64 v[42:43], v[42:43], v[42:43]
	v_max_f64 v[44:45], v[44:45], v[44:45]
	;; [unrolled: 3-line block ×10, first 2 shown]
	ds_read2st64_b64 v[2:5], v84 offset1:4
.LBB135_16:                             ;   Parent Loop BB135_15 Depth=1
                                        ; =>  This Inner Loop Header: Depth=2
	v_mov_b32_e32 v217, s27
	s_waitcnt lgkmcnt(0)
	v_max_f64 v[153:154], v[2:3], v[2:3]
	v_mov_b32_e32 v2, v4
	v_mov_b32_e32 v3, v5
	s_and_b32 vcc_lo, exec_lo, s26
	s_clause 0x3e
	buffer_load_dword v84, v217, s[0:3], 0 offen
	buffer_load_dword v85, v217, s[0:3], 0 offen offset:4
	buffer_load_dword v86, v217, s[0:3], 0 offen offset:8
	;; [unrolled: 1-line block ×63, first 2 shown]
	s_mov_b32 s26, 0
	s_mov_b32 s27, s18
	v_min_f64 v[155:156], v[14:15], v[153:154]
	v_min_f64 v[157:158], v[16:17], v[153:154]
	;; [unrolled: 1-line block ×32, first 2 shown]
	s_waitcnt vmcnt(62)
	v_add_f64 v[84:85], v[155:156], v[84:85]
	s_waitcnt vmcnt(60)
	v_add_f64 v[86:87], v[157:158], v[86:87]
	;; [unrolled: 2-line block ×32, first 2 shown]
	buffer_store_dword v84, v217, s[0:3], 0 offen
	buffer_store_dword v85, v217, s[0:3], 0 offen offset:4
	buffer_store_dword v86, v217, s[0:3], 0 offen offset:8
	;; [unrolled: 1-line block ×63, first 2 shown]
	s_cbranch_vccnz .LBB135_16
; %bb.17:                               ;   in Loop: Header=BB135_15 Depth=1
	s_add_i32 s25, s25, 1
	s_cmp_eq_u32 s25, 4
	s_cbranch_scc0 .LBB135_15
; %bb.18:
	s_load_dword s25, s[4:5], 0x8
	v_lshl_or_b32 v2, v78, 5, v80
	v_lshl_add_u32 v95, v0, 5, 0x1000
	v_lshl_add_u32 v96, v1, 5, 0x3000
	ds_write2st64_b64 v2, v[6:7], v[8:9] offset0:8 offset1:12
	ds_write2st64_b64 v2, v[10:11], v[12:13] offset0:24 offset1:28
	s_waitcnt lgkmcnt(0)
	s_waitcnt_vscnt null, 0x0
	s_barrier
	buffer_gl0_inv
	s_cmp_lt_i32 s25, 9
	s_cbranch_scc1 .LBB135_37
; %bb.19:
	v_mad_i64_i32 v[3:4], null, v79, s19, 0
	v_mad_i64_i32 v[5:6], null, v83, s19, 0
	;; [unrolled: 1-line block ×4, first 2 shown]
	v_lshlrev_b64 v[70:71], 3, v[3:4]
	v_add_nc_u32_e32 v97, 0x1000, v2
	v_lshlrev_b64 v[72:73], 3, v[5:6]
	v_add_nc_u32_e32 v98, 0x3000, v2
	v_lshlrev_b64 v[74:75], 3, v[7:8]
	v_mov_b32_e32 v79, 0
	v_lshlrev_b64 v[76:77], 3, v[9:10]
	s_add_i32 s19, s25, -8
	s_mov_b32 s24, 8
	s_mov_b32 s25, 0
.LBB135_20:                             ; =>This Loop Header: Depth=1
                                        ;     Child Loop BB135_25 Depth 2
                                        ;       Child Loop BB135_26 Depth 3
                                        ;     Child Loop BB135_33 Depth 2
                                        ;       Child Loop BB135_34 Depth 3
	v_or_b32_e32 v78, s24, v90
	v_mov_b32_e32 v10, 0
	v_mov_b32_e32 v8, 0
	;; [unrolled: 1-line block ×4, first 2 shown]
	v_lshlrev_b64 v[6:7], 3, v[78:79]
	v_add_co_u32 v78, vcc_lo, s22, v6
	v_add_co_ci_u32_e64 v99, null, s23, v7, vcc_lo
	s_and_b32 vcc_lo, exec_lo, s7
	s_cbranch_vccnz .LBB135_22
; %bb.21:                               ;   in Loop: Header=BB135_20 Depth=1
	v_add_co_u32 v2, vcc_lo, v78, v70
	v_add_co_ci_u32_e64 v3, null, v99, v71, vcc_lo
	flat_load_dwordx2 v[2:3], v[2:3]
	s_waitcnt vmcnt(0) lgkmcnt(0)
	v_mul_f64 v[8:9], s[16:17], v[2:3]
.LBB135_22:                             ;   in Loop: Header=BB135_20 Depth=1
	v_mov_b32_e32 v12, 0
	v_mov_b32_e32 v14, 0
	;; [unrolled: 1-line block ×4, first 2 shown]
	s_and_b32 vcc_lo, exec_lo, s7
	s_cbranch_vccnz .LBB135_24
; %bb.23:                               ;   in Loop: Header=BB135_20 Depth=1
	v_add_co_u32 v10, vcc_lo, s20, v6
	v_add_co_ci_u32_e64 v11, null, s21, v7, vcc_lo
	v_add_co_u32 v2, vcc_lo, v78, v72
	v_add_co_ci_u32_e64 v3, null, v99, v73, vcc_lo
	;; [unrolled: 2-line block ×4, first 2 shown]
	flat_load_dwordx2 v[2:3], v[2:3]
	s_clause 0x1
	flat_load_dwordx2 v[4:5], v[4:5]
	flat_load_dwordx2 v[14:15], v[10:11]
	s_waitcnt vmcnt(2) lgkmcnt(2)
	v_mul_f64 v[10:11], s[16:17], v[2:3]
	s_waitcnt vmcnt(1) lgkmcnt(1)
	v_mul_f64 v[12:13], s[16:17], v[4:5]
	;; [unrolled: 2-line block ×3, first 2 shown]
.LBB135_24:                             ;   in Loop: Header=BB135_20 Depth=1
	s_mov_b32 s26, 0
.LBB135_25:                             ;   Parent Loop BB135_20 Depth=1
                                        ; =>  This Loop Header: Depth=2
                                        ;       Child Loop BB135_26 Depth 3
	s_lshl_b32 s27, s26, 3
	s_mov_b32 s28, 0
	v_add_nc_u32_e32 v16, s27, v95
	v_add_nc_u32_e32 v104, s27, v96
	s_mov_b32 s27, -1
	ds_read2_b64 v[2:5], v16 offset1:16
	ds_read2_b64 v[20:23], v16 offset0:32 offset1:48
	ds_read2_b64 v[24:27], v16 offset0:64 offset1:80
	v_add_nc_u32_e32 v17, 0x800, v16
	ds_read2_b64 v[28:31], v16 offset0:96 offset1:112
	ds_read2_b64 v[32:35], v16 offset0:128 offset1:144
	;; [unrolled: 1-line block ×5, first 2 shown]
	ds_read2_b64 v[48:51], v17 offset1:16
	ds_read2_b64 v[52:55], v17 offset0:32 offset1:48
	ds_read2_b64 v[56:59], v17 offset0:64 offset1:80
	;; [unrolled: 1-line block ×7, first 2 shown]
	s_waitcnt lgkmcnt(11)
	v_max_f64 v[32:33], v[32:33], v[32:33]
	v_max_f64 v[34:35], v[34:35], v[34:35]
	s_waitcnt lgkmcnt(10)
	v_max_f64 v[36:37], v[36:37], v[36:37]
	v_max_f64 v[38:39], v[38:39], v[38:39]
	;; [unrolled: 3-line block ×3, first 2 shown]
	v_max_f64 v[16:17], v[2:3], v[2:3]
	v_max_f64 v[18:19], v[4:5], v[4:5]
	;; [unrolled: 1-line block ×8, first 2 shown]
	s_waitcnt lgkmcnt(8)
	v_max_f64 v[44:45], v[44:45], v[44:45]
	v_max_f64 v[46:47], v[46:47], v[46:47]
	s_waitcnt lgkmcnt(7)
	v_max_f64 v[48:49], v[48:49], v[48:49]
	v_max_f64 v[50:51], v[50:51], v[50:51]
	;; [unrolled: 3-line block ×9, first 2 shown]
	ds_read2st64_b64 v[2:5], v104 offset1:4
.LBB135_26:                             ;   Parent Loop BB135_20 Depth=1
                                        ;     Parent Loop BB135_25 Depth=2
                                        ; =>    This Inner Loop Header: Depth=3
	v_mov_b32_e32 v228, s28
	s_waitcnt lgkmcnt(0)
	v_max_f64 v[164:165], v[2:3], v[2:3]
	v_mov_b32_e32 v2, v4
	v_mov_b32_e32 v3, v5
	s_and_b32 vcc_lo, exec_lo, s27
	s_clause 0x3e
	buffer_load_dword v100, v228, s[0:3], 0 offen
	buffer_load_dword v101, v228, s[0:3], 0 offen offset:4
	buffer_load_dword v102, v228, s[0:3], 0 offen offset:8
	;; [unrolled: 1-line block ×63, first 2 shown]
	s_mov_b32 s27, 0
	s_mov_b32 s28, s18
	v_min_f64 v[166:167], v[16:17], v[164:165]
	v_min_f64 v[168:169], v[18:19], v[164:165]
	;; [unrolled: 1-line block ×32, first 2 shown]
	s_waitcnt vmcnt(62)
	v_add_f64 v[100:101], v[166:167], v[100:101]
	s_waitcnt vmcnt(60)
	v_add_f64 v[102:103], v[168:169], v[102:103]
	;; [unrolled: 2-line block ×32, first 2 shown]
	buffer_store_dword v100, v228, s[0:3], 0 offen
	buffer_store_dword v101, v228, s[0:3], 0 offen offset:4
	buffer_store_dword v102, v228, s[0:3], 0 offen offset:8
	;; [unrolled: 1-line block ×63, first 2 shown]
	s_cbranch_vccnz .LBB135_26
; %bb.27:                               ;   in Loop: Header=BB135_25 Depth=2
	s_add_i32 s26, s26, 1
	s_cmp_eq_u32 s26, 4
	s_cbranch_scc0 .LBB135_25
; %bb.28:                               ;   in Loop: Header=BB135_20 Depth=1
	v_mov_b32_e32 v82, 0
	v_mov_b32_e32 v80, 0
	;; [unrolled: 1-line block ×4, first 2 shown]
	s_and_b32 vcc_lo, exec_lo, s7
	ds_write2st64_b64 v91, v[8:9], v[10:11] offset1:4
	ds_write2st64_b64 v92, v[12:13], v[14:15] offset1:4
	s_waitcnt lgkmcnt(0)
	s_waitcnt_vscnt null, 0x0
	s_barrier
	buffer_gl0_inv
	s_cbranch_vccnz .LBB135_30
; %bb.29:                               ;   in Loop: Header=BB135_20 Depth=1
	v_add_co_u32 v2, vcc_lo, v78, v70
	v_add_co_ci_u32_e64 v3, null, v99, v71, vcc_lo
	flat_load_dwordx2 v[2:3], v[2:3] offset:32
	s_waitcnt vmcnt(0) lgkmcnt(0)
	v_mul_f64 v[80:81], s[16:17], v[2:3]
.LBB135_30:                             ;   in Loop: Header=BB135_20 Depth=1
	v_mov_b32_e32 v84, 0
	v_mov_b32_e32 v86, 0
	;; [unrolled: 1-line block ×4, first 2 shown]
	s_and_b32 vcc_lo, exec_lo, s7
	s_cbranch_vccnz .LBB135_32
; %bb.31:                               ;   in Loop: Header=BB135_20 Depth=1
	v_add_co_u32 v6, vcc_lo, s20, v6
	v_add_co_ci_u32_e64 v7, null, s21, v7, vcc_lo
	v_add_co_u32 v2, vcc_lo, v78, v72
	v_add_co_ci_u32_e64 v3, null, v99, v73, vcc_lo
	;; [unrolled: 2-line block ×4, first 2 shown]
	flat_load_dwordx2 v[2:3], v[2:3] offset:32
	s_clause 0x1
	flat_load_dwordx2 v[4:5], v[4:5] offset:32
	flat_load_dwordx2 v[6:7], v[6:7] offset:32
	s_waitcnt vmcnt(2) lgkmcnt(2)
	v_mul_f64 v[82:83], s[16:17], v[2:3]
	s_waitcnt vmcnt(1) lgkmcnt(1)
	v_mul_f64 v[84:85], s[16:17], v[4:5]
	;; [unrolled: 2-line block ×3, first 2 shown]
.LBB135_32:                             ;   in Loop: Header=BB135_20 Depth=1
	s_mov_b32 s26, 0
.LBB135_33:                             ;   Parent Loop BB135_20 Depth=1
                                        ; =>  This Loop Header: Depth=2
                                        ;       Child Loop BB135_34 Depth 3
	s_lshl_b32 s27, s26, 3
	s_mov_b32 s28, 0
	v_add_nc_u32_e32 v30, s27, v93
	v_add_nc_u32_e32 v66, s27, v94
	s_mov_b32 s27, -1
	ds_read2_b64 v[2:5], v30 offset1:16
	ds_read2_b64 v[6:9], v30 offset0:32 offset1:48
	ds_read2_b64 v[10:13], v30 offset0:64 offset1:80
	;; [unrolled: 1-line block ×3, first 2 shown]
	v_add_nc_u32_e32 v62, 0x800, v30
	ds_read2_b64 v[18:21], v30 offset0:128 offset1:144
	ds_read2_b64 v[22:25], v30 offset0:160 offset1:176
	;; [unrolled: 1-line block ×4, first 2 shown]
	ds_read2_b64 v[34:37], v62 offset1:16
	ds_read2_b64 v[38:41], v62 offset0:32 offset1:48
	ds_read2_b64 v[42:45], v62 offset0:64 offset1:80
	ds_read2_b64 v[46:49], v62 offset0:96 offset1:112
	ds_read2_b64 v[50:53], v62 offset0:128 offset1:144
	ds_read2_b64 v[54:57], v62 offset0:160 offset1:176
	ds_read2_b64 v[58:61], v62 offset0:192 offset1:208
	ds_read2_b64 v[62:65], v62 offset0:224 offset1:240
	ds_read2st64_b64 v[66:69], v66 offset1:4
.LBB135_34:                             ;   Parent Loop BB135_20 Depth=1
                                        ;     Parent Loop BB135_33 Depth=2
                                        ; =>    This Inner Loop Header: Depth=3
	v_mov_b32_e32 v78, s28
	s_waitcnt lgkmcnt(16)
	v_max_f64 v[161:162], v[2:3], v[2:3]
	s_waitcnt lgkmcnt(0)
	v_max_f64 v[163:164], v[66:67], v[66:67]
	v_max_f64 v[165:166], v[4:5], v[4:5]
	;; [unrolled: 1-line block ×3, first 2 shown]
	s_clause 0x3e
	buffer_load_dword v88, v78, s[0:3], 0 offen
	buffer_load_dword v89, v78, s[0:3], 0 offen offset:4
	buffer_load_dword v99, v78, s[0:3], 0 offen offset:8
	;; [unrolled: 1-line block ×63, first 2 shown]
	v_max_f64 v[169:170], v[8:9], v[8:9]
	v_max_f64 v[171:172], v[10:11], v[10:11]
	;; [unrolled: 1-line block ×29, first 2 shown]
	v_min_f64 v[161:162], v[161:162], v[163:164]
	v_min_f64 v[165:166], v[165:166], v[163:164]
	;; [unrolled: 1-line block ×32, first 2 shown]
	v_mov_b32_e32 v66, v68
	v_mov_b32_e32 v67, v69
	s_and_b32 vcc_lo, exec_lo, s27
	s_mov_b32 s27, 0
	s_mov_b32 s28, s18
	s_waitcnt vmcnt(62)
	v_add_f64 v[88:89], v[161:162], v[88:89]
	s_waitcnt vmcnt(60)
	v_add_f64 v[99:100], v[165:166], v[99:100]
	;; [unrolled: 2-line block ×32, first 2 shown]
	buffer_store_dword v88, v78, s[0:3], 0 offen
	buffer_store_dword v89, v78, s[0:3], 0 offen offset:4
	buffer_store_dword v99, v78, s[0:3], 0 offen offset:8
	;; [unrolled: 1-line block ×63, first 2 shown]
	s_cbranch_vccnz .LBB135_34
; %bb.35:                               ;   in Loop: Header=BB135_33 Depth=2
	s_add_i32 s26, s26, 1
	s_cmp_eq_u32 s26, 4
	s_cbranch_scc0 .LBB135_33
; %bb.36:                               ;   in Loop: Header=BB135_20 Depth=1
	s_add_i32 s25, s25, 8
	s_add_i32 s24, s24, 8
	s_cmp_ge_i32 s25, s19
	ds_write2st64_b64 v97, v[80:81], v[82:83] offset1:4
	ds_write2st64_b64 v98, v[84:85], v[86:87] offset1:4
	s_waitcnt lgkmcnt(0)
	s_waitcnt_vscnt null, 0x0
	s_barrier
	buffer_gl0_inv
	s_cbranch_scc0 .LBB135_20
.LBB135_37:
	s_mov_b32 s7, 0
.LBB135_38:                             ; =>This Loop Header: Depth=1
                                        ;     Child Loop BB135_39 Depth 2
	s_lshl_b32 s16, s7, 3
	s_mov_b32 s17, 0
	v_add_nc_u32_e32 v6, s16, v95
	v_add_nc_u32_e32 v70, s16, v96
	s_mov_b32 s16, -1
	ds_read2_b64 v[2:5], v6 offset1:16
	ds_read2_b64 v[10:13], v6 offset0:32 offset1:48
	ds_read2_b64 v[14:17], v6 offset0:64 offset1:80
	v_add_nc_u32_e32 v7, 0x800, v6
	ds_read2_b64 v[18:21], v6 offset0:96 offset1:112
	ds_read2_b64 v[22:25], v6 offset0:128 offset1:144
	;; [unrolled: 1-line block ×5, first 2 shown]
	ds_read2_b64 v[38:41], v7 offset1:16
	ds_read2_b64 v[42:45], v7 offset0:32 offset1:48
	ds_read2_b64 v[46:49], v7 offset0:64 offset1:80
	;; [unrolled: 1-line block ×7, first 2 shown]
	s_waitcnt lgkmcnt(11)
	v_max_f64 v[22:23], v[22:23], v[22:23]
	v_max_f64 v[24:25], v[24:25], v[24:25]
	s_waitcnt lgkmcnt(10)
	v_max_f64 v[26:27], v[26:27], v[26:27]
	v_max_f64 v[28:29], v[28:29], v[28:29]
	;; [unrolled: 3-line block ×3, first 2 shown]
	v_max_f64 v[6:7], v[2:3], v[2:3]
	v_max_f64 v[8:9], v[4:5], v[4:5]
	;; [unrolled: 1-line block ×8, first 2 shown]
	s_waitcnt lgkmcnt(8)
	v_max_f64 v[34:35], v[34:35], v[34:35]
	v_max_f64 v[36:37], v[36:37], v[36:37]
	s_waitcnt lgkmcnt(7)
	v_max_f64 v[38:39], v[38:39], v[38:39]
	v_max_f64 v[40:41], v[40:41], v[40:41]
	;; [unrolled: 3-line block ×9, first 2 shown]
	ds_read2st64_b64 v[2:5], v70 offset1:4
.LBB135_39:                             ;   Parent Loop BB135_38 Depth=1
                                        ; =>  This Inner Loop Header: Depth=2
	v_mov_b32_e32 v94, s17
	s_waitcnt lgkmcnt(0)
	v_max_f64 v[137:138], v[2:3], v[2:3]
	v_mov_b32_e32 v2, v4
	v_mov_b32_e32 v3, v5
	s_and_b32 vcc_lo, exec_lo, s16
	s_clause 0x3e
	buffer_load_dword v70, v94, s[0:3], 0 offen
	buffer_load_dword v71, v94, s[0:3], 0 offen offset:4
	buffer_load_dword v72, v94, s[0:3], 0 offen offset:8
	;; [unrolled: 1-line block ×63, first 2 shown]
	s_mov_b32 s16, 0
	s_mov_b32 s17, s18
	v_min_f64 v[139:140], v[6:7], v[137:138]
	v_min_f64 v[141:142], v[8:9], v[137:138]
	;; [unrolled: 1-line block ×32, first 2 shown]
	s_waitcnt vmcnt(62)
	v_add_f64 v[70:71], v[139:140], v[70:71]
	s_waitcnt vmcnt(60)
	v_add_f64 v[72:73], v[141:142], v[72:73]
	;; [unrolled: 2-line block ×32, first 2 shown]
	buffer_store_dword v70, v94, s[0:3], 0 offen
	buffer_store_dword v71, v94, s[0:3], 0 offen offset:4
	buffer_store_dword v72, v94, s[0:3], 0 offen offset:8
	;; [unrolled: 1-line block ×63, first 2 shown]
	s_cbranch_vccnz .LBB135_39
; %bb.40:                               ;   in Loop: Header=BB135_38 Depth=1
	s_add_i32 s7, s7, 1
	s_cmp_eq_u32 s7, 4
	s_cbranch_scc0 .LBB135_38
; %bb.41:
	s_clause 0x1
	buffer_load_dword v2, off, s[0:3], 0
	buffer_load_dword v3, off, s[0:3], 0 offset:4
	s_load_dword s7, s[4:5], 0x58
	v_add_nc_u32_e32 v69, s10, v1
	v_add_nc_u32_e32 v12, s6, v0
	v_cndmask_b32_e64 v0, 0, 1, s11
	v_mov_b32_e32 v6, 0
	v_mov_b32_e32 v7, 0
	v_ashrrev_i32_e32 v13, 31, v12
	v_cmp_ne_u32_e64 s6, 1, v0
	v_lshlrev_b64 v[0:1], 3, v[12:13]
	s_waitcnt lgkmcnt(0)
	v_mad_i64_i32 v[4:5], null, v69, s7, 0
	v_lshlrev_b64 v[8:9], 3, v[4:5]
	v_mov_b32_e32 v4, 0
	v_mov_b32_e32 v5, 0
	v_add_co_u32 v70, vcc_lo, s12, v8
	v_add_co_ci_u32_e64 v71, null, s13, v9, vcc_lo
	s_andn2_b32 vcc_lo, exec_lo, s11
	s_cbranch_vccnz .LBB135_43
; %bb.42:
	v_add_co_u32 v6, vcc_lo, v70, v0
	v_add_co_ci_u32_e64 v7, null, v71, v1, vcc_lo
	flat_load_dwordx2 v[6:7], v[6:7]
	s_waitcnt vmcnt(0) lgkmcnt(0)
	v_mul_f64 v[6:7], s[14:15], v[6:7]
.LBB135_43:
	s_clause 0x1
	s_load_dword s10, s[4:5], 0x70
	s_load_dwordx2 s[4:5], s[4:5], 0x78
	s_waitcnt vmcnt(0)
	v_add_f64 v[2:3], v[2:3], v[6:7]
	s_waitcnt lgkmcnt(0)
	v_mad_i64_i32 v[8:9], null, v69, s10, 0
	s_lshl_b64 s[4:5], s[4:5], 3
	s_add_u32 s4, s8, s4
	s_addc_u32 s5, s9, s5
	v_lshlrev_b64 v[6:7], 3, v[8:9]
	v_add_co_u32 v72, vcc_lo, s4, v6
	v_add_co_ci_u32_e64 v73, null, s5, v7, vcc_lo
	v_add_co_u32 v6, vcc_lo, v72, v0
	v_add_co_ci_u32_e64 v7, null, v73, v1, vcc_lo
	s_and_b32 vcc_lo, exec_lo, s6
	flat_store_dwordx2 v[6:7], v[2:3]
	s_clause 0x1
	buffer_load_dword v6, off, s[0:3], 0 offset:8
	buffer_load_dword v7, off, s[0:3], 0 offset:12
	v_add_nc_u32_e32 v2, 4, v12
	v_ashrrev_i32_e32 v3, 31, v2
	v_lshlrev_b64 v[2:3], 3, v[2:3]
	s_cbranch_vccnz .LBB135_45
; %bb.44:
	v_add_co_u32 v4, vcc_lo, v70, v2
	v_add_co_ci_u32_e64 v5, null, v71, v3, vcc_lo
	flat_load_dwordx2 v[4:5], v[4:5]
	s_waitcnt vmcnt(0) lgkmcnt(0)
	v_mul_f64 v[4:5], s[14:15], v[4:5]
.LBB135_45:
	s_waitcnt vmcnt(0)
	v_add_f64 v[4:5], v[6:7], v[4:5]
	v_add_co_u32 v6, vcc_lo, v72, v2
	v_add_co_ci_u32_e64 v7, null, v73, v3, vcc_lo
	v_mov_b32_e32 v8, 0
	v_mov_b32_e32 v10, 0
	v_mov_b32_e32 v9, 0
	v_mov_b32_e32 v11, 0
	s_and_b32 vcc_lo, exec_lo, s6
	flat_store_dwordx2 v[6:7], v[4:5]
	s_clause 0x1
	buffer_load_dword v6, off, s[0:3], 0 offset:16
	buffer_load_dword v7, off, s[0:3], 0 offset:20
	v_add_nc_u32_e32 v4, 8, v12
	v_ashrrev_i32_e32 v5, 31, v4
	v_lshlrev_b64 v[4:5], 3, v[4:5]
	s_cbranch_vccnz .LBB135_47
; %bb.46:
	v_add_co_u32 v10, vcc_lo, v70, v4
	v_add_co_ci_u32_e64 v11, null, v71, v5, vcc_lo
	flat_load_dwordx2 v[10:11], v[10:11]
	s_waitcnt vmcnt(0) lgkmcnt(0)
	v_mul_f64 v[10:11], s[14:15], v[10:11]
.LBB135_47:
	s_waitcnt vmcnt(0)
	v_add_f64 v[6:7], v[6:7], v[10:11]
	v_add_co_u32 v10, vcc_lo, v72, v4
	v_add_co_ci_u32_e64 v11, null, v73, v5, vcc_lo
	s_and_b32 vcc_lo, exec_lo, s6
	flat_store_dwordx2 v[10:11], v[6:7]
	s_clause 0x1
	buffer_load_dword v10, off, s[0:3], 0 offset:24
	buffer_load_dword v11, off, s[0:3], 0 offset:28
	v_add_nc_u32_e32 v6, 12, v12
	v_ashrrev_i32_e32 v7, 31, v6
	v_lshlrev_b64 v[6:7], 3, v[6:7]
	s_cbranch_vccnz .LBB135_49
; %bb.48:
	v_add_co_u32 v8, vcc_lo, v70, v6
	v_add_co_ci_u32_e64 v9, null, v71, v7, vcc_lo
	flat_load_dwordx2 v[8:9], v[8:9]
	s_waitcnt vmcnt(0) lgkmcnt(0)
	v_mul_f64 v[8:9], s[14:15], v[8:9]
.LBB135_49:
	s_waitcnt vmcnt(0)
	v_add_f64 v[8:9], v[10:11], v[8:9]
	v_add_co_u32 v10, vcc_lo, v72, v6
	v_add_co_ci_u32_e64 v11, null, v73, v7, vcc_lo
	v_mov_b32_e32 v13, 0
	v_mov_b32_e32 v15, 0
	v_mov_b32_e32 v14, 0
	v_mov_b32_e32 v16, 0
	s_and_b32 vcc_lo, exec_lo, s6
	flat_store_dwordx2 v[10:11], v[8:9]
	s_clause 0x1
	buffer_load_dword v10, off, s[0:3], 0 offset:32
	buffer_load_dword v11, off, s[0:3], 0 offset:36
	v_add_nc_u32_e32 v8, 16, v12
	v_ashrrev_i32_e32 v9, 31, v8
	v_lshlrev_b64 v[8:9], 3, v[8:9]
	s_cbranch_vccnz .LBB135_51
; %bb.50:
	v_add_co_u32 v15, vcc_lo, v70, v8
	v_add_co_ci_u32_e64 v16, null, v71, v9, vcc_lo
	flat_load_dwordx2 v[15:16], v[15:16]
	s_waitcnt vmcnt(0) lgkmcnt(0)
	v_mul_f64 v[15:16], s[14:15], v[15:16]
.LBB135_51:
	s_waitcnt vmcnt(0)
	v_add_f64 v[10:11], v[10:11], v[15:16]
	;; [unrolled: 44-line block ×15, first 2 shown]
	v_add_co_u32 v67, vcc_lo, v72, v61
	v_add_co_ci_u32_e64 v68, null, v73, v62, vcc_lo
	s_and_b32 vcc_lo, exec_lo, s6
	flat_store_dwordx2 v[67:68], v[63:64]
	s_clause 0x1
	buffer_load_dword v67, off, s[0:3], 0 offset:248
	buffer_load_dword v68, off, s[0:3], 0 offset:252
	v_add_nc_u32_e32 v63, 0x7c, v12
	v_ashrrev_i32_e32 v64, 31, v63
	v_lshlrev_b64 v[63:64], 3, v[63:64]
	s_cbranch_vccnz .LBB135_105
; %bb.104:
	v_add_co_u32 v65, vcc_lo, v70, v63
	v_add_co_ci_u32_e64 v66, null, v71, v64, vcc_lo
	flat_load_dwordx2 v[65:66], v[65:66]
	s_waitcnt vmcnt(0) lgkmcnt(0)
	v_mul_f64 v[65:66], s[14:15], v[65:66]
.LBB135_105:
	s_waitcnt vmcnt(0)
	v_add_f64 v[65:66], v[67:68], v[65:66]
	v_add_co_u32 v67, vcc_lo, v72, v63
	v_add_co_ci_u32_e64 v68, null, v73, v64, vcc_lo
	v_add_nc_u32_e32 v72, 64, v69
	v_mov_b32_e32 v69, 0
	v_mov_b32_e32 v70, 0
	flat_store_dwordx2 v[67:68], v[65:66]
	s_clause 0x1
	buffer_load_dword v67, off, s[0:3], 0 offset:256
	buffer_load_dword v68, off, s[0:3], 0 offset:260
	v_mad_i64_i32 v[65:66], null, v72, s7, 0
	v_lshlrev_b64 v[73:74], 3, v[65:66]
	v_mov_b32_e32 v65, 0
	v_mov_b32_e32 v66, 0
	v_add_co_u32 v12, vcc_lo, s12, v73
	v_add_co_ci_u32_e64 v71, null, s13, v74, vcc_lo
	s_and_b32 vcc_lo, exec_lo, s6
	s_cbranch_vccnz .LBB135_107
; %bb.106:
	v_add_co_u32 v69, vcc_lo, v12, v0
	v_add_co_ci_u32_e64 v70, null, v71, v1, vcc_lo
	flat_load_dwordx2 v[69:70], v[69:70]
	s_waitcnt vmcnt(0) lgkmcnt(0)
	v_mul_f64 v[69:70], s[14:15], v[69:70]
.LBB135_107:
	v_mad_i64_i32 v[72:73], null, v72, s10, 0
	s_waitcnt vmcnt(0)
	v_add_f64 v[69:70], v[67:68], v[69:70]
	v_lshlrev_b64 v[67:68], 3, v[72:73]
	v_add_co_u32 v67, vcc_lo, s4, v67
	v_add_co_ci_u32_e64 v68, null, s5, v68, vcc_lo
	v_add_co_u32 v0, vcc_lo, v67, v0
	v_add_co_ci_u32_e64 v1, null, v68, v1, vcc_lo
	s_and_b32 vcc_lo, exec_lo, s6
	flat_store_dwordx2 v[0:1], v[69:70]
	s_clause 0x1
	buffer_load_dword v0, off, s[0:3], 0 offset:264
	buffer_load_dword v1, off, s[0:3], 0 offset:268
	s_cbranch_vccnz .LBB135_109
; %bb.108:
	v_add_co_u32 v65, vcc_lo, v12, v2
	v_add_co_ci_u32_e64 v66, null, v71, v3, vcc_lo
	flat_load_dwordx2 v[65:66], v[65:66]
	s_waitcnt vmcnt(0) lgkmcnt(0)
	v_mul_f64 v[65:66], s[14:15], v[65:66]
.LBB135_109:
	s_waitcnt vmcnt(0)
	v_add_f64 v[0:1], v[0:1], v[65:66]
	v_add_co_u32 v2, vcc_lo, v67, v2
	v_add_co_ci_u32_e64 v3, null, v68, v3, vcc_lo
	v_mov_b32_e32 v65, 0
	v_mov_b32_e32 v66, 0
	s_and_b32 vcc_lo, exec_lo, s6
	flat_store_dwordx2 v[2:3], v[0:1]
	s_clause 0x1
	buffer_load_dword v2, off, s[0:3], 0 offset:272
	buffer_load_dword v3, off, s[0:3], 0 offset:276
	v_mov_b32_e32 v0, 0
	v_mov_b32_e32 v1, 0
	s_cbranch_vccnz .LBB135_111
; %bb.110:
	v_add_co_u32 v65, vcc_lo, v12, v4
	v_add_co_ci_u32_e64 v66, null, v71, v5, vcc_lo
	flat_load_dwordx2 v[65:66], v[65:66]
	s_waitcnt vmcnt(0) lgkmcnt(0)
	v_mul_f64 v[65:66], s[14:15], v[65:66]
.LBB135_111:
	s_waitcnt vmcnt(0)
	v_add_f64 v[2:3], v[2:3], v[65:66]
	v_add_co_u32 v4, vcc_lo, v67, v4
	v_add_co_ci_u32_e64 v5, null, v68, v5, vcc_lo
	s_and_b32 vcc_lo, exec_lo, s6
	flat_store_dwordx2 v[4:5], v[2:3]
	s_clause 0x1
	buffer_load_dword v2, off, s[0:3], 0 offset:280
	buffer_load_dword v3, off, s[0:3], 0 offset:284
	s_cbranch_vccnz .LBB135_113
; %bb.112:
	v_add_co_u32 v0, vcc_lo, v12, v6
	v_add_co_ci_u32_e64 v1, null, v71, v7, vcc_lo
	flat_load_dwordx2 v[0:1], v[0:1]
	s_waitcnt vmcnt(0) lgkmcnt(0)
	v_mul_f64 v[0:1], s[14:15], v[0:1]
.LBB135_113:
	s_waitcnt vmcnt(0)
	v_add_f64 v[0:1], v[2:3], v[0:1]
	v_add_co_u32 v2, vcc_lo, v67, v6
	v_add_co_ci_u32_e64 v3, null, v68, v7, vcc_lo
	v_mov_b32_e32 v4, 0
	v_mov_b32_e32 v5, 0
	s_and_b32 vcc_lo, exec_lo, s6
	flat_store_dwordx2 v[2:3], v[0:1]
	s_clause 0x1
	buffer_load_dword v2, off, s[0:3], 0 offset:288
	buffer_load_dword v3, off, s[0:3], 0 offset:292
	v_mov_b32_e32 v0, 0
	v_mov_b32_e32 v1, 0
	s_cbranch_vccnz .LBB135_115
; %bb.114:
	v_add_co_u32 v4, vcc_lo, v12, v8
	v_add_co_ci_u32_e64 v5, null, v71, v9, vcc_lo
	flat_load_dwordx2 v[4:5], v[4:5]
	s_waitcnt vmcnt(0) lgkmcnt(0)
	v_mul_f64 v[4:5], s[14:15], v[4:5]
.LBB135_115:
	s_waitcnt vmcnt(0)
	v_add_f64 v[2:3], v[2:3], v[4:5]
	;; [unrolled: 38-line block ×15, first 2 shown]
	v_add_co_u32 v4, vcc_lo, v67, v61
	v_add_co_ci_u32_e64 v5, null, v68, v62, vcc_lo
	s_and_b32 vcc_lo, exec_lo, s6
	flat_store_dwordx2 v[4:5], v[2:3]
	s_clause 0x1
	buffer_load_dword v2, off, s[0:3], 0 offset:504
	buffer_load_dword v3, off, s[0:3], 0 offset:508
	s_cbranch_vccnz .LBB135_169
; %bb.168:
	v_add_co_u32 v0, vcc_lo, v12, v63
	v_add_co_ci_u32_e64 v1, null, v71, v64, vcc_lo
	flat_load_dwordx2 v[0:1], v[0:1]
	s_waitcnt vmcnt(0) lgkmcnt(0)
	v_mul_f64 v[0:1], s[14:15], v[0:1]
.LBB135_169:
	s_waitcnt vmcnt(0)
	v_add_f64 v[0:1], v[2:3], v[0:1]
	v_add_co_u32 v2, vcc_lo, v67, v63
	v_add_co_ci_u32_e64 v3, null, v68, v64, vcc_lo
	flat_store_dwordx2 v[2:3], v[0:1]
	s_endpgm
	.section	.rodata,"a",@progbits
	.p2align	6, 0x0
	.amdhsa_kernel _ZN12_GLOBAL__N_120geam_min_plus_kernelIdddLi4ELi64ELi128ELi128ELi4ELi4ELi64ELi4ELi64ELc84ELc78ELb0ELb0ELb0EPKdKS2_KPdEEviiiT16_PT17_ilS8_ilS6_S8_ilPT18_ili26rocblas_geam_ex_operation_
		.amdhsa_group_segment_fixed_size 16384
		.amdhsa_private_segment_fixed_size 528
		.amdhsa_kernarg_size 136
		.amdhsa_user_sgpr_count 6
		.amdhsa_user_sgpr_private_segment_buffer 1
		.amdhsa_user_sgpr_dispatch_ptr 0
		.amdhsa_user_sgpr_queue_ptr 0
		.amdhsa_user_sgpr_kernarg_segment_ptr 1
		.amdhsa_user_sgpr_dispatch_id 0
		.amdhsa_user_sgpr_flat_scratch_init 0
		.amdhsa_user_sgpr_private_segment_size 0
		.amdhsa_wavefront_size32 1
		.amdhsa_uses_dynamic_stack 0
		.amdhsa_system_sgpr_private_segment_wavefront_offset 1
		.amdhsa_system_sgpr_workgroup_id_x 1
		.amdhsa_system_sgpr_workgroup_id_y 0
		.amdhsa_system_sgpr_workgroup_id_z 1
		.amdhsa_system_sgpr_workgroup_info 0
		.amdhsa_system_vgpr_workitem_id 1
		.amdhsa_next_free_vgpr 229
		.amdhsa_next_free_sgpr 29
		.amdhsa_reserve_vcc 1
		.amdhsa_reserve_flat_scratch 1
		.amdhsa_float_round_mode_32 0
		.amdhsa_float_round_mode_16_64 0
		.amdhsa_float_denorm_mode_32 3
		.amdhsa_float_denorm_mode_16_64 3
		.amdhsa_dx10_clamp 1
		.amdhsa_ieee_mode 1
		.amdhsa_fp16_overflow 0
		.amdhsa_workgroup_processor_mode 1
		.amdhsa_memory_ordered 1
		.amdhsa_forward_progress 1
		.amdhsa_shared_vgpr_count 0
		.amdhsa_exception_fp_ieee_invalid_op 0
		.amdhsa_exception_fp_denorm_src 0
		.amdhsa_exception_fp_ieee_div_zero 0
		.amdhsa_exception_fp_ieee_overflow 0
		.amdhsa_exception_fp_ieee_underflow 0
		.amdhsa_exception_fp_ieee_inexact 0
		.amdhsa_exception_int_div_zero 0
	.end_amdhsa_kernel
	.section	.text._ZN12_GLOBAL__N_120geam_min_plus_kernelIdddLi4ELi64ELi128ELi128ELi4ELi4ELi64ELi4ELi64ELc84ELc78ELb0ELb0ELb0EPKdKS2_KPdEEviiiT16_PT17_ilS8_ilS6_S8_ilPT18_ili26rocblas_geam_ex_operation_,"axG",@progbits,_ZN12_GLOBAL__N_120geam_min_plus_kernelIdddLi4ELi64ELi128ELi128ELi4ELi4ELi64ELi4ELi64ELc84ELc78ELb0ELb0ELb0EPKdKS2_KPdEEviiiT16_PT17_ilS8_ilS6_S8_ilPT18_ili26rocblas_geam_ex_operation_,comdat
.Lfunc_end135:
	.size	_ZN12_GLOBAL__N_120geam_min_plus_kernelIdddLi4ELi64ELi128ELi128ELi4ELi4ELi64ELi4ELi64ELc84ELc78ELb0ELb0ELb0EPKdKS2_KPdEEviiiT16_PT17_ilS8_ilS6_S8_ilPT18_ili26rocblas_geam_ex_operation_, .Lfunc_end135-_ZN12_GLOBAL__N_120geam_min_plus_kernelIdddLi4ELi64ELi128ELi128ELi4ELi4ELi64ELi4ELi64ELc84ELc78ELb0ELb0ELb0EPKdKS2_KPdEEviiiT16_PT17_ilS8_ilS6_S8_ilPT18_ili26rocblas_geam_ex_operation_
                                        ; -- End function
	.set _ZN12_GLOBAL__N_120geam_min_plus_kernelIdddLi4ELi64ELi128ELi128ELi4ELi4ELi64ELi4ELi64ELc84ELc78ELb0ELb0ELb0EPKdKS2_KPdEEviiiT16_PT17_ilS8_ilS6_S8_ilPT18_ili26rocblas_geam_ex_operation_.num_vgpr, 229
	.set _ZN12_GLOBAL__N_120geam_min_plus_kernelIdddLi4ELi64ELi128ELi128ELi4ELi4ELi64ELi4ELi64ELc84ELc78ELb0ELb0ELb0EPKdKS2_KPdEEviiiT16_PT17_ilS8_ilS6_S8_ilPT18_ili26rocblas_geam_ex_operation_.num_agpr, 0
	.set _ZN12_GLOBAL__N_120geam_min_plus_kernelIdddLi4ELi64ELi128ELi128ELi4ELi4ELi64ELi4ELi64ELc84ELc78ELb0ELb0ELb0EPKdKS2_KPdEEviiiT16_PT17_ilS8_ilS6_S8_ilPT18_ili26rocblas_geam_ex_operation_.numbered_sgpr, 29
	.set _ZN12_GLOBAL__N_120geam_min_plus_kernelIdddLi4ELi64ELi128ELi128ELi4ELi4ELi64ELi4ELi64ELc84ELc78ELb0ELb0ELb0EPKdKS2_KPdEEviiiT16_PT17_ilS8_ilS6_S8_ilPT18_ili26rocblas_geam_ex_operation_.num_named_barrier, 0
	.set _ZN12_GLOBAL__N_120geam_min_plus_kernelIdddLi4ELi64ELi128ELi128ELi4ELi4ELi64ELi4ELi64ELc84ELc78ELb0ELb0ELb0EPKdKS2_KPdEEviiiT16_PT17_ilS8_ilS6_S8_ilPT18_ili26rocblas_geam_ex_operation_.private_seg_size, 528
	.set _ZN12_GLOBAL__N_120geam_min_plus_kernelIdddLi4ELi64ELi128ELi128ELi4ELi4ELi64ELi4ELi64ELc84ELc78ELb0ELb0ELb0EPKdKS2_KPdEEviiiT16_PT17_ilS8_ilS6_S8_ilPT18_ili26rocblas_geam_ex_operation_.uses_vcc, 1
	.set _ZN12_GLOBAL__N_120geam_min_plus_kernelIdddLi4ELi64ELi128ELi128ELi4ELi4ELi64ELi4ELi64ELc84ELc78ELb0ELb0ELb0EPKdKS2_KPdEEviiiT16_PT17_ilS8_ilS6_S8_ilPT18_ili26rocblas_geam_ex_operation_.uses_flat_scratch, 1
	.set _ZN12_GLOBAL__N_120geam_min_plus_kernelIdddLi4ELi64ELi128ELi128ELi4ELi4ELi64ELi4ELi64ELc84ELc78ELb0ELb0ELb0EPKdKS2_KPdEEviiiT16_PT17_ilS8_ilS6_S8_ilPT18_ili26rocblas_geam_ex_operation_.has_dyn_sized_stack, 0
	.set _ZN12_GLOBAL__N_120geam_min_plus_kernelIdddLi4ELi64ELi128ELi128ELi4ELi4ELi64ELi4ELi64ELc84ELc78ELb0ELb0ELb0EPKdKS2_KPdEEviiiT16_PT17_ilS8_ilS6_S8_ilPT18_ili26rocblas_geam_ex_operation_.has_recursion, 0
	.set _ZN12_GLOBAL__N_120geam_min_plus_kernelIdddLi4ELi64ELi128ELi128ELi4ELi4ELi64ELi4ELi64ELc84ELc78ELb0ELb0ELb0EPKdKS2_KPdEEviiiT16_PT17_ilS8_ilS6_S8_ilPT18_ili26rocblas_geam_ex_operation_.has_indirect_call, 0
	.section	.AMDGPU.csdata,"",@progbits
; Kernel info:
; codeLenInByte = 19308
; TotalNumSgprs: 31
; NumVgprs: 229
; ScratchSize: 528
; MemoryBound: 1
; FloatMode: 240
; IeeeMode: 1
; LDSByteSize: 16384 bytes/workgroup (compile time only)
; SGPRBlocks: 0
; VGPRBlocks: 28
; NumSGPRsForWavesPerEU: 31
; NumVGPRsForWavesPerEU: 229
; Occupancy: 4
; WaveLimiterHint : 1
; COMPUTE_PGM_RSRC2:SCRATCH_EN: 1
; COMPUTE_PGM_RSRC2:USER_SGPR: 6
; COMPUTE_PGM_RSRC2:TRAP_HANDLER: 0
; COMPUTE_PGM_RSRC2:TGID_X_EN: 1
; COMPUTE_PGM_RSRC2:TGID_Y_EN: 0
; COMPUTE_PGM_RSRC2:TGID_Z_EN: 1
; COMPUTE_PGM_RSRC2:TIDIG_COMP_CNT: 1
	.section	.text._ZN12_GLOBAL__N_120geam_min_plus_kernelIdddLi4ELi64ELi128ELi128ELi4ELi4ELi64ELi4ELi64ELc84ELc78ELb1ELb0ELb0EdKPKdKPdEEviiiT16_PT17_ilS8_ilS6_S8_ilPT18_ili26rocblas_geam_ex_operation_,"axG",@progbits,_ZN12_GLOBAL__N_120geam_min_plus_kernelIdddLi4ELi64ELi128ELi128ELi4ELi4ELi64ELi4ELi64ELc84ELc78ELb1ELb0ELb0EdKPKdKPdEEviiiT16_PT17_ilS8_ilS6_S8_ilPT18_ili26rocblas_geam_ex_operation_,comdat
	.globl	_ZN12_GLOBAL__N_120geam_min_plus_kernelIdddLi4ELi64ELi128ELi128ELi4ELi4ELi64ELi4ELi64ELc84ELc78ELb1ELb0ELb0EdKPKdKPdEEviiiT16_PT17_ilS8_ilS6_S8_ilPT18_ili26rocblas_geam_ex_operation_ ; -- Begin function _ZN12_GLOBAL__N_120geam_min_plus_kernelIdddLi4ELi64ELi128ELi128ELi4ELi4ELi64ELi4ELi64ELc84ELc78ELb1ELb0ELb0EdKPKdKPdEEviiiT16_PT17_ilS8_ilS6_S8_ilPT18_ili26rocblas_geam_ex_operation_
	.p2align	8
	.type	_ZN12_GLOBAL__N_120geam_min_plus_kernelIdddLi4ELi64ELi128ELi128ELi4ELi4ELi64ELi4ELi64ELc84ELc78ELb1ELb0ELb0EdKPKdKPdEEviiiT16_PT17_ilS8_ilS6_S8_ilPT18_ili26rocblas_geam_ex_operation_,@function
_ZN12_GLOBAL__N_120geam_min_plus_kernelIdddLi4ELi64ELi128ELi128ELi4ELi4ELi64ELi4ELi64ELc84ELc78ELb1ELb0ELb0EdKPKdKPdEEviiiT16_PT17_ilS8_ilS6_S8_ilPT18_ili26rocblas_geam_ex_operation_: ; @_ZN12_GLOBAL__N_120geam_min_plus_kernelIdddLi4ELi64ELi128ELi128ELi4ELi4ELi64ELi4ELi64ELc84ELc78ELb1ELb0ELb0EdKPKdKPdEEviiiT16_PT17_ilS8_ilS6_S8_ilPT18_ili26rocblas_geam_ex_operation_
; %bb.0:
	s_add_u32 s0, s0, s8
	s_clause 0x1
	s_load_dwordx4 s[8:11], s[4:5], 0x10
	s_load_dwordx4 s[12:15], s[4:5], 0x28
	s_mov_b32 s22, s7
	s_addc_u32 s1, s1, 0
	s_mov_b64 s[18:19], 0
	s_waitcnt lgkmcnt(0)
	v_cmp_eq_f64_e64 s7, s[8:9], 0
	s_and_b32 vcc_lo, exec_lo, s7
	s_cbranch_vccnz .LBB136_2
; %bb.1:
	s_mov_b32 s23, 0
	s_lshl_b64 s[8:9], s[22:23], 3
	s_add_u32 s8, s10, s8
	s_addc_u32 s9, s11, s9
	s_lshl_b64 s[10:11], s[12:13], 3
	s_load_dwordx2 s[8:9], s[8:9], 0x0
	s_waitcnt lgkmcnt(0)
	s_add_u32 s18, s8, s10
	s_addc_u32 s19, s9, s11
.LBB136_2:
	s_clause 0x1
	s_load_dwordx4 s[8:11], s[4:5], 0x40
	s_load_dwordx2 s[24:25], s[4:5], 0x50
	s_andn2_b32 vcc_lo, exec_lo, s7
	s_mov_b32 s23, 0
	s_cbranch_vccnz .LBB136_4
; %bb.3:
	s_mov_b32 s7, s23
	s_mov_b64 s[16:17], 0
	s_andn2_b32 vcc_lo, exec_lo, s7
	s_mov_b64 s[20:21], 0
	s_cbranch_vccz .LBB136_5
	s_branch .LBB136_6
.LBB136_4:
	s_mov_b64 s[16:17], 0
	s_mov_b64 s[20:21], 0
.LBB136_5:
	s_lshl_b64 s[12:13], s[22:23], 3
	s_add_u32 s12, s14, s12
	s_addc_u32 s13, s15, s13
	s_waitcnt lgkmcnt(0)
	s_lshl_b64 s[8:9], s[8:9], 3
	s_load_dwordx2 s[12:13], s[12:13], 0x0
	s_waitcnt lgkmcnt(0)
	s_add_u32 s20, s12, s8
	s_addc_u32 s21, s13, s9
.LBB136_6:
	s_waitcnt lgkmcnt(0)
	v_cmp_eq_f64_e64 s7, s[10:11], 0
	s_load_dwordx4 s[12:15], s[4:5], 0x60
	s_and_b32 vcc_lo, exec_lo, s7
	s_cbranch_vccnz .LBB136_8
; %bb.7:
	s_lshl_b64 s[8:9], s[22:23], 3
	s_add_u32 s8, s24, s8
	s_addc_u32 s9, s25, s9
	s_waitcnt lgkmcnt(0)
	s_lshl_b64 s[12:13], s[12:13], 3
	s_load_dwordx2 s[8:9], s[8:9], 0x0
	s_waitcnt lgkmcnt(0)
	s_add_u32 s16, s8, s12
	s_addc_u32 s17, s9, s13
.LBB136_8:
	s_waitcnt lgkmcnt(0)
	s_clause 0x2
	s_load_dword s12, s[4:5], 0x0
	s_load_dword s24, s[4:5], 0x20
	;; [unrolled: 1-line block ×3, first 2 shown]
	s_mov_b32 s7, 0
	s_lshl_b64 s[8:9], s[22:23], 3
	s_addk_i32 s7, 0x100
	s_add_u32 s8, s14, s8
	s_addc_u32 s9, s15, s9
	v_lshrrev_b32_e32 v2, 2, v0
	v_and_b32_e32 v96, 3, v0
	v_mov_b32_e32 v8, 0
	buffer_store_dword v8, off, s[0:3], 0 offset:4
	buffer_store_dword v8, off, s[0:3], 0
	buffer_store_dword v8, off, s[0:3], 0 offset:12
	buffer_store_dword v8, off, s[0:3], 0 offset:8
	;; [unrolled: 1-line block ×6, first 2 shown]
	v_add_nc_u32_e32 v22, v2, v1
	v_lshlrev_b32_e32 v23, 3, v96
	buffer_store_dword v8, off, s[0:3], 0 offset:36
	buffer_store_dword v8, off, s[0:3], 0 offset:32
	s_waitcnt lgkmcnt(0)
	s_add_i32 s12, s12, -1
	buffer_store_dword v8, off, s[0:3], 0 offset:44
	s_ashr_i32 s14, s12, 31
	buffer_store_dword v8, off, s[0:3], 0 offset:40
	s_lshr_b32 s14, s14, 25
	buffer_store_dword v8, off, s[0:3], 0 offset:52
	s_add_i32 s12, s12, s14
	buffer_store_dword v8, off, s[0:3], 0 offset:48
	s_ashr_i32 s12, s12, 7
	buffer_store_dword v8, off, s[0:3], 0 offset:60
	buffer_store_dword v8, off, s[0:3], 0 offset:56
	;; [unrolled: 1-line block ×4, first 2 shown]
	s_add_i32 s14, s12, 1
	s_not_b32 s12, s12
	v_cvt_f32_u32_e32 v2, s14
	buffer_store_dword v8, off, s[0:3], 0 offset:76
	buffer_store_dword v8, off, s[0:3], 0 offset:72
	;; [unrolled: 1-line block ×19, first 2 shown]
	v_rcp_iflag_f32_e32 v2, v2
	buffer_store_dword v8, off, s[0:3], 0 offset:144
	buffer_store_dword v8, off, s[0:3], 0 offset:156
	;; [unrolled: 1-line block ×9, first 2 shown]
	v_mul_f32_e32 v2, 0x4f7ffffe, v2
	buffer_store_dword v8, off, s[0:3], 0 offset:188
	buffer_store_dword v8, off, s[0:3], 0 offset:184
	;; [unrolled: 1-line block ×81, first 2 shown]
	v_cvt_u32_f32_e32 v2, v2
	buffer_store_dword v8, off, s[0:3], 0 offset:504
	v_lshl_or_b32 v97, v22, 5, v23
	v_lshlrev_b32_e32 v98, 5, v0
	v_lshl_or_b32 v99, v1, 5, 0x2000
	v_readfirstlane_b32 s15, v2
	v_add_nc_u32_e32 v100, 0x2000, v97
	s_mul_i32 s12, s12, s15
	s_mul_hi_u32 s12, s15, s12
	s_add_i32 s15, s15, s12
	s_mul_hi_u32 s12, s6, s15
	s_mul_i32 s15, s12, s14
	s_add_i32 s22, s12, 1
	s_sub_i32 s15, s6, s15
	s_sub_i32 s23, s15, s14
	s_cmp_ge_u32 s15, s14
	s_cselect_b32 s12, s22, s12
	s_cselect_b32 s15, s23, s15
	s_add_i32 s22, s12, 1
	s_cmp_ge_u32 s15, s14
	s_cselect_b32 s12, s22, s12
	s_mul_i32 s14, s12, s14
	s_lshl_b32 s12, s12, 7
	s_sub_i32 s6, s6, s14
	v_add_nc_u32_e32 v5, s12, v22
	s_lshl_b32 s6, s6, 7
	v_add_co_u32 v9, s14, s18, v23
	v_add_nc_u32_e32 v4, s6, v22
	v_add_nc_u32_e32 v6, 64, v5
	v_add_co_ci_u32_e64 v11, null, s19, 0, s14
	s_mov_b32 s14, 0
	v_mad_i64_i32 v[2:3], null, v4, s24, 0
	v_add_nc_u32_e32 v4, 64, v4
	v_mad_i64_i32 v[6:7], null, v6, s13, 0
	v_lshlrev_b64 v[70:71], 3, v[2:3]
	v_mad_i64_i32 v[2:3], null, v4, s24, 0
	v_mad_i64_i32 v[4:5], null, v5, s13, 0
	v_lshlrev_b64 v[76:77], 3, v[6:7]
	v_add_co_u32 v12, vcc_lo, v9, v70
	v_add_co_ci_u32_e64 v13, null, v11, v71, vcc_lo
	v_lshlrev_b64 v[72:73], 3, v[2:3]
	v_lshlrev_b64 v[74:75], 3, v[4:5]
	v_add_co_u32 v4, s13, s20, v23
	v_add_co_ci_u32_e64 v5, null, s21, 0, s13
	v_cmp_neq_f64_e64 s13, s[10:11], 0
	v_add_co_u32 v2, vcc_lo, v4, v74
	v_add_co_ci_u32_e64 v3, null, v5, v75, vcc_lo
	v_add_co_u32 v4, vcc_lo, v4, v76
	v_add_co_ci_u32_e64 v5, null, v5, v77, vcc_lo
	;; [unrolled: 2-line block ×3, first 2 shown]
	s_clause 0x1
	flat_load_dwordx2 v[14:15], v[2:3]
	flat_load_dwordx2 v[16:17], v[4:5]
	s_clause 0x1
	flat_load_dwordx2 v[18:19], v[12:13]
	flat_load_dwordx2 v[20:21], v[10:11]
	s_clause 0x1
	flat_load_dwordx2 v[6:7], v[4:5] offset:32
	flat_load_dwordx2 v[8:9], v[2:3] offset:32
	s_clause 0x1
	flat_load_dwordx2 v[10:11], v[10:11] offset:32
	flat_load_dwordx2 v[12:13], v[12:13] offset:32
	s_load_dwordx2 s[8:9], s[8:9], 0x0
	s_waitcnt vmcnt(6) lgkmcnt(0)
	ds_write2st64_b64 v97, v[14:15], v[16:17] offset0:16 offset1:20
	s_waitcnt vmcnt(4)
	ds_write2st64_b64 v97, v[18:19], v[20:21] offset1:4
	s_waitcnt vmcnt(0) lgkmcnt(0)
	s_waitcnt_vscnt null, 0x0
	s_barrier
	buffer_gl0_inv
.LBB136_9:                              ; =>This Loop Header: Depth=1
                                        ;     Child Loop BB136_10 Depth 2
	s_lshl_b32 s15, s14, 3
	s_mov_b32 s22, 0
	v_add_nc_u32_e32 v14, s15, v98
	v_add_nc_u32_e32 v86, s15, v99
	s_mov_b32 s15, -1
	ds_read2_b64 v[2:5], v14 offset1:16
	ds_read2_b64 v[18:21], v14 offset0:32 offset1:48
	ds_read2_b64 v[22:25], v14 offset0:64 offset1:80
	;; [unrolled: 1-line block ×4, first 2 shown]
	v_add_nc_u32_e32 v82, 0x800, v14
	ds_read2_b64 v[34:37], v14 offset0:160 offset1:176
	ds_read2_b64 v[38:41], v14 offset0:192 offset1:208
	;; [unrolled: 1-line block ×3, first 2 shown]
	ds_read2_b64 v[46:49], v82 offset1:16
	ds_read2_b64 v[50:53], v82 offset0:32 offset1:48
	ds_read2_b64 v[54:57], v82 offset0:64 offset1:80
	;; [unrolled: 1-line block ×6, first 2 shown]
	s_waitcnt lgkmcnt(9)
	v_max_f64 v[34:35], v[34:35], v[34:35]
	v_max_f64 v[36:37], v[36:37], v[36:37]
	;; [unrolled: 1-line block ×4, first 2 shown]
	ds_read2_b64 v[2:5], v82 offset0:224 offset1:240
	v_max_f64 v[18:19], v[18:19], v[18:19]
	v_max_f64 v[20:21], v[20:21], v[20:21]
	;; [unrolled: 1-line block ×8, first 2 shown]
	s_waitcnt lgkmcnt(9)
	v_max_f64 v[38:39], v[38:39], v[38:39]
	v_max_f64 v[40:41], v[40:41], v[40:41]
	s_waitcnt lgkmcnt(8)
	v_max_f64 v[42:43], v[42:43], v[42:43]
	v_max_f64 v[44:45], v[44:45], v[44:45]
	;; [unrolled: 3-line block ×10, first 2 shown]
	ds_read2st64_b64 v[2:5], v86 offset1:4
.LBB136_10:                             ;   Parent Loop BB136_9 Depth=1
                                        ; =>  This Inner Loop Header: Depth=2
	v_mov_b32_e32 v219, s22
	s_waitcnt lgkmcnt(0)
	v_max_f64 v[155:156], v[2:3], v[2:3]
	v_mov_b32_e32 v2, v4
	v_mov_b32_e32 v3, v5
	s_and_b32 vcc_lo, exec_lo, s15
	s_clause 0x3e
	buffer_load_dword v86, v219, s[0:3], 0 offen
	buffer_load_dword v87, v219, s[0:3], 0 offen offset:4
	buffer_load_dword v88, v219, s[0:3], 0 offen offset:8
	buffer_load_dword v89, v219, s[0:3], 0 offen offset:12
	buffer_load_dword v90, v219, s[0:3], 0 offen offset:16
	buffer_load_dword v91, v219, s[0:3], 0 offen offset:20
	buffer_load_dword v92, v219, s[0:3], 0 offen offset:24
	buffer_load_dword v93, v219, s[0:3], 0 offen offset:28
	buffer_load_dword v94, v219, s[0:3], 0 offen offset:32
	buffer_load_dword v95, v219, s[0:3], 0 offen offset:36
	buffer_load_dword v101, v219, s[0:3], 0 offen offset:40
	buffer_load_dword v102, v219, s[0:3], 0 offen offset:44
	buffer_load_dword v103, v219, s[0:3], 0 offen offset:48
	buffer_load_dword v104, v219, s[0:3], 0 offen offset:52
	buffer_load_dword v105, v219, s[0:3], 0 offen offset:56
	buffer_load_dword v106, v219, s[0:3], 0 offen offset:60
	buffer_load_dword v107, v219, s[0:3], 0 offen offset:72
	buffer_load_dword v108, v219, s[0:3], 0 offen offset:76
	buffer_load_dword v109, v219, s[0:3], 0 offen offset:80
	buffer_load_dword v110, v219, s[0:3], 0 offen offset:84
	buffer_load_dword v111, v219, s[0:3], 0 offen offset:88
	buffer_load_dword v112, v219, s[0:3], 0 offen offset:92
	buffer_load_dword v114, v219, s[0:3], 0 offen offset:68
	buffer_load_dword v113, v219, s[0:3], 0 offen offset:64
	buffer_load_dword v115, v219, s[0:3], 0 offen offset:96
	buffer_load_dword v116, v219, s[0:3], 0 offen offset:100
	buffer_load_dword v117, v219, s[0:3], 0 offen offset:104
	buffer_load_dword v118, v219, s[0:3], 0 offen offset:108
	buffer_load_dword v119, v219, s[0:3], 0 offen offset:112
	buffer_load_dword v120, v219, s[0:3], 0 offen offset:116
	buffer_load_dword v121, v219, s[0:3], 0 offen offset:120
	buffer_load_dword v122, v219, s[0:3], 0 offen offset:124
	buffer_load_dword v123, v219, s[0:3], 0 offen offset:128
	buffer_load_dword v124, v219, s[0:3], 0 offen offset:132
	buffer_load_dword v125, v219, s[0:3], 0 offen offset:136
	buffer_load_dword v126, v219, s[0:3], 0 offen offset:140
	buffer_load_dword v127, v219, s[0:3], 0 offen offset:144
	buffer_load_dword v128, v219, s[0:3], 0 offen offset:148
	buffer_load_dword v129, v219, s[0:3], 0 offen offset:152
	buffer_load_dword v130, v219, s[0:3], 0 offen offset:156
	buffer_load_dword v131, v219, s[0:3], 0 offen offset:160
	buffer_load_dword v132, v219, s[0:3], 0 offen offset:164
	buffer_load_dword v133, v219, s[0:3], 0 offen offset:168
	buffer_load_dword v134, v219, s[0:3], 0 offen offset:172
	buffer_load_dword v135, v219, s[0:3], 0 offen offset:176
	buffer_load_dword v136, v219, s[0:3], 0 offen offset:180
	buffer_load_dword v137, v219, s[0:3], 0 offen offset:184
	buffer_load_dword v138, v219, s[0:3], 0 offen offset:188
	buffer_load_dword v139, v219, s[0:3], 0 offen offset:192
	buffer_load_dword v140, v219, s[0:3], 0 offen offset:196
	buffer_load_dword v141, v219, s[0:3], 0 offen offset:200
	buffer_load_dword v142, v219, s[0:3], 0 offen offset:204
	buffer_load_dword v143, v219, s[0:3], 0 offen offset:208
	buffer_load_dword v144, v219, s[0:3], 0 offen offset:212
	buffer_load_dword v145, v219, s[0:3], 0 offen offset:216
	buffer_load_dword v146, v219, s[0:3], 0 offen offset:220
	buffer_load_dword v147, v219, s[0:3], 0 offen offset:224
	buffer_load_dword v148, v219, s[0:3], 0 offen offset:228
	buffer_load_dword v149, v219, s[0:3], 0 offen offset:232
	buffer_load_dword v150, v219, s[0:3], 0 offen offset:236
	buffer_load_dword v151, v219, s[0:3], 0 offen offset:240
	buffer_load_dword v152, v219, s[0:3], 0 offen offset:244
	buffer_load_dword v153, v219, s[0:3], 0 offen offset:248
	buffer_load_dword v154, v219, s[0:3], 0 offen offset:252
	s_mov_b32 s15, 0
	s_mov_b32 s22, s7
	v_min_f64 v[157:158], v[14:15], v[155:156]
	v_min_f64 v[159:160], v[16:17], v[155:156]
	;; [unrolled: 1-line block ×32, first 2 shown]
	s_waitcnt vmcnt(62)
	v_add_f64 v[86:87], v[157:158], v[86:87]
	s_waitcnt vmcnt(60)
	v_add_f64 v[88:89], v[159:160], v[88:89]
	;; [unrolled: 2-line block ×32, first 2 shown]
	buffer_store_dword v86, v219, s[0:3], 0 offen
	buffer_store_dword v87, v219, s[0:3], 0 offen offset:4
	buffer_store_dword v88, v219, s[0:3], 0 offen offset:8
	;; [unrolled: 1-line block ×63, first 2 shown]
	s_cbranch_vccnz .LBB136_10
; %bb.11:                               ;   in Loop: Header=BB136_9 Depth=1
	s_add_i32 s14, s14, 1
	s_cmp_eq_u32 s14, 4
	s_cbranch_scc0 .LBB136_9
; %bb.12:
	s_load_dword s14, s[4:5], 0x8
	v_lshl_add_u32 v101, v0, 5, 0x1000
	v_lshl_add_u32 v102, v1, 5, 0x3000
	ds_write2st64_b64 v97, v[12:13], v[10:11] offset0:8 offset1:12
	ds_write2st64_b64 v97, v[8:9], v[6:7] offset0:24 offset1:28
	s_waitcnt lgkmcnt(0)
	s_waitcnt_vscnt null, 0x0
	s_barrier
	buffer_gl0_inv
	s_cmp_lt_i32 s14, 9
	s_cbranch_scc1 .LBB136_23
; %bb.13:
	v_add_nc_u32_e32 v103, 0x1000, v97
	v_add_nc_u32_e32 v104, 0x3000, v97
	v_mov_b32_e32 v79, 0
	s_add_i32 s14, s14, -8
	s_mov_b32 s15, 8
	s_mov_b32 s22, 0
.LBB136_14:                             ; =>This Loop Header: Depth=1
                                        ;     Child Loop BB136_15 Depth 2
                                        ;       Child Loop BB136_16 Depth 3
                                        ;     Child Loop BB136_19 Depth 2
                                        ;       Child Loop BB136_20 Depth 3
	v_or_b32_e32 v78, s15, v96
	s_mov_b32 s23, 0
	v_lshlrev_b64 v[2:3], 3, v[78:79]
	v_add_co_u32 v4, vcc_lo, s18, v2
	v_add_co_ci_u32_e64 v5, null, s19, v3, vcc_lo
	v_add_co_u32 v2, vcc_lo, s20, v2
	v_add_co_ci_u32_e64 v3, null, s21, v3, vcc_lo
	;; [unrolled: 2-line block ×6, first 2 shown]
	s_clause 0x1
	flat_load_dwordx2 v[14:15], v[6:7]
	flat_load_dwordx2 v[16:17], v[8:9]
	s_clause 0x1
	flat_load_dwordx2 v[18:19], v[10:11]
	flat_load_dwordx2 v[20:21], v[12:13]
.LBB136_15:                             ;   Parent Loop BB136_14 Depth=1
                                        ; =>  This Loop Header: Depth=2
                                        ;       Child Loop BB136_16 Depth 3
	s_lshl_b32 s24, s23, 3
	s_mov_b32 s25, 0
	v_add_nc_u32_e32 v22, s24, v101
	v_add_nc_u32_e32 v78, s24, v102
	s_mov_b32 s24, -1
	ds_read2_b64 v[2:5], v22 offset1:16
	ds_read2_b64 v[26:29], v22 offset0:32 offset1:48
	ds_read2_b64 v[30:33], v22 offset0:64 offset1:80
	v_add_nc_u32_e32 v23, 0x800, v22
	ds_read2_b64 v[34:37], v22 offset0:96 offset1:112
	ds_read2_b64 v[38:41], v22 offset0:128 offset1:144
	ds_read2_b64 v[42:45], v22 offset0:160 offset1:176
	ds_read2_b64 v[46:49], v22 offset0:192 offset1:208
	ds_read2_b64 v[50:53], v22 offset0:224 offset1:240
	ds_read2_b64 v[54:57], v23 offset1:16
	ds_read2_b64 v[58:61], v23 offset0:32 offset1:48
	ds_read2_b64 v[62:65], v23 offset0:64 offset1:80
	;; [unrolled: 1-line block ×7, first 2 shown]
	s_waitcnt lgkmcnt(11)
	v_max_f64 v[38:39], v[38:39], v[38:39]
	v_max_f64 v[40:41], v[40:41], v[40:41]
	s_waitcnt lgkmcnt(10)
	v_max_f64 v[42:43], v[42:43], v[42:43]
	v_max_f64 v[44:45], v[44:45], v[44:45]
	;; [unrolled: 3-line block ×3, first 2 shown]
	v_max_f64 v[22:23], v[2:3], v[2:3]
	v_max_f64 v[24:25], v[4:5], v[4:5]
	;; [unrolled: 1-line block ×8, first 2 shown]
	s_waitcnt lgkmcnt(8)
	v_max_f64 v[50:51], v[50:51], v[50:51]
	v_max_f64 v[52:53], v[52:53], v[52:53]
	s_waitcnt lgkmcnt(7)
	v_max_f64 v[54:55], v[54:55], v[54:55]
	v_max_f64 v[56:57], v[56:57], v[56:57]
	;; [unrolled: 3-line block ×9, first 2 shown]
	ds_read2st64_b64 v[2:5], v78 offset1:4
.LBB136_16:                             ;   Parent Loop BB136_14 Depth=1
                                        ;     Parent Loop BB136_15 Depth=2
                                        ; =>    This Inner Loop Header: Depth=3
	v_mov_b32_e32 v78, s25
	s_waitcnt lgkmcnt(0)
	v_max_f64 v[169:170], v[2:3], v[2:3]
	v_mov_b32_e32 v2, v4
	v_mov_b32_e32 v3, v5
	s_and_b32 vcc_lo, exec_lo, s24
	s_clause 0x3e
	buffer_load_dword v105, v78, s[0:3], 0 offen
	buffer_load_dword v106, v78, s[0:3], 0 offen offset:4
	buffer_load_dword v107, v78, s[0:3], 0 offen offset:8
	;; [unrolled: 1-line block ×63, first 2 shown]
	s_mov_b32 s24, 0
	s_mov_b32 s25, s7
	v_min_f64 v[171:172], v[22:23], v[169:170]
	v_min_f64 v[173:174], v[24:25], v[169:170]
	;; [unrolled: 1-line block ×32, first 2 shown]
	s_waitcnt vmcnt(62)
	v_add_f64 v[105:106], v[171:172], v[105:106]
	s_waitcnt vmcnt(60)
	v_add_f64 v[107:108], v[173:174], v[107:108]
	;; [unrolled: 2-line block ×32, first 2 shown]
	buffer_store_dword v105, v78, s[0:3], 0 offen
	buffer_store_dword v106, v78, s[0:3], 0 offen offset:4
	buffer_store_dword v107, v78, s[0:3], 0 offen offset:8
	;; [unrolled: 1-line block ×63, first 2 shown]
	s_cbranch_vccnz .LBB136_16
; %bb.17:                               ;   in Loop: Header=BB136_15 Depth=2
	s_add_i32 s23, s23, 1
	s_cmp_eq_u32 s23, 4
	s_cbranch_scc0 .LBB136_15
; %bb.18:                               ;   in Loop: Header=BB136_14 Depth=1
	ds_write2st64_b64 v97, v[14:15], v[16:17] offset1:4
	ds_write2st64_b64 v100, v[18:19], v[20:21] offset1:4
	s_waitcnt lgkmcnt(0)
	s_waitcnt_vscnt null, 0x0
	s_barrier
	buffer_gl0_inv
	s_clause 0x1
	flat_load_dwordx2 v[80:81], v[6:7] offset:32
	flat_load_dwordx2 v[82:83], v[8:9] offset:32
	s_clause 0x1
	flat_load_dwordx2 v[84:85], v[10:11] offset:32
	flat_load_dwordx2 v[86:87], v[12:13] offset:32
	s_mov_b32 s23, 0
.LBB136_19:                             ;   Parent Loop BB136_14 Depth=1
                                        ; =>  This Loop Header: Depth=2
                                        ;       Child Loop BB136_20 Depth 3
	s_lshl_b32 s24, s23, 3
	s_mov_b32 s25, 0
	v_add_nc_u32_e32 v30, s24, v98
	v_add_nc_u32_e32 v66, s24, v99
	s_mov_b32 s24, -1
	ds_read2_b64 v[2:5], v30 offset1:16
	ds_read2_b64 v[6:9], v30 offset0:32 offset1:48
	ds_read2_b64 v[10:13], v30 offset0:64 offset1:80
	;; [unrolled: 1-line block ×3, first 2 shown]
	v_add_nc_u32_e32 v62, 0x800, v30
	ds_read2_b64 v[18:21], v30 offset0:128 offset1:144
	ds_read2_b64 v[22:25], v30 offset0:160 offset1:176
	;; [unrolled: 1-line block ×4, first 2 shown]
	ds_read2_b64 v[34:37], v62 offset1:16
	ds_read2_b64 v[38:41], v62 offset0:32 offset1:48
	ds_read2_b64 v[42:45], v62 offset0:64 offset1:80
	;; [unrolled: 1-line block ×7, first 2 shown]
	ds_read2st64_b64 v[66:69], v66 offset1:4
.LBB136_20:                             ;   Parent Loop BB136_14 Depth=1
                                        ;     Parent Loop BB136_19 Depth=2
                                        ; =>    This Inner Loop Header: Depth=3
	v_mov_b32_e32 v78, s25
	s_waitcnt lgkmcnt(16)
	v_max_f64 v[161:162], v[2:3], v[2:3]
	s_waitcnt lgkmcnt(0)
	v_max_f64 v[163:164], v[66:67], v[66:67]
	v_max_f64 v[165:166], v[4:5], v[4:5]
	;; [unrolled: 1-line block ×3, first 2 shown]
	s_clause 0x3e
	buffer_load_dword v88, v78, s[0:3], 0 offen
	buffer_load_dword v89, v78, s[0:3], 0 offen offset:4
	buffer_load_dword v90, v78, s[0:3], 0 offen offset:8
	;; [unrolled: 1-line block ×63, first 2 shown]
	v_max_f64 v[169:170], v[8:9], v[8:9]
	v_max_f64 v[171:172], v[10:11], v[10:11]
	;; [unrolled: 1-line block ×29, first 2 shown]
	v_min_f64 v[161:162], v[161:162], v[163:164]
	v_min_f64 v[165:166], v[165:166], v[163:164]
	;; [unrolled: 1-line block ×32, first 2 shown]
	v_mov_b32_e32 v66, v68
	v_mov_b32_e32 v67, v69
	s_and_b32 vcc_lo, exec_lo, s24
	s_mov_b32 s24, 0
	s_mov_b32 s25, s7
	s_waitcnt vmcnt(62)
	v_add_f64 v[88:89], v[161:162], v[88:89]
	s_waitcnt vmcnt(60)
	v_add_f64 v[90:91], v[165:166], v[90:91]
	;; [unrolled: 2-line block ×32, first 2 shown]
	buffer_store_dword v88, v78, s[0:3], 0 offen
	buffer_store_dword v89, v78, s[0:3], 0 offen offset:4
	buffer_store_dword v90, v78, s[0:3], 0 offen offset:8
	;; [unrolled: 1-line block ×63, first 2 shown]
	s_cbranch_vccnz .LBB136_20
; %bb.21:                               ;   in Loop: Header=BB136_19 Depth=2
	s_add_i32 s23, s23, 1
	s_cmp_eq_u32 s23, 4
	s_cbranch_scc0 .LBB136_19
; %bb.22:                               ;   in Loop: Header=BB136_14 Depth=1
	s_add_i32 s22, s22, 8
	s_add_i32 s15, s15, 8
	s_cmp_ge_i32 s22, s14
	ds_write2st64_b64 v103, v[80:81], v[82:83] offset1:4
	ds_write2st64_b64 v104, v[84:85], v[86:87] offset1:4
	s_waitcnt lgkmcnt(0)
	s_waitcnt_vscnt null, 0x0
	s_barrier
	buffer_gl0_inv
	s_cbranch_scc0 .LBB136_14
.LBB136_23:
	s_mov_b32 s14, 0
.LBB136_24:                             ; =>This Loop Header: Depth=1
                                        ;     Child Loop BB136_25 Depth 2
	s_lshl_b32 s15, s14, 3
	s_mov_b32 s18, 0
	v_add_nc_u32_e32 v6, s15, v101
	v_add_nc_u32_e32 v70, s15, v102
	s_mov_b32 s15, -1
	ds_read2_b64 v[2:5], v6 offset1:16
	ds_read2_b64 v[10:13], v6 offset0:32 offset1:48
	ds_read2_b64 v[14:17], v6 offset0:64 offset1:80
	v_add_nc_u32_e32 v7, 0x800, v6
	ds_read2_b64 v[18:21], v6 offset0:96 offset1:112
	ds_read2_b64 v[22:25], v6 offset0:128 offset1:144
	;; [unrolled: 1-line block ×5, first 2 shown]
	ds_read2_b64 v[38:41], v7 offset1:16
	ds_read2_b64 v[42:45], v7 offset0:32 offset1:48
	ds_read2_b64 v[46:49], v7 offset0:64 offset1:80
	;; [unrolled: 1-line block ×7, first 2 shown]
	s_waitcnt lgkmcnt(11)
	v_max_f64 v[22:23], v[22:23], v[22:23]
	v_max_f64 v[24:25], v[24:25], v[24:25]
	s_waitcnt lgkmcnt(10)
	v_max_f64 v[26:27], v[26:27], v[26:27]
	v_max_f64 v[28:29], v[28:29], v[28:29]
	;; [unrolled: 3-line block ×3, first 2 shown]
	v_max_f64 v[6:7], v[2:3], v[2:3]
	v_max_f64 v[8:9], v[4:5], v[4:5]
	;; [unrolled: 1-line block ×8, first 2 shown]
	s_waitcnt lgkmcnt(8)
	v_max_f64 v[34:35], v[34:35], v[34:35]
	v_max_f64 v[36:37], v[36:37], v[36:37]
	s_waitcnt lgkmcnt(7)
	v_max_f64 v[38:39], v[38:39], v[38:39]
	v_max_f64 v[40:41], v[40:41], v[40:41]
	;; [unrolled: 3-line block ×9, first 2 shown]
	ds_read2st64_b64 v[2:5], v70 offset1:4
.LBB136_25:                             ;   Parent Loop BB136_24 Depth=1
                                        ; =>  This Inner Loop Header: Depth=2
	v_mov_b32_e32 v100, s18
	s_waitcnt lgkmcnt(0)
	v_max_f64 v[137:138], v[2:3], v[2:3]
	v_mov_b32_e32 v2, v4
	v_mov_b32_e32 v3, v5
	s_and_b32 vcc_lo, exec_lo, s15
	s_clause 0x3e
	buffer_load_dword v70, v100, s[0:3], 0 offen
	buffer_load_dword v71, v100, s[0:3], 0 offen offset:4
	buffer_load_dword v72, v100, s[0:3], 0 offen offset:8
	;; [unrolled: 1-line block ×63, first 2 shown]
	s_mov_b32 s15, 0
	s_mov_b32 s18, s7
	v_min_f64 v[139:140], v[6:7], v[137:138]
	v_min_f64 v[141:142], v[8:9], v[137:138]
	;; [unrolled: 1-line block ×32, first 2 shown]
	s_waitcnt vmcnt(62)
	v_add_f64 v[70:71], v[139:140], v[70:71]
	s_waitcnt vmcnt(60)
	v_add_f64 v[72:73], v[141:142], v[72:73]
	;; [unrolled: 2-line block ×32, first 2 shown]
	buffer_store_dword v70, v100, s[0:3], 0 offen
	buffer_store_dword v71, v100, s[0:3], 0 offen offset:4
	buffer_store_dword v72, v100, s[0:3], 0 offen offset:8
	;; [unrolled: 1-line block ×63, first 2 shown]
	s_cbranch_vccnz .LBB136_25
; %bb.26:                               ;   in Loop: Header=BB136_24 Depth=1
	s_add_i32 s14, s14, 1
	s_cmp_eq_u32 s14, 4
	s_cbranch_scc0 .LBB136_24
; %bb.27:
	s_clause 0x1
	buffer_load_dword v2, off, s[0:3], 0
	buffer_load_dword v3, off, s[0:3], 0 offset:4
	s_load_dword s7, s[4:5], 0x58
	v_add_nc_u32_e32 v69, s12, v1
	v_add_nc_u32_e32 v12, s6, v0
	v_cndmask_b32_e64 v0, 0, 1, s13
	v_mov_b32_e32 v6, 0
	v_mov_b32_e32 v7, 0
	v_ashrrev_i32_e32 v13, 31, v12
	v_cmp_ne_u32_e64 s6, 1, v0
	v_lshlrev_b64 v[0:1], 3, v[12:13]
	s_waitcnt lgkmcnt(0)
	v_mad_i64_i32 v[4:5], null, v69, s7, 0
	v_lshlrev_b64 v[8:9], 3, v[4:5]
	v_mov_b32_e32 v4, 0
	v_mov_b32_e32 v5, 0
	v_add_co_u32 v70, vcc_lo, s16, v8
	v_add_co_ci_u32_e64 v71, null, s17, v9, vcc_lo
	s_andn2_b32 vcc_lo, exec_lo, s13
	s_cbranch_vccnz .LBB136_29
; %bb.28:
	v_add_co_u32 v6, vcc_lo, v70, v0
	v_add_co_ci_u32_e64 v7, null, v71, v1, vcc_lo
	flat_load_dwordx2 v[6:7], v[6:7]
	s_waitcnt vmcnt(0) lgkmcnt(0)
	v_mul_f64 v[6:7], s[10:11], v[6:7]
.LBB136_29:
	s_clause 0x1
	s_load_dword s12, s[4:5], 0x70
	s_load_dwordx2 s[4:5], s[4:5], 0x78
	s_waitcnt vmcnt(0)
	v_add_f64 v[2:3], v[2:3], v[6:7]
	s_waitcnt lgkmcnt(0)
	v_mad_i64_i32 v[8:9], null, v69, s12, 0
	s_lshl_b64 s[4:5], s[4:5], 3
	s_add_u32 s4, s8, s4
	s_addc_u32 s5, s9, s5
	v_lshlrev_b64 v[6:7], 3, v[8:9]
	v_add_co_u32 v72, vcc_lo, s4, v6
	v_add_co_ci_u32_e64 v73, null, s5, v7, vcc_lo
	v_add_co_u32 v6, vcc_lo, v72, v0
	v_add_co_ci_u32_e64 v7, null, v73, v1, vcc_lo
	s_and_b32 vcc_lo, exec_lo, s6
	flat_store_dwordx2 v[6:7], v[2:3]
	s_clause 0x1
	buffer_load_dword v6, off, s[0:3], 0 offset:8
	buffer_load_dword v7, off, s[0:3], 0 offset:12
	v_add_nc_u32_e32 v2, 4, v12
	v_ashrrev_i32_e32 v3, 31, v2
	v_lshlrev_b64 v[2:3], 3, v[2:3]
	s_cbranch_vccnz .LBB136_31
; %bb.30:
	v_add_co_u32 v4, vcc_lo, v70, v2
	v_add_co_ci_u32_e64 v5, null, v71, v3, vcc_lo
	flat_load_dwordx2 v[4:5], v[4:5]
	s_waitcnt vmcnt(0) lgkmcnt(0)
	v_mul_f64 v[4:5], s[10:11], v[4:5]
.LBB136_31:
	s_waitcnt vmcnt(0)
	v_add_f64 v[4:5], v[6:7], v[4:5]
	v_add_co_u32 v6, vcc_lo, v72, v2
	v_add_co_ci_u32_e64 v7, null, v73, v3, vcc_lo
	v_mov_b32_e32 v8, 0
	v_mov_b32_e32 v10, 0
	v_mov_b32_e32 v9, 0
	v_mov_b32_e32 v11, 0
	s_and_b32 vcc_lo, exec_lo, s6
	flat_store_dwordx2 v[6:7], v[4:5]
	s_clause 0x1
	buffer_load_dword v6, off, s[0:3], 0 offset:16
	buffer_load_dword v7, off, s[0:3], 0 offset:20
	v_add_nc_u32_e32 v4, 8, v12
	v_ashrrev_i32_e32 v5, 31, v4
	v_lshlrev_b64 v[4:5], 3, v[4:5]
	s_cbranch_vccnz .LBB136_33
; %bb.32:
	v_add_co_u32 v10, vcc_lo, v70, v4
	v_add_co_ci_u32_e64 v11, null, v71, v5, vcc_lo
	flat_load_dwordx2 v[10:11], v[10:11]
	s_waitcnt vmcnt(0) lgkmcnt(0)
	v_mul_f64 v[10:11], s[10:11], v[10:11]
.LBB136_33:
	s_waitcnt vmcnt(0)
	v_add_f64 v[6:7], v[6:7], v[10:11]
	v_add_co_u32 v10, vcc_lo, v72, v4
	v_add_co_ci_u32_e64 v11, null, v73, v5, vcc_lo
	s_and_b32 vcc_lo, exec_lo, s6
	flat_store_dwordx2 v[10:11], v[6:7]
	s_clause 0x1
	buffer_load_dword v10, off, s[0:3], 0 offset:24
	buffer_load_dword v11, off, s[0:3], 0 offset:28
	v_add_nc_u32_e32 v6, 12, v12
	v_ashrrev_i32_e32 v7, 31, v6
	v_lshlrev_b64 v[6:7], 3, v[6:7]
	s_cbranch_vccnz .LBB136_35
; %bb.34:
	v_add_co_u32 v8, vcc_lo, v70, v6
	v_add_co_ci_u32_e64 v9, null, v71, v7, vcc_lo
	flat_load_dwordx2 v[8:9], v[8:9]
	s_waitcnt vmcnt(0) lgkmcnt(0)
	v_mul_f64 v[8:9], s[10:11], v[8:9]
.LBB136_35:
	s_waitcnt vmcnt(0)
	v_add_f64 v[8:9], v[10:11], v[8:9]
	v_add_co_u32 v10, vcc_lo, v72, v6
	v_add_co_ci_u32_e64 v11, null, v73, v7, vcc_lo
	v_mov_b32_e32 v13, 0
	v_mov_b32_e32 v15, 0
	v_mov_b32_e32 v14, 0
	v_mov_b32_e32 v16, 0
	s_and_b32 vcc_lo, exec_lo, s6
	flat_store_dwordx2 v[10:11], v[8:9]
	s_clause 0x1
	buffer_load_dword v10, off, s[0:3], 0 offset:32
	buffer_load_dword v11, off, s[0:3], 0 offset:36
	v_add_nc_u32_e32 v8, 16, v12
	v_ashrrev_i32_e32 v9, 31, v8
	v_lshlrev_b64 v[8:9], 3, v[8:9]
	s_cbranch_vccnz .LBB136_37
; %bb.36:
	v_add_co_u32 v15, vcc_lo, v70, v8
	v_add_co_ci_u32_e64 v16, null, v71, v9, vcc_lo
	flat_load_dwordx2 v[15:16], v[15:16]
	s_waitcnt vmcnt(0) lgkmcnt(0)
	v_mul_f64 v[15:16], s[10:11], v[15:16]
.LBB136_37:
	s_waitcnt vmcnt(0)
	v_add_f64 v[10:11], v[10:11], v[15:16]
	;; [unrolled: 44-line block ×15, first 2 shown]
	v_add_co_u32 v67, vcc_lo, v72, v61
	v_add_co_ci_u32_e64 v68, null, v73, v62, vcc_lo
	s_and_b32 vcc_lo, exec_lo, s6
	flat_store_dwordx2 v[67:68], v[63:64]
	s_clause 0x1
	buffer_load_dword v67, off, s[0:3], 0 offset:248
	buffer_load_dword v68, off, s[0:3], 0 offset:252
	v_add_nc_u32_e32 v63, 0x7c, v12
	v_ashrrev_i32_e32 v64, 31, v63
	v_lshlrev_b64 v[63:64], 3, v[63:64]
	s_cbranch_vccnz .LBB136_91
; %bb.90:
	v_add_co_u32 v65, vcc_lo, v70, v63
	v_add_co_ci_u32_e64 v66, null, v71, v64, vcc_lo
	flat_load_dwordx2 v[65:66], v[65:66]
	s_waitcnt vmcnt(0) lgkmcnt(0)
	v_mul_f64 v[65:66], s[10:11], v[65:66]
.LBB136_91:
	s_waitcnt vmcnt(0)
	v_add_f64 v[65:66], v[67:68], v[65:66]
	v_add_co_u32 v67, vcc_lo, v72, v63
	v_add_co_ci_u32_e64 v68, null, v73, v64, vcc_lo
	v_add_nc_u32_e32 v72, 64, v69
	v_mov_b32_e32 v69, 0
	v_mov_b32_e32 v70, 0
	flat_store_dwordx2 v[67:68], v[65:66]
	s_clause 0x1
	buffer_load_dword v67, off, s[0:3], 0 offset:256
	buffer_load_dword v68, off, s[0:3], 0 offset:260
	v_mad_i64_i32 v[65:66], null, v72, s7, 0
	v_lshlrev_b64 v[73:74], 3, v[65:66]
	v_mov_b32_e32 v65, 0
	v_mov_b32_e32 v66, 0
	v_add_co_u32 v12, vcc_lo, s16, v73
	v_add_co_ci_u32_e64 v71, null, s17, v74, vcc_lo
	s_and_b32 vcc_lo, exec_lo, s6
	s_cbranch_vccnz .LBB136_93
; %bb.92:
	v_add_co_u32 v69, vcc_lo, v12, v0
	v_add_co_ci_u32_e64 v70, null, v71, v1, vcc_lo
	flat_load_dwordx2 v[69:70], v[69:70]
	s_waitcnt vmcnt(0) lgkmcnt(0)
	v_mul_f64 v[69:70], s[10:11], v[69:70]
.LBB136_93:
	v_mad_i64_i32 v[72:73], null, v72, s12, 0
	s_waitcnt vmcnt(0)
	v_add_f64 v[69:70], v[67:68], v[69:70]
	v_lshlrev_b64 v[67:68], 3, v[72:73]
	v_add_co_u32 v67, vcc_lo, s4, v67
	v_add_co_ci_u32_e64 v68, null, s5, v68, vcc_lo
	v_add_co_u32 v0, vcc_lo, v67, v0
	v_add_co_ci_u32_e64 v1, null, v68, v1, vcc_lo
	s_and_b32 vcc_lo, exec_lo, s6
	flat_store_dwordx2 v[0:1], v[69:70]
	s_clause 0x1
	buffer_load_dword v0, off, s[0:3], 0 offset:264
	buffer_load_dword v1, off, s[0:3], 0 offset:268
	s_cbranch_vccnz .LBB136_95
; %bb.94:
	v_add_co_u32 v65, vcc_lo, v12, v2
	v_add_co_ci_u32_e64 v66, null, v71, v3, vcc_lo
	flat_load_dwordx2 v[65:66], v[65:66]
	s_waitcnt vmcnt(0) lgkmcnt(0)
	v_mul_f64 v[65:66], s[10:11], v[65:66]
.LBB136_95:
	s_waitcnt vmcnt(0)
	v_add_f64 v[0:1], v[0:1], v[65:66]
	v_add_co_u32 v2, vcc_lo, v67, v2
	v_add_co_ci_u32_e64 v3, null, v68, v3, vcc_lo
	v_mov_b32_e32 v65, 0
	v_mov_b32_e32 v66, 0
	s_and_b32 vcc_lo, exec_lo, s6
	flat_store_dwordx2 v[2:3], v[0:1]
	s_clause 0x1
	buffer_load_dword v2, off, s[0:3], 0 offset:272
	buffer_load_dword v3, off, s[0:3], 0 offset:276
	v_mov_b32_e32 v0, 0
	v_mov_b32_e32 v1, 0
	s_cbranch_vccnz .LBB136_97
; %bb.96:
	v_add_co_u32 v65, vcc_lo, v12, v4
	v_add_co_ci_u32_e64 v66, null, v71, v5, vcc_lo
	flat_load_dwordx2 v[65:66], v[65:66]
	s_waitcnt vmcnt(0) lgkmcnt(0)
	v_mul_f64 v[65:66], s[10:11], v[65:66]
.LBB136_97:
	s_waitcnt vmcnt(0)
	v_add_f64 v[2:3], v[2:3], v[65:66]
	v_add_co_u32 v4, vcc_lo, v67, v4
	v_add_co_ci_u32_e64 v5, null, v68, v5, vcc_lo
	s_and_b32 vcc_lo, exec_lo, s6
	flat_store_dwordx2 v[4:5], v[2:3]
	s_clause 0x1
	buffer_load_dword v2, off, s[0:3], 0 offset:280
	buffer_load_dword v3, off, s[0:3], 0 offset:284
	s_cbranch_vccnz .LBB136_99
; %bb.98:
	v_add_co_u32 v0, vcc_lo, v12, v6
	v_add_co_ci_u32_e64 v1, null, v71, v7, vcc_lo
	flat_load_dwordx2 v[0:1], v[0:1]
	s_waitcnt vmcnt(0) lgkmcnt(0)
	v_mul_f64 v[0:1], s[10:11], v[0:1]
.LBB136_99:
	s_waitcnt vmcnt(0)
	v_add_f64 v[0:1], v[2:3], v[0:1]
	v_add_co_u32 v2, vcc_lo, v67, v6
	v_add_co_ci_u32_e64 v3, null, v68, v7, vcc_lo
	v_mov_b32_e32 v4, 0
	v_mov_b32_e32 v5, 0
	s_and_b32 vcc_lo, exec_lo, s6
	flat_store_dwordx2 v[2:3], v[0:1]
	s_clause 0x1
	buffer_load_dword v2, off, s[0:3], 0 offset:288
	buffer_load_dword v3, off, s[0:3], 0 offset:292
	v_mov_b32_e32 v0, 0
	v_mov_b32_e32 v1, 0
	s_cbranch_vccnz .LBB136_101
; %bb.100:
	v_add_co_u32 v4, vcc_lo, v12, v8
	v_add_co_ci_u32_e64 v5, null, v71, v9, vcc_lo
	flat_load_dwordx2 v[4:5], v[4:5]
	s_waitcnt vmcnt(0) lgkmcnt(0)
	v_mul_f64 v[4:5], s[10:11], v[4:5]
.LBB136_101:
	s_waitcnt vmcnt(0)
	v_add_f64 v[2:3], v[2:3], v[4:5]
	;; [unrolled: 38-line block ×15, first 2 shown]
	v_add_co_u32 v4, vcc_lo, v67, v61
	v_add_co_ci_u32_e64 v5, null, v68, v62, vcc_lo
	s_and_b32 vcc_lo, exec_lo, s6
	flat_store_dwordx2 v[4:5], v[2:3]
	s_clause 0x1
	buffer_load_dword v2, off, s[0:3], 0 offset:504
	buffer_load_dword v3, off, s[0:3], 0 offset:508
	s_cbranch_vccnz .LBB136_155
; %bb.154:
	v_add_co_u32 v0, vcc_lo, v12, v63
	v_add_co_ci_u32_e64 v1, null, v71, v64, vcc_lo
	flat_load_dwordx2 v[0:1], v[0:1]
	s_waitcnt vmcnt(0) lgkmcnt(0)
	v_mul_f64 v[0:1], s[10:11], v[0:1]
.LBB136_155:
	s_waitcnt vmcnt(0)
	v_add_f64 v[0:1], v[2:3], v[0:1]
	v_add_co_u32 v2, vcc_lo, v67, v63
	v_add_co_ci_u32_e64 v3, null, v68, v64, vcc_lo
	flat_store_dwordx2 v[2:3], v[0:1]
	s_endpgm
	.section	.rodata,"a",@progbits
	.p2align	6, 0x0
	.amdhsa_kernel _ZN12_GLOBAL__N_120geam_min_plus_kernelIdddLi4ELi64ELi128ELi128ELi4ELi4ELi64ELi4ELi64ELc84ELc78ELb1ELb0ELb0EdKPKdKPdEEviiiT16_PT17_ilS8_ilS6_S8_ilPT18_ili26rocblas_geam_ex_operation_
		.amdhsa_group_segment_fixed_size 16384
		.amdhsa_private_segment_fixed_size 528
		.amdhsa_kernarg_size 136
		.amdhsa_user_sgpr_count 6
		.amdhsa_user_sgpr_private_segment_buffer 1
		.amdhsa_user_sgpr_dispatch_ptr 0
		.amdhsa_user_sgpr_queue_ptr 0
		.amdhsa_user_sgpr_kernarg_segment_ptr 1
		.amdhsa_user_sgpr_dispatch_id 0
		.amdhsa_user_sgpr_flat_scratch_init 0
		.amdhsa_user_sgpr_private_segment_size 0
		.amdhsa_wavefront_size32 1
		.amdhsa_uses_dynamic_stack 0
		.amdhsa_system_sgpr_private_segment_wavefront_offset 1
		.amdhsa_system_sgpr_workgroup_id_x 1
		.amdhsa_system_sgpr_workgroup_id_y 0
		.amdhsa_system_sgpr_workgroup_id_z 1
		.amdhsa_system_sgpr_workgroup_info 0
		.amdhsa_system_vgpr_workitem_id 1
		.amdhsa_next_free_vgpr 233
		.amdhsa_next_free_sgpr 26
		.amdhsa_reserve_vcc 1
		.amdhsa_reserve_flat_scratch 1
		.amdhsa_float_round_mode_32 0
		.amdhsa_float_round_mode_16_64 0
		.amdhsa_float_denorm_mode_32 3
		.amdhsa_float_denorm_mode_16_64 3
		.amdhsa_dx10_clamp 1
		.amdhsa_ieee_mode 1
		.amdhsa_fp16_overflow 0
		.amdhsa_workgroup_processor_mode 1
		.amdhsa_memory_ordered 1
		.amdhsa_forward_progress 1
		.amdhsa_shared_vgpr_count 0
		.amdhsa_exception_fp_ieee_invalid_op 0
		.amdhsa_exception_fp_denorm_src 0
		.amdhsa_exception_fp_ieee_div_zero 0
		.amdhsa_exception_fp_ieee_overflow 0
		.amdhsa_exception_fp_ieee_underflow 0
		.amdhsa_exception_fp_ieee_inexact 0
		.amdhsa_exception_int_div_zero 0
	.end_amdhsa_kernel
	.section	.text._ZN12_GLOBAL__N_120geam_min_plus_kernelIdddLi4ELi64ELi128ELi128ELi4ELi4ELi64ELi4ELi64ELc84ELc78ELb1ELb0ELb0EdKPKdKPdEEviiiT16_PT17_ilS8_ilS6_S8_ilPT18_ili26rocblas_geam_ex_operation_,"axG",@progbits,_ZN12_GLOBAL__N_120geam_min_plus_kernelIdddLi4ELi64ELi128ELi128ELi4ELi4ELi64ELi4ELi64ELc84ELc78ELb1ELb0ELb0EdKPKdKPdEEviiiT16_PT17_ilS8_ilS6_S8_ilPT18_ili26rocblas_geam_ex_operation_,comdat
.Lfunc_end136:
	.size	_ZN12_GLOBAL__N_120geam_min_plus_kernelIdddLi4ELi64ELi128ELi128ELi4ELi4ELi64ELi4ELi64ELc84ELc78ELb1ELb0ELb0EdKPKdKPdEEviiiT16_PT17_ilS8_ilS6_S8_ilPT18_ili26rocblas_geam_ex_operation_, .Lfunc_end136-_ZN12_GLOBAL__N_120geam_min_plus_kernelIdddLi4ELi64ELi128ELi128ELi4ELi4ELi64ELi4ELi64ELc84ELc78ELb1ELb0ELb0EdKPKdKPdEEviiiT16_PT17_ilS8_ilS6_S8_ilPT18_ili26rocblas_geam_ex_operation_
                                        ; -- End function
	.set _ZN12_GLOBAL__N_120geam_min_plus_kernelIdddLi4ELi64ELi128ELi128ELi4ELi4ELi64ELi4ELi64ELc84ELc78ELb1ELb0ELb0EdKPKdKPdEEviiiT16_PT17_ilS8_ilS6_S8_ilPT18_ili26rocblas_geam_ex_operation_.num_vgpr, 233
	.set _ZN12_GLOBAL__N_120geam_min_plus_kernelIdddLi4ELi64ELi128ELi128ELi4ELi4ELi64ELi4ELi64ELc84ELc78ELb1ELb0ELb0EdKPKdKPdEEviiiT16_PT17_ilS8_ilS6_S8_ilPT18_ili26rocblas_geam_ex_operation_.num_agpr, 0
	.set _ZN12_GLOBAL__N_120geam_min_plus_kernelIdddLi4ELi64ELi128ELi128ELi4ELi4ELi64ELi4ELi64ELc84ELc78ELb1ELb0ELb0EdKPKdKPdEEviiiT16_PT17_ilS8_ilS6_S8_ilPT18_ili26rocblas_geam_ex_operation_.numbered_sgpr, 26
	.set _ZN12_GLOBAL__N_120geam_min_plus_kernelIdddLi4ELi64ELi128ELi128ELi4ELi4ELi64ELi4ELi64ELc84ELc78ELb1ELb0ELb0EdKPKdKPdEEviiiT16_PT17_ilS8_ilS6_S8_ilPT18_ili26rocblas_geam_ex_operation_.num_named_barrier, 0
	.set _ZN12_GLOBAL__N_120geam_min_plus_kernelIdddLi4ELi64ELi128ELi128ELi4ELi4ELi64ELi4ELi64ELc84ELc78ELb1ELb0ELb0EdKPKdKPdEEviiiT16_PT17_ilS8_ilS6_S8_ilPT18_ili26rocblas_geam_ex_operation_.private_seg_size, 528
	.set _ZN12_GLOBAL__N_120geam_min_plus_kernelIdddLi4ELi64ELi128ELi128ELi4ELi4ELi64ELi4ELi64ELc84ELc78ELb1ELb0ELb0EdKPKdKPdEEviiiT16_PT17_ilS8_ilS6_S8_ilPT18_ili26rocblas_geam_ex_operation_.uses_vcc, 1
	.set _ZN12_GLOBAL__N_120geam_min_plus_kernelIdddLi4ELi64ELi128ELi128ELi4ELi4ELi64ELi4ELi64ELc84ELc78ELb1ELb0ELb0EdKPKdKPdEEviiiT16_PT17_ilS8_ilS6_S8_ilPT18_ili26rocblas_geam_ex_operation_.uses_flat_scratch, 1
	.set _ZN12_GLOBAL__N_120geam_min_plus_kernelIdddLi4ELi64ELi128ELi128ELi4ELi4ELi64ELi4ELi64ELc84ELc78ELb1ELb0ELb0EdKPKdKPdEEviiiT16_PT17_ilS8_ilS6_S8_ilPT18_ili26rocblas_geam_ex_operation_.has_dyn_sized_stack, 0
	.set _ZN12_GLOBAL__N_120geam_min_plus_kernelIdddLi4ELi64ELi128ELi128ELi4ELi4ELi64ELi4ELi64ELc84ELc78ELb1ELb0ELb0EdKPKdKPdEEviiiT16_PT17_ilS8_ilS6_S8_ilPT18_ili26rocblas_geam_ex_operation_.has_recursion, 0
	.set _ZN12_GLOBAL__N_120geam_min_plus_kernelIdddLi4ELi64ELi128ELi128ELi4ELi4ELi64ELi4ELi64ELc84ELc78ELb1ELb0ELb0EdKPKdKPdEEviiiT16_PT17_ilS8_ilS6_S8_ilPT18_ili26rocblas_geam_ex_operation_.has_indirect_call, 0
	.section	.AMDGPU.csdata,"",@progbits
; Kernel info:
; codeLenInByte = 18632
; TotalNumSgprs: 28
; NumVgprs: 233
; ScratchSize: 528
; MemoryBound: 1
; FloatMode: 240
; IeeeMode: 1
; LDSByteSize: 16384 bytes/workgroup (compile time only)
; SGPRBlocks: 0
; VGPRBlocks: 29
; NumSGPRsForWavesPerEU: 28
; NumVGPRsForWavesPerEU: 233
; Occupancy: 4
; WaveLimiterHint : 1
; COMPUTE_PGM_RSRC2:SCRATCH_EN: 1
; COMPUTE_PGM_RSRC2:USER_SGPR: 6
; COMPUTE_PGM_RSRC2:TRAP_HANDLER: 0
; COMPUTE_PGM_RSRC2:TGID_X_EN: 1
; COMPUTE_PGM_RSRC2:TGID_Y_EN: 0
; COMPUTE_PGM_RSRC2:TGID_Z_EN: 1
; COMPUTE_PGM_RSRC2:TIDIG_COMP_CNT: 1
	.section	.text._ZN12_GLOBAL__N_120geam_min_plus_kernelIdddLi4ELi64ELi128ELi128ELi4ELi4ELi64ELi4ELi64ELc84ELc78ELb0ELb0ELb0EdKPKdKPdEEviiiT16_PT17_ilS8_ilS6_S8_ilPT18_ili26rocblas_geam_ex_operation_,"axG",@progbits,_ZN12_GLOBAL__N_120geam_min_plus_kernelIdddLi4ELi64ELi128ELi128ELi4ELi4ELi64ELi4ELi64ELc84ELc78ELb0ELb0ELb0EdKPKdKPdEEviiiT16_PT17_ilS8_ilS6_S8_ilPT18_ili26rocblas_geam_ex_operation_,comdat
	.globl	_ZN12_GLOBAL__N_120geam_min_plus_kernelIdddLi4ELi64ELi128ELi128ELi4ELi4ELi64ELi4ELi64ELc84ELc78ELb0ELb0ELb0EdKPKdKPdEEviiiT16_PT17_ilS8_ilS6_S8_ilPT18_ili26rocblas_geam_ex_operation_ ; -- Begin function _ZN12_GLOBAL__N_120geam_min_plus_kernelIdddLi4ELi64ELi128ELi128ELi4ELi4ELi64ELi4ELi64ELc84ELc78ELb0ELb0ELb0EdKPKdKPdEEviiiT16_PT17_ilS8_ilS6_S8_ilPT18_ili26rocblas_geam_ex_operation_
	.p2align	8
	.type	_ZN12_GLOBAL__N_120geam_min_plus_kernelIdddLi4ELi64ELi128ELi128ELi4ELi4ELi64ELi4ELi64ELc84ELc78ELb0ELb0ELb0EdKPKdKPdEEviiiT16_PT17_ilS8_ilS6_S8_ilPT18_ili26rocblas_geam_ex_operation_,@function
_ZN12_GLOBAL__N_120geam_min_plus_kernelIdddLi4ELi64ELi128ELi128ELi4ELi4ELi64ELi4ELi64ELc84ELc78ELb0ELb0ELb0EdKPKdKPdEEviiiT16_PT17_ilS8_ilS6_S8_ilPT18_ili26rocblas_geam_ex_operation_: ; @_ZN12_GLOBAL__N_120geam_min_plus_kernelIdddLi4ELi64ELi128ELi128ELi4ELi4ELi64ELi4ELi64ELc84ELc78ELb0ELb0ELb0EdKPKdKPdEEviiiT16_PT17_ilS8_ilS6_S8_ilPT18_ili26rocblas_geam_ex_operation_
; %bb.0:
	s_clause 0x1
	s_load_dwordx4 s[12:15], s[4:5], 0x10
	s_load_dwordx4 s[16:19], s[4:5], 0x28
	s_mov_b32 s24, s7
	s_add_u32 s0, s0, s8
	s_addc_u32 s1, s1, 0
	s_mov_b64 s[20:21], 0
	s_waitcnt lgkmcnt(0)
	v_cmp_eq_f64_e64 s7, s[12:13], 0
	s_and_b32 vcc_lo, exec_lo, s7
	s_cbranch_vccnz .LBB137_2
; %bb.1:
	s_mov_b32 s25, 0
	s_lshl_b64 s[8:9], s[24:25], 3
	s_add_u32 s8, s14, s8
	s_addc_u32 s9, s15, s9
	s_lshl_b64 s[10:11], s[16:17], 3
	s_load_dwordx2 s[8:9], s[8:9], 0x0
	s_waitcnt lgkmcnt(0)
	s_add_u32 s20, s8, s10
	s_addc_u32 s21, s9, s11
.LBB137_2:
	s_clause 0x1
	s_load_dwordx4 s[8:11], s[4:5], 0x40
	s_load_dwordx2 s[26:27], s[4:5], 0x50
	s_andn2_b32 vcc_lo, exec_lo, s7
	s_mov_b32 s25, 0
	s_cbranch_vccnz .LBB137_4
; %bb.3:
	s_mov_b32 s7, s25
	s_mov_b64 s[14:15], 0
	s_andn2_b32 vcc_lo, exec_lo, s7
	s_mov_b64 s[22:23], 0
	s_cbranch_vccz .LBB137_5
	s_branch .LBB137_6
.LBB137_4:
	s_mov_b64 s[14:15], 0
	s_mov_b64 s[22:23], 0
.LBB137_5:
	s_lshl_b64 s[16:17], s[24:25], 3
	s_add_u32 s16, s18, s16
	s_addc_u32 s17, s19, s17
	s_waitcnt lgkmcnt(0)
	s_lshl_b64 s[8:9], s[8:9], 3
	s_load_dwordx2 s[16:17], s[16:17], 0x0
	s_waitcnt lgkmcnt(0)
	s_add_u32 s22, s16, s8
	s_addc_u32 s23, s17, s9
.LBB137_6:
	s_waitcnt lgkmcnt(0)
	v_cmp_eq_f64_e64 s7, s[10:11], 0
	v_cmp_neq_f64_e64 s28, s[12:13], 0
	s_load_dwordx4 s[16:19], s[4:5], 0x60
	s_and_b32 vcc_lo, exec_lo, s7
	s_cbranch_vccnz .LBB137_8
; %bb.7:
	s_lshl_b64 s[8:9], s[24:25], 3
	s_add_u32 s8, s26, s8
	s_addc_u32 s9, s27, s9
	s_waitcnt lgkmcnt(0)
	s_lshl_b64 s[14:15], s[16:17], 3
	s_load_dwordx2 s[8:9], s[8:9], 0x0
	s_waitcnt lgkmcnt(0)
	s_add_u32 s14, s8, s14
	s_addc_u32 s15, s9, s15
.LBB137_8:
	s_clause 0x1
	s_load_dword s7, s[4:5], 0x0
	s_load_dword s26, s[4:5], 0x20
	s_lshl_b64 s[8:9], s[24:25], 3
	v_lshrrev_b32_e32 v2, 2, v0
	s_waitcnt lgkmcnt(0)
	s_add_u32 s8, s18, s8
	s_addc_u32 s9, s19, s9
	v_and_b32_e32 v90, 3, v0
	s_load_dwordx2 s[8:9], s[8:9], 0x0
	v_add_nc_u32_e32 v78, v2, v1
	v_mov_b32_e32 v4, 0
	v_mov_b32_e32 v6, 0
	v_lshlrev_b32_e32 v80, 3, v90
	v_mov_b32_e32 v5, 0
	buffer_store_dword v6, off, s[0:3], 0 offset:4
	buffer_store_dword v6, off, s[0:3], 0
	buffer_store_dword v6, off, s[0:3], 0 offset:12
	buffer_store_dword v6, off, s[0:3], 0 offset:8
	;; [unrolled: 1-line block ×12, first 2 shown]
	s_add_i32 s7, s7, -1
	buffer_store_dword v6, off, s[0:3], 0 offset:60
	s_ashr_i32 s16, s7, 31
	buffer_store_dword v6, off, s[0:3], 0 offset:56
	s_lshr_b32 s16, s16, 25
	buffer_store_dword v6, off, s[0:3], 0 offset:68
	buffer_store_dword v6, off, s[0:3], 0 offset:64
	;; [unrolled: 1-line block ×4, first 2 shown]
	s_add_i32 s7, s7, s16
	buffer_store_dword v6, off, s[0:3], 0 offset:84
	buffer_store_dword v6, off, s[0:3], 0 offset:80
	;; [unrolled: 1-line block ×9, first 2 shown]
	s_ashr_i32 s7, s7, 7
	buffer_store_dword v6, off, s[0:3], 0 offset:112
	buffer_store_dword v6, off, s[0:3], 0 offset:124
	;; [unrolled: 1-line block ×4, first 2 shown]
	s_add_i32 s17, s7, 1
	s_not_b32 s7, s7
	v_cvt_f32_u32_e32 v2, s17
	buffer_store_dword v6, off, s[0:3], 0 offset:128
	buffer_store_dword v6, off, s[0:3], 0 offset:140
	;; [unrolled: 1-line block ×8, first 2 shown]
	v_rcp_iflag_f32_e32 v2, v2
	buffer_store_dword v6, off, s[0:3], 0 offset:160
	buffer_store_dword v6, off, s[0:3], 0 offset:172
	;; [unrolled: 1-line block ×9, first 2 shown]
	v_mul_f32_e32 v2, 0x4f7ffffe, v2
	buffer_store_dword v6, off, s[0:3], 0 offset:204
	buffer_store_dword v6, off, s[0:3], 0 offset:200
	;; [unrolled: 1-line block ×78, first 2 shown]
	v_cvt_u32_f32_e32 v2, v2
	v_readfirstlane_b32 s16, v2
	v_cndmask_b32_e64 v2, 0, 1, s28
	s_mul_i32 s7, s7, s16
	s_mul_hi_u32 s7, s16, s7
	s_add_i32 s16, s16, s7
	s_mul_hi_u32 s7, s6, s16
	s_mul_i32 s16, s7, s17
	s_add_i32 s18, s7, 1
	s_sub_i32 s16, s6, s16
	s_sub_i32 s19, s16, s17
	s_cmp_ge_u32 s16, s17
	s_cselect_b32 s7, s18, s7
	s_cselect_b32 s16, s19, s16
	s_add_i32 s18, s7, 1
	s_cmp_ge_u32 s16, s17
	s_cselect_b32 s16, s18, s7
	s_andn2_b32 vcc_lo, exec_lo, s28
	s_mul_i32 s7, s16, s17
	v_add_co_u32 v18, s17, s20, v80
	s_sub_i32 s6, s6, s7
	v_add_co_ci_u32_e64 v19, null, s21, 0, s17
	s_lshl_b32 s7, s6, 7
	v_cmp_ne_u32_e64 s6, 1, v2
	v_mov_b32_e32 v2, 0
	v_add_nc_u32_e32 v79, s7, v78
	v_mov_b32_e32 v3, 0
	s_cbranch_vccnz .LBB137_10
; %bb.9:
	v_mad_i64_i32 v[2:3], null, v79, s26, 0
	v_lshlrev_b64 v[2:3], 3, v[2:3]
	v_add_co_u32 v2, vcc_lo, v18, v2
	v_add_co_ci_u32_e64 v3, null, v19, v3, vcc_lo
	flat_load_dwordx2 v[2:3], v[2:3]
	s_waitcnt vmcnt(0) lgkmcnt(0)
	v_mul_f64 v[2:3], s[12:13], v[2:3]
.LBB137_10:
	s_load_dword s19, s[4:5], 0x38
	s_lshl_b32 s16, s16, 7
	v_mov_b32_e32 v14, 0
	v_add_nc_u32_e32 v81, s16, v78
	v_mov_b32_e32 v16, 0
	v_add_nc_u32_e32 v83, 64, v79
	v_mov_b32_e32 v15, 0
	v_mov_b32_e32 v17, 0
	v_add_nc_u32_e32 v82, 64, v81
	s_and_b32 vcc_lo, exec_lo, s6
	s_cbranch_vccnz .LBB137_12
; %bb.11:
	v_mad_i64_i32 v[4:5], null, v83, s26, 0
	s_waitcnt lgkmcnt(0)
	v_mad_i64_i32 v[6:7], null, v81, s19, 0
	v_mad_i64_i32 v[8:9], null, v82, s19, 0
	v_add_co_u32 v10, s17, s22, v80
	v_lshlrev_b64 v[4:5], 3, v[4:5]
	v_add_co_ci_u32_e64 v11, null, s23, 0, s17
	v_lshlrev_b64 v[6:7], 3, v[6:7]
	v_lshlrev_b64 v[8:9], 3, v[8:9]
	v_add_co_u32 v4, vcc_lo, v18, v4
	v_add_co_ci_u32_e64 v5, null, v19, v5, vcc_lo
	v_add_co_u32 v6, vcc_lo, v10, v6
	v_add_co_ci_u32_e64 v7, null, v11, v7, vcc_lo
	;; [unrolled: 2-line block ×3, first 2 shown]
	flat_load_dwordx2 v[4:5], v[4:5]
	s_clause 0x1
	flat_load_dwordx2 v[6:7], v[6:7]
	flat_load_dwordx2 v[8:9], v[8:9]
	s_waitcnt vmcnt(2) lgkmcnt(2)
	v_mul_f64 v[4:5], s[12:13], v[4:5]
	s_waitcnt vmcnt(1) lgkmcnt(1)
	v_mul_f64 v[14:15], s[12:13], v[6:7]
	;; [unrolled: 2-line block ×3, first 2 shown]
.LBB137_12:
	v_mov_b32_e32 v8, 0
	v_mov_b32_e32 v6, 0
	;; [unrolled: 1-line block ×4, first 2 shown]
	s_and_b32 vcc_lo, exec_lo, s6
	s_cbranch_vccnz .LBB137_14
; %bb.13:
	v_mad_i64_i32 v[6:7], null, v79, s26, 0
	v_lshlrev_b64 v[6:7], 3, v[6:7]
	v_add_co_u32 v6, vcc_lo, v18, v6
	v_add_co_ci_u32_e64 v7, null, v19, v7, vcc_lo
	flat_load_dwordx2 v[6:7], v[6:7] offset:32
	s_waitcnt vmcnt(0) lgkmcnt(0)
	v_mul_f64 v[6:7], s[12:13], v[6:7]
.LBB137_14:
	v_mov_b32_e32 v10, 0
	v_mov_b32_e32 v12, 0
	;; [unrolled: 1-line block ×4, first 2 shown]
	s_and_b32 vcc_lo, exec_lo, s6
	s_cbranch_vccnz .LBB137_16
; %bb.15:
	v_mad_i64_i32 v[8:9], null, v83, s26, 0
	s_waitcnt lgkmcnt(0)
	v_mad_i64_i32 v[10:11], null, v81, s19, 0
	v_mad_i64_i32 v[12:13], null, v82, s19, 0
	v_lshlrev_b64 v[8:9], 3, v[8:9]
	v_lshlrev_b64 v[10:11], 3, v[10:11]
	;; [unrolled: 1-line block ×3, first 2 shown]
	v_add_co_u32 v8, vcc_lo, v18, v8
	v_add_co_u32 v18, s17, s22, v80
	v_add_co_ci_u32_e64 v9, null, v19, v9, vcc_lo
	v_add_co_ci_u32_e64 v19, null, s23, 0, s17
	v_add_co_u32 v10, vcc_lo, v18, v10
	v_add_co_ci_u32_e64 v11, null, v19, v11, vcc_lo
	v_add_co_u32 v12, vcc_lo, v18, v12
	v_add_co_ci_u32_e64 v13, null, v19, v13, vcc_lo
	flat_load_dwordx2 v[8:9], v[8:9] offset:32
	s_clause 0x1
	flat_load_dwordx2 v[10:11], v[10:11] offset:32
	flat_load_dwordx2 v[12:13], v[12:13] offset:32
	s_waitcnt vmcnt(2) lgkmcnt(2)
	v_mul_f64 v[8:9], s[12:13], v[8:9]
	s_waitcnt vmcnt(1) lgkmcnt(1)
	v_mul_f64 v[10:11], s[12:13], v[10:11]
	;; [unrolled: 2-line block ×3, first 2 shown]
.LBB137_16:
	v_cmp_neq_f64_e64 s17, s[10:11], 0
	v_lshlrev_b32_e32 v18, 5, v78
	v_lshlrev_b32_e32 v93, 5, v0
	v_lshl_or_b32 v94, v1, 5, 0x2000
	s_mov_b32 s18, 0
	s_mov_b32 s24, 0
	v_lshl_or_b32 v91, v90, 3, v18
	s_addk_i32 s18, 0x100
	v_add_nc_u32_e32 v92, 0x2000, v91
	ds_write2st64_b64 v91, v[2:3], v[4:5] offset1:4
	ds_write2st64_b64 v91, v[14:15], v[16:17] offset0:16 offset1:20
	s_waitcnt lgkmcnt(0)
	s_waitcnt_vscnt null, 0x0
	s_barrier
	buffer_gl0_inv
.LBB137_17:                             ; =>This Loop Header: Depth=1
                                        ;     Child Loop BB137_18 Depth 2
	s_lshl_b32 s25, s24, 3
	s_mov_b32 s27, 0
	v_add_nc_u32_e32 v14, s25, v93
	v_add_nc_u32_e32 v84, s25, v94
	s_mov_b32 s25, -1
	ds_read2_b64 v[2:5], v14 offset1:16
	ds_read2_b64 v[18:21], v14 offset0:32 offset1:48
	ds_read2_b64 v[22:25], v14 offset0:64 offset1:80
	;; [unrolled: 1-line block ×4, first 2 shown]
	v_add_nc_u32_e32 v74, 0x800, v14
	ds_read2_b64 v[34:37], v14 offset0:160 offset1:176
	ds_read2_b64 v[38:41], v14 offset0:192 offset1:208
	;; [unrolled: 1-line block ×3, first 2 shown]
	ds_read2_b64 v[46:49], v74 offset1:16
	ds_read2_b64 v[50:53], v74 offset0:32 offset1:48
	ds_read2_b64 v[54:57], v74 offset0:64 offset1:80
	;; [unrolled: 1-line block ×6, first 2 shown]
	s_waitcnt lgkmcnt(9)
	v_max_f64 v[34:35], v[34:35], v[34:35]
	v_max_f64 v[36:37], v[36:37], v[36:37]
	;; [unrolled: 1-line block ×4, first 2 shown]
	ds_read2_b64 v[2:5], v74 offset0:224 offset1:240
	v_max_f64 v[18:19], v[18:19], v[18:19]
	v_max_f64 v[20:21], v[20:21], v[20:21]
	;; [unrolled: 1-line block ×8, first 2 shown]
	s_waitcnt lgkmcnt(9)
	v_max_f64 v[38:39], v[38:39], v[38:39]
	v_max_f64 v[40:41], v[40:41], v[40:41]
	s_waitcnt lgkmcnt(8)
	v_max_f64 v[42:43], v[42:43], v[42:43]
	v_max_f64 v[44:45], v[44:45], v[44:45]
	;; [unrolled: 3-line block ×10, first 2 shown]
	ds_read2st64_b64 v[2:5], v84 offset1:4
.LBB137_18:                             ;   Parent Loop BB137_17 Depth=1
                                        ; =>  This Inner Loop Header: Depth=2
	v_mov_b32_e32 v217, s27
	s_waitcnt lgkmcnt(0)
	v_max_f64 v[153:154], v[2:3], v[2:3]
	v_mov_b32_e32 v2, v4
	v_mov_b32_e32 v3, v5
	s_and_b32 vcc_lo, exec_lo, s25
	s_clause 0x3e
	buffer_load_dword v84, v217, s[0:3], 0 offen
	buffer_load_dword v85, v217, s[0:3], 0 offen offset:4
	buffer_load_dword v86, v217, s[0:3], 0 offen offset:8
	;; [unrolled: 1-line block ×63, first 2 shown]
	s_mov_b32 s25, 0
	s_mov_b32 s27, s18
	v_min_f64 v[155:156], v[14:15], v[153:154]
	v_min_f64 v[157:158], v[16:17], v[153:154]
	;; [unrolled: 1-line block ×32, first 2 shown]
	s_waitcnt vmcnt(62)
	v_add_f64 v[84:85], v[155:156], v[84:85]
	s_waitcnt vmcnt(60)
	v_add_f64 v[86:87], v[157:158], v[86:87]
	;; [unrolled: 2-line block ×32, first 2 shown]
	buffer_store_dword v84, v217, s[0:3], 0 offen
	buffer_store_dword v85, v217, s[0:3], 0 offen offset:4
	buffer_store_dword v86, v217, s[0:3], 0 offen offset:8
	;; [unrolled: 1-line block ×63, first 2 shown]
	s_cbranch_vccnz .LBB137_18
; %bb.19:                               ;   in Loop: Header=BB137_17 Depth=1
	s_add_i32 s24, s24, 1
	s_cmp_eq_u32 s24, 4
	s_cbranch_scc0 .LBB137_17
; %bb.20:
	s_load_dword s24, s[4:5], 0x8
	v_lshl_or_b32 v2, v78, 5, v80
	v_lshl_add_u32 v95, v0, 5, 0x1000
	v_lshl_add_u32 v96, v1, 5, 0x3000
	ds_write2st64_b64 v2, v[6:7], v[8:9] offset0:8 offset1:12
	ds_write2st64_b64 v2, v[10:11], v[12:13] offset0:24 offset1:28
	s_waitcnt lgkmcnt(0)
	s_waitcnt_vscnt null, 0x0
	s_barrier
	buffer_gl0_inv
	s_cmp_lt_i32 s24, 9
	s_cbranch_scc1 .LBB137_39
; %bb.21:
	v_mad_i64_i32 v[3:4], null, v79, s26, 0
	v_mad_i64_i32 v[5:6], null, v83, s26, 0
	;; [unrolled: 1-line block ×4, first 2 shown]
	v_lshlrev_b64 v[70:71], 3, v[3:4]
	v_add_nc_u32_e32 v97, 0x1000, v2
	v_lshlrev_b64 v[72:73], 3, v[5:6]
	v_add_nc_u32_e32 v98, 0x3000, v2
	v_lshlrev_b64 v[74:75], 3, v[7:8]
	v_mov_b32_e32 v79, 0
	v_lshlrev_b64 v[76:77], 3, v[9:10]
	s_add_i32 s19, s24, -8
	s_mov_b32 s24, 8
.LBB137_22:                             ; =>This Loop Header: Depth=1
                                        ;     Child Loop BB137_27 Depth 2
                                        ;       Child Loop BB137_28 Depth 3
                                        ;     Child Loop BB137_35 Depth 2
                                        ;       Child Loop BB137_36 Depth 3
	v_or_b32_e32 v78, s24, v90
	v_mov_b32_e32 v10, 0
	v_mov_b32_e32 v8, 0
	v_mov_b32_e32 v11, 0
	v_mov_b32_e32 v9, 0
	v_lshlrev_b64 v[6:7], 3, v[78:79]
	v_add_co_u32 v78, vcc_lo, s20, v6
	v_add_co_ci_u32_e64 v99, null, s21, v7, vcc_lo
	s_and_b32 vcc_lo, exec_lo, s6
	s_cbranch_vccnz .LBB137_24
; %bb.23:                               ;   in Loop: Header=BB137_22 Depth=1
	v_add_co_u32 v2, vcc_lo, v78, v70
	v_add_co_ci_u32_e64 v3, null, v99, v71, vcc_lo
	flat_load_dwordx2 v[2:3], v[2:3]
	s_waitcnt vmcnt(0) lgkmcnt(0)
	v_mul_f64 v[8:9], s[12:13], v[2:3]
.LBB137_24:                             ;   in Loop: Header=BB137_22 Depth=1
	v_mov_b32_e32 v12, 0
	v_mov_b32_e32 v14, 0
	;; [unrolled: 1-line block ×4, first 2 shown]
	s_and_b32 vcc_lo, exec_lo, s6
	s_cbranch_vccnz .LBB137_26
; %bb.25:                               ;   in Loop: Header=BB137_22 Depth=1
	v_add_co_u32 v10, vcc_lo, s22, v6
	v_add_co_ci_u32_e64 v11, null, s23, v7, vcc_lo
	v_add_co_u32 v2, vcc_lo, v78, v72
	v_add_co_ci_u32_e64 v3, null, v99, v73, vcc_lo
	v_add_co_u32 v4, vcc_lo, v10, v74
	v_add_co_ci_u32_e64 v5, null, v11, v75, vcc_lo
	v_add_co_u32 v10, vcc_lo, v10, v76
	v_add_co_ci_u32_e64 v11, null, v11, v77, vcc_lo
	flat_load_dwordx2 v[2:3], v[2:3]
	s_clause 0x1
	flat_load_dwordx2 v[4:5], v[4:5]
	flat_load_dwordx2 v[14:15], v[10:11]
	s_waitcnt vmcnt(2) lgkmcnt(2)
	v_mul_f64 v[10:11], s[12:13], v[2:3]
	s_waitcnt vmcnt(1) lgkmcnt(1)
	v_mul_f64 v[12:13], s[12:13], v[4:5]
	;; [unrolled: 2-line block ×3, first 2 shown]
.LBB137_26:                             ;   in Loop: Header=BB137_22 Depth=1
	s_mov_b32 s26, 0
.LBB137_27:                             ;   Parent Loop BB137_22 Depth=1
                                        ; =>  This Loop Header: Depth=2
                                        ;       Child Loop BB137_28 Depth 3
	s_lshl_b32 s27, s26, 3
	s_mov_b32 s28, 0
	v_add_nc_u32_e32 v16, s27, v95
	v_add_nc_u32_e32 v104, s27, v96
	s_mov_b32 s27, -1
	ds_read2_b64 v[2:5], v16 offset1:16
	ds_read2_b64 v[20:23], v16 offset0:32 offset1:48
	ds_read2_b64 v[24:27], v16 offset0:64 offset1:80
	v_add_nc_u32_e32 v17, 0x800, v16
	ds_read2_b64 v[28:31], v16 offset0:96 offset1:112
	ds_read2_b64 v[32:35], v16 offset0:128 offset1:144
	;; [unrolled: 1-line block ×5, first 2 shown]
	ds_read2_b64 v[48:51], v17 offset1:16
	ds_read2_b64 v[52:55], v17 offset0:32 offset1:48
	ds_read2_b64 v[56:59], v17 offset0:64 offset1:80
	;; [unrolled: 1-line block ×7, first 2 shown]
	s_waitcnt lgkmcnt(11)
	v_max_f64 v[32:33], v[32:33], v[32:33]
	v_max_f64 v[34:35], v[34:35], v[34:35]
	s_waitcnt lgkmcnt(10)
	v_max_f64 v[36:37], v[36:37], v[36:37]
	v_max_f64 v[38:39], v[38:39], v[38:39]
	;; [unrolled: 3-line block ×3, first 2 shown]
	v_max_f64 v[16:17], v[2:3], v[2:3]
	v_max_f64 v[18:19], v[4:5], v[4:5]
	;; [unrolled: 1-line block ×8, first 2 shown]
	s_waitcnt lgkmcnt(8)
	v_max_f64 v[44:45], v[44:45], v[44:45]
	v_max_f64 v[46:47], v[46:47], v[46:47]
	s_waitcnt lgkmcnt(7)
	v_max_f64 v[48:49], v[48:49], v[48:49]
	v_max_f64 v[50:51], v[50:51], v[50:51]
	;; [unrolled: 3-line block ×9, first 2 shown]
	ds_read2st64_b64 v[2:5], v104 offset1:4
.LBB137_28:                             ;   Parent Loop BB137_22 Depth=1
                                        ;     Parent Loop BB137_27 Depth=2
                                        ; =>    This Inner Loop Header: Depth=3
	v_mov_b32_e32 v228, s28
	s_waitcnt lgkmcnt(0)
	v_max_f64 v[164:165], v[2:3], v[2:3]
	v_mov_b32_e32 v2, v4
	v_mov_b32_e32 v3, v5
	s_and_b32 vcc_lo, exec_lo, s27
	s_clause 0x3e
	buffer_load_dword v100, v228, s[0:3], 0 offen
	buffer_load_dword v101, v228, s[0:3], 0 offen offset:4
	buffer_load_dword v102, v228, s[0:3], 0 offen offset:8
	;; [unrolled: 1-line block ×63, first 2 shown]
	s_mov_b32 s27, 0
	s_mov_b32 s28, s18
	v_min_f64 v[166:167], v[16:17], v[164:165]
	v_min_f64 v[168:169], v[18:19], v[164:165]
	;; [unrolled: 1-line block ×32, first 2 shown]
	s_waitcnt vmcnt(62)
	v_add_f64 v[100:101], v[166:167], v[100:101]
	s_waitcnt vmcnt(60)
	v_add_f64 v[102:103], v[168:169], v[102:103]
	;; [unrolled: 2-line block ×32, first 2 shown]
	buffer_store_dword v100, v228, s[0:3], 0 offen
	buffer_store_dword v101, v228, s[0:3], 0 offen offset:4
	buffer_store_dword v102, v228, s[0:3], 0 offen offset:8
	;; [unrolled: 1-line block ×63, first 2 shown]
	s_cbranch_vccnz .LBB137_28
; %bb.29:                               ;   in Loop: Header=BB137_27 Depth=2
	s_add_i32 s26, s26, 1
	s_cmp_eq_u32 s26, 4
	s_cbranch_scc0 .LBB137_27
; %bb.30:                               ;   in Loop: Header=BB137_22 Depth=1
	v_mov_b32_e32 v82, 0
	v_mov_b32_e32 v80, 0
	;; [unrolled: 1-line block ×4, first 2 shown]
	s_and_b32 vcc_lo, exec_lo, s6
	ds_write2st64_b64 v91, v[8:9], v[10:11] offset1:4
	ds_write2st64_b64 v92, v[12:13], v[14:15] offset1:4
	s_waitcnt lgkmcnt(0)
	s_waitcnt_vscnt null, 0x0
	s_barrier
	buffer_gl0_inv
	s_cbranch_vccnz .LBB137_32
; %bb.31:                               ;   in Loop: Header=BB137_22 Depth=1
	v_add_co_u32 v2, vcc_lo, v78, v70
	v_add_co_ci_u32_e64 v3, null, v99, v71, vcc_lo
	flat_load_dwordx2 v[2:3], v[2:3] offset:32
	s_waitcnt vmcnt(0) lgkmcnt(0)
	v_mul_f64 v[80:81], s[12:13], v[2:3]
.LBB137_32:                             ;   in Loop: Header=BB137_22 Depth=1
	v_mov_b32_e32 v84, 0
	v_mov_b32_e32 v86, 0
	;; [unrolled: 1-line block ×4, first 2 shown]
	s_and_b32 vcc_lo, exec_lo, s6
	s_cbranch_vccnz .LBB137_34
; %bb.33:                               ;   in Loop: Header=BB137_22 Depth=1
	v_add_co_u32 v6, vcc_lo, s22, v6
	v_add_co_ci_u32_e64 v7, null, s23, v7, vcc_lo
	v_add_co_u32 v2, vcc_lo, v78, v72
	v_add_co_ci_u32_e64 v3, null, v99, v73, vcc_lo
	;; [unrolled: 2-line block ×4, first 2 shown]
	flat_load_dwordx2 v[2:3], v[2:3] offset:32
	s_clause 0x1
	flat_load_dwordx2 v[4:5], v[4:5] offset:32
	flat_load_dwordx2 v[6:7], v[6:7] offset:32
	s_waitcnt vmcnt(2) lgkmcnt(2)
	v_mul_f64 v[82:83], s[12:13], v[2:3]
	s_waitcnt vmcnt(1) lgkmcnt(1)
	v_mul_f64 v[84:85], s[12:13], v[4:5]
	;; [unrolled: 2-line block ×3, first 2 shown]
.LBB137_34:                             ;   in Loop: Header=BB137_22 Depth=1
	s_mov_b32 s26, 0
.LBB137_35:                             ;   Parent Loop BB137_22 Depth=1
                                        ; =>  This Loop Header: Depth=2
                                        ;       Child Loop BB137_36 Depth 3
	s_lshl_b32 s27, s26, 3
	s_mov_b32 s28, 0
	v_add_nc_u32_e32 v30, s27, v93
	v_add_nc_u32_e32 v66, s27, v94
	s_mov_b32 s27, -1
	ds_read2_b64 v[2:5], v30 offset1:16
	ds_read2_b64 v[6:9], v30 offset0:32 offset1:48
	ds_read2_b64 v[10:13], v30 offset0:64 offset1:80
	;; [unrolled: 1-line block ×3, first 2 shown]
	v_add_nc_u32_e32 v62, 0x800, v30
	ds_read2_b64 v[18:21], v30 offset0:128 offset1:144
	ds_read2_b64 v[22:25], v30 offset0:160 offset1:176
	;; [unrolled: 1-line block ×4, first 2 shown]
	ds_read2_b64 v[34:37], v62 offset1:16
	ds_read2_b64 v[38:41], v62 offset0:32 offset1:48
	ds_read2_b64 v[42:45], v62 offset0:64 offset1:80
	;; [unrolled: 1-line block ×7, first 2 shown]
	ds_read2st64_b64 v[66:69], v66 offset1:4
.LBB137_36:                             ;   Parent Loop BB137_22 Depth=1
                                        ;     Parent Loop BB137_35 Depth=2
                                        ; =>    This Inner Loop Header: Depth=3
	v_mov_b32_e32 v78, s28
	s_waitcnt lgkmcnt(16)
	v_max_f64 v[161:162], v[2:3], v[2:3]
	s_waitcnt lgkmcnt(0)
	v_max_f64 v[163:164], v[66:67], v[66:67]
	v_max_f64 v[165:166], v[4:5], v[4:5]
	;; [unrolled: 1-line block ×3, first 2 shown]
	s_clause 0x3e
	buffer_load_dword v88, v78, s[0:3], 0 offen
	buffer_load_dword v89, v78, s[0:3], 0 offen offset:4
	buffer_load_dword v99, v78, s[0:3], 0 offen offset:8
	;; [unrolled: 1-line block ×63, first 2 shown]
	v_max_f64 v[169:170], v[8:9], v[8:9]
	v_max_f64 v[171:172], v[10:11], v[10:11]
	;; [unrolled: 1-line block ×29, first 2 shown]
	v_min_f64 v[161:162], v[161:162], v[163:164]
	v_min_f64 v[165:166], v[165:166], v[163:164]
	;; [unrolled: 1-line block ×32, first 2 shown]
	v_mov_b32_e32 v66, v68
	v_mov_b32_e32 v67, v69
	s_and_b32 vcc_lo, exec_lo, s27
	s_mov_b32 s27, 0
	s_mov_b32 s28, s18
	s_waitcnt vmcnt(62)
	v_add_f64 v[88:89], v[161:162], v[88:89]
	s_waitcnt vmcnt(60)
	v_add_f64 v[99:100], v[165:166], v[99:100]
	;; [unrolled: 2-line block ×32, first 2 shown]
	buffer_store_dword v88, v78, s[0:3], 0 offen
	buffer_store_dword v89, v78, s[0:3], 0 offen offset:4
	buffer_store_dword v99, v78, s[0:3], 0 offen offset:8
	;; [unrolled: 1-line block ×63, first 2 shown]
	s_cbranch_vccnz .LBB137_36
; %bb.37:                               ;   in Loop: Header=BB137_35 Depth=2
	s_add_i32 s26, s26, 1
	s_cmp_eq_u32 s26, 4
	s_cbranch_scc0 .LBB137_35
; %bb.38:                               ;   in Loop: Header=BB137_22 Depth=1
	s_add_i32 s25, s25, 8
	s_add_i32 s24, s24, 8
	s_cmp_ge_i32 s25, s19
	ds_write2st64_b64 v97, v[80:81], v[82:83] offset1:4
	ds_write2st64_b64 v98, v[84:85], v[86:87] offset1:4
	s_waitcnt lgkmcnt(0)
	s_waitcnt_vscnt null, 0x0
	s_barrier
	buffer_gl0_inv
	s_cbranch_scc0 .LBB137_22
.LBB137_39:
	s_mov_b32 s6, 0
.LBB137_40:                             ; =>This Loop Header: Depth=1
                                        ;     Child Loop BB137_41 Depth 2
	s_lshl_b32 s12, s6, 3
	s_mov_b32 s13, 0
	v_add_nc_u32_e32 v6, s12, v95
	v_add_nc_u32_e32 v70, s12, v96
	s_mov_b32 s12, -1
	ds_read2_b64 v[2:5], v6 offset1:16
	ds_read2_b64 v[10:13], v6 offset0:32 offset1:48
	ds_read2_b64 v[14:17], v6 offset0:64 offset1:80
	v_add_nc_u32_e32 v7, 0x800, v6
	ds_read2_b64 v[18:21], v6 offset0:96 offset1:112
	ds_read2_b64 v[22:25], v6 offset0:128 offset1:144
	;; [unrolled: 1-line block ×5, first 2 shown]
	ds_read2_b64 v[38:41], v7 offset1:16
	ds_read2_b64 v[42:45], v7 offset0:32 offset1:48
	ds_read2_b64 v[46:49], v7 offset0:64 offset1:80
	;; [unrolled: 1-line block ×7, first 2 shown]
	s_waitcnt lgkmcnt(11)
	v_max_f64 v[22:23], v[22:23], v[22:23]
	v_max_f64 v[24:25], v[24:25], v[24:25]
	s_waitcnt lgkmcnt(10)
	v_max_f64 v[26:27], v[26:27], v[26:27]
	v_max_f64 v[28:29], v[28:29], v[28:29]
	;; [unrolled: 3-line block ×3, first 2 shown]
	v_max_f64 v[6:7], v[2:3], v[2:3]
	v_max_f64 v[8:9], v[4:5], v[4:5]
	v_max_f64 v[10:11], v[10:11], v[10:11]
	v_max_f64 v[12:13], v[12:13], v[12:13]
	v_max_f64 v[14:15], v[14:15], v[14:15]
	v_max_f64 v[16:17], v[16:17], v[16:17]
	v_max_f64 v[18:19], v[18:19], v[18:19]
	v_max_f64 v[20:21], v[20:21], v[20:21]
	s_waitcnt lgkmcnt(8)
	v_max_f64 v[34:35], v[34:35], v[34:35]
	v_max_f64 v[36:37], v[36:37], v[36:37]
	s_waitcnt lgkmcnt(7)
	v_max_f64 v[38:39], v[38:39], v[38:39]
	v_max_f64 v[40:41], v[40:41], v[40:41]
	;; [unrolled: 3-line block ×9, first 2 shown]
	ds_read2st64_b64 v[2:5], v70 offset1:4
.LBB137_41:                             ;   Parent Loop BB137_40 Depth=1
                                        ; =>  This Inner Loop Header: Depth=2
	v_mov_b32_e32 v94, s13
	s_waitcnt lgkmcnt(0)
	v_max_f64 v[137:138], v[2:3], v[2:3]
	v_mov_b32_e32 v2, v4
	v_mov_b32_e32 v3, v5
	s_and_b32 vcc_lo, exec_lo, s12
	s_clause 0x3e
	buffer_load_dword v70, v94, s[0:3], 0 offen
	buffer_load_dword v71, v94, s[0:3], 0 offen offset:4
	buffer_load_dword v72, v94, s[0:3], 0 offen offset:8
	;; [unrolled: 1-line block ×63, first 2 shown]
	s_mov_b32 s12, 0
	s_mov_b32 s13, s18
	v_min_f64 v[139:140], v[6:7], v[137:138]
	v_min_f64 v[141:142], v[8:9], v[137:138]
	;; [unrolled: 1-line block ×32, first 2 shown]
	s_waitcnt vmcnt(62)
	v_add_f64 v[70:71], v[139:140], v[70:71]
	s_waitcnt vmcnt(60)
	v_add_f64 v[72:73], v[141:142], v[72:73]
	s_waitcnt vmcnt(58)
	v_add_f64 v[74:75], v[143:144], v[74:75]
	s_waitcnt vmcnt(56)
	v_add_f64 v[76:77], v[145:146], v[76:77]
	s_waitcnt vmcnt(54)
	v_add_f64 v[78:79], v[147:148], v[78:79]
	s_waitcnt vmcnt(52)
	v_add_f64 v[80:81], v[149:150], v[80:81]
	s_waitcnt vmcnt(50)
	v_add_f64 v[82:83], v[151:152], v[82:83]
	s_waitcnt vmcnt(48)
	v_add_f64 v[84:85], v[153:154], v[84:85]
	s_waitcnt vmcnt(45)
	v_add_f64 v[88:89], v[157:158], v[88:89]
	s_waitcnt vmcnt(43)
	v_add_f64 v[90:91], v[159:160], v[90:91]
	s_waitcnt vmcnt(41)
	v_add_f64 v[92:93], v[161:162], v[92:93]
	s_waitcnt vmcnt(40)
	v_add_f64 v[86:87], v[155:156], v[86:87]
	s_waitcnt vmcnt(38)
	v_add_f64 v[97:98], v[163:164], v[97:98]
	s_waitcnt vmcnt(36)
	v_add_f64 v[99:100], v[165:166], v[99:100]
	s_waitcnt vmcnt(34)
	v_add_f64 v[101:102], v[167:168], v[101:102]
	s_waitcnt vmcnt(32)
	v_add_f64 v[103:104], v[169:170], v[103:104]
	s_waitcnt vmcnt(30)
	v_add_f64 v[105:106], v[171:172], v[105:106]
	s_waitcnt vmcnt(28)
	v_add_f64 v[107:108], v[173:174], v[107:108]
	s_waitcnt vmcnt(26)
	v_add_f64 v[109:110], v[175:176], v[109:110]
	s_waitcnt vmcnt(24)
	v_add_f64 v[111:112], v[177:178], v[111:112]
	s_waitcnt vmcnt(22)
	v_add_f64 v[113:114], v[179:180], v[113:114]
	s_waitcnt vmcnt(20)
	v_add_f64 v[115:116], v[181:182], v[115:116]
	s_waitcnt vmcnt(18)
	v_add_f64 v[117:118], v[183:184], v[117:118]
	s_waitcnt vmcnt(16)
	v_add_f64 v[119:120], v[185:186], v[119:120]
	s_waitcnt vmcnt(14)
	v_add_f64 v[121:122], v[187:188], v[121:122]
	s_waitcnt vmcnt(12)
	v_add_f64 v[123:124], v[189:190], v[123:124]
	s_waitcnt vmcnt(10)
	v_add_f64 v[125:126], v[191:192], v[125:126]
	s_waitcnt vmcnt(8)
	v_add_f64 v[127:128], v[193:194], v[127:128]
	s_waitcnt vmcnt(6)
	v_add_f64 v[129:130], v[195:196], v[129:130]
	s_waitcnt vmcnt(4)
	v_add_f64 v[131:132], v[197:198], v[131:132]
	s_waitcnt vmcnt(2)
	v_add_f64 v[133:134], v[199:200], v[133:134]
	s_waitcnt vmcnt(0)
	v_add_f64 v[135:136], v[137:138], v[135:136]
	buffer_store_dword v70, v94, s[0:3], 0 offen
	buffer_store_dword v71, v94, s[0:3], 0 offen offset:4
	buffer_store_dword v72, v94, s[0:3], 0 offen offset:8
	;; [unrolled: 1-line block ×63, first 2 shown]
	s_cbranch_vccnz .LBB137_41
; %bb.42:                               ;   in Loop: Header=BB137_40 Depth=1
	s_add_i32 s6, s6, 1
	s_cmp_eq_u32 s6, 4
	s_cbranch_scc0 .LBB137_40
; %bb.43:
	s_clause 0x1
	buffer_load_dword v2, off, s[0:3], 0
	buffer_load_dword v3, off, s[0:3], 0 offset:4
	s_load_dword s12, s[4:5], 0x58
	v_add_nc_u32_e32 v69, s16, v1
	v_add_nc_u32_e32 v12, s7, v0
	v_cndmask_b32_e64 v0, 0, 1, s17
	v_mov_b32_e32 v6, 0
	v_mov_b32_e32 v7, 0
	v_ashrrev_i32_e32 v13, 31, v12
	v_cmp_ne_u32_e64 s6, 1, v0
	v_lshlrev_b64 v[0:1], 3, v[12:13]
	s_waitcnt lgkmcnt(0)
	v_mad_i64_i32 v[4:5], null, v69, s12, 0
	v_lshlrev_b64 v[8:9], 3, v[4:5]
	v_mov_b32_e32 v4, 0
	v_mov_b32_e32 v5, 0
	v_add_co_u32 v70, vcc_lo, s14, v8
	v_add_co_ci_u32_e64 v71, null, s15, v9, vcc_lo
	s_andn2_b32 vcc_lo, exec_lo, s17
	s_cbranch_vccnz .LBB137_45
; %bb.44:
	v_add_co_u32 v6, vcc_lo, v70, v0
	v_add_co_ci_u32_e64 v7, null, v71, v1, vcc_lo
	flat_load_dwordx2 v[6:7], v[6:7]
	s_waitcnt vmcnt(0) lgkmcnt(0)
	v_mul_f64 v[6:7], s[10:11], v[6:7]
.LBB137_45:
	s_clause 0x1
	s_load_dword s7, s[4:5], 0x70
	s_load_dwordx2 s[4:5], s[4:5], 0x78
	s_waitcnt vmcnt(0)
	v_add_f64 v[2:3], v[2:3], v[6:7]
	s_waitcnt lgkmcnt(0)
	v_mad_i64_i32 v[8:9], null, v69, s7, 0
	s_lshl_b64 s[4:5], s[4:5], 3
	s_add_u32 s4, s8, s4
	s_addc_u32 s5, s9, s5
	v_lshlrev_b64 v[6:7], 3, v[8:9]
	v_add_co_u32 v72, vcc_lo, s4, v6
	v_add_co_ci_u32_e64 v73, null, s5, v7, vcc_lo
	v_add_co_u32 v6, vcc_lo, v72, v0
	v_add_co_ci_u32_e64 v7, null, v73, v1, vcc_lo
	s_and_b32 vcc_lo, exec_lo, s6
	flat_store_dwordx2 v[6:7], v[2:3]
	s_clause 0x1
	buffer_load_dword v6, off, s[0:3], 0 offset:8
	buffer_load_dword v7, off, s[0:3], 0 offset:12
	v_add_nc_u32_e32 v2, 4, v12
	v_ashrrev_i32_e32 v3, 31, v2
	v_lshlrev_b64 v[2:3], 3, v[2:3]
	s_cbranch_vccnz .LBB137_47
; %bb.46:
	v_add_co_u32 v4, vcc_lo, v70, v2
	v_add_co_ci_u32_e64 v5, null, v71, v3, vcc_lo
	flat_load_dwordx2 v[4:5], v[4:5]
	s_waitcnt vmcnt(0) lgkmcnt(0)
	v_mul_f64 v[4:5], s[10:11], v[4:5]
.LBB137_47:
	s_waitcnt vmcnt(0)
	v_add_f64 v[4:5], v[6:7], v[4:5]
	v_add_co_u32 v6, vcc_lo, v72, v2
	v_add_co_ci_u32_e64 v7, null, v73, v3, vcc_lo
	v_mov_b32_e32 v8, 0
	v_mov_b32_e32 v10, 0
	v_mov_b32_e32 v9, 0
	v_mov_b32_e32 v11, 0
	s_and_b32 vcc_lo, exec_lo, s6
	flat_store_dwordx2 v[6:7], v[4:5]
	s_clause 0x1
	buffer_load_dword v6, off, s[0:3], 0 offset:16
	buffer_load_dword v7, off, s[0:3], 0 offset:20
	v_add_nc_u32_e32 v4, 8, v12
	v_ashrrev_i32_e32 v5, 31, v4
	v_lshlrev_b64 v[4:5], 3, v[4:5]
	s_cbranch_vccnz .LBB137_49
; %bb.48:
	v_add_co_u32 v10, vcc_lo, v70, v4
	v_add_co_ci_u32_e64 v11, null, v71, v5, vcc_lo
	flat_load_dwordx2 v[10:11], v[10:11]
	s_waitcnt vmcnt(0) lgkmcnt(0)
	v_mul_f64 v[10:11], s[10:11], v[10:11]
.LBB137_49:
	s_waitcnt vmcnt(0)
	v_add_f64 v[6:7], v[6:7], v[10:11]
	v_add_co_u32 v10, vcc_lo, v72, v4
	v_add_co_ci_u32_e64 v11, null, v73, v5, vcc_lo
	s_and_b32 vcc_lo, exec_lo, s6
	flat_store_dwordx2 v[10:11], v[6:7]
	s_clause 0x1
	buffer_load_dword v10, off, s[0:3], 0 offset:24
	buffer_load_dword v11, off, s[0:3], 0 offset:28
	v_add_nc_u32_e32 v6, 12, v12
	v_ashrrev_i32_e32 v7, 31, v6
	v_lshlrev_b64 v[6:7], 3, v[6:7]
	s_cbranch_vccnz .LBB137_51
; %bb.50:
	v_add_co_u32 v8, vcc_lo, v70, v6
	v_add_co_ci_u32_e64 v9, null, v71, v7, vcc_lo
	flat_load_dwordx2 v[8:9], v[8:9]
	s_waitcnt vmcnt(0) lgkmcnt(0)
	v_mul_f64 v[8:9], s[10:11], v[8:9]
.LBB137_51:
	s_waitcnt vmcnt(0)
	v_add_f64 v[8:9], v[10:11], v[8:9]
	v_add_co_u32 v10, vcc_lo, v72, v6
	v_add_co_ci_u32_e64 v11, null, v73, v7, vcc_lo
	v_mov_b32_e32 v13, 0
	v_mov_b32_e32 v15, 0
	v_mov_b32_e32 v14, 0
	v_mov_b32_e32 v16, 0
	s_and_b32 vcc_lo, exec_lo, s6
	flat_store_dwordx2 v[10:11], v[8:9]
	s_clause 0x1
	buffer_load_dword v10, off, s[0:3], 0 offset:32
	buffer_load_dword v11, off, s[0:3], 0 offset:36
	v_add_nc_u32_e32 v8, 16, v12
	v_ashrrev_i32_e32 v9, 31, v8
	v_lshlrev_b64 v[8:9], 3, v[8:9]
	s_cbranch_vccnz .LBB137_53
; %bb.52:
	v_add_co_u32 v15, vcc_lo, v70, v8
	v_add_co_ci_u32_e64 v16, null, v71, v9, vcc_lo
	flat_load_dwordx2 v[15:16], v[15:16]
	s_waitcnt vmcnt(0) lgkmcnt(0)
	v_mul_f64 v[15:16], s[10:11], v[15:16]
.LBB137_53:
	s_waitcnt vmcnt(0)
	v_add_f64 v[10:11], v[10:11], v[15:16]
	;; [unrolled: 44-line block ×15, first 2 shown]
	v_add_co_u32 v67, vcc_lo, v72, v61
	v_add_co_ci_u32_e64 v68, null, v73, v62, vcc_lo
	s_and_b32 vcc_lo, exec_lo, s6
	flat_store_dwordx2 v[67:68], v[63:64]
	s_clause 0x1
	buffer_load_dword v67, off, s[0:3], 0 offset:248
	buffer_load_dword v68, off, s[0:3], 0 offset:252
	v_add_nc_u32_e32 v63, 0x7c, v12
	v_ashrrev_i32_e32 v64, 31, v63
	v_lshlrev_b64 v[63:64], 3, v[63:64]
	s_cbranch_vccnz .LBB137_107
; %bb.106:
	v_add_co_u32 v65, vcc_lo, v70, v63
	v_add_co_ci_u32_e64 v66, null, v71, v64, vcc_lo
	flat_load_dwordx2 v[65:66], v[65:66]
	s_waitcnt vmcnt(0) lgkmcnt(0)
	v_mul_f64 v[65:66], s[10:11], v[65:66]
.LBB137_107:
	s_waitcnt vmcnt(0)
	v_add_f64 v[65:66], v[67:68], v[65:66]
	v_add_co_u32 v67, vcc_lo, v72, v63
	v_add_co_ci_u32_e64 v68, null, v73, v64, vcc_lo
	v_add_nc_u32_e32 v72, 64, v69
	v_mov_b32_e32 v69, 0
	v_mov_b32_e32 v70, 0
	flat_store_dwordx2 v[67:68], v[65:66]
	s_clause 0x1
	buffer_load_dword v67, off, s[0:3], 0 offset:256
	buffer_load_dword v68, off, s[0:3], 0 offset:260
	v_mad_i64_i32 v[65:66], null, v72, s12, 0
	v_lshlrev_b64 v[73:74], 3, v[65:66]
	v_mov_b32_e32 v65, 0
	v_mov_b32_e32 v66, 0
	v_add_co_u32 v12, vcc_lo, s14, v73
	v_add_co_ci_u32_e64 v71, null, s15, v74, vcc_lo
	s_and_b32 vcc_lo, exec_lo, s6
	s_cbranch_vccnz .LBB137_109
; %bb.108:
	v_add_co_u32 v69, vcc_lo, v12, v0
	v_add_co_ci_u32_e64 v70, null, v71, v1, vcc_lo
	flat_load_dwordx2 v[69:70], v[69:70]
	s_waitcnt vmcnt(0) lgkmcnt(0)
	v_mul_f64 v[69:70], s[10:11], v[69:70]
.LBB137_109:
	v_mad_i64_i32 v[72:73], null, v72, s7, 0
	s_waitcnt vmcnt(0)
	v_add_f64 v[69:70], v[67:68], v[69:70]
	v_lshlrev_b64 v[67:68], 3, v[72:73]
	v_add_co_u32 v67, vcc_lo, s4, v67
	v_add_co_ci_u32_e64 v68, null, s5, v68, vcc_lo
	v_add_co_u32 v0, vcc_lo, v67, v0
	v_add_co_ci_u32_e64 v1, null, v68, v1, vcc_lo
	s_and_b32 vcc_lo, exec_lo, s6
	flat_store_dwordx2 v[0:1], v[69:70]
	s_clause 0x1
	buffer_load_dword v0, off, s[0:3], 0 offset:264
	buffer_load_dword v1, off, s[0:3], 0 offset:268
	s_cbranch_vccnz .LBB137_111
; %bb.110:
	v_add_co_u32 v65, vcc_lo, v12, v2
	v_add_co_ci_u32_e64 v66, null, v71, v3, vcc_lo
	flat_load_dwordx2 v[65:66], v[65:66]
	s_waitcnt vmcnt(0) lgkmcnt(0)
	v_mul_f64 v[65:66], s[10:11], v[65:66]
.LBB137_111:
	s_waitcnt vmcnt(0)
	v_add_f64 v[0:1], v[0:1], v[65:66]
	v_add_co_u32 v2, vcc_lo, v67, v2
	v_add_co_ci_u32_e64 v3, null, v68, v3, vcc_lo
	v_mov_b32_e32 v65, 0
	v_mov_b32_e32 v66, 0
	s_and_b32 vcc_lo, exec_lo, s6
	flat_store_dwordx2 v[2:3], v[0:1]
	s_clause 0x1
	buffer_load_dword v2, off, s[0:3], 0 offset:272
	buffer_load_dword v3, off, s[0:3], 0 offset:276
	v_mov_b32_e32 v0, 0
	v_mov_b32_e32 v1, 0
	s_cbranch_vccnz .LBB137_113
; %bb.112:
	v_add_co_u32 v65, vcc_lo, v12, v4
	v_add_co_ci_u32_e64 v66, null, v71, v5, vcc_lo
	flat_load_dwordx2 v[65:66], v[65:66]
	s_waitcnt vmcnt(0) lgkmcnt(0)
	v_mul_f64 v[65:66], s[10:11], v[65:66]
.LBB137_113:
	s_waitcnt vmcnt(0)
	v_add_f64 v[2:3], v[2:3], v[65:66]
	v_add_co_u32 v4, vcc_lo, v67, v4
	v_add_co_ci_u32_e64 v5, null, v68, v5, vcc_lo
	s_and_b32 vcc_lo, exec_lo, s6
	flat_store_dwordx2 v[4:5], v[2:3]
	s_clause 0x1
	buffer_load_dword v2, off, s[0:3], 0 offset:280
	buffer_load_dword v3, off, s[0:3], 0 offset:284
	s_cbranch_vccnz .LBB137_115
; %bb.114:
	v_add_co_u32 v0, vcc_lo, v12, v6
	v_add_co_ci_u32_e64 v1, null, v71, v7, vcc_lo
	flat_load_dwordx2 v[0:1], v[0:1]
	s_waitcnt vmcnt(0) lgkmcnt(0)
	v_mul_f64 v[0:1], s[10:11], v[0:1]
.LBB137_115:
	s_waitcnt vmcnt(0)
	v_add_f64 v[0:1], v[2:3], v[0:1]
	v_add_co_u32 v2, vcc_lo, v67, v6
	v_add_co_ci_u32_e64 v3, null, v68, v7, vcc_lo
	v_mov_b32_e32 v4, 0
	v_mov_b32_e32 v5, 0
	s_and_b32 vcc_lo, exec_lo, s6
	flat_store_dwordx2 v[2:3], v[0:1]
	s_clause 0x1
	buffer_load_dword v2, off, s[0:3], 0 offset:288
	buffer_load_dword v3, off, s[0:3], 0 offset:292
	v_mov_b32_e32 v0, 0
	v_mov_b32_e32 v1, 0
	s_cbranch_vccnz .LBB137_117
; %bb.116:
	v_add_co_u32 v4, vcc_lo, v12, v8
	v_add_co_ci_u32_e64 v5, null, v71, v9, vcc_lo
	flat_load_dwordx2 v[4:5], v[4:5]
	s_waitcnt vmcnt(0) lgkmcnt(0)
	v_mul_f64 v[4:5], s[10:11], v[4:5]
.LBB137_117:
	s_waitcnt vmcnt(0)
	v_add_f64 v[2:3], v[2:3], v[4:5]
	;; [unrolled: 38-line block ×15, first 2 shown]
	v_add_co_u32 v4, vcc_lo, v67, v61
	v_add_co_ci_u32_e64 v5, null, v68, v62, vcc_lo
	s_and_b32 vcc_lo, exec_lo, s6
	flat_store_dwordx2 v[4:5], v[2:3]
	s_clause 0x1
	buffer_load_dword v2, off, s[0:3], 0 offset:504
	buffer_load_dword v3, off, s[0:3], 0 offset:508
	s_cbranch_vccnz .LBB137_171
; %bb.170:
	v_add_co_u32 v0, vcc_lo, v12, v63
	v_add_co_ci_u32_e64 v1, null, v71, v64, vcc_lo
	flat_load_dwordx2 v[0:1], v[0:1]
	s_waitcnt vmcnt(0) lgkmcnt(0)
	v_mul_f64 v[0:1], s[10:11], v[0:1]
.LBB137_171:
	s_waitcnt vmcnt(0)
	v_add_f64 v[0:1], v[2:3], v[0:1]
	v_add_co_u32 v2, vcc_lo, v67, v63
	v_add_co_ci_u32_e64 v3, null, v68, v64, vcc_lo
	flat_store_dwordx2 v[2:3], v[0:1]
	s_endpgm
	.section	.rodata,"a",@progbits
	.p2align	6, 0x0
	.amdhsa_kernel _ZN12_GLOBAL__N_120geam_min_plus_kernelIdddLi4ELi64ELi128ELi128ELi4ELi4ELi64ELi4ELi64ELc84ELc78ELb0ELb0ELb0EdKPKdKPdEEviiiT16_PT17_ilS8_ilS6_S8_ilPT18_ili26rocblas_geam_ex_operation_
		.amdhsa_group_segment_fixed_size 16384
		.amdhsa_private_segment_fixed_size 528
		.amdhsa_kernarg_size 136
		.amdhsa_user_sgpr_count 6
		.amdhsa_user_sgpr_private_segment_buffer 1
		.amdhsa_user_sgpr_dispatch_ptr 0
		.amdhsa_user_sgpr_queue_ptr 0
		.amdhsa_user_sgpr_kernarg_segment_ptr 1
		.amdhsa_user_sgpr_dispatch_id 0
		.amdhsa_user_sgpr_flat_scratch_init 0
		.amdhsa_user_sgpr_private_segment_size 0
		.amdhsa_wavefront_size32 1
		.amdhsa_uses_dynamic_stack 0
		.amdhsa_system_sgpr_private_segment_wavefront_offset 1
		.amdhsa_system_sgpr_workgroup_id_x 1
		.amdhsa_system_sgpr_workgroup_id_y 0
		.amdhsa_system_sgpr_workgroup_id_z 1
		.amdhsa_system_sgpr_workgroup_info 0
		.amdhsa_system_vgpr_workitem_id 1
		.amdhsa_next_free_vgpr 229
		.amdhsa_next_free_sgpr 29
		.amdhsa_reserve_vcc 1
		.amdhsa_reserve_flat_scratch 1
		.amdhsa_float_round_mode_32 0
		.amdhsa_float_round_mode_16_64 0
		.amdhsa_float_denorm_mode_32 3
		.amdhsa_float_denorm_mode_16_64 3
		.amdhsa_dx10_clamp 1
		.amdhsa_ieee_mode 1
		.amdhsa_fp16_overflow 0
		.amdhsa_workgroup_processor_mode 1
		.amdhsa_memory_ordered 1
		.amdhsa_forward_progress 1
		.amdhsa_shared_vgpr_count 0
		.amdhsa_exception_fp_ieee_invalid_op 0
		.amdhsa_exception_fp_denorm_src 0
		.amdhsa_exception_fp_ieee_div_zero 0
		.amdhsa_exception_fp_ieee_overflow 0
		.amdhsa_exception_fp_ieee_underflow 0
		.amdhsa_exception_fp_ieee_inexact 0
		.amdhsa_exception_int_div_zero 0
	.end_amdhsa_kernel
	.section	.text._ZN12_GLOBAL__N_120geam_min_plus_kernelIdddLi4ELi64ELi128ELi128ELi4ELi4ELi64ELi4ELi64ELc84ELc78ELb0ELb0ELb0EdKPKdKPdEEviiiT16_PT17_ilS8_ilS6_S8_ilPT18_ili26rocblas_geam_ex_operation_,"axG",@progbits,_ZN12_GLOBAL__N_120geam_min_plus_kernelIdddLi4ELi64ELi128ELi128ELi4ELi4ELi64ELi4ELi64ELc84ELc78ELb0ELb0ELb0EdKPKdKPdEEviiiT16_PT17_ilS8_ilS6_S8_ilPT18_ili26rocblas_geam_ex_operation_,comdat
.Lfunc_end137:
	.size	_ZN12_GLOBAL__N_120geam_min_plus_kernelIdddLi4ELi64ELi128ELi128ELi4ELi4ELi64ELi4ELi64ELc84ELc78ELb0ELb0ELb0EdKPKdKPdEEviiiT16_PT17_ilS8_ilS6_S8_ilPT18_ili26rocblas_geam_ex_operation_, .Lfunc_end137-_ZN12_GLOBAL__N_120geam_min_plus_kernelIdddLi4ELi64ELi128ELi128ELi4ELi4ELi64ELi4ELi64ELc84ELc78ELb0ELb0ELb0EdKPKdKPdEEviiiT16_PT17_ilS8_ilS6_S8_ilPT18_ili26rocblas_geam_ex_operation_
                                        ; -- End function
	.set _ZN12_GLOBAL__N_120geam_min_plus_kernelIdddLi4ELi64ELi128ELi128ELi4ELi4ELi64ELi4ELi64ELc84ELc78ELb0ELb0ELb0EdKPKdKPdEEviiiT16_PT17_ilS8_ilS6_S8_ilPT18_ili26rocblas_geam_ex_operation_.num_vgpr, 229
	.set _ZN12_GLOBAL__N_120geam_min_plus_kernelIdddLi4ELi64ELi128ELi128ELi4ELi4ELi64ELi4ELi64ELc84ELc78ELb0ELb0ELb0EdKPKdKPdEEviiiT16_PT17_ilS8_ilS6_S8_ilPT18_ili26rocblas_geam_ex_operation_.num_agpr, 0
	.set _ZN12_GLOBAL__N_120geam_min_plus_kernelIdddLi4ELi64ELi128ELi128ELi4ELi4ELi64ELi4ELi64ELc84ELc78ELb0ELb0ELb0EdKPKdKPdEEviiiT16_PT17_ilS8_ilS6_S8_ilPT18_ili26rocblas_geam_ex_operation_.numbered_sgpr, 29
	.set _ZN12_GLOBAL__N_120geam_min_plus_kernelIdddLi4ELi64ELi128ELi128ELi4ELi4ELi64ELi4ELi64ELc84ELc78ELb0ELb0ELb0EdKPKdKPdEEviiiT16_PT17_ilS8_ilS6_S8_ilPT18_ili26rocblas_geam_ex_operation_.num_named_barrier, 0
	.set _ZN12_GLOBAL__N_120geam_min_plus_kernelIdddLi4ELi64ELi128ELi128ELi4ELi4ELi64ELi4ELi64ELc84ELc78ELb0ELb0ELb0EdKPKdKPdEEviiiT16_PT17_ilS8_ilS6_S8_ilPT18_ili26rocblas_geam_ex_operation_.private_seg_size, 528
	.set _ZN12_GLOBAL__N_120geam_min_plus_kernelIdddLi4ELi64ELi128ELi128ELi4ELi4ELi64ELi4ELi64ELc84ELc78ELb0ELb0ELb0EdKPKdKPdEEviiiT16_PT17_ilS8_ilS6_S8_ilPT18_ili26rocblas_geam_ex_operation_.uses_vcc, 1
	.set _ZN12_GLOBAL__N_120geam_min_plus_kernelIdddLi4ELi64ELi128ELi128ELi4ELi4ELi64ELi4ELi64ELc84ELc78ELb0ELb0ELb0EdKPKdKPdEEviiiT16_PT17_ilS8_ilS6_S8_ilPT18_ili26rocblas_geam_ex_operation_.uses_flat_scratch, 1
	.set _ZN12_GLOBAL__N_120geam_min_plus_kernelIdddLi4ELi64ELi128ELi128ELi4ELi4ELi64ELi4ELi64ELc84ELc78ELb0ELb0ELb0EdKPKdKPdEEviiiT16_PT17_ilS8_ilS6_S8_ilPT18_ili26rocblas_geam_ex_operation_.has_dyn_sized_stack, 0
	.set _ZN12_GLOBAL__N_120geam_min_plus_kernelIdddLi4ELi64ELi128ELi128ELi4ELi4ELi64ELi4ELi64ELc84ELc78ELb0ELb0ELb0EdKPKdKPdEEviiiT16_PT17_ilS8_ilS6_S8_ilPT18_ili26rocblas_geam_ex_operation_.has_recursion, 0
	.set _ZN12_GLOBAL__N_120geam_min_plus_kernelIdddLi4ELi64ELi128ELi128ELi4ELi4ELi64ELi4ELi64ELc84ELc78ELb0ELb0ELb0EdKPKdKPdEEviiiT16_PT17_ilS8_ilS6_S8_ilPT18_ili26rocblas_geam_ex_operation_.has_indirect_call, 0
	.section	.AMDGPU.csdata,"",@progbits
; Kernel info:
; codeLenInByte = 19316
; TotalNumSgprs: 31
; NumVgprs: 229
; ScratchSize: 528
; MemoryBound: 1
; FloatMode: 240
; IeeeMode: 1
; LDSByteSize: 16384 bytes/workgroup (compile time only)
; SGPRBlocks: 0
; VGPRBlocks: 28
; NumSGPRsForWavesPerEU: 31
; NumVGPRsForWavesPerEU: 229
; Occupancy: 4
; WaveLimiterHint : 1
; COMPUTE_PGM_RSRC2:SCRATCH_EN: 1
; COMPUTE_PGM_RSRC2:USER_SGPR: 6
; COMPUTE_PGM_RSRC2:TRAP_HANDLER: 0
; COMPUTE_PGM_RSRC2:TGID_X_EN: 1
; COMPUTE_PGM_RSRC2:TGID_Y_EN: 0
; COMPUTE_PGM_RSRC2:TGID_Z_EN: 1
; COMPUTE_PGM_RSRC2:TIDIG_COMP_CNT: 1
	.section	.text._ZN12_GLOBAL__N_120geam_min_plus_kernelIdddLi4ELi64ELi128ELi128ELi4ELi4ELi64ELi4ELi64ELc84ELc78ELb0ELb1ELb0EPKdKS2_KPdEEviiiT16_PT17_ilS8_ilS6_S8_ilPT18_ili26rocblas_geam_ex_operation_,"axG",@progbits,_ZN12_GLOBAL__N_120geam_min_plus_kernelIdddLi4ELi64ELi128ELi128ELi4ELi4ELi64ELi4ELi64ELc84ELc78ELb0ELb1ELb0EPKdKS2_KPdEEviiiT16_PT17_ilS8_ilS6_S8_ilPT18_ili26rocblas_geam_ex_operation_,comdat
	.globl	_ZN12_GLOBAL__N_120geam_min_plus_kernelIdddLi4ELi64ELi128ELi128ELi4ELi4ELi64ELi4ELi64ELc84ELc78ELb0ELb1ELb0EPKdKS2_KPdEEviiiT16_PT17_ilS8_ilS6_S8_ilPT18_ili26rocblas_geam_ex_operation_ ; -- Begin function _ZN12_GLOBAL__N_120geam_min_plus_kernelIdddLi4ELi64ELi128ELi128ELi4ELi4ELi64ELi4ELi64ELc84ELc78ELb0ELb1ELb0EPKdKS2_KPdEEviiiT16_PT17_ilS8_ilS6_S8_ilPT18_ili26rocblas_geam_ex_operation_
	.p2align	8
	.type	_ZN12_GLOBAL__N_120geam_min_plus_kernelIdddLi4ELi64ELi128ELi128ELi4ELi4ELi64ELi4ELi64ELc84ELc78ELb0ELb1ELb0EPKdKS2_KPdEEviiiT16_PT17_ilS8_ilS6_S8_ilPT18_ili26rocblas_geam_ex_operation_,@function
_ZN12_GLOBAL__N_120geam_min_plus_kernelIdddLi4ELi64ELi128ELi128ELi4ELi4ELi64ELi4ELi64ELc84ELc78ELb0ELb1ELb0EPKdKS2_KPdEEviiiT16_PT17_ilS8_ilS6_S8_ilPT18_ili26rocblas_geam_ex_operation_: ; @_ZN12_GLOBAL__N_120geam_min_plus_kernelIdddLi4ELi64ELi128ELi128ELi4ELi4ELi64ELi4ELi64ELc84ELc78ELb0ELb1ELb0EPKdKS2_KPdEEviiiT16_PT17_ilS8_ilS6_S8_ilPT18_ili26rocblas_geam_ex_operation_
; %bb.0:
	s_load_dwordx4 s[16:19], s[4:5], 0x10
	s_add_u32 s0, s0, s8
	s_mov_b32 s8, s7
	s_mov_b32 s9, 0
	s_addc_u32 s1, s1, 0
	s_lshl_b64 s[22:23], s[8:9], 3
	s_clause 0x1
	s_load_dwordx4 s[8:11], s[4:5], 0x28
	s_load_dwordx2 s[24:25], s[4:5], 0x50
	s_waitcnt lgkmcnt(0)
	s_add_u32 s12, s16, s22
	s_addc_u32 s13, s17, s23
	s_load_dwordx2 s[16:17], s[12:13], 0x0
	s_load_dwordx4 s[12:15], s[4:5], 0x40
	s_waitcnt lgkmcnt(0)
	v_cmp_eq_f64_e64 s20, s[16:17], 0
	v_cmp_neq_f64_e64 s7, s[16:17], 0
	s_add_u32 s26, s14, s22
	s_addc_u32 s27, s15, s23
	s_mov_b64 s[14:15], 0
	s_and_b32 vcc_lo, exec_lo, s20
	s_mov_b64 s[20:21], 0
	s_cbranch_vccnz .LBB138_2
; %bb.1:
	s_add_u32 s18, s18, s22
	s_addc_u32 s19, s19, s23
	s_lshl_b64 s[8:9], s[8:9], 3
	s_load_dwordx2 s[18:19], s[18:19], 0x0
	s_waitcnt lgkmcnt(0)
	s_add_u32 s20, s18, s8
	s_addc_u32 s21, s19, s9
.LBB138_2:
	s_load_dwordx2 s[38:39], s[26:27], 0x0
	s_andn2_b32 vcc_lo, exec_lo, s7
	s_cbranch_vccnz .LBB138_4
; %bb.3:
	s_add_u32 s8, s10, s22
	s_addc_u32 s9, s11, s23
	s_lshl_b64 s[10:11], s[12:13], 3
	s_load_dwordx2 s[8:9], s[8:9], 0x0
	s_waitcnt lgkmcnt(0)
	s_add_u32 s14, s8, s10
	s_addc_u32 s15, s9, s11
.LBB138_4:
	s_waitcnt lgkmcnt(0)
	v_cmp_eq_f64_e64 s7, s[38:39], 0
	v_cmp_neq_f64_e64 s46, s[38:39], 0
	s_load_dwordx4 s[8:11], s[4:5], 0x60
	s_mov_b64 s[44:45], 0
	s_and_b32 vcc_lo, exec_lo, s7
	s_cbranch_vccnz .LBB138_6
; %bb.5:
	s_add_u32 s12, s24, s22
	s_addc_u32 s13, s25, s23
	s_waitcnt lgkmcnt(0)
	s_lshl_b64 s[8:9], s[8:9], 3
	s_load_dwordx2 s[12:13], s[12:13], 0x0
	s_waitcnt lgkmcnt(0)
	s_add_u32 s44, s12, s8
	s_addc_u32 s45, s13, s9
.LBB138_6:
	s_clause 0x1
	s_load_dwordx4 s[40:43], s[4:5], 0x0
	s_load_dword s24, s[4:5], 0x20
	s_waitcnt lgkmcnt(0)
	s_add_u32 s8, s10, s22
	s_addc_u32 s9, s11, s23
	v_lshrrev_b32_e32 v2, 2, v0
	s_load_dwordx2 s[12:13], s[8:9], 0x0
	v_and_b32_e32 v86, 3, v0
	v_cmp_eq_f64_e64 s25, s[16:17], 0
	v_mov_b32_e32 v4, 0
	v_add_nc_u32_e32 v78, v2, v1
	v_mov_b32_e32 v10, 0
	v_mov_b32_e32 v5, 0
	buffer_store_dword v10, off, s[0:3], 0 offset:4
	buffer_store_dword v10, off, s[0:3], 0
	buffer_store_dword v10, off, s[0:3], 0 offset:12
	buffer_store_dword v10, off, s[0:3], 0 offset:8
	;; [unrolled: 1-line block ×13, first 2 shown]
	s_add_i32 s7, s40, -1
	v_cmp_le_i32_e32 vcc_lo, s42, v86
	s_ashr_i32 s8, s7, 31
	buffer_store_dword v10, off, s[0:3], 0 offset:56
	s_lshr_b32 s8, s8, 25
	buffer_store_dword v10, off, s[0:3], 0 offset:68
	s_add_i32 s7, s7, s8
	buffer_store_dword v10, off, s[0:3], 0 offset:64
	buffer_store_dword v10, off, s[0:3], 0 offset:76
	;; [unrolled: 1-line block ×4, first 2 shown]
	s_ashr_i32 s7, s7, 7
	buffer_store_dword v10, off, s[0:3], 0 offset:80
	buffer_store_dword v10, off, s[0:3], 0 offset:92
	;; [unrolled: 1-line block ×9, first 2 shown]
	s_add_i32 s8, s7, 1
	s_not_b32 s7, s7
	v_cvt_f32_u32_e32 v2, s8
	buffer_store_dword v10, off, s[0:3], 0 offset:124
	buffer_store_dword v10, off, s[0:3], 0 offset:120
	;; [unrolled: 1-line block ×11, first 2 shown]
	v_rcp_iflag_f32_e32 v2, v2
	buffer_store_dword v10, off, s[0:3], 0 offset:160
	buffer_store_dword v10, off, s[0:3], 0 offset:172
	;; [unrolled: 1-line block ×9, first 2 shown]
	v_mul_f32_e32 v2, 0x4f7ffffe, v2
	buffer_store_dword v10, off, s[0:3], 0 offset:204
	buffer_store_dword v10, off, s[0:3], 0 offset:200
	;; [unrolled: 1-line block ×75, first 2 shown]
	v_cvt_u32_f32_e32 v2, v2
	buffer_store_dword v10, off, s[0:3], 0 offset:496
	buffer_store_dword v10, off, s[0:3], 0 offset:508
	;; [unrolled: 1-line block ×3, first 2 shown]
	v_readfirstlane_b32 s9, v2
	s_mul_i32 s7, s7, s9
	s_mul_hi_u32 s7, s9, s7
	s_add_i32 s9, s9, s7
	s_mul_hi_u32 s7, s6, s9
	s_mul_i32 s9, s7, s8
	s_add_i32 s10, s7, 1
	s_sub_i32 s9, s6, s9
	s_sub_i32 s11, s9, s8
	s_cmp_ge_u32 s9, s8
	s_cselect_b32 s7, s10, s7
	s_cselect_b32 s9, s11, s9
	s_add_i32 s10, s7, 1
	s_cmp_ge_u32 s9, s8
	s_cselect_b32 s9, s10, s7
	s_add_i32 s19, s42, -1
	s_mul_i32 s7, s9, s8
	v_min_i32_e32 v2, s19, v86
	s_sub_i32 s6, s6, s7
	s_lshl_b32 s11, s6, 7
	v_ashrrev_i32_e32 v3, 31, v2
	v_add_nc_u32_e32 v79, s11, v78
	v_lshlrev_b64 v[6:7], 3, v[2:3]
	v_cmp_le_i32_e64 s6, s40, v79
	v_mov_b32_e32 v2, 0
	v_mov_b32_e32 v3, 0
	v_add_co_u32 v8, s7, s20, v6
	v_add_co_ci_u32_e64 v9, null, s21, v7, s7
	s_or_b32 s7, vcc_lo, s6
	s_nor_b32 s7, s25, s7
	s_and_saveexec_b32 s8, s7
	s_cbranch_execz .LBB138_8
; %bb.7:
	v_mad_i64_i32 v[4:5], null, v79, s24, 0
	v_lshlrev_b64 v[4:5], 3, v[4:5]
	v_add_co_u32 v4, s7, v8, v4
	v_add_co_ci_u32_e64 v5, null, v9, v5, s7
	flat_load_dwordx2 v[4:5], v[4:5]
	s_waitcnt vmcnt(0) lgkmcnt(0)
	v_mul_f64 v[4:5], s[16:17], v[4:5]
.LBB138_8:
	s_or_b32 exec_lo, exec_lo, s8
	v_add_nc_u32_e32 v80, 64, v79
	v_cmp_le_i32_e64 s7, s40, v80
	s_or_b32 s8, vcc_lo, s7
	s_nor_b32 s8, s25, s8
	s_and_saveexec_b32 s10, s8
	s_cbranch_execz .LBB138_10
; %bb.9:
	v_mad_i64_i32 v[2:3], null, v80, s24, 0
	v_lshlrev_b64 v[2:3], 3, v[2:3]
	v_add_co_u32 v2, s8, v8, v2
	v_add_co_ci_u32_e64 v3, null, v9, v3, s8
	flat_load_dwordx2 v[2:3], v[2:3]
	s_waitcnt vmcnt(0) lgkmcnt(0)
	v_mul_f64 v[2:3], s[16:17], v[2:3]
.LBB138_10:
	s_or_b32 exec_lo, exec_lo, s10
	s_load_dword s22, s[4:5], 0x38
	s_lshl_b32 s18, s9, 7
	v_add_co_u32 v6, s9, s14, v6
	v_add_nc_u32_e32 v81, s18, v78
	v_mov_b32_e32 v14, 0
	v_mov_b32_e32 v16, 0
	;; [unrolled: 1-line block ×4, first 2 shown]
	v_cmp_le_i32_e64 s8, s41, v81
	v_add_co_ci_u32_e64 v7, null, s15, v7, s9
	s_or_b32 s9, vcc_lo, s8
	s_nor_b32 s9, s25, s9
	s_and_saveexec_b32 s10, s9
	s_cbranch_execz .LBB138_12
; %bb.11:
	s_waitcnt lgkmcnt(0)
	v_mad_i64_i32 v[8:9], null, v81, s22, 0
	v_lshlrev_b64 v[8:9], 3, v[8:9]
	v_add_co_u32 v8, s9, v6, v8
	v_add_co_ci_u32_e64 v9, null, v7, v9, s9
	flat_load_dwordx2 v[8:9], v[8:9]
	s_waitcnt vmcnt(0) lgkmcnt(0)
	v_mul_f64 v[16:17], s[16:17], v[8:9]
.LBB138_12:
	s_or_b32 exec_lo, exec_lo, s10
	v_add_nc_u32_e32 v82, 64, v81
	v_cmp_le_i32_e64 s9, s41, v82
	s_or_b32 s10, vcc_lo, s9
	s_nor_b32 s23, s25, s10
	s_and_saveexec_b32 s10, s23
	s_cbranch_execz .LBB138_14
; %bb.13:
	s_waitcnt lgkmcnt(0)
	v_mad_i64_i32 v[8:9], null, v82, s22, 0
	v_lshlrev_b64 v[8:9], 3, v[8:9]
	v_add_co_u32 v6, vcc_lo, v6, v8
	v_add_co_ci_u32_e64 v7, null, v7, v9, vcc_lo
	flat_load_dwordx2 v[6:7], v[6:7]
	s_waitcnt vmcnt(0) lgkmcnt(0)
	v_mul_f64 v[14:15], s[16:17], v[6:7]
.LBB138_14:
	s_or_b32 exec_lo, exec_lo, s10
	v_or_b32_e32 v10, 4, v86
	v_mov_b32_e32 v8, 0
	v_mov_b32_e32 v9, 0
	v_min_i32_e32 v6, s19, v10
	v_cmp_le_i32_e32 vcc_lo, s42, v10
	v_ashrrev_i32_e32 v7, 31, v6
	v_lshlrev_b64 v[18:19], 3, v[6:7]
	v_mov_b32_e32 v6, 0
	v_mov_b32_e32 v7, 0
	v_add_co_u32 v10, s10, s20, v18
	v_add_co_ci_u32_e64 v11, null, s21, v19, s10
	s_or_b32 s10, vcc_lo, s6
	s_nor_b32 s10, s25, s10
	s_and_saveexec_b32 s23, s10
	s_cbranch_execz .LBB138_16
; %bb.15:
	v_mad_i64_i32 v[8:9], null, v79, s24, 0
	v_lshlrev_b64 v[8:9], 3, v[8:9]
	v_add_co_u32 v8, s10, v10, v8
	v_add_co_ci_u32_e64 v9, null, v11, v9, s10
	flat_load_dwordx2 v[8:9], v[8:9]
	s_waitcnt vmcnt(0) lgkmcnt(0)
	v_mul_f64 v[8:9], s[16:17], v[8:9]
.LBB138_16:
	s_or_b32 exec_lo, exec_lo, s23
	s_or_b32 s10, vcc_lo, s7
	s_nor_b32 s10, s25, s10
	s_and_saveexec_b32 s23, s10
	s_cbranch_execz .LBB138_18
; %bb.17:
	v_mad_i64_i32 v[6:7], null, v80, s24, 0
	v_lshlrev_b64 v[6:7], 3, v[6:7]
	v_add_co_u32 v6, s10, v10, v6
	v_add_co_ci_u32_e64 v7, null, v11, v7, s10
	flat_load_dwordx2 v[6:7], v[6:7]
	s_waitcnt vmcnt(0) lgkmcnt(0)
	v_mul_f64 v[6:7], s[16:17], v[6:7]
.LBB138_18:
	s_or_b32 exec_lo, exec_lo, s23
	v_add_co_u32 v18, s10, s14, v18
	v_mov_b32_e32 v10, 0
	v_mov_b32_e32 v12, 0
	;; [unrolled: 1-line block ×4, first 2 shown]
	v_add_co_ci_u32_e64 v19, null, s15, v19, s10
	s_or_b32 s10, vcc_lo, s8
	s_nor_b32 s10, s25, s10
	s_and_saveexec_b32 s23, s10
	s_cbranch_execz .LBB138_20
; %bb.19:
	s_waitcnt lgkmcnt(0)
	v_mad_i64_i32 v[12:13], null, v81, s22, 0
	v_lshlrev_b64 v[12:13], 3, v[12:13]
	v_add_co_u32 v12, s10, v18, v12
	v_add_co_ci_u32_e64 v13, null, v19, v13, s10
	flat_load_dwordx2 v[12:13], v[12:13]
	s_waitcnt vmcnt(0) lgkmcnt(0)
	v_mul_f64 v[12:13], s[16:17], v[12:13]
.LBB138_20:
	s_or_b32 exec_lo, exec_lo, s23
	s_or_b32 s10, vcc_lo, s9
	s_nor_b32 s23, s25, s10
	s_and_saveexec_b32 s10, s23
	s_cbranch_execz .LBB138_22
; %bb.21:
	s_waitcnt lgkmcnt(0)
	v_mad_i64_i32 v[10:11], null, v82, s22, 0
	v_lshlrev_b64 v[10:11], 3, v[10:11]
	v_add_co_u32 v10, vcc_lo, v18, v10
	v_add_co_ci_u32_e64 v11, null, v19, v11, vcc_lo
	flat_load_dwordx2 v[10:11], v[10:11]
	s_waitcnt vmcnt(0) lgkmcnt(0)
	v_mul_f64 v[10:11], s[16:17], v[10:11]
.LBB138_22:
	s_or_b32 exec_lo, exec_lo, s10
	v_lshlrev_b32_e32 v18, 5, v78
	v_lshlrev_b32_e32 v88, 5, v0
	v_lshl_or_b32 v90, v1, 5, 0x2000
	s_mov_b32 s10, 0
	s_mov_b32 s23, 0
	v_lshl_or_b32 v87, v86, 3, v18
	s_addk_i32 s10, 0x100
	v_add_nc_u32_e32 v89, 0x2000, v87
	ds_write2st64_b64 v87, v[4:5], v[2:3] offset1:4
	ds_write2st64_b64 v87, v[16:17], v[14:15] offset0:16 offset1:20
	s_waitcnt lgkmcnt(0)
	s_waitcnt_vscnt null, 0x0
	s_barrier
	buffer_gl0_inv
.LBB138_23:                             ; =>This Loop Header: Depth=1
                                        ;     Child Loop BB138_24 Depth 2
	s_lshl_b32 s26, s23, 3
	s_mov_b32 s27, 0
	v_add_nc_u32_e32 v14, s26, v88
	v_add_nc_u32_e32 v83, s26, v90
	s_mov_b32 s26, -1
	ds_read2_b64 v[2:5], v14 offset1:16
	ds_read2_b64 v[18:21], v14 offset0:32 offset1:48
	ds_read2_b64 v[22:25], v14 offset0:64 offset1:80
	;; [unrolled: 1-line block ×4, first 2 shown]
	v_add_nc_u32_e32 v74, 0x800, v14
	ds_read2_b64 v[34:37], v14 offset0:160 offset1:176
	ds_read2_b64 v[38:41], v14 offset0:192 offset1:208
	;; [unrolled: 1-line block ×3, first 2 shown]
	ds_read2_b64 v[46:49], v74 offset1:16
	ds_read2_b64 v[50:53], v74 offset0:32 offset1:48
	ds_read2_b64 v[54:57], v74 offset0:64 offset1:80
	;; [unrolled: 1-line block ×6, first 2 shown]
	s_waitcnt lgkmcnt(9)
	v_max_f64 v[34:35], v[34:35], v[34:35]
	v_max_f64 v[36:37], v[36:37], v[36:37]
	;; [unrolled: 1-line block ×4, first 2 shown]
	ds_read2_b64 v[2:5], v74 offset0:224 offset1:240
	v_max_f64 v[18:19], v[18:19], v[18:19]
	v_max_f64 v[20:21], v[20:21], v[20:21]
	;; [unrolled: 1-line block ×8, first 2 shown]
	s_waitcnt lgkmcnt(9)
	v_max_f64 v[38:39], v[38:39], v[38:39]
	v_max_f64 v[40:41], v[40:41], v[40:41]
	s_waitcnt lgkmcnt(8)
	v_max_f64 v[42:43], v[42:43], v[42:43]
	v_max_f64 v[44:45], v[44:45], v[44:45]
	;; [unrolled: 3-line block ×10, first 2 shown]
	ds_read2st64_b64 v[2:5], v83 offset1:4
.LBB138_24:                             ;   Parent Loop BB138_23 Depth=1
                                        ; =>  This Inner Loop Header: Depth=2
	v_mov_b32_e32 v85, s27
	s_waitcnt lgkmcnt(0)
	v_max_f64 v[153:154], v[2:3], v[2:3]
	v_mov_b32_e32 v2, v4
	v_mov_b32_e32 v3, v5
	s_and_b32 vcc_lo, exec_lo, s26
	s_clause 0x3e
	buffer_load_dword v83, v85, s[0:3], 0 offen
	buffer_load_dword v84, v85, s[0:3], 0 offen offset:4
	buffer_load_dword v91, v85, s[0:3], 0 offen offset:8
	;; [unrolled: 1-line block ×63, first 2 shown]
	s_mov_b32 s26, 0
	s_mov_b32 s27, s10
	v_min_f64 v[155:156], v[14:15], v[153:154]
	v_min_f64 v[157:158], v[16:17], v[153:154]
	;; [unrolled: 1-line block ×32, first 2 shown]
	s_waitcnt vmcnt(62)
	v_add_f64 v[83:84], v[155:156], v[83:84]
	s_waitcnt vmcnt(60)
	v_add_f64 v[91:92], v[157:158], v[91:92]
	;; [unrolled: 2-line block ×32, first 2 shown]
	buffer_store_dword v83, v85, s[0:3], 0 offen
	buffer_store_dword v84, v85, s[0:3], 0 offen offset:4
	buffer_store_dword v91, v85, s[0:3], 0 offen offset:8
	;; [unrolled: 1-line block ×63, first 2 shown]
	s_cbranch_vccnz .LBB138_24
; %bb.25:                               ;   in Loop: Header=BB138_23 Depth=1
	s_add_i32 s23, s23, 1
	s_cmp_eq_u32 s23, 4
	s_cbranch_scc0 .LBB138_23
; %bb.26:
	v_lshlrev_b32_e32 v2, 3, v86
	v_lshl_add_u32 v91, v0, 5, 0x1000
	v_lshl_add_u32 v92, v1, 5, 0x3000
	s_cmp_lt_i32 s42, 9
	v_lshl_or_b32 v2, v78, 5, v2
	ds_write2st64_b64 v2, v[8:9], v[6:7] offset0:8 offset1:12
	ds_write2st64_b64 v2, v[12:13], v[10:11] offset0:24 offset1:28
	s_waitcnt lgkmcnt(0)
	s_waitcnt_vscnt null, 0x0
	s_barrier
	buffer_gl0_inv
	s_cbranch_scc1 .LBB138_53
; %bb.27:
	v_mad_i64_i32 v[3:4], null, v79, s24, 0
	v_mad_i64_i32 v[5:6], null, v80, s24, 0
	v_mad_i64_i32 v[7:8], null, v81, s22, 0
	v_mad_i64_i32 v[9:10], null, v82, s22, 0
	v_lshlrev_b64 v[70:71], 3, v[3:4]
	v_add_nc_u32_e32 v93, 0x1000, v2
	v_lshlrev_b64 v[72:73], 3, v[5:6]
	v_add_nc_u32_e32 v94, 0x3000, v2
	v_lshlrev_b64 v[74:75], 3, v[7:8]
	s_add_i32 s22, s42, -8
	v_lshlrev_b64 v[76:77], 3, v[9:10]
	s_or_b32 s23, s6, s25
	s_or_b32 s7, s7, s25
	;; [unrolled: 1-line block ×4, first 2 shown]
	s_mov_b32 s24, 8
	s_mov_b32 s25, 0
.LBB138_28:                             ; =>This Loop Header: Depth=1
                                        ;     Child Loop BB138_37 Depth 2
                                        ;       Child Loop BB138_38 Depth 3
                                        ;     Child Loop BB138_49 Depth 2
                                        ;       Child Loop BB138_50 Depth 3
	v_or_b32_e32 v95, s24, v86
	v_mov_b32_e32 v6, 0
	v_mov_b32_e32 v8, 0
	;; [unrolled: 1-line block ×4, first 2 shown]
	v_min_i32_e32 v2, s19, v95
	v_cmp_le_i32_e32 vcc_lo, s42, v95
	v_ashrrev_i32_e32 v3, 31, v2
	v_lshlrev_b64 v[2:3], 3, v[2:3]
	v_add_co_u32 v4, s6, s20, v2
	v_add_co_ci_u32_e64 v5, null, s21, v3, s6
	s_nor_b32 s6, vcc_lo, s23
	s_and_saveexec_b32 s26, s6
	s_cbranch_execz .LBB138_30
; %bb.29:                               ;   in Loop: Header=BB138_28 Depth=1
	v_add_co_u32 v8, s6, v4, v70
	v_add_co_ci_u32_e64 v9, null, v5, v71, s6
	flat_load_dwordx2 v[8:9], v[8:9]
	s_waitcnt vmcnt(0) lgkmcnt(0)
	v_mul_f64 v[8:9], s[16:17], v[8:9]
.LBB138_30:                             ;   in Loop: Header=BB138_28 Depth=1
	s_or_b32 exec_lo, exec_lo, s26
	s_nor_b32 s6, vcc_lo, s7
	s_and_saveexec_b32 s26, s6
	s_cbranch_execz .LBB138_32
; %bb.31:                               ;   in Loop: Header=BB138_28 Depth=1
	v_add_co_u32 v4, s6, v4, v72
	v_add_co_ci_u32_e64 v5, null, v5, v73, s6
	flat_load_dwordx2 v[4:5], v[4:5]
	s_waitcnt vmcnt(0) lgkmcnt(0)
	v_mul_f64 v[6:7], s[16:17], v[4:5]
.LBB138_32:                             ;   in Loop: Header=BB138_28 Depth=1
	s_or_b32 exec_lo, exec_lo, s26
	v_add_co_u32 v2, s6, s14, v2
	v_mov_b32_e32 v10, 0
	v_mov_b32_e32 v12, 0
	v_mov_b32_e32 v11, 0
	v_mov_b32_e32 v13, 0
	v_add_co_ci_u32_e64 v3, null, s15, v3, s6
	s_nor_b32 s6, vcc_lo, s8
	s_and_saveexec_b32 s26, s6
	s_cbranch_execz .LBB138_34
; %bb.33:                               ;   in Loop: Header=BB138_28 Depth=1
	v_add_co_u32 v4, s6, v2, v74
	v_add_co_ci_u32_e64 v5, null, v3, v75, s6
	flat_load_dwordx2 v[4:5], v[4:5]
	s_waitcnt vmcnt(0) lgkmcnt(0)
	v_mul_f64 v[12:13], s[16:17], v[4:5]
.LBB138_34:                             ;   in Loop: Header=BB138_28 Depth=1
	s_or_b32 exec_lo, exec_lo, s26
	s_nor_b32 s26, vcc_lo, s9
	s_and_saveexec_b32 s6, s26
	s_cbranch_execz .LBB138_36
; %bb.35:                               ;   in Loop: Header=BB138_28 Depth=1
	v_add_co_u32 v2, vcc_lo, v2, v76
	v_add_co_ci_u32_e64 v3, null, v3, v77, vcc_lo
	flat_load_dwordx2 v[2:3], v[2:3]
	s_waitcnt vmcnt(0) lgkmcnt(0)
	v_mul_f64 v[10:11], s[16:17], v[2:3]
.LBB138_36:                             ;   in Loop: Header=BB138_28 Depth=1
	s_or_b32 exec_lo, exec_lo, s6
	s_mov_b32 s6, 0
.LBB138_37:                             ;   Parent Loop BB138_28 Depth=1
                                        ; =>  This Loop Header: Depth=2
                                        ;       Child Loop BB138_38 Depth 3
	s_lshl_b32 s26, s6, 3
	s_mov_b32 s27, 0
	v_add_nc_u32_e32 v14, s26, v91
	v_add_nc_u32_e32 v96, s26, v92
	s_mov_b32 s26, -1
	ds_read2_b64 v[2:5], v14 offset1:16
	ds_read2_b64 v[18:21], v14 offset0:32 offset1:48
	ds_read2_b64 v[22:25], v14 offset0:64 offset1:80
	v_add_nc_u32_e32 v15, 0x800, v14
	ds_read2_b64 v[26:29], v14 offset0:96 offset1:112
	ds_read2_b64 v[30:33], v14 offset0:128 offset1:144
	;; [unrolled: 1-line block ×5, first 2 shown]
	ds_read2_b64 v[46:49], v15 offset1:16
	ds_read2_b64 v[50:53], v15 offset0:32 offset1:48
	ds_read2_b64 v[54:57], v15 offset0:64 offset1:80
	;; [unrolled: 1-line block ×7, first 2 shown]
	s_waitcnt lgkmcnt(11)
	v_max_f64 v[30:31], v[30:31], v[30:31]
	v_max_f64 v[32:33], v[32:33], v[32:33]
	s_waitcnt lgkmcnt(10)
	v_max_f64 v[34:35], v[34:35], v[34:35]
	v_max_f64 v[36:37], v[36:37], v[36:37]
	;; [unrolled: 3-line block ×3, first 2 shown]
	v_max_f64 v[14:15], v[2:3], v[2:3]
	v_max_f64 v[16:17], v[4:5], v[4:5]
	v_max_f64 v[18:19], v[18:19], v[18:19]
	v_max_f64 v[20:21], v[20:21], v[20:21]
	v_max_f64 v[22:23], v[22:23], v[22:23]
	v_max_f64 v[24:25], v[24:25], v[24:25]
	v_max_f64 v[26:27], v[26:27], v[26:27]
	v_max_f64 v[28:29], v[28:29], v[28:29]
	s_waitcnt lgkmcnt(8)
	v_max_f64 v[42:43], v[42:43], v[42:43]
	v_max_f64 v[44:45], v[44:45], v[44:45]
	s_waitcnt lgkmcnt(7)
	v_max_f64 v[46:47], v[46:47], v[46:47]
	v_max_f64 v[48:49], v[48:49], v[48:49]
	;; [unrolled: 3-line block ×9, first 2 shown]
	ds_read2st64_b64 v[2:5], v96 offset1:4
.LBB138_38:                             ;   Parent Loop BB138_28 Depth=1
                                        ;     Parent Loop BB138_37 Depth=2
                                        ; =>    This Inner Loop Header: Depth=3
	v_mov_b32_e32 v224, s27
	s_waitcnt lgkmcnt(0)
	v_max_f64 v[160:161], v[2:3], v[2:3]
	v_mov_b32_e32 v2, v4
	v_mov_b32_e32 v3, v5
	s_and_b32 vcc_lo, exec_lo, s26
	s_clause 0x3e
	buffer_load_dword v96, v224, s[0:3], 0 offen
	buffer_load_dword v97, v224, s[0:3], 0 offen offset:4
	buffer_load_dword v98, v224, s[0:3], 0 offen offset:8
	;; [unrolled: 1-line block ×63, first 2 shown]
	s_mov_b32 s26, 0
	s_mov_b32 s27, s10
	v_min_f64 v[162:163], v[14:15], v[160:161]
	v_min_f64 v[164:165], v[16:17], v[160:161]
	;; [unrolled: 1-line block ×32, first 2 shown]
	s_waitcnt vmcnt(62)
	v_add_f64 v[96:97], v[162:163], v[96:97]
	s_waitcnt vmcnt(60)
	v_add_f64 v[98:99], v[164:165], v[98:99]
	;; [unrolled: 2-line block ×32, first 2 shown]
	buffer_store_dword v96, v224, s[0:3], 0 offen
	buffer_store_dword v97, v224, s[0:3], 0 offen offset:4
	buffer_store_dword v98, v224, s[0:3], 0 offen offset:8
	;; [unrolled: 1-line block ×63, first 2 shown]
	s_cbranch_vccnz .LBB138_38
; %bb.39:                               ;   in Loop: Header=BB138_37 Depth=2
	s_add_i32 s6, s6, 1
	s_cmp_eq_u32 s6, 4
	s_cbranch_scc0 .LBB138_37
; %bb.40:                               ;   in Loop: Header=BB138_28 Depth=1
	v_or_b32_e32 v4, 4, v95
	v_mov_b32_e32 v78, 0
	v_mov_b32_e32 v80, 0
	;; [unrolled: 1-line block ×4, first 2 shown]
	v_min_i32_e32 v2, s19, v4
	v_cmp_le_i32_e32 vcc_lo, s42, v4
	ds_write2st64_b64 v87, v[8:9], v[6:7] offset1:4
	ds_write2st64_b64 v89, v[12:13], v[10:11] offset1:4
	s_waitcnt lgkmcnt(0)
	s_waitcnt_vscnt null, 0x0
	v_ashrrev_i32_e32 v3, 31, v2
	s_barrier
	buffer_gl0_inv
	v_lshlrev_b64 v[2:3], 3, v[2:3]
	v_add_co_u32 v4, s6, s20, v2
	v_add_co_ci_u32_e64 v5, null, s21, v3, s6
	s_nor_b32 s6, vcc_lo, s23
	s_and_saveexec_b32 s26, s6
	s_cbranch_execz .LBB138_42
; %bb.41:                               ;   in Loop: Header=BB138_28 Depth=1
	v_add_co_u32 v6, s6, v4, v70
	v_add_co_ci_u32_e64 v7, null, v5, v71, s6
	flat_load_dwordx2 v[6:7], v[6:7]
	s_waitcnt vmcnt(0) lgkmcnt(0)
	v_mul_f64 v[80:81], s[16:17], v[6:7]
.LBB138_42:                             ;   in Loop: Header=BB138_28 Depth=1
	s_or_b32 exec_lo, exec_lo, s26
	s_nor_b32 s6, vcc_lo, s7
	s_and_saveexec_b32 s26, s6
	s_cbranch_execz .LBB138_44
; %bb.43:                               ;   in Loop: Header=BB138_28 Depth=1
	v_add_co_u32 v4, s6, v4, v72
	v_add_co_ci_u32_e64 v5, null, v5, v73, s6
	flat_load_dwordx2 v[4:5], v[4:5]
	s_waitcnt vmcnt(0) lgkmcnt(0)
	v_mul_f64 v[78:79], s[16:17], v[4:5]
.LBB138_44:                             ;   in Loop: Header=BB138_28 Depth=1
	s_or_b32 exec_lo, exec_lo, s26
	v_add_co_u32 v2, s6, s14, v2
	v_mov_b32_e32 v82, 0
	v_mov_b32_e32 v84, 0
	v_mov_b32_e32 v83, 0
	v_mov_b32_e32 v85, 0
	v_add_co_ci_u32_e64 v3, null, s15, v3, s6
	s_nor_b32 s6, vcc_lo, s8
	s_and_saveexec_b32 s26, s6
	s_cbranch_execz .LBB138_46
; %bb.45:                               ;   in Loop: Header=BB138_28 Depth=1
	v_add_co_u32 v4, s6, v2, v74
	v_add_co_ci_u32_e64 v5, null, v3, v75, s6
	flat_load_dwordx2 v[4:5], v[4:5]
	s_waitcnt vmcnt(0) lgkmcnt(0)
	v_mul_f64 v[84:85], s[16:17], v[4:5]
.LBB138_46:                             ;   in Loop: Header=BB138_28 Depth=1
	s_or_b32 exec_lo, exec_lo, s26
	s_nor_b32 s26, vcc_lo, s9
	s_and_saveexec_b32 s6, s26
	s_cbranch_execz .LBB138_48
; %bb.47:                               ;   in Loop: Header=BB138_28 Depth=1
	v_add_co_u32 v2, vcc_lo, v2, v76
	v_add_co_ci_u32_e64 v3, null, v3, v77, vcc_lo
	flat_load_dwordx2 v[2:3], v[2:3]
	s_waitcnt vmcnt(0) lgkmcnt(0)
	v_mul_f64 v[82:83], s[16:17], v[2:3]
.LBB138_48:                             ;   in Loop: Header=BB138_28 Depth=1
	s_or_b32 exec_lo, exec_lo, s6
	s_mov_b32 s6, 0
.LBB138_49:                             ;   Parent Loop BB138_28 Depth=1
                                        ; =>  This Loop Header: Depth=2
                                        ;       Child Loop BB138_50 Depth 3
	s_lshl_b32 s26, s6, 3
	s_mov_b32 s27, 0
	v_add_nc_u32_e32 v30, s26, v88
	v_add_nc_u32_e32 v66, s26, v90
	s_mov_b32 s26, -1
	ds_read2_b64 v[2:5], v30 offset1:16
	ds_read2_b64 v[6:9], v30 offset0:32 offset1:48
	ds_read2_b64 v[10:13], v30 offset0:64 offset1:80
	;; [unrolled: 1-line block ×3, first 2 shown]
	v_add_nc_u32_e32 v62, 0x800, v30
	ds_read2_b64 v[18:21], v30 offset0:128 offset1:144
	ds_read2_b64 v[22:25], v30 offset0:160 offset1:176
	;; [unrolled: 1-line block ×4, first 2 shown]
	ds_read2_b64 v[34:37], v62 offset1:16
	ds_read2_b64 v[38:41], v62 offset0:32 offset1:48
	ds_read2_b64 v[42:45], v62 offset0:64 offset1:80
	;; [unrolled: 1-line block ×7, first 2 shown]
	ds_read2st64_b64 v[66:69], v66 offset1:4
.LBB138_50:                             ;   Parent Loop BB138_28 Depth=1
                                        ;     Parent Loop BB138_49 Depth=2
                                        ; =>    This Inner Loop Header: Depth=3
	v_mov_b32_e32 v95, s27
	s_waitcnt lgkmcnt(16)
	v_max_f64 v[160:161], v[2:3], v[2:3]
	s_waitcnt lgkmcnt(0)
	v_max_f64 v[162:163], v[66:67], v[66:67]
	v_max_f64 v[164:165], v[4:5], v[4:5]
	v_max_f64 v[166:167], v[6:7], v[6:7]
	s_clause 0x3e
	buffer_load_dword v96, v95, s[0:3], 0 offen
	buffer_load_dword v97, v95, s[0:3], 0 offen offset:4
	buffer_load_dword v98, v95, s[0:3], 0 offen offset:8
	;; [unrolled: 1-line block ×63, first 2 shown]
	v_max_f64 v[168:169], v[8:9], v[8:9]
	v_max_f64 v[170:171], v[10:11], v[10:11]
	;; [unrolled: 1-line block ×29, first 2 shown]
	v_min_f64 v[160:161], v[160:161], v[162:163]
	v_min_f64 v[164:165], v[164:165], v[162:163]
	;; [unrolled: 1-line block ×32, first 2 shown]
	v_mov_b32_e32 v66, v68
	v_mov_b32_e32 v67, v69
	s_and_b32 vcc_lo, exec_lo, s26
	s_mov_b32 s26, 0
	s_mov_b32 s27, s10
	s_waitcnt vmcnt(62)
	v_add_f64 v[96:97], v[160:161], v[96:97]
	s_waitcnt vmcnt(60)
	v_add_f64 v[98:99], v[164:165], v[98:99]
	;; [unrolled: 2-line block ×32, first 2 shown]
	buffer_store_dword v96, v95, s[0:3], 0 offen
	buffer_store_dword v97, v95, s[0:3], 0 offen offset:4
	buffer_store_dword v98, v95, s[0:3], 0 offen offset:8
	;; [unrolled: 1-line block ×63, first 2 shown]
	s_cbranch_vccnz .LBB138_50
; %bb.51:                               ;   in Loop: Header=BB138_49 Depth=2
	s_add_i32 s6, s6, 1
	s_cmp_eq_u32 s6, 4
	s_cbranch_scc0 .LBB138_49
; %bb.52:                               ;   in Loop: Header=BB138_28 Depth=1
	s_add_i32 s25, s25, 8
	s_add_i32 s24, s24, 8
	s_cmp_ge_i32 s25, s22
	ds_write2st64_b64 v93, v[80:81], v[78:79] offset1:4
	ds_write2st64_b64 v94, v[84:85], v[82:83] offset1:4
	s_waitcnt lgkmcnt(0)
	s_waitcnt_vscnt null, 0x0
	s_barrier
	buffer_gl0_inv
	s_cbranch_scc0 .LBB138_28
.LBB138_53:
	s_mov_b32 s6, 0
.LBB138_54:                             ; =>This Loop Header: Depth=1
                                        ;     Child Loop BB138_55 Depth 2
	s_lshl_b32 s7, s6, 3
	s_mov_b32 s8, 0
	v_add_nc_u32_e32 v6, s7, v91
	v_add_nc_u32_e32 v70, s7, v92
	s_mov_b32 s7, -1
	ds_read2_b64 v[2:5], v6 offset1:16
	ds_read2_b64 v[10:13], v6 offset0:32 offset1:48
	ds_read2_b64 v[14:17], v6 offset0:64 offset1:80
	v_add_nc_u32_e32 v7, 0x800, v6
	ds_read2_b64 v[18:21], v6 offset0:96 offset1:112
	ds_read2_b64 v[22:25], v6 offset0:128 offset1:144
	;; [unrolled: 1-line block ×5, first 2 shown]
	ds_read2_b64 v[38:41], v7 offset1:16
	ds_read2_b64 v[42:45], v7 offset0:32 offset1:48
	ds_read2_b64 v[46:49], v7 offset0:64 offset1:80
	;; [unrolled: 1-line block ×7, first 2 shown]
	s_waitcnt lgkmcnt(11)
	v_max_f64 v[22:23], v[22:23], v[22:23]
	v_max_f64 v[24:25], v[24:25], v[24:25]
	s_waitcnt lgkmcnt(10)
	v_max_f64 v[26:27], v[26:27], v[26:27]
	v_max_f64 v[28:29], v[28:29], v[28:29]
	;; [unrolled: 3-line block ×3, first 2 shown]
	v_max_f64 v[6:7], v[2:3], v[2:3]
	v_max_f64 v[8:9], v[4:5], v[4:5]
	;; [unrolled: 1-line block ×8, first 2 shown]
	s_waitcnt lgkmcnt(8)
	v_max_f64 v[34:35], v[34:35], v[34:35]
	v_max_f64 v[36:37], v[36:37], v[36:37]
	s_waitcnt lgkmcnt(7)
	v_max_f64 v[38:39], v[38:39], v[38:39]
	v_max_f64 v[40:41], v[40:41], v[40:41]
	;; [unrolled: 3-line block ×9, first 2 shown]
	ds_read2st64_b64 v[2:5], v70 offset1:4
.LBB138_55:                             ;   Parent Loop BB138_54 Depth=1
                                        ; =>  This Inner Loop Header: Depth=2
	v_mov_b32_e32 v90, s8
	s_waitcnt lgkmcnt(0)
	v_max_f64 v[137:138], v[2:3], v[2:3]
	v_mov_b32_e32 v2, v4
	v_mov_b32_e32 v3, v5
	s_and_b32 vcc_lo, exec_lo, s7
	s_clause 0x3e
	buffer_load_dword v70, v90, s[0:3], 0 offen
	buffer_load_dword v71, v90, s[0:3], 0 offen offset:4
	buffer_load_dword v72, v90, s[0:3], 0 offen offset:8
	;; [unrolled: 1-line block ×63, first 2 shown]
	s_mov_b32 s7, 0
	s_mov_b32 s8, s10
	v_min_f64 v[139:140], v[6:7], v[137:138]
	v_min_f64 v[141:142], v[8:9], v[137:138]
	;; [unrolled: 1-line block ×32, first 2 shown]
	s_waitcnt vmcnt(62)
	v_add_f64 v[70:71], v[139:140], v[70:71]
	s_waitcnt vmcnt(60)
	v_add_f64 v[72:73], v[141:142], v[72:73]
	;; [unrolled: 2-line block ×32, first 2 shown]
	buffer_store_dword v70, v90, s[0:3], 0 offen
	buffer_store_dword v71, v90, s[0:3], 0 offen offset:4
	buffer_store_dword v72, v90, s[0:3], 0 offen offset:8
	;; [unrolled: 1-line block ×63, first 2 shown]
	s_cbranch_vccnz .LBB138_55
; %bb.56:                               ;   in Loop: Header=BB138_54 Depth=1
	s_add_i32 s6, s6, 1
	s_cmp_eq_u32 s6, 4
	s_cbranch_scc0 .LBB138_54
; %bb.57:
	s_clause 0x2
	s_load_dword s43, s[4:5], 0x58
	s_load_dword s42, s[4:5], 0x70
	s_load_dwordx2 s[6:7], s[4:5], 0x78
	v_add_nc_u32_e32 v71, s18, v1
	v_add_nc_u32_e32 v0, s11, v0
	v_cndmask_b32_e64 v70, 0, 1, s46
	v_cmp_gt_i32_e64 s16, s41, v71
	v_cmp_gt_i32_e64 s4, s40, v0
	s_waitcnt lgkmcnt(0)
	v_mad_i64_i32 v[1:2], null, v71, s43, 0
	v_mad_i64_i32 v[3:4], null, v71, s42, 0
	s_lshl_b64 s[6:7], s[6:7], 3
	s_add_u32 s47, s12, s6
	s_addc_u32 s48, s13, s7
	v_lshlrev_b64 v[5:6], 3, v[1:2]
	v_ashrrev_i32_e32 v1, 31, v0
	v_lshlrev_b64 v[2:3], 3, v[3:4]
	s_and_b32 s6, s16, s4
	v_add_co_u32 v68, vcc_lo, s44, v5
	v_add_co_ci_u32_e64 v69, null, s45, v6, vcc_lo
	v_add_co_u32 v72, vcc_lo, s47, v2
	v_add_co_ci_u32_e64 v73, null, s48, v3, vcc_lo
	s_and_saveexec_b32 s5, s6
	s_cbranch_execz .LBB138_62
; %bb.58:
	s_clause 0x1
	buffer_load_dword v2, off, s[0:3], 0
	buffer_load_dword v3, off, s[0:3], 0 offset:4
	v_lshlrev_b64 v[4:5], 3, v[0:1]
	s_andn2_b32 vcc_lo, exec_lo, s46
	s_cbranch_vccnz .LBB138_60
; %bb.59:
	v_add_co_u32 v6, vcc_lo, v68, v4
	v_add_co_ci_u32_e64 v7, null, v69, v5, vcc_lo
	flat_load_dwordx2 v[6:7], v[6:7]
	s_waitcnt vmcnt(0) lgkmcnt(0)
	v_mul_f64 v[6:7], s[38:39], v[6:7]
	s_branch .LBB138_61
.LBB138_60:
	v_mov_b32_e32 v6, 0
	v_mov_b32_e32 v7, 0
.LBB138_61:
	s_waitcnt vmcnt(0)
	v_add_f64 v[2:3], v[2:3], v[6:7]
	v_add_co_u32 v4, vcc_lo, v72, v4
	v_add_co_ci_u32_e64 v5, null, v73, v5, vcc_lo
	flat_store_dwordx2 v[4:5], v[2:3]
.LBB138_62:
	s_or_b32 exec_lo, exec_lo, s5
	v_add_nc_u32_e32 v2, 4, v0
	v_cmp_gt_i32_e64 s5, s40, v2
	v_ashrrev_i32_e32 v3, 31, v2
	s_and_b32 s7, s16, s5
	s_and_saveexec_b32 s6, s7
	s_cbranch_execz .LBB138_67
; %bb.63:
	s_clause 0x1
	buffer_load_dword v4, off, s[0:3], 0 offset:8
	buffer_load_dword v5, off, s[0:3], 0 offset:12
	v_lshlrev_b64 v[6:7], 3, v[2:3]
	s_andn2_b32 vcc_lo, exec_lo, s46
	s_cbranch_vccnz .LBB138_65
; %bb.64:
	v_add_co_u32 v8, vcc_lo, v68, v6
	v_add_co_ci_u32_e64 v9, null, v69, v7, vcc_lo
	flat_load_dwordx2 v[8:9], v[8:9]
	s_waitcnt vmcnt(0) lgkmcnt(0)
	v_mul_f64 v[8:9], s[38:39], v[8:9]
	s_branch .LBB138_66
.LBB138_65:
	v_mov_b32_e32 v8, 0
	v_mov_b32_e32 v9, 0
.LBB138_66:
	s_waitcnt vmcnt(0)
	v_add_f64 v[4:5], v[4:5], v[8:9]
	v_add_co_u32 v6, vcc_lo, v72, v6
	v_add_co_ci_u32_e64 v7, null, v73, v7, vcc_lo
	flat_store_dwordx2 v[6:7], v[4:5]
.LBB138_67:
	s_or_b32 exec_lo, exec_lo, s6
	v_add_nc_u32_e32 v4, 8, v0
	v_cmp_gt_i32_e64 s6, s40, v4
	v_ashrrev_i32_e32 v5, 31, v4
	s_and_b32 s8, s16, s6
	s_and_saveexec_b32 s7, s8
	s_cbranch_execz .LBB138_72
; %bb.68:
	s_clause 0x1
	buffer_load_dword v6, off, s[0:3], 0 offset:16
	buffer_load_dword v7, off, s[0:3], 0 offset:20
	v_lshlrev_b64 v[8:9], 3, v[4:5]
	s_andn2_b32 vcc_lo, exec_lo, s46
	s_cbranch_vccnz .LBB138_70
; %bb.69:
	v_add_co_u32 v10, vcc_lo, v68, v8
	v_add_co_ci_u32_e64 v11, null, v69, v9, vcc_lo
	flat_load_dwordx2 v[10:11], v[10:11]
	s_waitcnt vmcnt(0) lgkmcnt(0)
	v_mul_f64 v[10:11], s[38:39], v[10:11]
	s_branch .LBB138_71
.LBB138_70:
	v_mov_b32_e32 v10, 0
	v_mov_b32_e32 v11, 0
.LBB138_71:
	s_waitcnt vmcnt(0)
	v_add_f64 v[6:7], v[6:7], v[10:11]
	v_add_co_u32 v8, vcc_lo, v72, v8
	v_add_co_ci_u32_e64 v9, null, v73, v9, vcc_lo
	flat_store_dwordx2 v[8:9], v[6:7]
.LBB138_72:
	;; [unrolled: 31-line block ×31, first 2 shown]
	s_or_b32 exec_lo, exec_lo, s16
	v_add_nc_u32_e32 v68, 64, v71
	v_mad_i64_i32 v[64:65], null, v68, s43, 0
	v_mad_i64_i32 v[66:67], null, v68, s42, 0
	v_cmp_gt_i32_e64 s16, s41, v68
	v_lshlrev_b64 v[64:65], 3, v[64:65]
	s_and_b32 s4, s16, s4
	v_lshlrev_b64 v[66:67], 3, v[66:67]
	v_add_co_u32 v71, vcc_lo, s44, v64
	v_add_co_ci_u32_e64 v72, null, s45, v65, vcc_lo
	v_add_co_u32 v68, vcc_lo, s47, v66
	v_add_co_ci_u32_e64 v69, null, s48, v67, vcc_lo
	s_and_saveexec_b32 s40, s4
	s_xor_b32 s4, exec_lo, s40
	s_cbranch_execnz .LBB138_250
; %bb.218:
	s_or_b32 exec_lo, exec_lo, s4
	s_and_b32 s5, s16, s5
	s_and_saveexec_b32 s4, s5
	s_cbranch_execnz .LBB138_254
.LBB138_219:
	s_or_b32 exec_lo, exec_lo, s4
	s_and_b32 s5, s16, s6
	s_and_saveexec_b32 s4, s5
	s_cbranch_execnz .LBB138_258
.LBB138_220:
	s_or_b32 exec_lo, exec_lo, s4
	s_and_b32 s5, s16, s7
	s_and_saveexec_b32 s4, s5
	s_cbranch_execnz .LBB138_262
.LBB138_221:
	s_or_b32 exec_lo, exec_lo, s4
	s_and_b32 s5, s16, s8
	s_and_saveexec_b32 s4, s5
	s_cbranch_execnz .LBB138_266
.LBB138_222:
	s_or_b32 exec_lo, exec_lo, s4
	s_and_b32 s5, s16, s9
	s_and_saveexec_b32 s4, s5
	s_cbranch_execnz .LBB138_270
.LBB138_223:
	s_or_b32 exec_lo, exec_lo, s4
	s_and_b32 s5, s16, s10
	s_and_saveexec_b32 s4, s5
	s_cbranch_execnz .LBB138_274
.LBB138_224:
	s_or_b32 exec_lo, exec_lo, s4
	s_and_b32 s5, s16, s11
	s_and_saveexec_b32 s4, s5
	s_cbranch_execnz .LBB138_278
.LBB138_225:
	s_or_b32 exec_lo, exec_lo, s4
	s_and_b32 s5, s16, s12
	s_and_saveexec_b32 s4, s5
	s_cbranch_execnz .LBB138_282
.LBB138_226:
	s_or_b32 exec_lo, exec_lo, s4
	s_and_b32 s5, s16, s13
	s_and_saveexec_b32 s4, s5
	s_cbranch_execnz .LBB138_286
.LBB138_227:
	s_or_b32 exec_lo, exec_lo, s4
	s_and_b32 s5, s16, s14
	s_and_saveexec_b32 s4, s5
	s_cbranch_execnz .LBB138_290
.LBB138_228:
	s_or_b32 exec_lo, exec_lo, s4
	s_and_b32 s5, s16, s15
	s_and_saveexec_b32 s4, s5
	s_cbranch_execnz .LBB138_294
.LBB138_229:
	s_or_b32 exec_lo, exec_lo, s4
	s_and_b32 s5, s16, s17
	s_and_saveexec_b32 s4, s5
	s_cbranch_execnz .LBB138_298
.LBB138_230:
	s_or_b32 exec_lo, exec_lo, s4
	s_and_b32 s5, s16, s18
	s_and_saveexec_b32 s4, s5
	s_cbranch_execnz .LBB138_302
.LBB138_231:
	s_or_b32 exec_lo, exec_lo, s4
	s_and_b32 s5, s16, s19
	s_and_saveexec_b32 s4, s5
	s_cbranch_execnz .LBB138_306
.LBB138_232:
	s_or_b32 exec_lo, exec_lo, s4
	s_and_b32 s5, s16, s20
	s_and_saveexec_b32 s4, s5
	s_cbranch_execnz .LBB138_310
.LBB138_233:
	s_or_b32 exec_lo, exec_lo, s4
	s_and_b32 s5, s16, s21
	s_and_saveexec_b32 s4, s5
	s_cbranch_execnz .LBB138_314
.LBB138_234:
	s_or_b32 exec_lo, exec_lo, s4
	s_and_b32 s5, s16, s22
	s_and_saveexec_b32 s4, s5
	s_cbranch_execnz .LBB138_318
.LBB138_235:
	s_or_b32 exec_lo, exec_lo, s4
	s_and_b32 s5, s16, s23
	s_and_saveexec_b32 s4, s5
	s_cbranch_execnz .LBB138_322
.LBB138_236:
	s_or_b32 exec_lo, exec_lo, s4
	s_and_b32 s5, s16, s24
	s_and_saveexec_b32 s4, s5
	s_cbranch_execnz .LBB138_326
.LBB138_237:
	s_or_b32 exec_lo, exec_lo, s4
	s_and_b32 s5, s16, s25
	s_and_saveexec_b32 s4, s5
	s_cbranch_execnz .LBB138_330
.LBB138_238:
	s_or_b32 exec_lo, exec_lo, s4
	s_and_b32 s5, s16, s26
	s_and_saveexec_b32 s4, s5
	s_cbranch_execnz .LBB138_334
.LBB138_239:
	s_or_b32 exec_lo, exec_lo, s4
	s_and_b32 s5, s16, s27
	s_and_saveexec_b32 s4, s5
	s_cbranch_execnz .LBB138_338
.LBB138_240:
	s_or_b32 exec_lo, exec_lo, s4
	s_and_b32 s5, s16, s28
	s_and_saveexec_b32 s4, s5
	s_cbranch_execnz .LBB138_342
.LBB138_241:
	s_or_b32 exec_lo, exec_lo, s4
	s_and_b32 s5, s16, s29
	s_and_saveexec_b32 s4, s5
	s_cbranch_execnz .LBB138_346
.LBB138_242:
	s_or_b32 exec_lo, exec_lo, s4
	s_and_b32 s5, s16, s30
	s_and_saveexec_b32 s4, s5
	s_cbranch_execnz .LBB138_350
.LBB138_243:
	s_or_b32 exec_lo, exec_lo, s4
	s_and_b32 s5, s16, s31
	s_and_saveexec_b32 s4, s5
	s_cbranch_execnz .LBB138_354
.LBB138_244:
	s_or_b32 exec_lo, exec_lo, s4
	s_and_b32 s5, s16, s33
	s_and_saveexec_b32 s4, s5
	s_cbranch_execnz .LBB138_358
.LBB138_245:
	s_or_b32 exec_lo, exec_lo, s4
	s_and_b32 s5, s16, s34
	s_and_saveexec_b32 s4, s5
	s_cbranch_execnz .LBB138_362
.LBB138_246:
	s_or_b32 exec_lo, exec_lo, s4
	s_and_b32 s5, s16, s35
	s_and_saveexec_b32 s4, s5
	s_cbranch_execnz .LBB138_366
.LBB138_247:
	s_or_b32 exec_lo, exec_lo, s4
	s_and_b32 s5, s16, s36
	s_and_saveexec_b32 s4, s5
	s_cbranch_execnz .LBB138_370
.LBB138_248:
	s_or_b32 exec_lo, exec_lo, s4
	s_and_b32 s4, s16, s37
	s_and_saveexec_b32 s5, s4
	s_cbranch_execnz .LBB138_374
.LBB138_249:
	s_endpgm
.LBB138_250:
	s_clause 0x1
	buffer_load_dword v64, off, s[0:3], 0 offset:256
	buffer_load_dword v65, off, s[0:3], 0 offset:260
	v_lshlrev_b64 v[0:1], 3, v[0:1]
	s_andn2_b32 vcc_lo, exec_lo, s46
	s_cbranch_vccnz .LBB138_252
; %bb.251:
	v_add_co_u32 v66, vcc_lo, v71, v0
	v_add_co_ci_u32_e64 v67, null, v72, v1, vcc_lo
	flat_load_dwordx2 v[66:67], v[66:67]
	s_waitcnt vmcnt(0) lgkmcnt(0)
	v_mul_f64 v[66:67], s[38:39], v[66:67]
	s_branch .LBB138_253
.LBB138_252:
	v_mov_b32_e32 v66, 0
	v_mov_b32_e32 v67, 0
.LBB138_253:
	s_waitcnt vmcnt(0)
	v_add_f64 v[64:65], v[64:65], v[66:67]
	v_add_co_u32 v0, vcc_lo, v68, v0
	v_add_co_ci_u32_e64 v1, null, v69, v1, vcc_lo
	flat_store_dwordx2 v[0:1], v[64:65]
	s_or_b32 exec_lo, exec_lo, s4
	s_and_b32 s5, s16, s5
	s_and_saveexec_b32 s4, s5
	s_cbranch_execz .LBB138_219
.LBB138_254:
	s_clause 0x1
	buffer_load_dword v0, off, s[0:3], 0 offset:264
	buffer_load_dword v1, off, s[0:3], 0 offset:268
	v_cmp_ne_u32_e32 vcc_lo, 1, v70
	v_lshlrev_b64 v[2:3], 3, v[2:3]
	s_cbranch_vccnz .LBB138_256
; %bb.255:
	v_add_co_u32 v64, vcc_lo, v71, v2
	v_add_co_ci_u32_e64 v65, null, v72, v3, vcc_lo
	flat_load_dwordx2 v[64:65], v[64:65]
	s_waitcnt vmcnt(0) lgkmcnt(0)
	v_mul_f64 v[64:65], s[38:39], v[64:65]
	s_branch .LBB138_257
.LBB138_256:
	v_mov_b32_e32 v64, 0
	v_mov_b32_e32 v65, 0
.LBB138_257:
	s_waitcnt vmcnt(0)
	v_add_f64 v[0:1], v[0:1], v[64:65]
	v_add_co_u32 v2, vcc_lo, v68, v2
	v_add_co_ci_u32_e64 v3, null, v69, v3, vcc_lo
	flat_store_dwordx2 v[2:3], v[0:1]
	s_or_b32 exec_lo, exec_lo, s4
	s_and_b32 s5, s16, s6
	s_and_saveexec_b32 s4, s5
	s_cbranch_execz .LBB138_220
.LBB138_258:
	s_clause 0x1
	buffer_load_dword v0, off, s[0:3], 0 offset:272
	buffer_load_dword v1, off, s[0:3], 0 offset:276
	v_cmp_ne_u32_e32 vcc_lo, 1, v70
	v_lshlrev_b64 v[2:3], 3, v[4:5]
	s_cbranch_vccnz .LBB138_260
; %bb.259:
	v_add_co_u32 v4, vcc_lo, v71, v2
	v_add_co_ci_u32_e64 v5, null, v72, v3, vcc_lo
	flat_load_dwordx2 v[4:5], v[4:5]
	s_waitcnt vmcnt(0) lgkmcnt(0)
	v_mul_f64 v[4:5], s[38:39], v[4:5]
	s_branch .LBB138_261
.LBB138_260:
	v_mov_b32_e32 v4, 0
	v_mov_b32_e32 v5, 0
.LBB138_261:
	s_waitcnt vmcnt(0)
	v_add_f64 v[0:1], v[0:1], v[4:5]
	v_add_co_u32 v2, vcc_lo, v68, v2
	v_add_co_ci_u32_e64 v3, null, v69, v3, vcc_lo
	flat_store_dwordx2 v[2:3], v[0:1]
	s_or_b32 exec_lo, exec_lo, s4
	s_and_b32 s5, s16, s7
	s_and_saveexec_b32 s4, s5
	s_cbranch_execz .LBB138_221
.LBB138_262:
	s_clause 0x1
	buffer_load_dword v0, off, s[0:3], 0 offset:280
	buffer_load_dword v1, off, s[0:3], 0 offset:284
	v_cmp_ne_u32_e32 vcc_lo, 1, v70
	v_lshlrev_b64 v[2:3], 3, v[6:7]
	s_cbranch_vccnz .LBB138_264
; %bb.263:
	v_add_co_u32 v4, vcc_lo, v71, v2
	v_add_co_ci_u32_e64 v5, null, v72, v3, vcc_lo
	flat_load_dwordx2 v[4:5], v[4:5]
	s_waitcnt vmcnt(0) lgkmcnt(0)
	v_mul_f64 v[4:5], s[38:39], v[4:5]
	s_branch .LBB138_265
.LBB138_264:
	v_mov_b32_e32 v4, 0
	v_mov_b32_e32 v5, 0
.LBB138_265:
	s_waitcnt vmcnt(0)
	v_add_f64 v[0:1], v[0:1], v[4:5]
	v_add_co_u32 v2, vcc_lo, v68, v2
	v_add_co_ci_u32_e64 v3, null, v69, v3, vcc_lo
	flat_store_dwordx2 v[2:3], v[0:1]
	s_or_b32 exec_lo, exec_lo, s4
	s_and_b32 s5, s16, s8
	s_and_saveexec_b32 s4, s5
	s_cbranch_execz .LBB138_222
.LBB138_266:
	s_clause 0x1
	buffer_load_dword v0, off, s[0:3], 0 offset:288
	buffer_load_dword v1, off, s[0:3], 0 offset:292
	v_cmp_ne_u32_e32 vcc_lo, 1, v70
	v_lshlrev_b64 v[2:3], 3, v[8:9]
	s_cbranch_vccnz .LBB138_268
; %bb.267:
	v_add_co_u32 v4, vcc_lo, v71, v2
	v_add_co_ci_u32_e64 v5, null, v72, v3, vcc_lo
	flat_load_dwordx2 v[4:5], v[4:5]
	s_waitcnt vmcnt(0) lgkmcnt(0)
	v_mul_f64 v[4:5], s[38:39], v[4:5]
	s_branch .LBB138_269
.LBB138_268:
	v_mov_b32_e32 v4, 0
	v_mov_b32_e32 v5, 0
.LBB138_269:
	s_waitcnt vmcnt(0)
	v_add_f64 v[0:1], v[0:1], v[4:5]
	v_add_co_u32 v2, vcc_lo, v68, v2
	v_add_co_ci_u32_e64 v3, null, v69, v3, vcc_lo
	flat_store_dwordx2 v[2:3], v[0:1]
	s_or_b32 exec_lo, exec_lo, s4
	s_and_b32 s5, s16, s9
	s_and_saveexec_b32 s4, s5
	s_cbranch_execz .LBB138_223
.LBB138_270:
	s_clause 0x1
	buffer_load_dword v0, off, s[0:3], 0 offset:296
	buffer_load_dword v1, off, s[0:3], 0 offset:300
	v_cmp_ne_u32_e32 vcc_lo, 1, v70
	v_lshlrev_b64 v[2:3], 3, v[10:11]
	s_cbranch_vccnz .LBB138_272
; %bb.271:
	v_add_co_u32 v4, vcc_lo, v71, v2
	v_add_co_ci_u32_e64 v5, null, v72, v3, vcc_lo
	flat_load_dwordx2 v[4:5], v[4:5]
	s_waitcnt vmcnt(0) lgkmcnt(0)
	v_mul_f64 v[4:5], s[38:39], v[4:5]
	s_branch .LBB138_273
.LBB138_272:
	v_mov_b32_e32 v4, 0
	v_mov_b32_e32 v5, 0
.LBB138_273:
	s_waitcnt vmcnt(0)
	v_add_f64 v[0:1], v[0:1], v[4:5]
	v_add_co_u32 v2, vcc_lo, v68, v2
	v_add_co_ci_u32_e64 v3, null, v69, v3, vcc_lo
	flat_store_dwordx2 v[2:3], v[0:1]
	s_or_b32 exec_lo, exec_lo, s4
	s_and_b32 s5, s16, s10
	s_and_saveexec_b32 s4, s5
	s_cbranch_execz .LBB138_224
.LBB138_274:
	s_clause 0x1
	buffer_load_dword v0, off, s[0:3], 0 offset:304
	buffer_load_dword v1, off, s[0:3], 0 offset:308
	v_cmp_ne_u32_e32 vcc_lo, 1, v70
	v_lshlrev_b64 v[2:3], 3, v[12:13]
	s_cbranch_vccnz .LBB138_276
; %bb.275:
	v_add_co_u32 v4, vcc_lo, v71, v2
	v_add_co_ci_u32_e64 v5, null, v72, v3, vcc_lo
	flat_load_dwordx2 v[4:5], v[4:5]
	s_waitcnt vmcnt(0) lgkmcnt(0)
	v_mul_f64 v[4:5], s[38:39], v[4:5]
	s_branch .LBB138_277
.LBB138_276:
	v_mov_b32_e32 v4, 0
	v_mov_b32_e32 v5, 0
.LBB138_277:
	s_waitcnt vmcnt(0)
	v_add_f64 v[0:1], v[0:1], v[4:5]
	v_add_co_u32 v2, vcc_lo, v68, v2
	v_add_co_ci_u32_e64 v3, null, v69, v3, vcc_lo
	flat_store_dwordx2 v[2:3], v[0:1]
	s_or_b32 exec_lo, exec_lo, s4
	s_and_b32 s5, s16, s11
	s_and_saveexec_b32 s4, s5
	s_cbranch_execz .LBB138_225
.LBB138_278:
	s_clause 0x1
	buffer_load_dword v0, off, s[0:3], 0 offset:312
	buffer_load_dword v1, off, s[0:3], 0 offset:316
	v_cmp_ne_u32_e32 vcc_lo, 1, v70
	v_lshlrev_b64 v[2:3], 3, v[14:15]
	s_cbranch_vccnz .LBB138_280
; %bb.279:
	v_add_co_u32 v4, vcc_lo, v71, v2
	v_add_co_ci_u32_e64 v5, null, v72, v3, vcc_lo
	flat_load_dwordx2 v[4:5], v[4:5]
	s_waitcnt vmcnt(0) lgkmcnt(0)
	v_mul_f64 v[4:5], s[38:39], v[4:5]
	s_branch .LBB138_281
.LBB138_280:
	v_mov_b32_e32 v4, 0
	v_mov_b32_e32 v5, 0
.LBB138_281:
	s_waitcnt vmcnt(0)
	v_add_f64 v[0:1], v[0:1], v[4:5]
	v_add_co_u32 v2, vcc_lo, v68, v2
	v_add_co_ci_u32_e64 v3, null, v69, v3, vcc_lo
	flat_store_dwordx2 v[2:3], v[0:1]
	s_or_b32 exec_lo, exec_lo, s4
	s_and_b32 s5, s16, s12
	s_and_saveexec_b32 s4, s5
	s_cbranch_execz .LBB138_226
.LBB138_282:
	s_clause 0x1
	buffer_load_dword v0, off, s[0:3], 0 offset:320
	buffer_load_dword v1, off, s[0:3], 0 offset:324
	v_cmp_ne_u32_e32 vcc_lo, 1, v70
	v_lshlrev_b64 v[2:3], 3, v[16:17]
	s_cbranch_vccnz .LBB138_284
; %bb.283:
	v_add_co_u32 v4, vcc_lo, v71, v2
	v_add_co_ci_u32_e64 v5, null, v72, v3, vcc_lo
	flat_load_dwordx2 v[4:5], v[4:5]
	s_waitcnt vmcnt(0) lgkmcnt(0)
	v_mul_f64 v[4:5], s[38:39], v[4:5]
	s_branch .LBB138_285
.LBB138_284:
	v_mov_b32_e32 v4, 0
	v_mov_b32_e32 v5, 0
.LBB138_285:
	s_waitcnt vmcnt(0)
	v_add_f64 v[0:1], v[0:1], v[4:5]
	v_add_co_u32 v2, vcc_lo, v68, v2
	v_add_co_ci_u32_e64 v3, null, v69, v3, vcc_lo
	flat_store_dwordx2 v[2:3], v[0:1]
	s_or_b32 exec_lo, exec_lo, s4
	s_and_b32 s5, s16, s13
	s_and_saveexec_b32 s4, s5
	s_cbranch_execz .LBB138_227
.LBB138_286:
	s_clause 0x1
	buffer_load_dword v0, off, s[0:3], 0 offset:328
	buffer_load_dword v1, off, s[0:3], 0 offset:332
	v_cmp_ne_u32_e32 vcc_lo, 1, v70
	v_lshlrev_b64 v[2:3], 3, v[18:19]
	s_cbranch_vccnz .LBB138_288
; %bb.287:
	v_add_co_u32 v4, vcc_lo, v71, v2
	v_add_co_ci_u32_e64 v5, null, v72, v3, vcc_lo
	flat_load_dwordx2 v[4:5], v[4:5]
	s_waitcnt vmcnt(0) lgkmcnt(0)
	v_mul_f64 v[4:5], s[38:39], v[4:5]
	s_branch .LBB138_289
.LBB138_288:
	v_mov_b32_e32 v4, 0
	v_mov_b32_e32 v5, 0
.LBB138_289:
	s_waitcnt vmcnt(0)
	v_add_f64 v[0:1], v[0:1], v[4:5]
	v_add_co_u32 v2, vcc_lo, v68, v2
	v_add_co_ci_u32_e64 v3, null, v69, v3, vcc_lo
	flat_store_dwordx2 v[2:3], v[0:1]
	s_or_b32 exec_lo, exec_lo, s4
	s_and_b32 s5, s16, s14
	s_and_saveexec_b32 s4, s5
	s_cbranch_execz .LBB138_228
.LBB138_290:
	s_clause 0x1
	buffer_load_dword v0, off, s[0:3], 0 offset:336
	buffer_load_dword v1, off, s[0:3], 0 offset:340
	v_cmp_ne_u32_e32 vcc_lo, 1, v70
	v_lshlrev_b64 v[2:3], 3, v[20:21]
	s_cbranch_vccnz .LBB138_292
; %bb.291:
	v_add_co_u32 v4, vcc_lo, v71, v2
	v_add_co_ci_u32_e64 v5, null, v72, v3, vcc_lo
	flat_load_dwordx2 v[4:5], v[4:5]
	s_waitcnt vmcnt(0) lgkmcnt(0)
	v_mul_f64 v[4:5], s[38:39], v[4:5]
	s_branch .LBB138_293
.LBB138_292:
	v_mov_b32_e32 v4, 0
	v_mov_b32_e32 v5, 0
.LBB138_293:
	s_waitcnt vmcnt(0)
	v_add_f64 v[0:1], v[0:1], v[4:5]
	v_add_co_u32 v2, vcc_lo, v68, v2
	v_add_co_ci_u32_e64 v3, null, v69, v3, vcc_lo
	flat_store_dwordx2 v[2:3], v[0:1]
	s_or_b32 exec_lo, exec_lo, s4
	s_and_b32 s5, s16, s15
	s_and_saveexec_b32 s4, s5
	s_cbranch_execz .LBB138_229
.LBB138_294:
	s_clause 0x1
	buffer_load_dword v0, off, s[0:3], 0 offset:344
	buffer_load_dword v1, off, s[0:3], 0 offset:348
	v_cmp_ne_u32_e32 vcc_lo, 1, v70
	v_lshlrev_b64 v[2:3], 3, v[22:23]
	s_cbranch_vccnz .LBB138_296
; %bb.295:
	v_add_co_u32 v4, vcc_lo, v71, v2
	v_add_co_ci_u32_e64 v5, null, v72, v3, vcc_lo
	flat_load_dwordx2 v[4:5], v[4:5]
	s_waitcnt vmcnt(0) lgkmcnt(0)
	v_mul_f64 v[4:5], s[38:39], v[4:5]
	s_branch .LBB138_297
.LBB138_296:
	v_mov_b32_e32 v4, 0
	v_mov_b32_e32 v5, 0
.LBB138_297:
	s_waitcnt vmcnt(0)
	v_add_f64 v[0:1], v[0:1], v[4:5]
	v_add_co_u32 v2, vcc_lo, v68, v2
	v_add_co_ci_u32_e64 v3, null, v69, v3, vcc_lo
	flat_store_dwordx2 v[2:3], v[0:1]
	s_or_b32 exec_lo, exec_lo, s4
	s_and_b32 s5, s16, s17
	s_and_saveexec_b32 s4, s5
	s_cbranch_execz .LBB138_230
.LBB138_298:
	s_clause 0x1
	buffer_load_dword v0, off, s[0:3], 0 offset:352
	buffer_load_dword v1, off, s[0:3], 0 offset:356
	v_cmp_ne_u32_e32 vcc_lo, 1, v70
	v_lshlrev_b64 v[2:3], 3, v[24:25]
	s_cbranch_vccnz .LBB138_300
; %bb.299:
	v_add_co_u32 v4, vcc_lo, v71, v2
	v_add_co_ci_u32_e64 v5, null, v72, v3, vcc_lo
	flat_load_dwordx2 v[4:5], v[4:5]
	s_waitcnt vmcnt(0) lgkmcnt(0)
	v_mul_f64 v[4:5], s[38:39], v[4:5]
	s_branch .LBB138_301
.LBB138_300:
	v_mov_b32_e32 v4, 0
	v_mov_b32_e32 v5, 0
.LBB138_301:
	s_waitcnt vmcnt(0)
	v_add_f64 v[0:1], v[0:1], v[4:5]
	v_add_co_u32 v2, vcc_lo, v68, v2
	v_add_co_ci_u32_e64 v3, null, v69, v3, vcc_lo
	flat_store_dwordx2 v[2:3], v[0:1]
	s_or_b32 exec_lo, exec_lo, s4
	s_and_b32 s5, s16, s18
	s_and_saveexec_b32 s4, s5
	s_cbranch_execz .LBB138_231
.LBB138_302:
	s_clause 0x1
	buffer_load_dword v0, off, s[0:3], 0 offset:360
	buffer_load_dword v1, off, s[0:3], 0 offset:364
	v_cmp_ne_u32_e32 vcc_lo, 1, v70
	v_lshlrev_b64 v[2:3], 3, v[26:27]
	s_cbranch_vccnz .LBB138_304
; %bb.303:
	v_add_co_u32 v4, vcc_lo, v71, v2
	v_add_co_ci_u32_e64 v5, null, v72, v3, vcc_lo
	flat_load_dwordx2 v[4:5], v[4:5]
	s_waitcnt vmcnt(0) lgkmcnt(0)
	v_mul_f64 v[4:5], s[38:39], v[4:5]
	s_branch .LBB138_305
.LBB138_304:
	v_mov_b32_e32 v4, 0
	v_mov_b32_e32 v5, 0
.LBB138_305:
	s_waitcnt vmcnt(0)
	v_add_f64 v[0:1], v[0:1], v[4:5]
	v_add_co_u32 v2, vcc_lo, v68, v2
	v_add_co_ci_u32_e64 v3, null, v69, v3, vcc_lo
	flat_store_dwordx2 v[2:3], v[0:1]
	s_or_b32 exec_lo, exec_lo, s4
	s_and_b32 s5, s16, s19
	s_and_saveexec_b32 s4, s5
	s_cbranch_execz .LBB138_232
.LBB138_306:
	s_clause 0x1
	buffer_load_dword v0, off, s[0:3], 0 offset:368
	buffer_load_dword v1, off, s[0:3], 0 offset:372
	v_cmp_ne_u32_e32 vcc_lo, 1, v70
	v_lshlrev_b64 v[2:3], 3, v[28:29]
	s_cbranch_vccnz .LBB138_308
; %bb.307:
	v_add_co_u32 v4, vcc_lo, v71, v2
	v_add_co_ci_u32_e64 v5, null, v72, v3, vcc_lo
	flat_load_dwordx2 v[4:5], v[4:5]
	s_waitcnt vmcnt(0) lgkmcnt(0)
	v_mul_f64 v[4:5], s[38:39], v[4:5]
	s_branch .LBB138_309
.LBB138_308:
	v_mov_b32_e32 v4, 0
	v_mov_b32_e32 v5, 0
.LBB138_309:
	s_waitcnt vmcnt(0)
	v_add_f64 v[0:1], v[0:1], v[4:5]
	v_add_co_u32 v2, vcc_lo, v68, v2
	v_add_co_ci_u32_e64 v3, null, v69, v3, vcc_lo
	flat_store_dwordx2 v[2:3], v[0:1]
	s_or_b32 exec_lo, exec_lo, s4
	s_and_b32 s5, s16, s20
	s_and_saveexec_b32 s4, s5
	s_cbranch_execz .LBB138_233
.LBB138_310:
	s_clause 0x1
	buffer_load_dword v0, off, s[0:3], 0 offset:376
	buffer_load_dword v1, off, s[0:3], 0 offset:380
	v_cmp_ne_u32_e32 vcc_lo, 1, v70
	v_lshlrev_b64 v[2:3], 3, v[30:31]
	s_cbranch_vccnz .LBB138_312
; %bb.311:
	v_add_co_u32 v4, vcc_lo, v71, v2
	v_add_co_ci_u32_e64 v5, null, v72, v3, vcc_lo
	flat_load_dwordx2 v[4:5], v[4:5]
	s_waitcnt vmcnt(0) lgkmcnt(0)
	v_mul_f64 v[4:5], s[38:39], v[4:5]
	s_branch .LBB138_313
.LBB138_312:
	v_mov_b32_e32 v4, 0
	v_mov_b32_e32 v5, 0
.LBB138_313:
	s_waitcnt vmcnt(0)
	v_add_f64 v[0:1], v[0:1], v[4:5]
	v_add_co_u32 v2, vcc_lo, v68, v2
	v_add_co_ci_u32_e64 v3, null, v69, v3, vcc_lo
	flat_store_dwordx2 v[2:3], v[0:1]
	s_or_b32 exec_lo, exec_lo, s4
	s_and_b32 s5, s16, s21
	s_and_saveexec_b32 s4, s5
	s_cbranch_execz .LBB138_234
.LBB138_314:
	s_clause 0x1
	buffer_load_dword v0, off, s[0:3], 0 offset:384
	buffer_load_dword v1, off, s[0:3], 0 offset:388
	v_cmp_ne_u32_e32 vcc_lo, 1, v70
	v_lshlrev_b64 v[2:3], 3, v[32:33]
	s_cbranch_vccnz .LBB138_316
; %bb.315:
	v_add_co_u32 v4, vcc_lo, v71, v2
	v_add_co_ci_u32_e64 v5, null, v72, v3, vcc_lo
	flat_load_dwordx2 v[4:5], v[4:5]
	s_waitcnt vmcnt(0) lgkmcnt(0)
	v_mul_f64 v[4:5], s[38:39], v[4:5]
	s_branch .LBB138_317
.LBB138_316:
	v_mov_b32_e32 v4, 0
	v_mov_b32_e32 v5, 0
.LBB138_317:
	s_waitcnt vmcnt(0)
	v_add_f64 v[0:1], v[0:1], v[4:5]
	v_add_co_u32 v2, vcc_lo, v68, v2
	v_add_co_ci_u32_e64 v3, null, v69, v3, vcc_lo
	flat_store_dwordx2 v[2:3], v[0:1]
	s_or_b32 exec_lo, exec_lo, s4
	s_and_b32 s5, s16, s22
	s_and_saveexec_b32 s4, s5
	s_cbranch_execz .LBB138_235
.LBB138_318:
	s_clause 0x1
	buffer_load_dword v0, off, s[0:3], 0 offset:392
	buffer_load_dword v1, off, s[0:3], 0 offset:396
	v_cmp_ne_u32_e32 vcc_lo, 1, v70
	v_lshlrev_b64 v[2:3], 3, v[34:35]
	s_cbranch_vccnz .LBB138_320
; %bb.319:
	v_add_co_u32 v4, vcc_lo, v71, v2
	v_add_co_ci_u32_e64 v5, null, v72, v3, vcc_lo
	flat_load_dwordx2 v[4:5], v[4:5]
	s_waitcnt vmcnt(0) lgkmcnt(0)
	v_mul_f64 v[4:5], s[38:39], v[4:5]
	s_branch .LBB138_321
.LBB138_320:
	v_mov_b32_e32 v4, 0
	v_mov_b32_e32 v5, 0
.LBB138_321:
	s_waitcnt vmcnt(0)
	v_add_f64 v[0:1], v[0:1], v[4:5]
	v_add_co_u32 v2, vcc_lo, v68, v2
	v_add_co_ci_u32_e64 v3, null, v69, v3, vcc_lo
	flat_store_dwordx2 v[2:3], v[0:1]
	s_or_b32 exec_lo, exec_lo, s4
	s_and_b32 s5, s16, s23
	s_and_saveexec_b32 s4, s5
	s_cbranch_execz .LBB138_236
.LBB138_322:
	s_clause 0x1
	buffer_load_dword v0, off, s[0:3], 0 offset:400
	buffer_load_dword v1, off, s[0:3], 0 offset:404
	v_cmp_ne_u32_e32 vcc_lo, 1, v70
	v_lshlrev_b64 v[2:3], 3, v[36:37]
	s_cbranch_vccnz .LBB138_324
; %bb.323:
	v_add_co_u32 v4, vcc_lo, v71, v2
	v_add_co_ci_u32_e64 v5, null, v72, v3, vcc_lo
	flat_load_dwordx2 v[4:5], v[4:5]
	s_waitcnt vmcnt(0) lgkmcnt(0)
	v_mul_f64 v[4:5], s[38:39], v[4:5]
	s_branch .LBB138_325
.LBB138_324:
	v_mov_b32_e32 v4, 0
	v_mov_b32_e32 v5, 0
.LBB138_325:
	s_waitcnt vmcnt(0)
	v_add_f64 v[0:1], v[0:1], v[4:5]
	v_add_co_u32 v2, vcc_lo, v68, v2
	v_add_co_ci_u32_e64 v3, null, v69, v3, vcc_lo
	flat_store_dwordx2 v[2:3], v[0:1]
	s_or_b32 exec_lo, exec_lo, s4
	s_and_b32 s5, s16, s24
	s_and_saveexec_b32 s4, s5
	s_cbranch_execz .LBB138_237
.LBB138_326:
	s_clause 0x1
	buffer_load_dword v0, off, s[0:3], 0 offset:408
	buffer_load_dword v1, off, s[0:3], 0 offset:412
	v_cmp_ne_u32_e32 vcc_lo, 1, v70
	v_lshlrev_b64 v[2:3], 3, v[38:39]
	s_cbranch_vccnz .LBB138_328
; %bb.327:
	v_add_co_u32 v4, vcc_lo, v71, v2
	v_add_co_ci_u32_e64 v5, null, v72, v3, vcc_lo
	flat_load_dwordx2 v[4:5], v[4:5]
	s_waitcnt vmcnt(0) lgkmcnt(0)
	v_mul_f64 v[4:5], s[38:39], v[4:5]
	s_branch .LBB138_329
.LBB138_328:
	v_mov_b32_e32 v4, 0
	v_mov_b32_e32 v5, 0
.LBB138_329:
	s_waitcnt vmcnt(0)
	v_add_f64 v[0:1], v[0:1], v[4:5]
	v_add_co_u32 v2, vcc_lo, v68, v2
	v_add_co_ci_u32_e64 v3, null, v69, v3, vcc_lo
	flat_store_dwordx2 v[2:3], v[0:1]
	s_or_b32 exec_lo, exec_lo, s4
	s_and_b32 s5, s16, s25
	s_and_saveexec_b32 s4, s5
	s_cbranch_execz .LBB138_238
.LBB138_330:
	s_clause 0x1
	buffer_load_dword v0, off, s[0:3], 0 offset:416
	buffer_load_dword v1, off, s[0:3], 0 offset:420
	v_cmp_ne_u32_e32 vcc_lo, 1, v70
	v_lshlrev_b64 v[2:3], 3, v[40:41]
	s_cbranch_vccnz .LBB138_332
; %bb.331:
	v_add_co_u32 v4, vcc_lo, v71, v2
	v_add_co_ci_u32_e64 v5, null, v72, v3, vcc_lo
	flat_load_dwordx2 v[4:5], v[4:5]
	s_waitcnt vmcnt(0) lgkmcnt(0)
	v_mul_f64 v[4:5], s[38:39], v[4:5]
	s_branch .LBB138_333
.LBB138_332:
	v_mov_b32_e32 v4, 0
	v_mov_b32_e32 v5, 0
.LBB138_333:
	s_waitcnt vmcnt(0)
	v_add_f64 v[0:1], v[0:1], v[4:5]
	v_add_co_u32 v2, vcc_lo, v68, v2
	v_add_co_ci_u32_e64 v3, null, v69, v3, vcc_lo
	flat_store_dwordx2 v[2:3], v[0:1]
	s_or_b32 exec_lo, exec_lo, s4
	s_and_b32 s5, s16, s26
	s_and_saveexec_b32 s4, s5
	s_cbranch_execz .LBB138_239
.LBB138_334:
	s_clause 0x1
	buffer_load_dword v0, off, s[0:3], 0 offset:424
	buffer_load_dword v1, off, s[0:3], 0 offset:428
	v_cmp_ne_u32_e32 vcc_lo, 1, v70
	v_lshlrev_b64 v[2:3], 3, v[42:43]
	s_cbranch_vccnz .LBB138_336
; %bb.335:
	v_add_co_u32 v4, vcc_lo, v71, v2
	v_add_co_ci_u32_e64 v5, null, v72, v3, vcc_lo
	flat_load_dwordx2 v[4:5], v[4:5]
	s_waitcnt vmcnt(0) lgkmcnt(0)
	v_mul_f64 v[4:5], s[38:39], v[4:5]
	s_branch .LBB138_337
.LBB138_336:
	v_mov_b32_e32 v4, 0
	v_mov_b32_e32 v5, 0
.LBB138_337:
	s_waitcnt vmcnt(0)
	v_add_f64 v[0:1], v[0:1], v[4:5]
	v_add_co_u32 v2, vcc_lo, v68, v2
	v_add_co_ci_u32_e64 v3, null, v69, v3, vcc_lo
	flat_store_dwordx2 v[2:3], v[0:1]
	s_or_b32 exec_lo, exec_lo, s4
	s_and_b32 s5, s16, s27
	s_and_saveexec_b32 s4, s5
	s_cbranch_execz .LBB138_240
.LBB138_338:
	s_clause 0x1
	buffer_load_dword v0, off, s[0:3], 0 offset:432
	buffer_load_dword v1, off, s[0:3], 0 offset:436
	v_cmp_ne_u32_e32 vcc_lo, 1, v70
	v_lshlrev_b64 v[2:3], 3, v[44:45]
	s_cbranch_vccnz .LBB138_340
; %bb.339:
	v_add_co_u32 v4, vcc_lo, v71, v2
	v_add_co_ci_u32_e64 v5, null, v72, v3, vcc_lo
	flat_load_dwordx2 v[4:5], v[4:5]
	s_waitcnt vmcnt(0) lgkmcnt(0)
	v_mul_f64 v[4:5], s[38:39], v[4:5]
	s_branch .LBB138_341
.LBB138_340:
	v_mov_b32_e32 v4, 0
	v_mov_b32_e32 v5, 0
.LBB138_341:
	s_waitcnt vmcnt(0)
	v_add_f64 v[0:1], v[0:1], v[4:5]
	v_add_co_u32 v2, vcc_lo, v68, v2
	v_add_co_ci_u32_e64 v3, null, v69, v3, vcc_lo
	flat_store_dwordx2 v[2:3], v[0:1]
	s_or_b32 exec_lo, exec_lo, s4
	s_and_b32 s5, s16, s28
	s_and_saveexec_b32 s4, s5
	s_cbranch_execz .LBB138_241
.LBB138_342:
	s_clause 0x1
	buffer_load_dword v0, off, s[0:3], 0 offset:440
	buffer_load_dword v1, off, s[0:3], 0 offset:444
	v_cmp_ne_u32_e32 vcc_lo, 1, v70
	v_lshlrev_b64 v[2:3], 3, v[46:47]
	s_cbranch_vccnz .LBB138_344
; %bb.343:
	v_add_co_u32 v4, vcc_lo, v71, v2
	v_add_co_ci_u32_e64 v5, null, v72, v3, vcc_lo
	flat_load_dwordx2 v[4:5], v[4:5]
	s_waitcnt vmcnt(0) lgkmcnt(0)
	v_mul_f64 v[4:5], s[38:39], v[4:5]
	s_branch .LBB138_345
.LBB138_344:
	v_mov_b32_e32 v4, 0
	v_mov_b32_e32 v5, 0
.LBB138_345:
	s_waitcnt vmcnt(0)
	v_add_f64 v[0:1], v[0:1], v[4:5]
	v_add_co_u32 v2, vcc_lo, v68, v2
	v_add_co_ci_u32_e64 v3, null, v69, v3, vcc_lo
	flat_store_dwordx2 v[2:3], v[0:1]
	s_or_b32 exec_lo, exec_lo, s4
	s_and_b32 s5, s16, s29
	s_and_saveexec_b32 s4, s5
	s_cbranch_execz .LBB138_242
.LBB138_346:
	s_clause 0x1
	buffer_load_dword v0, off, s[0:3], 0 offset:448
	buffer_load_dword v1, off, s[0:3], 0 offset:452
	v_cmp_ne_u32_e32 vcc_lo, 1, v70
	v_lshlrev_b64 v[2:3], 3, v[48:49]
	s_cbranch_vccnz .LBB138_348
; %bb.347:
	v_add_co_u32 v4, vcc_lo, v71, v2
	v_add_co_ci_u32_e64 v5, null, v72, v3, vcc_lo
	flat_load_dwordx2 v[4:5], v[4:5]
	s_waitcnt vmcnt(0) lgkmcnt(0)
	v_mul_f64 v[4:5], s[38:39], v[4:5]
	s_branch .LBB138_349
.LBB138_348:
	v_mov_b32_e32 v4, 0
	v_mov_b32_e32 v5, 0
.LBB138_349:
	s_waitcnt vmcnt(0)
	v_add_f64 v[0:1], v[0:1], v[4:5]
	v_add_co_u32 v2, vcc_lo, v68, v2
	v_add_co_ci_u32_e64 v3, null, v69, v3, vcc_lo
	flat_store_dwordx2 v[2:3], v[0:1]
	s_or_b32 exec_lo, exec_lo, s4
	s_and_b32 s5, s16, s30
	s_and_saveexec_b32 s4, s5
	s_cbranch_execz .LBB138_243
.LBB138_350:
	s_clause 0x1
	buffer_load_dword v0, off, s[0:3], 0 offset:456
	buffer_load_dword v1, off, s[0:3], 0 offset:460
	v_cmp_ne_u32_e32 vcc_lo, 1, v70
	v_lshlrev_b64 v[2:3], 3, v[50:51]
	s_cbranch_vccnz .LBB138_352
; %bb.351:
	v_add_co_u32 v4, vcc_lo, v71, v2
	v_add_co_ci_u32_e64 v5, null, v72, v3, vcc_lo
	flat_load_dwordx2 v[4:5], v[4:5]
	s_waitcnt vmcnt(0) lgkmcnt(0)
	v_mul_f64 v[4:5], s[38:39], v[4:5]
	s_branch .LBB138_353
.LBB138_352:
	v_mov_b32_e32 v4, 0
	v_mov_b32_e32 v5, 0
.LBB138_353:
	s_waitcnt vmcnt(0)
	v_add_f64 v[0:1], v[0:1], v[4:5]
	v_add_co_u32 v2, vcc_lo, v68, v2
	v_add_co_ci_u32_e64 v3, null, v69, v3, vcc_lo
	flat_store_dwordx2 v[2:3], v[0:1]
	s_or_b32 exec_lo, exec_lo, s4
	s_and_b32 s5, s16, s31
	s_and_saveexec_b32 s4, s5
	s_cbranch_execz .LBB138_244
.LBB138_354:
	s_clause 0x1
	buffer_load_dword v0, off, s[0:3], 0 offset:464
	buffer_load_dword v1, off, s[0:3], 0 offset:468
	v_cmp_ne_u32_e32 vcc_lo, 1, v70
	v_lshlrev_b64 v[2:3], 3, v[52:53]
	s_cbranch_vccnz .LBB138_356
; %bb.355:
	v_add_co_u32 v4, vcc_lo, v71, v2
	v_add_co_ci_u32_e64 v5, null, v72, v3, vcc_lo
	flat_load_dwordx2 v[4:5], v[4:5]
	s_waitcnt vmcnt(0) lgkmcnt(0)
	v_mul_f64 v[4:5], s[38:39], v[4:5]
	s_branch .LBB138_357
.LBB138_356:
	v_mov_b32_e32 v4, 0
	v_mov_b32_e32 v5, 0
.LBB138_357:
	s_waitcnt vmcnt(0)
	v_add_f64 v[0:1], v[0:1], v[4:5]
	v_add_co_u32 v2, vcc_lo, v68, v2
	v_add_co_ci_u32_e64 v3, null, v69, v3, vcc_lo
	flat_store_dwordx2 v[2:3], v[0:1]
	s_or_b32 exec_lo, exec_lo, s4
	s_and_b32 s5, s16, s33
	s_and_saveexec_b32 s4, s5
	s_cbranch_execz .LBB138_245
.LBB138_358:
	s_clause 0x1
	buffer_load_dword v0, off, s[0:3], 0 offset:472
	buffer_load_dword v1, off, s[0:3], 0 offset:476
	v_cmp_ne_u32_e32 vcc_lo, 1, v70
	v_lshlrev_b64 v[2:3], 3, v[54:55]
	s_cbranch_vccnz .LBB138_360
; %bb.359:
	v_add_co_u32 v4, vcc_lo, v71, v2
	v_add_co_ci_u32_e64 v5, null, v72, v3, vcc_lo
	flat_load_dwordx2 v[4:5], v[4:5]
	s_waitcnt vmcnt(0) lgkmcnt(0)
	v_mul_f64 v[4:5], s[38:39], v[4:5]
	s_branch .LBB138_361
.LBB138_360:
	v_mov_b32_e32 v4, 0
	v_mov_b32_e32 v5, 0
.LBB138_361:
	s_waitcnt vmcnt(0)
	v_add_f64 v[0:1], v[0:1], v[4:5]
	v_add_co_u32 v2, vcc_lo, v68, v2
	v_add_co_ci_u32_e64 v3, null, v69, v3, vcc_lo
	flat_store_dwordx2 v[2:3], v[0:1]
	s_or_b32 exec_lo, exec_lo, s4
	s_and_b32 s5, s16, s34
	s_and_saveexec_b32 s4, s5
	s_cbranch_execz .LBB138_246
.LBB138_362:
	s_clause 0x1
	buffer_load_dword v0, off, s[0:3], 0 offset:480
	buffer_load_dword v1, off, s[0:3], 0 offset:484
	v_cmp_ne_u32_e32 vcc_lo, 1, v70
	v_lshlrev_b64 v[2:3], 3, v[56:57]
	s_cbranch_vccnz .LBB138_364
; %bb.363:
	v_add_co_u32 v4, vcc_lo, v71, v2
	v_add_co_ci_u32_e64 v5, null, v72, v3, vcc_lo
	flat_load_dwordx2 v[4:5], v[4:5]
	s_waitcnt vmcnt(0) lgkmcnt(0)
	v_mul_f64 v[4:5], s[38:39], v[4:5]
	s_branch .LBB138_365
.LBB138_364:
	v_mov_b32_e32 v4, 0
	v_mov_b32_e32 v5, 0
.LBB138_365:
	s_waitcnt vmcnt(0)
	v_add_f64 v[0:1], v[0:1], v[4:5]
	v_add_co_u32 v2, vcc_lo, v68, v2
	v_add_co_ci_u32_e64 v3, null, v69, v3, vcc_lo
	flat_store_dwordx2 v[2:3], v[0:1]
	s_or_b32 exec_lo, exec_lo, s4
	s_and_b32 s5, s16, s35
	s_and_saveexec_b32 s4, s5
	s_cbranch_execz .LBB138_247
.LBB138_366:
	s_clause 0x1
	buffer_load_dword v0, off, s[0:3], 0 offset:488
	buffer_load_dword v1, off, s[0:3], 0 offset:492
	v_cmp_ne_u32_e32 vcc_lo, 1, v70
	v_lshlrev_b64 v[2:3], 3, v[58:59]
	s_cbranch_vccnz .LBB138_368
; %bb.367:
	v_add_co_u32 v4, vcc_lo, v71, v2
	v_add_co_ci_u32_e64 v5, null, v72, v3, vcc_lo
	flat_load_dwordx2 v[4:5], v[4:5]
	s_waitcnt vmcnt(0) lgkmcnt(0)
	v_mul_f64 v[4:5], s[38:39], v[4:5]
	s_branch .LBB138_369
.LBB138_368:
	v_mov_b32_e32 v4, 0
	v_mov_b32_e32 v5, 0
.LBB138_369:
	s_waitcnt vmcnt(0)
	v_add_f64 v[0:1], v[0:1], v[4:5]
	v_add_co_u32 v2, vcc_lo, v68, v2
	v_add_co_ci_u32_e64 v3, null, v69, v3, vcc_lo
	flat_store_dwordx2 v[2:3], v[0:1]
	s_or_b32 exec_lo, exec_lo, s4
	s_and_b32 s5, s16, s36
	s_and_saveexec_b32 s4, s5
	s_cbranch_execz .LBB138_248
.LBB138_370:
	s_clause 0x1
	buffer_load_dword v0, off, s[0:3], 0 offset:496
	buffer_load_dword v1, off, s[0:3], 0 offset:500
	v_cmp_ne_u32_e32 vcc_lo, 1, v70
	v_lshlrev_b64 v[2:3], 3, v[60:61]
	s_cbranch_vccnz .LBB138_372
; %bb.371:
	v_add_co_u32 v4, vcc_lo, v71, v2
	v_add_co_ci_u32_e64 v5, null, v72, v3, vcc_lo
	flat_load_dwordx2 v[4:5], v[4:5]
	s_waitcnt vmcnt(0) lgkmcnt(0)
	v_mul_f64 v[4:5], s[38:39], v[4:5]
	s_branch .LBB138_373
.LBB138_372:
	v_mov_b32_e32 v4, 0
	v_mov_b32_e32 v5, 0
.LBB138_373:
	s_waitcnt vmcnt(0)
	v_add_f64 v[0:1], v[0:1], v[4:5]
	v_add_co_u32 v2, vcc_lo, v68, v2
	v_add_co_ci_u32_e64 v3, null, v69, v3, vcc_lo
	flat_store_dwordx2 v[2:3], v[0:1]
	s_or_b32 exec_lo, exec_lo, s4
	s_and_b32 s4, s16, s37
	s_and_saveexec_b32 s5, s4
	s_cbranch_execz .LBB138_249
.LBB138_374:
	s_clause 0x1
	buffer_load_dword v0, off, s[0:3], 0 offset:504
	buffer_load_dword v1, off, s[0:3], 0 offset:508
	v_cmp_ne_u32_e32 vcc_lo, 1, v70
	v_lshlrev_b64 v[2:3], 3, v[62:63]
	s_cbranch_vccnz .LBB138_376
; %bb.375:
	v_add_co_u32 v4, vcc_lo, v71, v2
	v_add_co_ci_u32_e64 v5, null, v72, v3, vcc_lo
	flat_load_dwordx2 v[4:5], v[4:5]
	s_waitcnt vmcnt(0) lgkmcnt(0)
	v_mul_f64 v[4:5], s[38:39], v[4:5]
	s_branch .LBB138_377
.LBB138_376:
	v_mov_b32_e32 v4, 0
	v_mov_b32_e32 v5, 0
.LBB138_377:
	s_waitcnt vmcnt(0)
	v_add_f64 v[0:1], v[0:1], v[4:5]
	v_add_co_u32 v2, vcc_lo, v68, v2
	v_add_co_ci_u32_e64 v3, null, v69, v3, vcc_lo
	flat_store_dwordx2 v[2:3], v[0:1]
	s_endpgm
	.section	.rodata,"a",@progbits
	.p2align	6, 0x0
	.amdhsa_kernel _ZN12_GLOBAL__N_120geam_min_plus_kernelIdddLi4ELi64ELi128ELi128ELi4ELi4ELi64ELi4ELi64ELc84ELc78ELb0ELb1ELb0EPKdKS2_KPdEEviiiT16_PT17_ilS8_ilS6_S8_ilPT18_ili26rocblas_geam_ex_operation_
		.amdhsa_group_segment_fixed_size 16384
		.amdhsa_private_segment_fixed_size 528
		.amdhsa_kernarg_size 136
		.amdhsa_user_sgpr_count 6
		.amdhsa_user_sgpr_private_segment_buffer 1
		.amdhsa_user_sgpr_dispatch_ptr 0
		.amdhsa_user_sgpr_queue_ptr 0
		.amdhsa_user_sgpr_kernarg_segment_ptr 1
		.amdhsa_user_sgpr_dispatch_id 0
		.amdhsa_user_sgpr_flat_scratch_init 0
		.amdhsa_user_sgpr_private_segment_size 0
		.amdhsa_wavefront_size32 1
		.amdhsa_uses_dynamic_stack 0
		.amdhsa_system_sgpr_private_segment_wavefront_offset 1
		.amdhsa_system_sgpr_workgroup_id_x 1
		.amdhsa_system_sgpr_workgroup_id_y 0
		.amdhsa_system_sgpr_workgroup_id_z 1
		.amdhsa_system_sgpr_workgroup_info 0
		.amdhsa_system_vgpr_workitem_id 1
		.amdhsa_next_free_vgpr 226
		.amdhsa_next_free_sgpr 50
		.amdhsa_reserve_vcc 1
		.amdhsa_reserve_flat_scratch 0
		.amdhsa_float_round_mode_32 0
		.amdhsa_float_round_mode_16_64 0
		.amdhsa_float_denorm_mode_32 3
		.amdhsa_float_denorm_mode_16_64 3
		.amdhsa_dx10_clamp 1
		.amdhsa_ieee_mode 1
		.amdhsa_fp16_overflow 0
		.amdhsa_workgroup_processor_mode 1
		.amdhsa_memory_ordered 1
		.amdhsa_forward_progress 1
		.amdhsa_shared_vgpr_count 0
		.amdhsa_exception_fp_ieee_invalid_op 0
		.amdhsa_exception_fp_denorm_src 0
		.amdhsa_exception_fp_ieee_div_zero 0
		.amdhsa_exception_fp_ieee_overflow 0
		.amdhsa_exception_fp_ieee_underflow 0
		.amdhsa_exception_fp_ieee_inexact 0
		.amdhsa_exception_int_div_zero 0
	.end_amdhsa_kernel
	.section	.text._ZN12_GLOBAL__N_120geam_min_plus_kernelIdddLi4ELi64ELi128ELi128ELi4ELi4ELi64ELi4ELi64ELc84ELc78ELb0ELb1ELb0EPKdKS2_KPdEEviiiT16_PT17_ilS8_ilS6_S8_ilPT18_ili26rocblas_geam_ex_operation_,"axG",@progbits,_ZN12_GLOBAL__N_120geam_min_plus_kernelIdddLi4ELi64ELi128ELi128ELi4ELi4ELi64ELi4ELi64ELc84ELc78ELb0ELb1ELb0EPKdKS2_KPdEEviiiT16_PT17_ilS8_ilS6_S8_ilPT18_ili26rocblas_geam_ex_operation_,comdat
.Lfunc_end138:
	.size	_ZN12_GLOBAL__N_120geam_min_plus_kernelIdddLi4ELi64ELi128ELi128ELi4ELi4ELi64ELi4ELi64ELc84ELc78ELb0ELb1ELb0EPKdKS2_KPdEEviiiT16_PT17_ilS8_ilS6_S8_ilPT18_ili26rocblas_geam_ex_operation_, .Lfunc_end138-_ZN12_GLOBAL__N_120geam_min_plus_kernelIdddLi4ELi64ELi128ELi128ELi4ELi4ELi64ELi4ELi64ELc84ELc78ELb0ELb1ELb0EPKdKS2_KPdEEviiiT16_PT17_ilS8_ilS6_S8_ilPT18_ili26rocblas_geam_ex_operation_
                                        ; -- End function
	.set _ZN12_GLOBAL__N_120geam_min_plus_kernelIdddLi4ELi64ELi128ELi128ELi4ELi4ELi64ELi4ELi64ELc84ELc78ELb0ELb1ELb0EPKdKS2_KPdEEviiiT16_PT17_ilS8_ilS6_S8_ilPT18_ili26rocblas_geam_ex_operation_.num_vgpr, 226
	.set _ZN12_GLOBAL__N_120geam_min_plus_kernelIdddLi4ELi64ELi128ELi128ELi4ELi4ELi64ELi4ELi64ELc84ELc78ELb0ELb1ELb0EPKdKS2_KPdEEviiiT16_PT17_ilS8_ilS6_S8_ilPT18_ili26rocblas_geam_ex_operation_.num_agpr, 0
	.set _ZN12_GLOBAL__N_120geam_min_plus_kernelIdddLi4ELi64ELi128ELi128ELi4ELi4ELi64ELi4ELi64ELc84ELc78ELb0ELb1ELb0EPKdKS2_KPdEEviiiT16_PT17_ilS8_ilS6_S8_ilPT18_ili26rocblas_geam_ex_operation_.numbered_sgpr, 50
	.set _ZN12_GLOBAL__N_120geam_min_plus_kernelIdddLi4ELi64ELi128ELi128ELi4ELi4ELi64ELi4ELi64ELc84ELc78ELb0ELb1ELb0EPKdKS2_KPdEEviiiT16_PT17_ilS8_ilS6_S8_ilPT18_ili26rocblas_geam_ex_operation_.num_named_barrier, 0
	.set _ZN12_GLOBAL__N_120geam_min_plus_kernelIdddLi4ELi64ELi128ELi128ELi4ELi4ELi64ELi4ELi64ELc84ELc78ELb0ELb1ELb0EPKdKS2_KPdEEviiiT16_PT17_ilS8_ilS6_S8_ilPT18_ili26rocblas_geam_ex_operation_.private_seg_size, 528
	.set _ZN12_GLOBAL__N_120geam_min_plus_kernelIdddLi4ELi64ELi128ELi128ELi4ELi4ELi64ELi4ELi64ELc84ELc78ELb0ELb1ELb0EPKdKS2_KPdEEviiiT16_PT17_ilS8_ilS6_S8_ilPT18_ili26rocblas_geam_ex_operation_.uses_vcc, 1
	.set _ZN12_GLOBAL__N_120geam_min_plus_kernelIdddLi4ELi64ELi128ELi128ELi4ELi4ELi64ELi4ELi64ELc84ELc78ELb0ELb1ELb0EPKdKS2_KPdEEviiiT16_PT17_ilS8_ilS6_S8_ilPT18_ili26rocblas_geam_ex_operation_.uses_flat_scratch, 0
	.set _ZN12_GLOBAL__N_120geam_min_plus_kernelIdddLi4ELi64ELi128ELi128ELi4ELi4ELi64ELi4ELi64ELc84ELc78ELb0ELb1ELb0EPKdKS2_KPdEEviiiT16_PT17_ilS8_ilS6_S8_ilPT18_ili26rocblas_geam_ex_operation_.has_dyn_sized_stack, 0
	.set _ZN12_GLOBAL__N_120geam_min_plus_kernelIdddLi4ELi64ELi128ELi128ELi4ELi4ELi64ELi4ELi64ELc84ELc78ELb0ELb1ELb0EPKdKS2_KPdEEviiiT16_PT17_ilS8_ilS6_S8_ilPT18_ili26rocblas_geam_ex_operation_.has_recursion, 0
	.set _ZN12_GLOBAL__N_120geam_min_plus_kernelIdddLi4ELi64ELi128ELi128ELi4ELi4ELi64ELi4ELi64ELc84ELc78ELb0ELb1ELb0EPKdKS2_KPdEEviiiT16_PT17_ilS8_ilS6_S8_ilPT18_ili26rocblas_geam_ex_operation_.has_indirect_call, 0
	.section	.AMDGPU.csdata,"",@progbits
; Kernel info:
; codeLenInByte = 21964
; TotalNumSgprs: 52
; NumVgprs: 226
; ScratchSize: 528
; MemoryBound: 0
; FloatMode: 240
; IeeeMode: 1
; LDSByteSize: 16384 bytes/workgroup (compile time only)
; SGPRBlocks: 0
; VGPRBlocks: 28
; NumSGPRsForWavesPerEU: 52
; NumVGPRsForWavesPerEU: 226
; Occupancy: 4
; WaveLimiterHint : 1
; COMPUTE_PGM_RSRC2:SCRATCH_EN: 1
; COMPUTE_PGM_RSRC2:USER_SGPR: 6
; COMPUTE_PGM_RSRC2:TRAP_HANDLER: 0
; COMPUTE_PGM_RSRC2:TGID_X_EN: 1
; COMPUTE_PGM_RSRC2:TGID_Y_EN: 0
; COMPUTE_PGM_RSRC2:TGID_Z_EN: 1
; COMPUTE_PGM_RSRC2:TIDIG_COMP_CNT: 1
	.section	.text._ZN12_GLOBAL__N_120geam_min_plus_kernelIdddLi4ELi64ELi128ELi128ELi4ELi4ELi64ELi4ELi64ELc84ELc78ELb1ELb1ELb0EdKPKdKPdEEviiiT16_PT17_ilS8_ilS6_S8_ilPT18_ili26rocblas_geam_ex_operation_,"axG",@progbits,_ZN12_GLOBAL__N_120geam_min_plus_kernelIdddLi4ELi64ELi128ELi128ELi4ELi4ELi64ELi4ELi64ELc84ELc78ELb1ELb1ELb0EdKPKdKPdEEviiiT16_PT17_ilS8_ilS6_S8_ilPT18_ili26rocblas_geam_ex_operation_,comdat
	.globl	_ZN12_GLOBAL__N_120geam_min_plus_kernelIdddLi4ELi64ELi128ELi128ELi4ELi4ELi64ELi4ELi64ELc84ELc78ELb1ELb1ELb0EdKPKdKPdEEviiiT16_PT17_ilS8_ilS6_S8_ilPT18_ili26rocblas_geam_ex_operation_ ; -- Begin function _ZN12_GLOBAL__N_120geam_min_plus_kernelIdddLi4ELi64ELi128ELi128ELi4ELi4ELi64ELi4ELi64ELc84ELc78ELb1ELb1ELb0EdKPKdKPdEEviiiT16_PT17_ilS8_ilS6_S8_ilPT18_ili26rocblas_geam_ex_operation_
	.p2align	8
	.type	_ZN12_GLOBAL__N_120geam_min_plus_kernelIdddLi4ELi64ELi128ELi128ELi4ELi4ELi64ELi4ELi64ELc84ELc78ELb1ELb1ELb0EdKPKdKPdEEviiiT16_PT17_ilS8_ilS6_S8_ilPT18_ili26rocblas_geam_ex_operation_,@function
_ZN12_GLOBAL__N_120geam_min_plus_kernelIdddLi4ELi64ELi128ELi128ELi4ELi4ELi64ELi4ELi64ELc84ELc78ELb1ELb1ELb0EdKPKdKPdEEviiiT16_PT17_ilS8_ilS6_S8_ilPT18_ili26rocblas_geam_ex_operation_: ; @_ZN12_GLOBAL__N_120geam_min_plus_kernelIdddLi4ELi64ELi128ELi128ELi4ELi4ELi64ELi4ELi64ELc84ELc78ELb1ELb1ELb0EdKPKdKPdEEviiiT16_PT17_ilS8_ilS6_S8_ilPT18_ili26rocblas_geam_ex_operation_
; %bb.0:
	s_add_u32 s0, s0, s8
	s_clause 0x1
	s_load_dwordx4 s[12:15], s[4:5], 0x10
	s_load_dwordx4 s[8:11], s[4:5], 0x28
	s_mov_b32 s18, s7
	s_addc_u32 s1, s1, 0
	s_mov_b64 s[16:17], 0
	s_waitcnt lgkmcnt(0)
	v_cmp_eq_f64_e64 s7, s[12:13], 0
	s_and_b32 vcc_lo, exec_lo, s7
	s_cbranch_vccnz .LBB139_2
; %bb.1:
	s_mov_b32 s19, 0
	s_lshl_b64 s[12:13], s[18:19], 3
	s_add_u32 s12, s14, s12
	s_addc_u32 s13, s15, s13
	s_lshl_b64 s[8:9], s[8:9], 3
	s_load_dwordx2 s[12:13], s[12:13], 0x0
	s_waitcnt lgkmcnt(0)
	s_add_u32 s16, s12, s8
	s_addc_u32 s17, s13, s9
.LBB139_2:
	s_clause 0x1
	s_load_dwordx4 s[36:39], s[4:5], 0x40
	s_load_dwordx2 s[12:13], s[4:5], 0x50
	s_andn2_b32 vcc_lo, exec_lo, s7
	s_mov_b32 s19, 0
	s_cbranch_vccnz .LBB139_4
; %bb.3:
	s_mov_b32 s7, s19
	s_mov_b64 s[44:45], 0
	s_andn2_b32 vcc_lo, exec_lo, s7
	s_mov_b64 s[14:15], 0
	s_cbranch_vccz .LBB139_5
	s_branch .LBB139_6
.LBB139_4:
	s_mov_b64 s[44:45], 0
	s_mov_b64 s[14:15], 0
.LBB139_5:
	s_lshl_b64 s[8:9], s[18:19], 3
	s_add_u32 s8, s10, s8
	s_addc_u32 s9, s11, s9
	s_waitcnt lgkmcnt(0)
	s_lshl_b64 s[10:11], s[36:37], 3
	s_load_dwordx2 s[8:9], s[8:9], 0x0
	s_waitcnt lgkmcnt(0)
	s_add_u32 s14, s8, s10
	s_addc_u32 s15, s9, s11
.LBB139_6:
	s_waitcnt lgkmcnt(0)
	v_cmp_eq_f64_e64 s7, s[38:39], 0
	v_cmp_neq_f64_e64 s46, s[38:39], 0
	s_load_dwordx4 s[8:11], s[4:5], 0x60
	s_and_b32 vcc_lo, exec_lo, s7
	s_cbranch_vccnz .LBB139_8
; %bb.7:
	s_lshl_b64 s[20:21], s[18:19], 3
	s_add_u32 s12, s12, s20
	s_addc_u32 s13, s13, s21
	s_waitcnt lgkmcnt(0)
	s_lshl_b64 s[8:9], s[8:9], 3
	s_load_dwordx2 s[12:13], s[12:13], 0x0
	s_waitcnt lgkmcnt(0)
	s_add_u32 s44, s12, s8
	s_addc_u32 s45, s13, s9
.LBB139_8:
	s_clause 0x1
	s_load_dwordx4 s[40:43], s[4:5], 0x0
	s_load_dword s20, s[4:5], 0x20
	s_waitcnt lgkmcnt(0)
	s_lshl_b64 s[8:9], s[18:19], 3
	v_lshrrev_b32_e32 v2, 2, v0
	s_add_u32 s8, s10, s8
	s_addc_u32 s9, s11, s9
	v_and_b32_e32 v88, 3, v0
	s_load_dwordx2 s[12:13], s[8:9], 0x0
	v_add_nc_u32_e32 v78, v2, v1
	v_mov_b32_e32 v4, 0
	v_mov_b32_e32 v6, 0
	v_lshlrev_b32_e32 v80, 3, v88
	v_mov_b32_e32 v5, 0
	buffer_store_dword v6, off, s[0:3], 0 offset:4
	buffer_store_dword v6, off, s[0:3], 0
	buffer_store_dword v6, off, s[0:3], 0 offset:12
	buffer_store_dword v6, off, s[0:3], 0 offset:8
	buffer_store_dword v6, off, s[0:3], 0 offset:20
	buffer_store_dword v6, off, s[0:3], 0 offset:16
	buffer_store_dword v6, off, s[0:3], 0 offset:28
	buffer_store_dword v6, off, s[0:3], 0 offset:24
	buffer_store_dword v6, off, s[0:3], 0 offset:36
	buffer_store_dword v6, off, s[0:3], 0 offset:32
	buffer_store_dword v6, off, s[0:3], 0 offset:44
	buffer_store_dword v6, off, s[0:3], 0 offset:40
	buffer_store_dword v6, off, s[0:3], 0 offset:52
	buffer_store_dword v6, off, s[0:3], 0 offset:48
	s_add_i32 s7, s40, -1
	v_cmp_le_i32_e32 vcc_lo, s42, v88
	s_ashr_i32 s8, s7, 31
	buffer_store_dword v6, off, s[0:3], 0 offset:60
	s_lshr_b32 s8, s8, 25
	buffer_store_dword v6, off, s[0:3], 0 offset:56
	s_add_i32 s7, s7, s8
	buffer_store_dword v6, off, s[0:3], 0 offset:68
	buffer_store_dword v6, off, s[0:3], 0 offset:64
	;; [unrolled: 1-line block ×4, first 2 shown]
	s_ashr_i32 s7, s7, 7
	buffer_store_dword v6, off, s[0:3], 0 offset:84
	buffer_store_dword v6, off, s[0:3], 0 offset:80
	;; [unrolled: 1-line block ×9, first 2 shown]
	s_add_i32 s8, s7, 1
	s_not_b32 s7, s7
	v_cvt_f32_u32_e32 v2, s8
	buffer_store_dword v6, off, s[0:3], 0 offset:112
	buffer_store_dword v6, off, s[0:3], 0 offset:124
	;; [unrolled: 1-line block ×11, first 2 shown]
	v_rcp_iflag_f32_e32 v2, v2
	buffer_store_dword v6, off, s[0:3], 0 offset:164
	buffer_store_dword v6, off, s[0:3], 0 offset:160
	;; [unrolled: 1-line block ×9, first 2 shown]
	v_mul_f32_e32 v2, 0x4f7ffffe, v2
	buffer_store_dword v6, off, s[0:3], 0 offset:192
	buffer_store_dword v6, off, s[0:3], 0 offset:204
	;; [unrolled: 1-line block ×78, first 2 shown]
	v_cvt_u32_f32_e32 v2, v2
	buffer_store_dword v6, off, s[0:3], 0 offset:504
	v_readfirstlane_b32 s9, v2
	v_mov_b32_e32 v2, 0
	v_mov_b32_e32 v3, 0
	s_mul_i32 s7, s7, s9
	s_mul_hi_u32 s7, s9, s7
	s_add_i32 s9, s9, s7
	s_mul_hi_u32 s7, s6, s9
	s_mul_i32 s9, s7, s8
	s_add_i32 s10, s7, 1
	s_sub_i32 s9, s6, s9
	s_sub_i32 s11, s9, s8
	s_cmp_ge_u32 s9, s8
	s_cselect_b32 s7, s10, s7
	s_cselect_b32 s9, s11, s9
	s_add_i32 s10, s7, 1
	s_cmp_ge_u32 s9, s8
	s_cselect_b32 s9, s10, s7
	s_mul_i32 s7, s9, s8
	s_sub_i32 s6, s6, s7
	v_add_co_u32 v10, s7, s16, v80
	s_lshl_b32 s11, s6, 7
	v_add_co_ci_u32_e64 v11, null, s17, 0, s7
	v_add_nc_u32_e32 v79, s11, v78
	v_cmp_le_i32_e64 s6, s40, v79
	s_nor_b32 s7, vcc_lo, s6
	s_and_saveexec_b32 s8, s7
	s_cbranch_execz .LBB139_10
; %bb.9:
	v_mad_i64_i32 v[4:5], null, v79, s20, 0
	v_lshlrev_b64 v[4:5], 3, v[4:5]
	v_add_co_u32 v4, s7, v10, v4
	v_add_co_ci_u32_e64 v5, null, v11, v5, s7
	flat_load_dwordx2 v[4:5], v[4:5]
.LBB139_10:
	s_or_b32 exec_lo, exec_lo, s8
	v_add_nc_u32_e32 v81, 64, v79
	v_cmp_le_i32_e64 s7, s40, v81
	s_nor_b32 s8, vcc_lo, s7
	s_and_saveexec_b32 s10, s8
	s_cbranch_execz .LBB139_12
; %bb.11:
	v_mad_i64_i32 v[2:3], null, v81, s20, 0
	v_lshlrev_b64 v[2:3], 3, v[2:3]
	v_add_co_u32 v2, s8, v10, v2
	v_add_co_ci_u32_e64 v3, null, v11, v3, s8
	flat_load_dwordx2 v[2:3], v[2:3]
.LBB139_12:
	s_or_b32 exec_lo, exec_lo, s10
	s_load_dword s21, s[4:5], 0x38
	s_lshl_b32 s18, s9, 7
	v_add_co_u32 v18, s9, s14, v80
	v_add_nc_u32_e32 v82, s18, v78
	v_mov_b32_e32 v14, 0
	v_mov_b32_e32 v16, 0
	;; [unrolled: 1-line block ×4, first 2 shown]
	v_cmp_le_i32_e64 s8, s41, v82
	v_add_co_ci_u32_e64 v19, null, s15, 0, s9
	s_nor_b32 s9, vcc_lo, s8
	s_and_saveexec_b32 s10, s9
	s_cbranch_execz .LBB139_14
; %bb.13:
	s_waitcnt lgkmcnt(0)
	v_mad_i64_i32 v[6:7], null, v82, s21, 0
	v_lshlrev_b64 v[6:7], 3, v[6:7]
	v_add_co_u32 v6, s9, v18, v6
	v_add_co_ci_u32_e64 v7, null, v19, v7, s9
	flat_load_dwordx2 v[16:17], v[6:7]
.LBB139_14:
	s_or_b32 exec_lo, exec_lo, s10
	v_add_nc_u32_e32 v83, 64, v82
	v_cmp_le_i32_e64 s9, s41, v83
	s_nor_b32 s19, vcc_lo, s9
	s_and_saveexec_b32 s10, s19
	s_cbranch_execz .LBB139_16
; %bb.15:
	s_waitcnt lgkmcnt(0)
	v_mad_i64_i32 v[6:7], null, v83, s21, 0
	v_lshlrev_b64 v[6:7], 3, v[6:7]
	v_add_co_u32 v6, vcc_lo, v18, v6
	v_add_co_ci_u32_e64 v7, null, v19, v7, vcc_lo
	flat_load_dwordx2 v[14:15], v[6:7]
.LBB139_16:
	s_or_b32 exec_lo, exec_lo, s10
	v_or_b32_e32 v6, 4, v88
	v_mov_b32_e32 v8, 0
	v_mov_b32_e32 v9, 0
	v_cmp_le_i32_e32 vcc_lo, s42, v6
	v_mov_b32_e32 v6, 0
	v_mov_b32_e32 v7, 0
	s_nor_b32 s10, vcc_lo, s6
	s_and_saveexec_b32 s19, s10
	s_cbranch_execz .LBB139_18
; %bb.17:
	v_mad_i64_i32 v[8:9], null, v79, s20, 0
	v_lshlrev_b64 v[8:9], 3, v[8:9]
	v_add_co_u32 v8, s10, v10, v8
	v_add_co_ci_u32_e64 v9, null, v11, v9, s10
	flat_load_dwordx2 v[8:9], v[8:9] offset:32
.LBB139_18:
	s_or_b32 exec_lo, exec_lo, s19
	s_nor_b32 s10, vcc_lo, s7
	s_and_saveexec_b32 s19, s10
	s_cbranch_execz .LBB139_20
; %bb.19:
	v_mad_i64_i32 v[6:7], null, v81, s20, 0
	v_lshlrev_b64 v[6:7], 3, v[6:7]
	v_add_co_u32 v6, s10, v10, v6
	v_add_co_ci_u32_e64 v7, null, v11, v7, s10
	flat_load_dwordx2 v[6:7], v[6:7] offset:32
.LBB139_20:
	s_or_b32 exec_lo, exec_lo, s19
	v_mov_b32_e32 v10, 0
	v_mov_b32_e32 v12, 0
	;; [unrolled: 1-line block ×4, first 2 shown]
	s_nor_b32 s10, vcc_lo, s8
	s_and_saveexec_b32 s19, s10
	s_cbranch_execz .LBB139_22
; %bb.21:
	s_waitcnt lgkmcnt(0)
	v_mad_i64_i32 v[12:13], null, v82, s21, 0
	v_lshlrev_b64 v[12:13], 3, v[12:13]
	v_add_co_u32 v12, s10, v18, v12
	v_add_co_ci_u32_e64 v13, null, v19, v13, s10
	flat_load_dwordx2 v[12:13], v[12:13] offset:32
.LBB139_22:
	s_or_b32 exec_lo, exec_lo, s19
	s_nor_b32 s19, vcc_lo, s9
	s_and_saveexec_b32 s10, s19
	s_cbranch_execz .LBB139_24
; %bb.23:
	s_waitcnt lgkmcnt(0)
	v_mad_i64_i32 v[10:11], null, v83, s21, 0
	v_lshlrev_b64 v[10:11], 3, v[10:11]
	v_add_co_u32 v10, vcc_lo, v18, v10
	v_add_co_ci_u32_e64 v11, null, v19, v11, vcc_lo
	flat_load_dwordx2 v[10:11], v[10:11] offset:32
.LBB139_24:
	s_or_b32 exec_lo, exec_lo, s10
	v_lshlrev_b32_e32 v18, 5, v78
	v_lshlrev_b32_e32 v90, 5, v0
	v_lshl_or_b32 v92, v1, 5, 0x2000
	s_mov_b32 s19, 0
	s_mov_b32 s10, 0
	v_lshl_or_b32 v89, v88, 3, v18
	s_addk_i32 s19, 0x100
	v_add_nc_u32_e32 v91, 0x2000, v89
	s_waitcnt vmcnt(0) lgkmcnt(0)
	ds_write2st64_b64 v89, v[4:5], v[2:3] offset1:4
	ds_write2st64_b64 v89, v[16:17], v[14:15] offset0:16 offset1:20
	s_waitcnt lgkmcnt(0)
	s_waitcnt_vscnt null, 0x0
	s_barrier
	buffer_gl0_inv
.LBB139_25:                             ; =>This Loop Header: Depth=1
                                        ;     Child Loop BB139_26 Depth 2
	s_lshl_b32 s22, s10, 3
	s_mov_b32 s23, 0
	v_add_nc_u32_e32 v14, s22, v90
	v_add_nc_u32_e32 v84, s22, v92
	s_mov_b32 s22, -1
	ds_read2_b64 v[2:5], v14 offset1:16
	ds_read2_b64 v[18:21], v14 offset0:32 offset1:48
	ds_read2_b64 v[22:25], v14 offset0:64 offset1:80
	;; [unrolled: 1-line block ×4, first 2 shown]
	v_add_nc_u32_e32 v74, 0x800, v14
	ds_read2_b64 v[34:37], v14 offset0:160 offset1:176
	ds_read2_b64 v[38:41], v14 offset0:192 offset1:208
	ds_read2_b64 v[42:45], v14 offset0:224 offset1:240
	ds_read2_b64 v[46:49], v74 offset1:16
	ds_read2_b64 v[50:53], v74 offset0:32 offset1:48
	ds_read2_b64 v[54:57], v74 offset0:64 offset1:80
	;; [unrolled: 1-line block ×6, first 2 shown]
	s_waitcnt lgkmcnt(9)
	v_max_f64 v[34:35], v[34:35], v[34:35]
	v_max_f64 v[36:37], v[36:37], v[36:37]
	;; [unrolled: 1-line block ×4, first 2 shown]
	ds_read2_b64 v[2:5], v74 offset0:224 offset1:240
	v_max_f64 v[18:19], v[18:19], v[18:19]
	v_max_f64 v[20:21], v[20:21], v[20:21]
	;; [unrolled: 1-line block ×8, first 2 shown]
	s_waitcnt lgkmcnt(9)
	v_max_f64 v[38:39], v[38:39], v[38:39]
	v_max_f64 v[40:41], v[40:41], v[40:41]
	s_waitcnt lgkmcnt(8)
	v_max_f64 v[42:43], v[42:43], v[42:43]
	v_max_f64 v[44:45], v[44:45], v[44:45]
	s_waitcnt lgkmcnt(7)
	v_max_f64 v[46:47], v[46:47], v[46:47]
	v_max_f64 v[48:49], v[48:49], v[48:49]
	s_waitcnt lgkmcnt(6)
	v_max_f64 v[50:51], v[50:51], v[50:51]
	v_max_f64 v[52:53], v[52:53], v[52:53]
	s_waitcnt lgkmcnt(5)
	v_max_f64 v[54:55], v[54:55], v[54:55]
	v_max_f64 v[56:57], v[56:57], v[56:57]
	s_waitcnt lgkmcnt(4)
	v_max_f64 v[58:59], v[58:59], v[58:59]
	v_max_f64 v[60:61], v[60:61], v[60:61]
	s_waitcnt lgkmcnt(3)
	v_max_f64 v[62:63], v[62:63], v[62:63]
	v_max_f64 v[64:65], v[64:65], v[64:65]
	s_waitcnt lgkmcnt(2)
	v_max_f64 v[66:67], v[66:67], v[66:67]
	v_max_f64 v[68:69], v[68:69], v[68:69]
	s_waitcnt lgkmcnt(1)
	v_max_f64 v[70:71], v[70:71], v[70:71]
	v_max_f64 v[72:73], v[72:73], v[72:73]
	s_waitcnt lgkmcnt(0)
	v_max_f64 v[74:75], v[2:3], v[2:3]
	v_max_f64 v[76:77], v[4:5], v[4:5]
	ds_read2st64_b64 v[2:5], v84 offset1:4
.LBB139_26:                             ;   Parent Loop BB139_25 Depth=1
                                        ; =>  This Inner Loop Header: Depth=2
	v_mov_b32_e32 v217, s23
	s_waitcnt lgkmcnt(0)
	v_max_f64 v[153:154], v[2:3], v[2:3]
	v_mov_b32_e32 v2, v4
	v_mov_b32_e32 v3, v5
	s_and_b32 vcc_lo, exec_lo, s22
	s_clause 0x3e
	buffer_load_dword v84, v217, s[0:3], 0 offen
	buffer_load_dword v85, v217, s[0:3], 0 offen offset:4
	buffer_load_dword v86, v217, s[0:3], 0 offen offset:8
	;; [unrolled: 1-line block ×63, first 2 shown]
	s_mov_b32 s22, 0
	s_mov_b32 s23, s19
	v_min_f64 v[155:156], v[14:15], v[153:154]
	v_min_f64 v[157:158], v[16:17], v[153:154]
	;; [unrolled: 1-line block ×32, first 2 shown]
	s_waitcnt vmcnt(62)
	v_add_f64 v[84:85], v[155:156], v[84:85]
	s_waitcnt vmcnt(60)
	v_add_f64 v[86:87], v[157:158], v[86:87]
	;; [unrolled: 2-line block ×32, first 2 shown]
	buffer_store_dword v84, v217, s[0:3], 0 offen
	buffer_store_dword v85, v217, s[0:3], 0 offen offset:4
	buffer_store_dword v86, v217, s[0:3], 0 offen offset:8
	;; [unrolled: 1-line block ×63, first 2 shown]
	s_cbranch_vccnz .LBB139_26
; %bb.27:                               ;   in Loop: Header=BB139_25 Depth=1
	s_add_i32 s10, s10, 1
	s_cmp_eq_u32 s10, 4
	s_cbranch_scc0 .LBB139_25
; %bb.28:
	v_lshl_or_b32 v2, v78, 5, v80
	v_lshl_add_u32 v93, v0, 5, 0x1000
	v_lshl_add_u32 v94, v1, 5, 0x3000
	s_cmp_lt_i32 s42, 9
	ds_write2st64_b64 v2, v[8:9], v[6:7] offset0:8 offset1:12
	ds_write2st64_b64 v2, v[12:13], v[10:11] offset0:24 offset1:28
	s_waitcnt lgkmcnt(0)
	s_waitcnt_vscnt null, 0x0
	s_barrier
	buffer_gl0_inv
	s_cbranch_scc1 .LBB139_55
; %bb.29:
	v_mad_i64_i32 v[3:4], null, v79, s20, 0
	v_mad_i64_i32 v[5:6], null, v81, s20, 0
	;; [unrolled: 1-line block ×4, first 2 shown]
	v_lshlrev_b64 v[70:71], 3, v[3:4]
	v_add_nc_u32_e32 v95, 0x1000, v2
	v_lshlrev_b64 v[72:73], 3, v[5:6]
	v_add_nc_u32_e32 v96, 0x3000, v2
	v_lshlrev_b64 v[74:75], 3, v[7:8]
	v_mov_b32_e32 v79, 0
	v_lshlrev_b64 v[76:77], 3, v[9:10]
	s_add_i32 s20, s42, -8
	s_mov_b32 s21, 8
.LBB139_30:                             ; =>This Loop Header: Depth=1
                                        ;     Child Loop BB139_39 Depth 2
                                        ;       Child Loop BB139_40 Depth 3
                                        ;     Child Loop BB139_51 Depth 2
                                        ;       Child Loop BB139_52 Depth 3
	v_or_b32_e32 v78, s21, v88
	v_mov_b32_e32 v6, 0
	v_mov_b32_e32 v8, 0
	;; [unrolled: 1-line block ×4, first 2 shown]
	v_lshlrev_b64 v[2:3], 3, v[78:79]
	v_cmp_le_i32_e32 vcc_lo, s42, v78
	v_add_co_u32 v97, s10, s16, v2
	v_add_co_ci_u32_e64 v98, null, s17, v3, s10
	s_nor_b32 s10, s6, vcc_lo
	s_and_saveexec_b32 s23, s10
	s_cbranch_execz .LBB139_32
; %bb.31:                               ;   in Loop: Header=BB139_30 Depth=1
	v_add_co_u32 v4, s10, v97, v70
	v_add_co_ci_u32_e64 v5, null, v98, v71, s10
	flat_load_dwordx2 v[8:9], v[4:5]
.LBB139_32:                             ;   in Loop: Header=BB139_30 Depth=1
	s_or_b32 exec_lo, exec_lo, s23
	s_nor_b32 s10, s7, vcc_lo
	s_and_saveexec_b32 s23, s10
	s_cbranch_execz .LBB139_34
; %bb.33:                               ;   in Loop: Header=BB139_30 Depth=1
	v_add_co_u32 v4, s10, v97, v72
	v_add_co_ci_u32_e64 v5, null, v98, v73, s10
	flat_load_dwordx2 v[6:7], v[4:5]
.LBB139_34:                             ;   in Loop: Header=BB139_30 Depth=1
	s_or_b32 exec_lo, exec_lo, s23
	v_add_co_u32 v99, s10, s14, v2
	v_mov_b32_e32 v10, 0
	v_mov_b32_e32 v12, 0
	;; [unrolled: 1-line block ×4, first 2 shown]
	v_add_co_ci_u32_e64 v100, null, s15, v3, s10
	s_nor_b32 s10, s8, vcc_lo
	s_and_saveexec_b32 s23, s10
	s_cbranch_execz .LBB139_36
; %bb.35:                               ;   in Loop: Header=BB139_30 Depth=1
	v_add_co_u32 v2, s10, v99, v74
	v_add_co_ci_u32_e64 v3, null, v100, v75, s10
	flat_load_dwordx2 v[12:13], v[2:3]
.LBB139_36:                             ;   in Loop: Header=BB139_30 Depth=1
	s_or_b32 exec_lo, exec_lo, s23
	s_nor_b32 s23, s9, vcc_lo
	s_and_saveexec_b32 s10, s23
	s_cbranch_execz .LBB139_38
; %bb.37:                               ;   in Loop: Header=BB139_30 Depth=1
	v_add_co_u32 v2, vcc_lo, v99, v76
	v_add_co_ci_u32_e64 v3, null, v100, v77, vcc_lo
	flat_load_dwordx2 v[10:11], v[2:3]
.LBB139_38:                             ;   in Loop: Header=BB139_30 Depth=1
	s_or_b32 exec_lo, exec_lo, s10
	s_mov_b32 s10, 0
.LBB139_39:                             ;   Parent Loop BB139_30 Depth=1
                                        ; =>  This Loop Header: Depth=2
                                        ;       Child Loop BB139_40 Depth 3
	s_lshl_b32 s23, s10, 3
	s_mov_b32 s24, 0
	v_add_nc_u32_e32 v14, s23, v93
	v_add_nc_u32_e32 v101, s23, v94
	s_mov_b32 s23, -1
	ds_read2_b64 v[2:5], v14 offset1:16
	ds_read2_b64 v[18:21], v14 offset0:32 offset1:48
	ds_read2_b64 v[22:25], v14 offset0:64 offset1:80
	v_add_nc_u32_e32 v15, 0x800, v14
	ds_read2_b64 v[26:29], v14 offset0:96 offset1:112
	ds_read2_b64 v[30:33], v14 offset0:128 offset1:144
	;; [unrolled: 1-line block ×5, first 2 shown]
	ds_read2_b64 v[46:49], v15 offset1:16
	ds_read2_b64 v[50:53], v15 offset0:32 offset1:48
	ds_read2_b64 v[54:57], v15 offset0:64 offset1:80
	;; [unrolled: 1-line block ×7, first 2 shown]
	s_waitcnt lgkmcnt(11)
	v_max_f64 v[30:31], v[30:31], v[30:31]
	v_max_f64 v[32:33], v[32:33], v[32:33]
	s_waitcnt lgkmcnt(10)
	v_max_f64 v[34:35], v[34:35], v[34:35]
	v_max_f64 v[36:37], v[36:37], v[36:37]
	;; [unrolled: 3-line block ×3, first 2 shown]
	v_max_f64 v[14:15], v[2:3], v[2:3]
	v_max_f64 v[16:17], v[4:5], v[4:5]
	;; [unrolled: 1-line block ×8, first 2 shown]
	s_waitcnt lgkmcnt(8)
	v_max_f64 v[42:43], v[42:43], v[42:43]
	v_max_f64 v[44:45], v[44:45], v[44:45]
	s_waitcnt lgkmcnt(7)
	v_max_f64 v[46:47], v[46:47], v[46:47]
	v_max_f64 v[48:49], v[48:49], v[48:49]
	;; [unrolled: 3-line block ×9, first 2 shown]
	ds_read2st64_b64 v[2:5], v101 offset1:4
.LBB139_40:                             ;   Parent Loop BB139_30 Depth=1
                                        ;     Parent Loop BB139_39 Depth=2
                                        ; =>    This Inner Loop Header: Depth=3
	v_mov_b32_e32 v229, s24
	s_waitcnt lgkmcnt(0)
	v_max_f64 v[165:166], v[2:3], v[2:3]
	v_mov_b32_e32 v2, v4
	v_mov_b32_e32 v3, v5
	s_and_b32 vcc_lo, exec_lo, s23
	s_clause 0x3e
	buffer_load_dword v101, v229, s[0:3], 0 offen
	buffer_load_dword v102, v229, s[0:3], 0 offen offset:4
	buffer_load_dword v103, v229, s[0:3], 0 offen offset:8
	;; [unrolled: 1-line block ×63, first 2 shown]
	s_mov_b32 s23, 0
	s_mov_b32 s24, s19
	v_min_f64 v[167:168], v[14:15], v[165:166]
	v_min_f64 v[169:170], v[16:17], v[165:166]
	;; [unrolled: 1-line block ×32, first 2 shown]
	s_waitcnt vmcnt(62)
	v_add_f64 v[101:102], v[167:168], v[101:102]
	s_waitcnt vmcnt(60)
	v_add_f64 v[103:104], v[169:170], v[103:104]
	;; [unrolled: 2-line block ×32, first 2 shown]
	buffer_store_dword v101, v229, s[0:3], 0 offen
	buffer_store_dword v102, v229, s[0:3], 0 offen offset:4
	buffer_store_dword v103, v229, s[0:3], 0 offen offset:8
	;; [unrolled: 1-line block ×63, first 2 shown]
	s_cbranch_vccnz .LBB139_40
; %bb.41:                               ;   in Loop: Header=BB139_39 Depth=2
	s_add_i32 s10, s10, 1
	s_cmp_eq_u32 s10, 4
	s_cbranch_scc0 .LBB139_39
; %bb.42:                               ;   in Loop: Header=BB139_30 Depth=1
	v_or_b32_e32 v2, 4, v78
	v_mov_b32_e32 v80, 0
	v_mov_b32_e32 v82, 0
	;; [unrolled: 1-line block ×4, first 2 shown]
	v_cmp_le_i32_e32 vcc_lo, s42, v2
	ds_write2st64_b64 v89, v[8:9], v[6:7] offset1:4
	ds_write2st64_b64 v91, v[12:13], v[10:11] offset1:4
	s_waitcnt lgkmcnt(0)
	s_waitcnt_vscnt null, 0x0
	s_barrier
	s_nor_b32 s10, s6, vcc_lo
	buffer_gl0_inv
	s_and_saveexec_b32 s23, s10
	s_cbranch_execz .LBB139_44
; %bb.43:                               ;   in Loop: Header=BB139_30 Depth=1
	v_add_co_u32 v2, s10, v97, v70
	v_add_co_ci_u32_e64 v3, null, v98, v71, s10
	flat_load_dwordx2 v[82:83], v[2:3] offset:32
.LBB139_44:                             ;   in Loop: Header=BB139_30 Depth=1
	s_or_b32 exec_lo, exec_lo, s23
	s_nor_b32 s10, s7, vcc_lo
	s_and_saveexec_b32 s23, s10
	s_cbranch_execz .LBB139_46
; %bb.45:                               ;   in Loop: Header=BB139_30 Depth=1
	v_add_co_u32 v2, s10, v97, v72
	v_add_co_ci_u32_e64 v3, null, v98, v73, s10
	flat_load_dwordx2 v[80:81], v[2:3] offset:32
.LBB139_46:                             ;   in Loop: Header=BB139_30 Depth=1
	s_or_b32 exec_lo, exec_lo, s23
	v_mov_b32_e32 v84, 0
	v_mov_b32_e32 v86, 0
	;; [unrolled: 1-line block ×4, first 2 shown]
	s_nor_b32 s10, s8, vcc_lo
	s_and_saveexec_b32 s23, s10
	s_cbranch_execz .LBB139_48
; %bb.47:                               ;   in Loop: Header=BB139_30 Depth=1
	v_add_co_u32 v2, s10, v99, v74
	v_add_co_ci_u32_e64 v3, null, v100, v75, s10
	flat_load_dwordx2 v[86:87], v[2:3] offset:32
.LBB139_48:                             ;   in Loop: Header=BB139_30 Depth=1
	s_or_b32 exec_lo, exec_lo, s23
	s_nor_b32 s23, s9, vcc_lo
	s_and_saveexec_b32 s10, s23
	s_cbranch_execz .LBB139_50
; %bb.49:                               ;   in Loop: Header=BB139_30 Depth=1
	v_add_co_u32 v2, vcc_lo, v99, v76
	v_add_co_ci_u32_e64 v3, null, v100, v77, vcc_lo
	flat_load_dwordx2 v[84:85], v[2:3] offset:32
.LBB139_50:                             ;   in Loop: Header=BB139_30 Depth=1
	s_or_b32 exec_lo, exec_lo, s10
	s_mov_b32 s10, 0
.LBB139_51:                             ;   Parent Loop BB139_30 Depth=1
                                        ; =>  This Loop Header: Depth=2
                                        ;       Child Loop BB139_52 Depth 3
	s_lshl_b32 s23, s10, 3
	s_mov_b32 s24, 0
	v_add_nc_u32_e32 v30, s23, v90
	v_add_nc_u32_e32 v66, s23, v92
	s_mov_b32 s23, -1
	ds_read2_b64 v[2:5], v30 offset1:16
	ds_read2_b64 v[6:9], v30 offset0:32 offset1:48
	ds_read2_b64 v[10:13], v30 offset0:64 offset1:80
	;; [unrolled: 1-line block ×3, first 2 shown]
	v_add_nc_u32_e32 v62, 0x800, v30
	ds_read2_b64 v[18:21], v30 offset0:128 offset1:144
	ds_read2_b64 v[22:25], v30 offset0:160 offset1:176
	;; [unrolled: 1-line block ×4, first 2 shown]
	ds_read2_b64 v[34:37], v62 offset1:16
	ds_read2_b64 v[38:41], v62 offset0:32 offset1:48
	ds_read2_b64 v[42:45], v62 offset0:64 offset1:80
	;; [unrolled: 1-line block ×7, first 2 shown]
	ds_read2st64_b64 v[66:69], v66 offset1:4
.LBB139_52:                             ;   Parent Loop BB139_30 Depth=1
                                        ;     Parent Loop BB139_51 Depth=2
                                        ; =>    This Inner Loop Header: Depth=3
	v_mov_b32_e32 v78, s24
	s_waitcnt lgkmcnt(16)
	v_max_f64 v[161:162], v[2:3], v[2:3]
	s_waitcnt lgkmcnt(0)
	v_max_f64 v[163:164], v[66:67], v[66:67]
	v_max_f64 v[165:166], v[4:5], v[4:5]
	;; [unrolled: 1-line block ×3, first 2 shown]
	s_clause 0x3e
	buffer_load_dword v97, v78, s[0:3], 0 offen
	buffer_load_dword v98, v78, s[0:3], 0 offen offset:4
	buffer_load_dword v99, v78, s[0:3], 0 offen offset:8
	;; [unrolled: 1-line block ×63, first 2 shown]
	v_max_f64 v[169:170], v[8:9], v[8:9]
	v_max_f64 v[171:172], v[10:11], v[10:11]
	;; [unrolled: 1-line block ×29, first 2 shown]
	v_min_f64 v[161:162], v[161:162], v[163:164]
	v_min_f64 v[165:166], v[165:166], v[163:164]
	;; [unrolled: 1-line block ×32, first 2 shown]
	v_mov_b32_e32 v66, v68
	v_mov_b32_e32 v67, v69
	s_and_b32 vcc_lo, exec_lo, s23
	s_mov_b32 s23, 0
	s_mov_b32 s24, s19
	s_waitcnt vmcnt(62)
	v_add_f64 v[97:98], v[161:162], v[97:98]
	s_waitcnt vmcnt(60)
	v_add_f64 v[99:100], v[165:166], v[99:100]
	;; [unrolled: 2-line block ×32, first 2 shown]
	buffer_store_dword v97, v78, s[0:3], 0 offen
	buffer_store_dword v98, v78, s[0:3], 0 offen offset:4
	buffer_store_dword v99, v78, s[0:3], 0 offen offset:8
	;; [unrolled: 1-line block ×63, first 2 shown]
	s_cbranch_vccnz .LBB139_52
; %bb.53:                               ;   in Loop: Header=BB139_51 Depth=2
	s_add_i32 s10, s10, 1
	s_cmp_eq_u32 s10, 4
	s_cbranch_scc0 .LBB139_51
; %bb.54:                               ;   in Loop: Header=BB139_30 Depth=1
	s_add_i32 s22, s22, 8
	s_add_i32 s21, s21, 8
	s_cmp_ge_i32 s22, s20
	ds_write2st64_b64 v95, v[82:83], v[80:81] offset1:4
	ds_write2st64_b64 v96, v[86:87], v[84:85] offset1:4
	s_waitcnt lgkmcnt(0)
	s_waitcnt_vscnt null, 0x0
	s_barrier
	buffer_gl0_inv
	s_cbranch_scc0 .LBB139_30
.LBB139_55:
	s_mov_b32 s6, 0
.LBB139_56:                             ; =>This Loop Header: Depth=1
                                        ;     Child Loop BB139_57 Depth 2
	s_lshl_b32 s7, s6, 3
	s_mov_b32 s8, 0
	v_add_nc_u32_e32 v6, s7, v93
	v_add_nc_u32_e32 v70, s7, v94
	s_mov_b32 s7, -1
	ds_read2_b64 v[2:5], v6 offset1:16
	ds_read2_b64 v[10:13], v6 offset0:32 offset1:48
	ds_read2_b64 v[14:17], v6 offset0:64 offset1:80
	v_add_nc_u32_e32 v7, 0x800, v6
	ds_read2_b64 v[18:21], v6 offset0:96 offset1:112
	ds_read2_b64 v[22:25], v6 offset0:128 offset1:144
	;; [unrolled: 1-line block ×5, first 2 shown]
	ds_read2_b64 v[38:41], v7 offset1:16
	ds_read2_b64 v[42:45], v7 offset0:32 offset1:48
	ds_read2_b64 v[46:49], v7 offset0:64 offset1:80
	;; [unrolled: 1-line block ×7, first 2 shown]
	s_waitcnt lgkmcnt(11)
	v_max_f64 v[22:23], v[22:23], v[22:23]
	v_max_f64 v[24:25], v[24:25], v[24:25]
	s_waitcnt lgkmcnt(10)
	v_max_f64 v[26:27], v[26:27], v[26:27]
	v_max_f64 v[28:29], v[28:29], v[28:29]
	;; [unrolled: 3-line block ×3, first 2 shown]
	v_max_f64 v[6:7], v[2:3], v[2:3]
	v_max_f64 v[8:9], v[4:5], v[4:5]
	;; [unrolled: 1-line block ×8, first 2 shown]
	s_waitcnt lgkmcnt(8)
	v_max_f64 v[34:35], v[34:35], v[34:35]
	v_max_f64 v[36:37], v[36:37], v[36:37]
	s_waitcnt lgkmcnt(7)
	v_max_f64 v[38:39], v[38:39], v[38:39]
	v_max_f64 v[40:41], v[40:41], v[40:41]
	;; [unrolled: 3-line block ×9, first 2 shown]
	ds_read2st64_b64 v[2:5], v70 offset1:4
.LBB139_57:                             ;   Parent Loop BB139_56 Depth=1
                                        ; =>  This Inner Loop Header: Depth=2
	v_mov_b32_e32 v92, s8
	s_waitcnt lgkmcnt(0)
	v_max_f64 v[137:138], v[2:3], v[2:3]
	v_mov_b32_e32 v2, v4
	v_mov_b32_e32 v3, v5
	s_and_b32 vcc_lo, exec_lo, s7
	s_clause 0x3e
	buffer_load_dword v70, v92, s[0:3], 0 offen
	buffer_load_dword v71, v92, s[0:3], 0 offen offset:4
	buffer_load_dword v72, v92, s[0:3], 0 offen offset:8
	;; [unrolled: 1-line block ×63, first 2 shown]
	s_mov_b32 s7, 0
	s_mov_b32 s8, s19
	v_min_f64 v[139:140], v[6:7], v[137:138]
	v_min_f64 v[141:142], v[8:9], v[137:138]
	;; [unrolled: 1-line block ×32, first 2 shown]
	s_waitcnt vmcnt(62)
	v_add_f64 v[70:71], v[139:140], v[70:71]
	s_waitcnt vmcnt(60)
	v_add_f64 v[72:73], v[141:142], v[72:73]
	;; [unrolled: 2-line block ×32, first 2 shown]
	buffer_store_dword v70, v92, s[0:3], 0 offen
	buffer_store_dword v71, v92, s[0:3], 0 offen offset:4
	buffer_store_dword v72, v92, s[0:3], 0 offen offset:8
	;; [unrolled: 1-line block ×63, first 2 shown]
	s_cbranch_vccnz .LBB139_57
; %bb.58:                               ;   in Loop: Header=BB139_56 Depth=1
	s_add_i32 s6, s6, 1
	s_cmp_eq_u32 s6, 4
	s_cbranch_scc0 .LBB139_56
; %bb.59:
	s_clause 0x2
	s_load_dword s43, s[4:5], 0x58
	s_load_dword s42, s[4:5], 0x70
	s_load_dwordx2 s[6:7], s[4:5], 0x78
	v_add_nc_u32_e32 v71, s18, v1
	v_add_nc_u32_e32 v0, s11, v0
	v_cndmask_b32_e64 v70, 0, 1, s46
	v_cmp_gt_i32_e64 s16, s41, v71
	v_cmp_gt_i32_e64 s4, s40, v0
	s_waitcnt lgkmcnt(0)
	v_mad_i64_i32 v[1:2], null, v71, s43, 0
	v_mad_i64_i32 v[3:4], null, v71, s42, 0
	s_lshl_b64 s[6:7], s[6:7], 3
	s_add_u32 s47, s12, s6
	s_addc_u32 s48, s13, s7
	v_lshlrev_b64 v[5:6], 3, v[1:2]
	v_ashrrev_i32_e32 v1, 31, v0
	v_lshlrev_b64 v[2:3], 3, v[3:4]
	s_and_b32 s6, s16, s4
	v_add_co_u32 v68, vcc_lo, s44, v5
	v_add_co_ci_u32_e64 v69, null, s45, v6, vcc_lo
	v_add_co_u32 v72, vcc_lo, s47, v2
	v_add_co_ci_u32_e64 v73, null, s48, v3, vcc_lo
	s_and_saveexec_b32 s5, s6
	s_cbranch_execz .LBB139_64
; %bb.60:
	s_clause 0x1
	buffer_load_dword v2, off, s[0:3], 0
	buffer_load_dword v3, off, s[0:3], 0 offset:4
	v_lshlrev_b64 v[4:5], 3, v[0:1]
	s_andn2_b32 vcc_lo, exec_lo, s46
	s_cbranch_vccnz .LBB139_62
; %bb.61:
	v_add_co_u32 v6, vcc_lo, v68, v4
	v_add_co_ci_u32_e64 v7, null, v69, v5, vcc_lo
	flat_load_dwordx2 v[6:7], v[6:7]
	s_waitcnt vmcnt(0) lgkmcnt(0)
	v_mul_f64 v[6:7], s[38:39], v[6:7]
	s_branch .LBB139_63
.LBB139_62:
	v_mov_b32_e32 v6, 0
	v_mov_b32_e32 v7, 0
.LBB139_63:
	s_waitcnt vmcnt(0)
	v_add_f64 v[2:3], v[2:3], v[6:7]
	v_add_co_u32 v4, vcc_lo, v72, v4
	v_add_co_ci_u32_e64 v5, null, v73, v5, vcc_lo
	flat_store_dwordx2 v[4:5], v[2:3]
.LBB139_64:
	s_or_b32 exec_lo, exec_lo, s5
	v_add_nc_u32_e32 v2, 4, v0
	v_cmp_gt_i32_e64 s5, s40, v2
	v_ashrrev_i32_e32 v3, 31, v2
	s_and_b32 s7, s16, s5
	s_and_saveexec_b32 s6, s7
	s_cbranch_execz .LBB139_69
; %bb.65:
	s_clause 0x1
	buffer_load_dword v4, off, s[0:3], 0 offset:8
	buffer_load_dword v5, off, s[0:3], 0 offset:12
	v_lshlrev_b64 v[6:7], 3, v[2:3]
	s_andn2_b32 vcc_lo, exec_lo, s46
	s_cbranch_vccnz .LBB139_67
; %bb.66:
	v_add_co_u32 v8, vcc_lo, v68, v6
	v_add_co_ci_u32_e64 v9, null, v69, v7, vcc_lo
	flat_load_dwordx2 v[8:9], v[8:9]
	s_waitcnt vmcnt(0) lgkmcnt(0)
	v_mul_f64 v[8:9], s[38:39], v[8:9]
	s_branch .LBB139_68
.LBB139_67:
	v_mov_b32_e32 v8, 0
	v_mov_b32_e32 v9, 0
.LBB139_68:
	s_waitcnt vmcnt(0)
	v_add_f64 v[4:5], v[4:5], v[8:9]
	v_add_co_u32 v6, vcc_lo, v72, v6
	v_add_co_ci_u32_e64 v7, null, v73, v7, vcc_lo
	flat_store_dwordx2 v[6:7], v[4:5]
.LBB139_69:
	s_or_b32 exec_lo, exec_lo, s6
	v_add_nc_u32_e32 v4, 8, v0
	v_cmp_gt_i32_e64 s6, s40, v4
	v_ashrrev_i32_e32 v5, 31, v4
	s_and_b32 s8, s16, s6
	s_and_saveexec_b32 s7, s8
	s_cbranch_execz .LBB139_74
; %bb.70:
	s_clause 0x1
	buffer_load_dword v6, off, s[0:3], 0 offset:16
	buffer_load_dword v7, off, s[0:3], 0 offset:20
	v_lshlrev_b64 v[8:9], 3, v[4:5]
	s_andn2_b32 vcc_lo, exec_lo, s46
	s_cbranch_vccnz .LBB139_72
; %bb.71:
	v_add_co_u32 v10, vcc_lo, v68, v8
	v_add_co_ci_u32_e64 v11, null, v69, v9, vcc_lo
	flat_load_dwordx2 v[10:11], v[10:11]
	s_waitcnt vmcnt(0) lgkmcnt(0)
	v_mul_f64 v[10:11], s[38:39], v[10:11]
	s_branch .LBB139_73
.LBB139_72:
	v_mov_b32_e32 v10, 0
	v_mov_b32_e32 v11, 0
.LBB139_73:
	s_waitcnt vmcnt(0)
	v_add_f64 v[6:7], v[6:7], v[10:11]
	v_add_co_u32 v8, vcc_lo, v72, v8
	v_add_co_ci_u32_e64 v9, null, v73, v9, vcc_lo
	flat_store_dwordx2 v[8:9], v[6:7]
.LBB139_74:
	;; [unrolled: 31-line block ×31, first 2 shown]
	s_or_b32 exec_lo, exec_lo, s16
	v_add_nc_u32_e32 v68, 64, v71
	v_mad_i64_i32 v[64:65], null, v68, s43, 0
	v_mad_i64_i32 v[66:67], null, v68, s42, 0
	v_cmp_gt_i32_e64 s16, s41, v68
	v_lshlrev_b64 v[64:65], 3, v[64:65]
	s_and_b32 s4, s16, s4
	v_lshlrev_b64 v[66:67], 3, v[66:67]
	v_add_co_u32 v71, vcc_lo, s44, v64
	v_add_co_ci_u32_e64 v72, null, s45, v65, vcc_lo
	v_add_co_u32 v68, vcc_lo, s47, v66
	v_add_co_ci_u32_e64 v69, null, s48, v67, vcc_lo
	s_and_saveexec_b32 s40, s4
	s_xor_b32 s4, exec_lo, s40
	s_cbranch_execnz .LBB139_252
; %bb.220:
	s_or_b32 exec_lo, exec_lo, s4
	s_and_b32 s5, s16, s5
	s_and_saveexec_b32 s4, s5
	s_cbranch_execnz .LBB139_256
.LBB139_221:
	s_or_b32 exec_lo, exec_lo, s4
	s_and_b32 s5, s16, s6
	s_and_saveexec_b32 s4, s5
	s_cbranch_execnz .LBB139_260
.LBB139_222:
	s_or_b32 exec_lo, exec_lo, s4
	s_and_b32 s5, s16, s7
	s_and_saveexec_b32 s4, s5
	s_cbranch_execnz .LBB139_264
.LBB139_223:
	s_or_b32 exec_lo, exec_lo, s4
	s_and_b32 s5, s16, s8
	s_and_saveexec_b32 s4, s5
	s_cbranch_execnz .LBB139_268
.LBB139_224:
	s_or_b32 exec_lo, exec_lo, s4
	s_and_b32 s5, s16, s9
	s_and_saveexec_b32 s4, s5
	s_cbranch_execnz .LBB139_272
.LBB139_225:
	s_or_b32 exec_lo, exec_lo, s4
	s_and_b32 s5, s16, s10
	s_and_saveexec_b32 s4, s5
	s_cbranch_execnz .LBB139_276
.LBB139_226:
	s_or_b32 exec_lo, exec_lo, s4
	s_and_b32 s5, s16, s11
	s_and_saveexec_b32 s4, s5
	s_cbranch_execnz .LBB139_280
.LBB139_227:
	s_or_b32 exec_lo, exec_lo, s4
	s_and_b32 s5, s16, s12
	s_and_saveexec_b32 s4, s5
	s_cbranch_execnz .LBB139_284
.LBB139_228:
	s_or_b32 exec_lo, exec_lo, s4
	s_and_b32 s5, s16, s13
	s_and_saveexec_b32 s4, s5
	s_cbranch_execnz .LBB139_288
.LBB139_229:
	s_or_b32 exec_lo, exec_lo, s4
	s_and_b32 s5, s16, s14
	s_and_saveexec_b32 s4, s5
	s_cbranch_execnz .LBB139_292
.LBB139_230:
	s_or_b32 exec_lo, exec_lo, s4
	s_and_b32 s5, s16, s15
	s_and_saveexec_b32 s4, s5
	s_cbranch_execnz .LBB139_296
.LBB139_231:
	s_or_b32 exec_lo, exec_lo, s4
	s_and_b32 s5, s16, s17
	s_and_saveexec_b32 s4, s5
	s_cbranch_execnz .LBB139_300
.LBB139_232:
	s_or_b32 exec_lo, exec_lo, s4
	s_and_b32 s5, s16, s18
	s_and_saveexec_b32 s4, s5
	s_cbranch_execnz .LBB139_304
.LBB139_233:
	s_or_b32 exec_lo, exec_lo, s4
	s_and_b32 s5, s16, s19
	s_and_saveexec_b32 s4, s5
	s_cbranch_execnz .LBB139_308
.LBB139_234:
	s_or_b32 exec_lo, exec_lo, s4
	s_and_b32 s5, s16, s20
	s_and_saveexec_b32 s4, s5
	s_cbranch_execnz .LBB139_312
.LBB139_235:
	s_or_b32 exec_lo, exec_lo, s4
	s_and_b32 s5, s16, s21
	s_and_saveexec_b32 s4, s5
	s_cbranch_execnz .LBB139_316
.LBB139_236:
	s_or_b32 exec_lo, exec_lo, s4
	s_and_b32 s5, s16, s22
	s_and_saveexec_b32 s4, s5
	s_cbranch_execnz .LBB139_320
.LBB139_237:
	s_or_b32 exec_lo, exec_lo, s4
	s_and_b32 s5, s16, s23
	s_and_saveexec_b32 s4, s5
	s_cbranch_execnz .LBB139_324
.LBB139_238:
	s_or_b32 exec_lo, exec_lo, s4
	s_and_b32 s5, s16, s24
	s_and_saveexec_b32 s4, s5
	s_cbranch_execnz .LBB139_328
.LBB139_239:
	s_or_b32 exec_lo, exec_lo, s4
	s_and_b32 s5, s16, s25
	s_and_saveexec_b32 s4, s5
	s_cbranch_execnz .LBB139_332
.LBB139_240:
	s_or_b32 exec_lo, exec_lo, s4
	s_and_b32 s5, s16, s26
	s_and_saveexec_b32 s4, s5
	s_cbranch_execnz .LBB139_336
.LBB139_241:
	s_or_b32 exec_lo, exec_lo, s4
	s_and_b32 s5, s16, s27
	s_and_saveexec_b32 s4, s5
	s_cbranch_execnz .LBB139_340
.LBB139_242:
	s_or_b32 exec_lo, exec_lo, s4
	s_and_b32 s5, s16, s28
	s_and_saveexec_b32 s4, s5
	s_cbranch_execnz .LBB139_344
.LBB139_243:
	s_or_b32 exec_lo, exec_lo, s4
	s_and_b32 s5, s16, s29
	s_and_saveexec_b32 s4, s5
	s_cbranch_execnz .LBB139_348
.LBB139_244:
	s_or_b32 exec_lo, exec_lo, s4
	s_and_b32 s5, s16, s30
	s_and_saveexec_b32 s4, s5
	s_cbranch_execnz .LBB139_352
.LBB139_245:
	s_or_b32 exec_lo, exec_lo, s4
	s_and_b32 s5, s16, s31
	s_and_saveexec_b32 s4, s5
	s_cbranch_execnz .LBB139_356
.LBB139_246:
	s_or_b32 exec_lo, exec_lo, s4
	s_and_b32 s5, s16, s33
	s_and_saveexec_b32 s4, s5
	s_cbranch_execnz .LBB139_360
.LBB139_247:
	s_or_b32 exec_lo, exec_lo, s4
	s_and_b32 s5, s16, s34
	s_and_saveexec_b32 s4, s5
	s_cbranch_execnz .LBB139_364
.LBB139_248:
	s_or_b32 exec_lo, exec_lo, s4
	s_and_b32 s5, s16, s35
	s_and_saveexec_b32 s4, s5
	s_cbranch_execnz .LBB139_368
.LBB139_249:
	s_or_b32 exec_lo, exec_lo, s4
	s_and_b32 s5, s16, s36
	s_and_saveexec_b32 s4, s5
	s_cbranch_execnz .LBB139_372
.LBB139_250:
	s_or_b32 exec_lo, exec_lo, s4
	s_and_b32 s4, s16, s37
	s_and_saveexec_b32 s5, s4
	s_cbranch_execnz .LBB139_376
.LBB139_251:
	s_endpgm
.LBB139_252:
	s_clause 0x1
	buffer_load_dword v64, off, s[0:3], 0 offset:256
	buffer_load_dword v65, off, s[0:3], 0 offset:260
	v_lshlrev_b64 v[0:1], 3, v[0:1]
	s_andn2_b32 vcc_lo, exec_lo, s46
	s_cbranch_vccnz .LBB139_254
; %bb.253:
	v_add_co_u32 v66, vcc_lo, v71, v0
	v_add_co_ci_u32_e64 v67, null, v72, v1, vcc_lo
	flat_load_dwordx2 v[66:67], v[66:67]
	s_waitcnt vmcnt(0) lgkmcnt(0)
	v_mul_f64 v[66:67], s[38:39], v[66:67]
	s_branch .LBB139_255
.LBB139_254:
	v_mov_b32_e32 v66, 0
	v_mov_b32_e32 v67, 0
.LBB139_255:
	s_waitcnt vmcnt(0)
	v_add_f64 v[64:65], v[64:65], v[66:67]
	v_add_co_u32 v0, vcc_lo, v68, v0
	v_add_co_ci_u32_e64 v1, null, v69, v1, vcc_lo
	flat_store_dwordx2 v[0:1], v[64:65]
	s_or_b32 exec_lo, exec_lo, s4
	s_and_b32 s5, s16, s5
	s_and_saveexec_b32 s4, s5
	s_cbranch_execz .LBB139_221
.LBB139_256:
	s_clause 0x1
	buffer_load_dword v0, off, s[0:3], 0 offset:264
	buffer_load_dword v1, off, s[0:3], 0 offset:268
	v_cmp_ne_u32_e32 vcc_lo, 1, v70
	v_lshlrev_b64 v[2:3], 3, v[2:3]
	s_cbranch_vccnz .LBB139_258
; %bb.257:
	v_add_co_u32 v64, vcc_lo, v71, v2
	v_add_co_ci_u32_e64 v65, null, v72, v3, vcc_lo
	flat_load_dwordx2 v[64:65], v[64:65]
	s_waitcnt vmcnt(0) lgkmcnt(0)
	v_mul_f64 v[64:65], s[38:39], v[64:65]
	s_branch .LBB139_259
.LBB139_258:
	v_mov_b32_e32 v64, 0
	v_mov_b32_e32 v65, 0
.LBB139_259:
	s_waitcnt vmcnt(0)
	v_add_f64 v[0:1], v[0:1], v[64:65]
	v_add_co_u32 v2, vcc_lo, v68, v2
	v_add_co_ci_u32_e64 v3, null, v69, v3, vcc_lo
	flat_store_dwordx2 v[2:3], v[0:1]
	s_or_b32 exec_lo, exec_lo, s4
	s_and_b32 s5, s16, s6
	s_and_saveexec_b32 s4, s5
	s_cbranch_execz .LBB139_222
.LBB139_260:
	s_clause 0x1
	buffer_load_dword v0, off, s[0:3], 0 offset:272
	buffer_load_dword v1, off, s[0:3], 0 offset:276
	v_cmp_ne_u32_e32 vcc_lo, 1, v70
	v_lshlrev_b64 v[2:3], 3, v[4:5]
	s_cbranch_vccnz .LBB139_262
; %bb.261:
	v_add_co_u32 v4, vcc_lo, v71, v2
	v_add_co_ci_u32_e64 v5, null, v72, v3, vcc_lo
	flat_load_dwordx2 v[4:5], v[4:5]
	s_waitcnt vmcnt(0) lgkmcnt(0)
	v_mul_f64 v[4:5], s[38:39], v[4:5]
	s_branch .LBB139_263
.LBB139_262:
	v_mov_b32_e32 v4, 0
	v_mov_b32_e32 v5, 0
.LBB139_263:
	s_waitcnt vmcnt(0)
	v_add_f64 v[0:1], v[0:1], v[4:5]
	v_add_co_u32 v2, vcc_lo, v68, v2
	v_add_co_ci_u32_e64 v3, null, v69, v3, vcc_lo
	flat_store_dwordx2 v[2:3], v[0:1]
	s_or_b32 exec_lo, exec_lo, s4
	s_and_b32 s5, s16, s7
	s_and_saveexec_b32 s4, s5
	s_cbranch_execz .LBB139_223
.LBB139_264:
	s_clause 0x1
	buffer_load_dword v0, off, s[0:3], 0 offset:280
	buffer_load_dword v1, off, s[0:3], 0 offset:284
	v_cmp_ne_u32_e32 vcc_lo, 1, v70
	v_lshlrev_b64 v[2:3], 3, v[6:7]
	s_cbranch_vccnz .LBB139_266
; %bb.265:
	v_add_co_u32 v4, vcc_lo, v71, v2
	v_add_co_ci_u32_e64 v5, null, v72, v3, vcc_lo
	flat_load_dwordx2 v[4:5], v[4:5]
	s_waitcnt vmcnt(0) lgkmcnt(0)
	v_mul_f64 v[4:5], s[38:39], v[4:5]
	s_branch .LBB139_267
.LBB139_266:
	v_mov_b32_e32 v4, 0
	v_mov_b32_e32 v5, 0
.LBB139_267:
	s_waitcnt vmcnt(0)
	v_add_f64 v[0:1], v[0:1], v[4:5]
	v_add_co_u32 v2, vcc_lo, v68, v2
	v_add_co_ci_u32_e64 v3, null, v69, v3, vcc_lo
	flat_store_dwordx2 v[2:3], v[0:1]
	s_or_b32 exec_lo, exec_lo, s4
	s_and_b32 s5, s16, s8
	s_and_saveexec_b32 s4, s5
	s_cbranch_execz .LBB139_224
.LBB139_268:
	s_clause 0x1
	buffer_load_dword v0, off, s[0:3], 0 offset:288
	buffer_load_dword v1, off, s[0:3], 0 offset:292
	v_cmp_ne_u32_e32 vcc_lo, 1, v70
	v_lshlrev_b64 v[2:3], 3, v[8:9]
	s_cbranch_vccnz .LBB139_270
; %bb.269:
	v_add_co_u32 v4, vcc_lo, v71, v2
	v_add_co_ci_u32_e64 v5, null, v72, v3, vcc_lo
	flat_load_dwordx2 v[4:5], v[4:5]
	s_waitcnt vmcnt(0) lgkmcnt(0)
	v_mul_f64 v[4:5], s[38:39], v[4:5]
	s_branch .LBB139_271
.LBB139_270:
	v_mov_b32_e32 v4, 0
	v_mov_b32_e32 v5, 0
.LBB139_271:
	s_waitcnt vmcnt(0)
	v_add_f64 v[0:1], v[0:1], v[4:5]
	v_add_co_u32 v2, vcc_lo, v68, v2
	v_add_co_ci_u32_e64 v3, null, v69, v3, vcc_lo
	flat_store_dwordx2 v[2:3], v[0:1]
	s_or_b32 exec_lo, exec_lo, s4
	s_and_b32 s5, s16, s9
	s_and_saveexec_b32 s4, s5
	s_cbranch_execz .LBB139_225
.LBB139_272:
	s_clause 0x1
	buffer_load_dword v0, off, s[0:3], 0 offset:296
	buffer_load_dword v1, off, s[0:3], 0 offset:300
	v_cmp_ne_u32_e32 vcc_lo, 1, v70
	v_lshlrev_b64 v[2:3], 3, v[10:11]
	s_cbranch_vccnz .LBB139_274
; %bb.273:
	v_add_co_u32 v4, vcc_lo, v71, v2
	v_add_co_ci_u32_e64 v5, null, v72, v3, vcc_lo
	flat_load_dwordx2 v[4:5], v[4:5]
	s_waitcnt vmcnt(0) lgkmcnt(0)
	v_mul_f64 v[4:5], s[38:39], v[4:5]
	s_branch .LBB139_275
.LBB139_274:
	v_mov_b32_e32 v4, 0
	v_mov_b32_e32 v5, 0
.LBB139_275:
	s_waitcnt vmcnt(0)
	v_add_f64 v[0:1], v[0:1], v[4:5]
	v_add_co_u32 v2, vcc_lo, v68, v2
	v_add_co_ci_u32_e64 v3, null, v69, v3, vcc_lo
	flat_store_dwordx2 v[2:3], v[0:1]
	s_or_b32 exec_lo, exec_lo, s4
	s_and_b32 s5, s16, s10
	s_and_saveexec_b32 s4, s5
	s_cbranch_execz .LBB139_226
.LBB139_276:
	s_clause 0x1
	buffer_load_dword v0, off, s[0:3], 0 offset:304
	buffer_load_dword v1, off, s[0:3], 0 offset:308
	v_cmp_ne_u32_e32 vcc_lo, 1, v70
	v_lshlrev_b64 v[2:3], 3, v[12:13]
	s_cbranch_vccnz .LBB139_278
; %bb.277:
	v_add_co_u32 v4, vcc_lo, v71, v2
	v_add_co_ci_u32_e64 v5, null, v72, v3, vcc_lo
	flat_load_dwordx2 v[4:5], v[4:5]
	s_waitcnt vmcnt(0) lgkmcnt(0)
	v_mul_f64 v[4:5], s[38:39], v[4:5]
	s_branch .LBB139_279
.LBB139_278:
	v_mov_b32_e32 v4, 0
	v_mov_b32_e32 v5, 0
.LBB139_279:
	s_waitcnt vmcnt(0)
	v_add_f64 v[0:1], v[0:1], v[4:5]
	v_add_co_u32 v2, vcc_lo, v68, v2
	v_add_co_ci_u32_e64 v3, null, v69, v3, vcc_lo
	flat_store_dwordx2 v[2:3], v[0:1]
	s_or_b32 exec_lo, exec_lo, s4
	s_and_b32 s5, s16, s11
	s_and_saveexec_b32 s4, s5
	s_cbranch_execz .LBB139_227
.LBB139_280:
	s_clause 0x1
	buffer_load_dword v0, off, s[0:3], 0 offset:312
	buffer_load_dword v1, off, s[0:3], 0 offset:316
	v_cmp_ne_u32_e32 vcc_lo, 1, v70
	v_lshlrev_b64 v[2:3], 3, v[14:15]
	s_cbranch_vccnz .LBB139_282
; %bb.281:
	v_add_co_u32 v4, vcc_lo, v71, v2
	v_add_co_ci_u32_e64 v5, null, v72, v3, vcc_lo
	flat_load_dwordx2 v[4:5], v[4:5]
	s_waitcnt vmcnt(0) lgkmcnt(0)
	v_mul_f64 v[4:5], s[38:39], v[4:5]
	s_branch .LBB139_283
.LBB139_282:
	v_mov_b32_e32 v4, 0
	v_mov_b32_e32 v5, 0
.LBB139_283:
	s_waitcnt vmcnt(0)
	v_add_f64 v[0:1], v[0:1], v[4:5]
	v_add_co_u32 v2, vcc_lo, v68, v2
	v_add_co_ci_u32_e64 v3, null, v69, v3, vcc_lo
	flat_store_dwordx2 v[2:3], v[0:1]
	s_or_b32 exec_lo, exec_lo, s4
	s_and_b32 s5, s16, s12
	s_and_saveexec_b32 s4, s5
	s_cbranch_execz .LBB139_228
.LBB139_284:
	s_clause 0x1
	buffer_load_dword v0, off, s[0:3], 0 offset:320
	buffer_load_dword v1, off, s[0:3], 0 offset:324
	v_cmp_ne_u32_e32 vcc_lo, 1, v70
	v_lshlrev_b64 v[2:3], 3, v[16:17]
	s_cbranch_vccnz .LBB139_286
; %bb.285:
	v_add_co_u32 v4, vcc_lo, v71, v2
	v_add_co_ci_u32_e64 v5, null, v72, v3, vcc_lo
	flat_load_dwordx2 v[4:5], v[4:5]
	s_waitcnt vmcnt(0) lgkmcnt(0)
	v_mul_f64 v[4:5], s[38:39], v[4:5]
	s_branch .LBB139_287
.LBB139_286:
	v_mov_b32_e32 v4, 0
	v_mov_b32_e32 v5, 0
.LBB139_287:
	s_waitcnt vmcnt(0)
	v_add_f64 v[0:1], v[0:1], v[4:5]
	v_add_co_u32 v2, vcc_lo, v68, v2
	v_add_co_ci_u32_e64 v3, null, v69, v3, vcc_lo
	flat_store_dwordx2 v[2:3], v[0:1]
	s_or_b32 exec_lo, exec_lo, s4
	s_and_b32 s5, s16, s13
	s_and_saveexec_b32 s4, s5
	s_cbranch_execz .LBB139_229
.LBB139_288:
	s_clause 0x1
	buffer_load_dword v0, off, s[0:3], 0 offset:328
	buffer_load_dword v1, off, s[0:3], 0 offset:332
	v_cmp_ne_u32_e32 vcc_lo, 1, v70
	v_lshlrev_b64 v[2:3], 3, v[18:19]
	s_cbranch_vccnz .LBB139_290
; %bb.289:
	v_add_co_u32 v4, vcc_lo, v71, v2
	v_add_co_ci_u32_e64 v5, null, v72, v3, vcc_lo
	flat_load_dwordx2 v[4:5], v[4:5]
	s_waitcnt vmcnt(0) lgkmcnt(0)
	v_mul_f64 v[4:5], s[38:39], v[4:5]
	s_branch .LBB139_291
.LBB139_290:
	v_mov_b32_e32 v4, 0
	v_mov_b32_e32 v5, 0
.LBB139_291:
	s_waitcnt vmcnt(0)
	v_add_f64 v[0:1], v[0:1], v[4:5]
	v_add_co_u32 v2, vcc_lo, v68, v2
	v_add_co_ci_u32_e64 v3, null, v69, v3, vcc_lo
	flat_store_dwordx2 v[2:3], v[0:1]
	s_or_b32 exec_lo, exec_lo, s4
	s_and_b32 s5, s16, s14
	s_and_saveexec_b32 s4, s5
	s_cbranch_execz .LBB139_230
.LBB139_292:
	s_clause 0x1
	buffer_load_dword v0, off, s[0:3], 0 offset:336
	buffer_load_dword v1, off, s[0:3], 0 offset:340
	v_cmp_ne_u32_e32 vcc_lo, 1, v70
	v_lshlrev_b64 v[2:3], 3, v[20:21]
	s_cbranch_vccnz .LBB139_294
; %bb.293:
	v_add_co_u32 v4, vcc_lo, v71, v2
	v_add_co_ci_u32_e64 v5, null, v72, v3, vcc_lo
	flat_load_dwordx2 v[4:5], v[4:5]
	s_waitcnt vmcnt(0) lgkmcnt(0)
	v_mul_f64 v[4:5], s[38:39], v[4:5]
	s_branch .LBB139_295
.LBB139_294:
	v_mov_b32_e32 v4, 0
	v_mov_b32_e32 v5, 0
.LBB139_295:
	s_waitcnt vmcnt(0)
	v_add_f64 v[0:1], v[0:1], v[4:5]
	v_add_co_u32 v2, vcc_lo, v68, v2
	v_add_co_ci_u32_e64 v3, null, v69, v3, vcc_lo
	flat_store_dwordx2 v[2:3], v[0:1]
	s_or_b32 exec_lo, exec_lo, s4
	s_and_b32 s5, s16, s15
	s_and_saveexec_b32 s4, s5
	s_cbranch_execz .LBB139_231
.LBB139_296:
	s_clause 0x1
	buffer_load_dword v0, off, s[0:3], 0 offset:344
	buffer_load_dword v1, off, s[0:3], 0 offset:348
	v_cmp_ne_u32_e32 vcc_lo, 1, v70
	v_lshlrev_b64 v[2:3], 3, v[22:23]
	s_cbranch_vccnz .LBB139_298
; %bb.297:
	v_add_co_u32 v4, vcc_lo, v71, v2
	v_add_co_ci_u32_e64 v5, null, v72, v3, vcc_lo
	flat_load_dwordx2 v[4:5], v[4:5]
	s_waitcnt vmcnt(0) lgkmcnt(0)
	v_mul_f64 v[4:5], s[38:39], v[4:5]
	s_branch .LBB139_299
.LBB139_298:
	v_mov_b32_e32 v4, 0
	v_mov_b32_e32 v5, 0
.LBB139_299:
	s_waitcnt vmcnt(0)
	v_add_f64 v[0:1], v[0:1], v[4:5]
	v_add_co_u32 v2, vcc_lo, v68, v2
	v_add_co_ci_u32_e64 v3, null, v69, v3, vcc_lo
	flat_store_dwordx2 v[2:3], v[0:1]
	s_or_b32 exec_lo, exec_lo, s4
	s_and_b32 s5, s16, s17
	s_and_saveexec_b32 s4, s5
	s_cbranch_execz .LBB139_232
.LBB139_300:
	s_clause 0x1
	buffer_load_dword v0, off, s[0:3], 0 offset:352
	buffer_load_dword v1, off, s[0:3], 0 offset:356
	v_cmp_ne_u32_e32 vcc_lo, 1, v70
	v_lshlrev_b64 v[2:3], 3, v[24:25]
	s_cbranch_vccnz .LBB139_302
; %bb.301:
	v_add_co_u32 v4, vcc_lo, v71, v2
	v_add_co_ci_u32_e64 v5, null, v72, v3, vcc_lo
	flat_load_dwordx2 v[4:5], v[4:5]
	s_waitcnt vmcnt(0) lgkmcnt(0)
	v_mul_f64 v[4:5], s[38:39], v[4:5]
	s_branch .LBB139_303
.LBB139_302:
	v_mov_b32_e32 v4, 0
	v_mov_b32_e32 v5, 0
.LBB139_303:
	s_waitcnt vmcnt(0)
	v_add_f64 v[0:1], v[0:1], v[4:5]
	v_add_co_u32 v2, vcc_lo, v68, v2
	v_add_co_ci_u32_e64 v3, null, v69, v3, vcc_lo
	flat_store_dwordx2 v[2:3], v[0:1]
	s_or_b32 exec_lo, exec_lo, s4
	s_and_b32 s5, s16, s18
	s_and_saveexec_b32 s4, s5
	s_cbranch_execz .LBB139_233
.LBB139_304:
	s_clause 0x1
	buffer_load_dword v0, off, s[0:3], 0 offset:360
	buffer_load_dword v1, off, s[0:3], 0 offset:364
	v_cmp_ne_u32_e32 vcc_lo, 1, v70
	v_lshlrev_b64 v[2:3], 3, v[26:27]
	s_cbranch_vccnz .LBB139_306
; %bb.305:
	v_add_co_u32 v4, vcc_lo, v71, v2
	v_add_co_ci_u32_e64 v5, null, v72, v3, vcc_lo
	flat_load_dwordx2 v[4:5], v[4:5]
	s_waitcnt vmcnt(0) lgkmcnt(0)
	v_mul_f64 v[4:5], s[38:39], v[4:5]
	s_branch .LBB139_307
.LBB139_306:
	v_mov_b32_e32 v4, 0
	v_mov_b32_e32 v5, 0
.LBB139_307:
	s_waitcnt vmcnt(0)
	v_add_f64 v[0:1], v[0:1], v[4:5]
	v_add_co_u32 v2, vcc_lo, v68, v2
	v_add_co_ci_u32_e64 v3, null, v69, v3, vcc_lo
	flat_store_dwordx2 v[2:3], v[0:1]
	s_or_b32 exec_lo, exec_lo, s4
	s_and_b32 s5, s16, s19
	s_and_saveexec_b32 s4, s5
	s_cbranch_execz .LBB139_234
.LBB139_308:
	s_clause 0x1
	buffer_load_dword v0, off, s[0:3], 0 offset:368
	buffer_load_dword v1, off, s[0:3], 0 offset:372
	v_cmp_ne_u32_e32 vcc_lo, 1, v70
	v_lshlrev_b64 v[2:3], 3, v[28:29]
	s_cbranch_vccnz .LBB139_310
; %bb.309:
	v_add_co_u32 v4, vcc_lo, v71, v2
	v_add_co_ci_u32_e64 v5, null, v72, v3, vcc_lo
	flat_load_dwordx2 v[4:5], v[4:5]
	s_waitcnt vmcnt(0) lgkmcnt(0)
	v_mul_f64 v[4:5], s[38:39], v[4:5]
	s_branch .LBB139_311
.LBB139_310:
	v_mov_b32_e32 v4, 0
	v_mov_b32_e32 v5, 0
.LBB139_311:
	s_waitcnt vmcnt(0)
	v_add_f64 v[0:1], v[0:1], v[4:5]
	v_add_co_u32 v2, vcc_lo, v68, v2
	v_add_co_ci_u32_e64 v3, null, v69, v3, vcc_lo
	flat_store_dwordx2 v[2:3], v[0:1]
	s_or_b32 exec_lo, exec_lo, s4
	s_and_b32 s5, s16, s20
	s_and_saveexec_b32 s4, s5
	s_cbranch_execz .LBB139_235
.LBB139_312:
	s_clause 0x1
	buffer_load_dword v0, off, s[0:3], 0 offset:376
	buffer_load_dword v1, off, s[0:3], 0 offset:380
	v_cmp_ne_u32_e32 vcc_lo, 1, v70
	v_lshlrev_b64 v[2:3], 3, v[30:31]
	s_cbranch_vccnz .LBB139_314
; %bb.313:
	v_add_co_u32 v4, vcc_lo, v71, v2
	v_add_co_ci_u32_e64 v5, null, v72, v3, vcc_lo
	flat_load_dwordx2 v[4:5], v[4:5]
	s_waitcnt vmcnt(0) lgkmcnt(0)
	v_mul_f64 v[4:5], s[38:39], v[4:5]
	s_branch .LBB139_315
.LBB139_314:
	v_mov_b32_e32 v4, 0
	v_mov_b32_e32 v5, 0
.LBB139_315:
	s_waitcnt vmcnt(0)
	v_add_f64 v[0:1], v[0:1], v[4:5]
	v_add_co_u32 v2, vcc_lo, v68, v2
	v_add_co_ci_u32_e64 v3, null, v69, v3, vcc_lo
	flat_store_dwordx2 v[2:3], v[0:1]
	s_or_b32 exec_lo, exec_lo, s4
	s_and_b32 s5, s16, s21
	s_and_saveexec_b32 s4, s5
	s_cbranch_execz .LBB139_236
.LBB139_316:
	s_clause 0x1
	buffer_load_dword v0, off, s[0:3], 0 offset:384
	buffer_load_dword v1, off, s[0:3], 0 offset:388
	v_cmp_ne_u32_e32 vcc_lo, 1, v70
	v_lshlrev_b64 v[2:3], 3, v[32:33]
	s_cbranch_vccnz .LBB139_318
; %bb.317:
	v_add_co_u32 v4, vcc_lo, v71, v2
	v_add_co_ci_u32_e64 v5, null, v72, v3, vcc_lo
	flat_load_dwordx2 v[4:5], v[4:5]
	s_waitcnt vmcnt(0) lgkmcnt(0)
	v_mul_f64 v[4:5], s[38:39], v[4:5]
	s_branch .LBB139_319
.LBB139_318:
	v_mov_b32_e32 v4, 0
	v_mov_b32_e32 v5, 0
.LBB139_319:
	s_waitcnt vmcnt(0)
	v_add_f64 v[0:1], v[0:1], v[4:5]
	v_add_co_u32 v2, vcc_lo, v68, v2
	v_add_co_ci_u32_e64 v3, null, v69, v3, vcc_lo
	flat_store_dwordx2 v[2:3], v[0:1]
	s_or_b32 exec_lo, exec_lo, s4
	s_and_b32 s5, s16, s22
	s_and_saveexec_b32 s4, s5
	s_cbranch_execz .LBB139_237
.LBB139_320:
	s_clause 0x1
	buffer_load_dword v0, off, s[0:3], 0 offset:392
	buffer_load_dword v1, off, s[0:3], 0 offset:396
	v_cmp_ne_u32_e32 vcc_lo, 1, v70
	v_lshlrev_b64 v[2:3], 3, v[34:35]
	s_cbranch_vccnz .LBB139_322
; %bb.321:
	v_add_co_u32 v4, vcc_lo, v71, v2
	v_add_co_ci_u32_e64 v5, null, v72, v3, vcc_lo
	flat_load_dwordx2 v[4:5], v[4:5]
	s_waitcnt vmcnt(0) lgkmcnt(0)
	v_mul_f64 v[4:5], s[38:39], v[4:5]
	s_branch .LBB139_323
.LBB139_322:
	v_mov_b32_e32 v4, 0
	v_mov_b32_e32 v5, 0
.LBB139_323:
	s_waitcnt vmcnt(0)
	v_add_f64 v[0:1], v[0:1], v[4:5]
	v_add_co_u32 v2, vcc_lo, v68, v2
	v_add_co_ci_u32_e64 v3, null, v69, v3, vcc_lo
	flat_store_dwordx2 v[2:3], v[0:1]
	s_or_b32 exec_lo, exec_lo, s4
	s_and_b32 s5, s16, s23
	s_and_saveexec_b32 s4, s5
	s_cbranch_execz .LBB139_238
.LBB139_324:
	s_clause 0x1
	buffer_load_dword v0, off, s[0:3], 0 offset:400
	buffer_load_dword v1, off, s[0:3], 0 offset:404
	v_cmp_ne_u32_e32 vcc_lo, 1, v70
	v_lshlrev_b64 v[2:3], 3, v[36:37]
	s_cbranch_vccnz .LBB139_326
; %bb.325:
	v_add_co_u32 v4, vcc_lo, v71, v2
	v_add_co_ci_u32_e64 v5, null, v72, v3, vcc_lo
	flat_load_dwordx2 v[4:5], v[4:5]
	s_waitcnt vmcnt(0) lgkmcnt(0)
	v_mul_f64 v[4:5], s[38:39], v[4:5]
	s_branch .LBB139_327
.LBB139_326:
	v_mov_b32_e32 v4, 0
	v_mov_b32_e32 v5, 0
.LBB139_327:
	s_waitcnt vmcnt(0)
	v_add_f64 v[0:1], v[0:1], v[4:5]
	v_add_co_u32 v2, vcc_lo, v68, v2
	v_add_co_ci_u32_e64 v3, null, v69, v3, vcc_lo
	flat_store_dwordx2 v[2:3], v[0:1]
	s_or_b32 exec_lo, exec_lo, s4
	s_and_b32 s5, s16, s24
	s_and_saveexec_b32 s4, s5
	s_cbranch_execz .LBB139_239
.LBB139_328:
	s_clause 0x1
	buffer_load_dword v0, off, s[0:3], 0 offset:408
	buffer_load_dword v1, off, s[0:3], 0 offset:412
	v_cmp_ne_u32_e32 vcc_lo, 1, v70
	v_lshlrev_b64 v[2:3], 3, v[38:39]
	s_cbranch_vccnz .LBB139_330
; %bb.329:
	v_add_co_u32 v4, vcc_lo, v71, v2
	v_add_co_ci_u32_e64 v5, null, v72, v3, vcc_lo
	flat_load_dwordx2 v[4:5], v[4:5]
	s_waitcnt vmcnt(0) lgkmcnt(0)
	v_mul_f64 v[4:5], s[38:39], v[4:5]
	s_branch .LBB139_331
.LBB139_330:
	v_mov_b32_e32 v4, 0
	v_mov_b32_e32 v5, 0
.LBB139_331:
	s_waitcnt vmcnt(0)
	v_add_f64 v[0:1], v[0:1], v[4:5]
	v_add_co_u32 v2, vcc_lo, v68, v2
	v_add_co_ci_u32_e64 v3, null, v69, v3, vcc_lo
	flat_store_dwordx2 v[2:3], v[0:1]
	s_or_b32 exec_lo, exec_lo, s4
	s_and_b32 s5, s16, s25
	s_and_saveexec_b32 s4, s5
	s_cbranch_execz .LBB139_240
.LBB139_332:
	s_clause 0x1
	buffer_load_dword v0, off, s[0:3], 0 offset:416
	buffer_load_dword v1, off, s[0:3], 0 offset:420
	v_cmp_ne_u32_e32 vcc_lo, 1, v70
	v_lshlrev_b64 v[2:3], 3, v[40:41]
	s_cbranch_vccnz .LBB139_334
; %bb.333:
	v_add_co_u32 v4, vcc_lo, v71, v2
	v_add_co_ci_u32_e64 v5, null, v72, v3, vcc_lo
	flat_load_dwordx2 v[4:5], v[4:5]
	s_waitcnt vmcnt(0) lgkmcnt(0)
	v_mul_f64 v[4:5], s[38:39], v[4:5]
	s_branch .LBB139_335
.LBB139_334:
	v_mov_b32_e32 v4, 0
	v_mov_b32_e32 v5, 0
.LBB139_335:
	s_waitcnt vmcnt(0)
	v_add_f64 v[0:1], v[0:1], v[4:5]
	v_add_co_u32 v2, vcc_lo, v68, v2
	v_add_co_ci_u32_e64 v3, null, v69, v3, vcc_lo
	flat_store_dwordx2 v[2:3], v[0:1]
	s_or_b32 exec_lo, exec_lo, s4
	s_and_b32 s5, s16, s26
	s_and_saveexec_b32 s4, s5
	s_cbranch_execz .LBB139_241
.LBB139_336:
	s_clause 0x1
	buffer_load_dword v0, off, s[0:3], 0 offset:424
	buffer_load_dword v1, off, s[0:3], 0 offset:428
	v_cmp_ne_u32_e32 vcc_lo, 1, v70
	v_lshlrev_b64 v[2:3], 3, v[42:43]
	s_cbranch_vccnz .LBB139_338
; %bb.337:
	v_add_co_u32 v4, vcc_lo, v71, v2
	v_add_co_ci_u32_e64 v5, null, v72, v3, vcc_lo
	flat_load_dwordx2 v[4:5], v[4:5]
	s_waitcnt vmcnt(0) lgkmcnt(0)
	v_mul_f64 v[4:5], s[38:39], v[4:5]
	s_branch .LBB139_339
.LBB139_338:
	v_mov_b32_e32 v4, 0
	v_mov_b32_e32 v5, 0
.LBB139_339:
	s_waitcnt vmcnt(0)
	v_add_f64 v[0:1], v[0:1], v[4:5]
	v_add_co_u32 v2, vcc_lo, v68, v2
	v_add_co_ci_u32_e64 v3, null, v69, v3, vcc_lo
	flat_store_dwordx2 v[2:3], v[0:1]
	s_or_b32 exec_lo, exec_lo, s4
	s_and_b32 s5, s16, s27
	s_and_saveexec_b32 s4, s5
	s_cbranch_execz .LBB139_242
.LBB139_340:
	s_clause 0x1
	buffer_load_dword v0, off, s[0:3], 0 offset:432
	buffer_load_dword v1, off, s[0:3], 0 offset:436
	v_cmp_ne_u32_e32 vcc_lo, 1, v70
	v_lshlrev_b64 v[2:3], 3, v[44:45]
	s_cbranch_vccnz .LBB139_342
; %bb.341:
	v_add_co_u32 v4, vcc_lo, v71, v2
	v_add_co_ci_u32_e64 v5, null, v72, v3, vcc_lo
	flat_load_dwordx2 v[4:5], v[4:5]
	s_waitcnt vmcnt(0) lgkmcnt(0)
	v_mul_f64 v[4:5], s[38:39], v[4:5]
	s_branch .LBB139_343
.LBB139_342:
	v_mov_b32_e32 v4, 0
	v_mov_b32_e32 v5, 0
.LBB139_343:
	s_waitcnt vmcnt(0)
	v_add_f64 v[0:1], v[0:1], v[4:5]
	v_add_co_u32 v2, vcc_lo, v68, v2
	v_add_co_ci_u32_e64 v3, null, v69, v3, vcc_lo
	flat_store_dwordx2 v[2:3], v[0:1]
	s_or_b32 exec_lo, exec_lo, s4
	s_and_b32 s5, s16, s28
	s_and_saveexec_b32 s4, s5
	s_cbranch_execz .LBB139_243
.LBB139_344:
	s_clause 0x1
	buffer_load_dword v0, off, s[0:3], 0 offset:440
	buffer_load_dword v1, off, s[0:3], 0 offset:444
	v_cmp_ne_u32_e32 vcc_lo, 1, v70
	v_lshlrev_b64 v[2:3], 3, v[46:47]
	s_cbranch_vccnz .LBB139_346
; %bb.345:
	v_add_co_u32 v4, vcc_lo, v71, v2
	v_add_co_ci_u32_e64 v5, null, v72, v3, vcc_lo
	flat_load_dwordx2 v[4:5], v[4:5]
	s_waitcnt vmcnt(0) lgkmcnt(0)
	v_mul_f64 v[4:5], s[38:39], v[4:5]
	s_branch .LBB139_347
.LBB139_346:
	v_mov_b32_e32 v4, 0
	v_mov_b32_e32 v5, 0
.LBB139_347:
	s_waitcnt vmcnt(0)
	v_add_f64 v[0:1], v[0:1], v[4:5]
	v_add_co_u32 v2, vcc_lo, v68, v2
	v_add_co_ci_u32_e64 v3, null, v69, v3, vcc_lo
	flat_store_dwordx2 v[2:3], v[0:1]
	s_or_b32 exec_lo, exec_lo, s4
	s_and_b32 s5, s16, s29
	s_and_saveexec_b32 s4, s5
	s_cbranch_execz .LBB139_244
.LBB139_348:
	s_clause 0x1
	buffer_load_dword v0, off, s[0:3], 0 offset:448
	buffer_load_dword v1, off, s[0:3], 0 offset:452
	v_cmp_ne_u32_e32 vcc_lo, 1, v70
	v_lshlrev_b64 v[2:3], 3, v[48:49]
	s_cbranch_vccnz .LBB139_350
; %bb.349:
	v_add_co_u32 v4, vcc_lo, v71, v2
	v_add_co_ci_u32_e64 v5, null, v72, v3, vcc_lo
	flat_load_dwordx2 v[4:5], v[4:5]
	s_waitcnt vmcnt(0) lgkmcnt(0)
	v_mul_f64 v[4:5], s[38:39], v[4:5]
	s_branch .LBB139_351
.LBB139_350:
	v_mov_b32_e32 v4, 0
	v_mov_b32_e32 v5, 0
.LBB139_351:
	s_waitcnt vmcnt(0)
	v_add_f64 v[0:1], v[0:1], v[4:5]
	v_add_co_u32 v2, vcc_lo, v68, v2
	v_add_co_ci_u32_e64 v3, null, v69, v3, vcc_lo
	flat_store_dwordx2 v[2:3], v[0:1]
	s_or_b32 exec_lo, exec_lo, s4
	s_and_b32 s5, s16, s30
	s_and_saveexec_b32 s4, s5
	s_cbranch_execz .LBB139_245
.LBB139_352:
	s_clause 0x1
	buffer_load_dword v0, off, s[0:3], 0 offset:456
	buffer_load_dword v1, off, s[0:3], 0 offset:460
	v_cmp_ne_u32_e32 vcc_lo, 1, v70
	v_lshlrev_b64 v[2:3], 3, v[50:51]
	s_cbranch_vccnz .LBB139_354
; %bb.353:
	v_add_co_u32 v4, vcc_lo, v71, v2
	v_add_co_ci_u32_e64 v5, null, v72, v3, vcc_lo
	flat_load_dwordx2 v[4:5], v[4:5]
	s_waitcnt vmcnt(0) lgkmcnt(0)
	v_mul_f64 v[4:5], s[38:39], v[4:5]
	s_branch .LBB139_355
.LBB139_354:
	v_mov_b32_e32 v4, 0
	v_mov_b32_e32 v5, 0
.LBB139_355:
	s_waitcnt vmcnt(0)
	v_add_f64 v[0:1], v[0:1], v[4:5]
	v_add_co_u32 v2, vcc_lo, v68, v2
	v_add_co_ci_u32_e64 v3, null, v69, v3, vcc_lo
	flat_store_dwordx2 v[2:3], v[0:1]
	s_or_b32 exec_lo, exec_lo, s4
	s_and_b32 s5, s16, s31
	s_and_saveexec_b32 s4, s5
	s_cbranch_execz .LBB139_246
.LBB139_356:
	s_clause 0x1
	buffer_load_dword v0, off, s[0:3], 0 offset:464
	buffer_load_dword v1, off, s[0:3], 0 offset:468
	v_cmp_ne_u32_e32 vcc_lo, 1, v70
	v_lshlrev_b64 v[2:3], 3, v[52:53]
	s_cbranch_vccnz .LBB139_358
; %bb.357:
	v_add_co_u32 v4, vcc_lo, v71, v2
	v_add_co_ci_u32_e64 v5, null, v72, v3, vcc_lo
	flat_load_dwordx2 v[4:5], v[4:5]
	s_waitcnt vmcnt(0) lgkmcnt(0)
	v_mul_f64 v[4:5], s[38:39], v[4:5]
	s_branch .LBB139_359
.LBB139_358:
	v_mov_b32_e32 v4, 0
	v_mov_b32_e32 v5, 0
.LBB139_359:
	s_waitcnt vmcnt(0)
	v_add_f64 v[0:1], v[0:1], v[4:5]
	v_add_co_u32 v2, vcc_lo, v68, v2
	v_add_co_ci_u32_e64 v3, null, v69, v3, vcc_lo
	flat_store_dwordx2 v[2:3], v[0:1]
	s_or_b32 exec_lo, exec_lo, s4
	s_and_b32 s5, s16, s33
	s_and_saveexec_b32 s4, s5
	s_cbranch_execz .LBB139_247
.LBB139_360:
	s_clause 0x1
	buffer_load_dword v0, off, s[0:3], 0 offset:472
	buffer_load_dword v1, off, s[0:3], 0 offset:476
	v_cmp_ne_u32_e32 vcc_lo, 1, v70
	v_lshlrev_b64 v[2:3], 3, v[54:55]
	s_cbranch_vccnz .LBB139_362
; %bb.361:
	v_add_co_u32 v4, vcc_lo, v71, v2
	v_add_co_ci_u32_e64 v5, null, v72, v3, vcc_lo
	flat_load_dwordx2 v[4:5], v[4:5]
	s_waitcnt vmcnt(0) lgkmcnt(0)
	v_mul_f64 v[4:5], s[38:39], v[4:5]
	s_branch .LBB139_363
.LBB139_362:
	v_mov_b32_e32 v4, 0
	v_mov_b32_e32 v5, 0
.LBB139_363:
	s_waitcnt vmcnt(0)
	v_add_f64 v[0:1], v[0:1], v[4:5]
	v_add_co_u32 v2, vcc_lo, v68, v2
	v_add_co_ci_u32_e64 v3, null, v69, v3, vcc_lo
	flat_store_dwordx2 v[2:3], v[0:1]
	s_or_b32 exec_lo, exec_lo, s4
	s_and_b32 s5, s16, s34
	s_and_saveexec_b32 s4, s5
	s_cbranch_execz .LBB139_248
.LBB139_364:
	s_clause 0x1
	buffer_load_dword v0, off, s[0:3], 0 offset:480
	buffer_load_dword v1, off, s[0:3], 0 offset:484
	v_cmp_ne_u32_e32 vcc_lo, 1, v70
	v_lshlrev_b64 v[2:3], 3, v[56:57]
	s_cbranch_vccnz .LBB139_366
; %bb.365:
	v_add_co_u32 v4, vcc_lo, v71, v2
	v_add_co_ci_u32_e64 v5, null, v72, v3, vcc_lo
	flat_load_dwordx2 v[4:5], v[4:5]
	s_waitcnt vmcnt(0) lgkmcnt(0)
	v_mul_f64 v[4:5], s[38:39], v[4:5]
	s_branch .LBB139_367
.LBB139_366:
	v_mov_b32_e32 v4, 0
	v_mov_b32_e32 v5, 0
.LBB139_367:
	s_waitcnt vmcnt(0)
	v_add_f64 v[0:1], v[0:1], v[4:5]
	v_add_co_u32 v2, vcc_lo, v68, v2
	v_add_co_ci_u32_e64 v3, null, v69, v3, vcc_lo
	flat_store_dwordx2 v[2:3], v[0:1]
	s_or_b32 exec_lo, exec_lo, s4
	s_and_b32 s5, s16, s35
	s_and_saveexec_b32 s4, s5
	s_cbranch_execz .LBB139_249
.LBB139_368:
	s_clause 0x1
	buffer_load_dword v0, off, s[0:3], 0 offset:488
	buffer_load_dword v1, off, s[0:3], 0 offset:492
	v_cmp_ne_u32_e32 vcc_lo, 1, v70
	v_lshlrev_b64 v[2:3], 3, v[58:59]
	s_cbranch_vccnz .LBB139_370
; %bb.369:
	v_add_co_u32 v4, vcc_lo, v71, v2
	v_add_co_ci_u32_e64 v5, null, v72, v3, vcc_lo
	flat_load_dwordx2 v[4:5], v[4:5]
	s_waitcnt vmcnt(0) lgkmcnt(0)
	v_mul_f64 v[4:5], s[38:39], v[4:5]
	s_branch .LBB139_371
.LBB139_370:
	v_mov_b32_e32 v4, 0
	v_mov_b32_e32 v5, 0
.LBB139_371:
	s_waitcnt vmcnt(0)
	v_add_f64 v[0:1], v[0:1], v[4:5]
	v_add_co_u32 v2, vcc_lo, v68, v2
	v_add_co_ci_u32_e64 v3, null, v69, v3, vcc_lo
	flat_store_dwordx2 v[2:3], v[0:1]
	s_or_b32 exec_lo, exec_lo, s4
	s_and_b32 s5, s16, s36
	s_and_saveexec_b32 s4, s5
	s_cbranch_execz .LBB139_250
.LBB139_372:
	s_clause 0x1
	buffer_load_dword v0, off, s[0:3], 0 offset:496
	buffer_load_dword v1, off, s[0:3], 0 offset:500
	v_cmp_ne_u32_e32 vcc_lo, 1, v70
	v_lshlrev_b64 v[2:3], 3, v[60:61]
	s_cbranch_vccnz .LBB139_374
; %bb.373:
	v_add_co_u32 v4, vcc_lo, v71, v2
	v_add_co_ci_u32_e64 v5, null, v72, v3, vcc_lo
	flat_load_dwordx2 v[4:5], v[4:5]
	s_waitcnt vmcnt(0) lgkmcnt(0)
	v_mul_f64 v[4:5], s[38:39], v[4:5]
	s_branch .LBB139_375
.LBB139_374:
	v_mov_b32_e32 v4, 0
	v_mov_b32_e32 v5, 0
.LBB139_375:
	s_waitcnt vmcnt(0)
	v_add_f64 v[0:1], v[0:1], v[4:5]
	v_add_co_u32 v2, vcc_lo, v68, v2
	v_add_co_ci_u32_e64 v3, null, v69, v3, vcc_lo
	flat_store_dwordx2 v[2:3], v[0:1]
	s_or_b32 exec_lo, exec_lo, s4
	s_and_b32 s4, s16, s37
	s_and_saveexec_b32 s5, s4
	s_cbranch_execz .LBB139_251
.LBB139_376:
	s_clause 0x1
	buffer_load_dword v0, off, s[0:3], 0 offset:504
	buffer_load_dword v1, off, s[0:3], 0 offset:508
	v_cmp_ne_u32_e32 vcc_lo, 1, v70
	v_lshlrev_b64 v[2:3], 3, v[62:63]
	s_cbranch_vccnz .LBB139_378
; %bb.377:
	v_add_co_u32 v4, vcc_lo, v71, v2
	v_add_co_ci_u32_e64 v5, null, v72, v3, vcc_lo
	flat_load_dwordx2 v[4:5], v[4:5]
	s_waitcnt vmcnt(0) lgkmcnt(0)
	v_mul_f64 v[4:5], s[38:39], v[4:5]
	s_branch .LBB139_379
.LBB139_378:
	v_mov_b32_e32 v4, 0
	v_mov_b32_e32 v5, 0
.LBB139_379:
	s_waitcnt vmcnt(0)
	v_add_f64 v[0:1], v[0:1], v[4:5]
	v_add_co_u32 v2, vcc_lo, v68, v2
	v_add_co_ci_u32_e64 v3, null, v69, v3, vcc_lo
	flat_store_dwordx2 v[2:3], v[0:1]
	s_endpgm
	.section	.rodata,"a",@progbits
	.p2align	6, 0x0
	.amdhsa_kernel _ZN12_GLOBAL__N_120geam_min_plus_kernelIdddLi4ELi64ELi128ELi128ELi4ELi4ELi64ELi4ELi64ELc84ELc78ELb1ELb1ELb0EdKPKdKPdEEviiiT16_PT17_ilS8_ilS6_S8_ilPT18_ili26rocblas_geam_ex_operation_
		.amdhsa_group_segment_fixed_size 16384
		.amdhsa_private_segment_fixed_size 528
		.amdhsa_kernarg_size 136
		.amdhsa_user_sgpr_count 6
		.amdhsa_user_sgpr_private_segment_buffer 1
		.amdhsa_user_sgpr_dispatch_ptr 0
		.amdhsa_user_sgpr_queue_ptr 0
		.amdhsa_user_sgpr_kernarg_segment_ptr 1
		.amdhsa_user_sgpr_dispatch_id 0
		.amdhsa_user_sgpr_flat_scratch_init 0
		.amdhsa_user_sgpr_private_segment_size 0
		.amdhsa_wavefront_size32 1
		.amdhsa_uses_dynamic_stack 0
		.amdhsa_system_sgpr_private_segment_wavefront_offset 1
		.amdhsa_system_sgpr_workgroup_id_x 1
		.amdhsa_system_sgpr_workgroup_id_y 0
		.amdhsa_system_sgpr_workgroup_id_z 1
		.amdhsa_system_sgpr_workgroup_info 0
		.amdhsa_system_vgpr_workitem_id 1
		.amdhsa_next_free_vgpr 230
		.amdhsa_next_free_sgpr 50
		.amdhsa_reserve_vcc 1
		.amdhsa_reserve_flat_scratch 0
		.amdhsa_float_round_mode_32 0
		.amdhsa_float_round_mode_16_64 0
		.amdhsa_float_denorm_mode_32 3
		.amdhsa_float_denorm_mode_16_64 3
		.amdhsa_dx10_clamp 1
		.amdhsa_ieee_mode 1
		.amdhsa_fp16_overflow 0
		.amdhsa_workgroup_processor_mode 1
		.amdhsa_memory_ordered 1
		.amdhsa_forward_progress 1
		.amdhsa_shared_vgpr_count 0
		.amdhsa_exception_fp_ieee_invalid_op 0
		.amdhsa_exception_fp_denorm_src 0
		.amdhsa_exception_fp_ieee_div_zero 0
		.amdhsa_exception_fp_ieee_overflow 0
		.amdhsa_exception_fp_ieee_underflow 0
		.amdhsa_exception_fp_ieee_inexact 0
		.amdhsa_exception_int_div_zero 0
	.end_amdhsa_kernel
	.section	.text._ZN12_GLOBAL__N_120geam_min_plus_kernelIdddLi4ELi64ELi128ELi128ELi4ELi4ELi64ELi4ELi64ELc84ELc78ELb1ELb1ELb0EdKPKdKPdEEviiiT16_PT17_ilS8_ilS6_S8_ilPT18_ili26rocblas_geam_ex_operation_,"axG",@progbits,_ZN12_GLOBAL__N_120geam_min_plus_kernelIdddLi4ELi64ELi128ELi128ELi4ELi4ELi64ELi4ELi64ELc84ELc78ELb1ELb1ELb0EdKPKdKPdEEviiiT16_PT17_ilS8_ilS6_S8_ilPT18_ili26rocblas_geam_ex_operation_,comdat
.Lfunc_end139:
	.size	_ZN12_GLOBAL__N_120geam_min_plus_kernelIdddLi4ELi64ELi128ELi128ELi4ELi4ELi64ELi4ELi64ELc84ELc78ELb1ELb1ELb0EdKPKdKPdEEviiiT16_PT17_ilS8_ilS6_S8_ilPT18_ili26rocblas_geam_ex_operation_, .Lfunc_end139-_ZN12_GLOBAL__N_120geam_min_plus_kernelIdddLi4ELi64ELi128ELi128ELi4ELi4ELi64ELi4ELi64ELc84ELc78ELb1ELb1ELb0EdKPKdKPdEEviiiT16_PT17_ilS8_ilS6_S8_ilPT18_ili26rocblas_geam_ex_operation_
                                        ; -- End function
	.set _ZN12_GLOBAL__N_120geam_min_plus_kernelIdddLi4ELi64ELi128ELi128ELi4ELi4ELi64ELi4ELi64ELc84ELc78ELb1ELb1ELb0EdKPKdKPdEEviiiT16_PT17_ilS8_ilS6_S8_ilPT18_ili26rocblas_geam_ex_operation_.num_vgpr, 230
	.set _ZN12_GLOBAL__N_120geam_min_plus_kernelIdddLi4ELi64ELi128ELi128ELi4ELi4ELi64ELi4ELi64ELc84ELc78ELb1ELb1ELb0EdKPKdKPdEEviiiT16_PT17_ilS8_ilS6_S8_ilPT18_ili26rocblas_geam_ex_operation_.num_agpr, 0
	.set _ZN12_GLOBAL__N_120geam_min_plus_kernelIdddLi4ELi64ELi128ELi128ELi4ELi4ELi64ELi4ELi64ELc84ELc78ELb1ELb1ELb0EdKPKdKPdEEviiiT16_PT17_ilS8_ilS6_S8_ilPT18_ili26rocblas_geam_ex_operation_.numbered_sgpr, 50
	.set _ZN12_GLOBAL__N_120geam_min_plus_kernelIdddLi4ELi64ELi128ELi128ELi4ELi4ELi64ELi4ELi64ELc84ELc78ELb1ELb1ELb0EdKPKdKPdEEviiiT16_PT17_ilS8_ilS6_S8_ilPT18_ili26rocblas_geam_ex_operation_.num_named_barrier, 0
	.set _ZN12_GLOBAL__N_120geam_min_plus_kernelIdddLi4ELi64ELi128ELi128ELi4ELi4ELi64ELi4ELi64ELc84ELc78ELb1ELb1ELb0EdKPKdKPdEEviiiT16_PT17_ilS8_ilS6_S8_ilPT18_ili26rocblas_geam_ex_operation_.private_seg_size, 528
	.set _ZN12_GLOBAL__N_120geam_min_plus_kernelIdddLi4ELi64ELi128ELi128ELi4ELi4ELi64ELi4ELi64ELc84ELc78ELb1ELb1ELb0EdKPKdKPdEEviiiT16_PT17_ilS8_ilS6_S8_ilPT18_ili26rocblas_geam_ex_operation_.uses_vcc, 1
	.set _ZN12_GLOBAL__N_120geam_min_plus_kernelIdddLi4ELi64ELi128ELi128ELi4ELi4ELi64ELi4ELi64ELc84ELc78ELb1ELb1ELb0EdKPKdKPdEEviiiT16_PT17_ilS8_ilS6_S8_ilPT18_ili26rocblas_geam_ex_operation_.uses_flat_scratch, 0
	.set _ZN12_GLOBAL__N_120geam_min_plus_kernelIdddLi4ELi64ELi128ELi128ELi4ELi4ELi64ELi4ELi64ELc84ELc78ELb1ELb1ELb0EdKPKdKPdEEviiiT16_PT17_ilS8_ilS6_S8_ilPT18_ili26rocblas_geam_ex_operation_.has_dyn_sized_stack, 0
	.set _ZN12_GLOBAL__N_120geam_min_plus_kernelIdddLi4ELi64ELi128ELi128ELi4ELi4ELi64ELi4ELi64ELc84ELc78ELb1ELb1ELb0EdKPKdKPdEEviiiT16_PT17_ilS8_ilS6_S8_ilPT18_ili26rocblas_geam_ex_operation_.has_recursion, 0
	.set _ZN12_GLOBAL__N_120geam_min_plus_kernelIdddLi4ELi64ELi128ELi128ELi4ELi4ELi64ELi4ELi64ELc84ELc78ELb1ELb1ELb0EdKPKdKPdEEviiiT16_PT17_ilS8_ilS6_S8_ilPT18_ili26rocblas_geam_ex_operation_.has_indirect_call, 0
	.section	.AMDGPU.csdata,"",@progbits
; Kernel info:
; codeLenInByte = 21600
; TotalNumSgprs: 52
; NumVgprs: 230
; ScratchSize: 528
; MemoryBound: 0
; FloatMode: 240
; IeeeMode: 1
; LDSByteSize: 16384 bytes/workgroup (compile time only)
; SGPRBlocks: 0
; VGPRBlocks: 28
; NumSGPRsForWavesPerEU: 52
; NumVGPRsForWavesPerEU: 230
; Occupancy: 4
; WaveLimiterHint : 1
; COMPUTE_PGM_RSRC2:SCRATCH_EN: 1
; COMPUTE_PGM_RSRC2:USER_SGPR: 6
; COMPUTE_PGM_RSRC2:TRAP_HANDLER: 0
; COMPUTE_PGM_RSRC2:TGID_X_EN: 1
; COMPUTE_PGM_RSRC2:TGID_Y_EN: 0
; COMPUTE_PGM_RSRC2:TGID_Z_EN: 1
; COMPUTE_PGM_RSRC2:TIDIG_COMP_CNT: 1
	.section	.text._ZN12_GLOBAL__N_120geam_min_plus_kernelIdddLi4ELi64ELi128ELi128ELi4ELi4ELi64ELi4ELi64ELc84ELc78ELb0ELb1ELb0EdKPKdKPdEEviiiT16_PT17_ilS8_ilS6_S8_ilPT18_ili26rocblas_geam_ex_operation_,"axG",@progbits,_ZN12_GLOBAL__N_120geam_min_plus_kernelIdddLi4ELi64ELi128ELi128ELi4ELi4ELi64ELi4ELi64ELc84ELc78ELb0ELb1ELb0EdKPKdKPdEEviiiT16_PT17_ilS8_ilS6_S8_ilPT18_ili26rocblas_geam_ex_operation_,comdat
	.globl	_ZN12_GLOBAL__N_120geam_min_plus_kernelIdddLi4ELi64ELi128ELi128ELi4ELi4ELi64ELi4ELi64ELc84ELc78ELb0ELb1ELb0EdKPKdKPdEEviiiT16_PT17_ilS8_ilS6_S8_ilPT18_ili26rocblas_geam_ex_operation_ ; -- Begin function _ZN12_GLOBAL__N_120geam_min_plus_kernelIdddLi4ELi64ELi128ELi128ELi4ELi4ELi64ELi4ELi64ELc84ELc78ELb0ELb1ELb0EdKPKdKPdEEviiiT16_PT17_ilS8_ilS6_S8_ilPT18_ili26rocblas_geam_ex_operation_
	.p2align	8
	.type	_ZN12_GLOBAL__N_120geam_min_plus_kernelIdddLi4ELi64ELi128ELi128ELi4ELi4ELi64ELi4ELi64ELc84ELc78ELb0ELb1ELb0EdKPKdKPdEEviiiT16_PT17_ilS8_ilS6_S8_ilPT18_ili26rocblas_geam_ex_operation_,@function
_ZN12_GLOBAL__N_120geam_min_plus_kernelIdddLi4ELi64ELi128ELi128ELi4ELi4ELi64ELi4ELi64ELc84ELc78ELb0ELb1ELb0EdKPKdKPdEEviiiT16_PT17_ilS8_ilS6_S8_ilPT18_ili26rocblas_geam_ex_operation_: ; @_ZN12_GLOBAL__N_120geam_min_plus_kernelIdddLi4ELi64ELi128ELi128ELi4ELi4ELi64ELi4ELi64ELc84ELc78ELb0ELb1ELb0EdKPKdKPdEEviiiT16_PT17_ilS8_ilS6_S8_ilPT18_ili26rocblas_geam_ex_operation_
; %bb.0:
	s_add_u32 s0, s0, s8
	s_clause 0x1
	s_load_dwordx4 s[12:15], s[4:5], 0x10
	s_load_dwordx4 s[8:11], s[4:5], 0x28
	s_mov_b32 s20, s7
	s_addc_u32 s1, s1, 0
	s_mov_b64 s[16:17], 0
	s_waitcnt lgkmcnt(0)
	v_cmp_eq_f64_e64 s7, s[12:13], 0
	s_and_b32 vcc_lo, exec_lo, s7
	s_cbranch_vccnz .LBB140_2
; %bb.1:
	s_mov_b32 s21, 0
	s_lshl_b64 s[16:17], s[20:21], 3
	s_add_u32 s14, s14, s16
	s_addc_u32 s15, s15, s17
	s_lshl_b64 s[8:9], s[8:9], 3
	s_load_dwordx2 s[14:15], s[14:15], 0x0
	s_waitcnt lgkmcnt(0)
	s_add_u32 s16, s14, s8
	s_addc_u32 s17, s15, s9
.LBB140_2:
	s_clause 0x1
	s_load_dwordx4 s[36:39], s[4:5], 0x40
	s_load_dwordx2 s[14:15], s[4:5], 0x50
	s_andn2_b32 vcc_lo, exec_lo, s7
	s_mov_b32 s21, 0
	s_cbranch_vccnz .LBB140_4
; %bb.3:
	s_mov_b32 s7, s21
	s_mov_b64 s[44:45], 0
	s_andn2_b32 vcc_lo, exec_lo, s7
	s_mov_b64 s[18:19], 0
	s_cbranch_vccz .LBB140_5
	s_branch .LBB140_6
.LBB140_4:
	s_mov_b64 s[44:45], 0
	s_mov_b64 s[18:19], 0
.LBB140_5:
	s_lshl_b64 s[8:9], s[20:21], 3
	s_add_u32 s8, s10, s8
	s_addc_u32 s9, s11, s9
	s_waitcnt lgkmcnt(0)
	s_lshl_b64 s[10:11], s[36:37], 3
	s_load_dwordx2 s[8:9], s[8:9], 0x0
	s_waitcnt lgkmcnt(0)
	s_add_u32 s18, s8, s10
	s_addc_u32 s19, s9, s11
.LBB140_6:
	s_waitcnt lgkmcnt(0)
	v_cmp_eq_f64_e64 s7, s[38:39], 0
	v_cmp_neq_f64_e64 s46, s[38:39], 0
	s_load_dwordx4 s[8:11], s[4:5], 0x60
	s_and_b32 vcc_lo, exec_lo, s7
	s_cbranch_vccnz .LBB140_8
; %bb.7:
	s_lshl_b64 s[22:23], s[20:21], 3
	s_add_u32 s14, s14, s22
	s_addc_u32 s15, s15, s23
	s_waitcnt lgkmcnt(0)
	s_lshl_b64 s[8:9], s[8:9], 3
	s_load_dwordx2 s[14:15], s[14:15], 0x0
	s_waitcnt lgkmcnt(0)
	s_add_u32 s44, s14, s8
	s_addc_u32 s45, s15, s9
.LBB140_8:
	s_clause 0x1
	s_load_dwordx4 s[40:43], s[4:5], 0x0
	s_load_dword s22, s[4:5], 0x20
	s_waitcnt lgkmcnt(0)
	s_lshl_b64 s[8:9], s[20:21], 3
	v_lshrrev_b32_e32 v2, 2, v0
	s_add_u32 s8, s10, s8
	s_addc_u32 s9, s11, s9
	v_and_b32_e32 v86, 3, v0
	s_load_dwordx2 s[14:15], s[8:9], 0x0
	v_add_nc_u32_e32 v78, v2, v1
	v_cmp_eq_f64_e64 s24, s[12:13], 0
	v_mov_b32_e32 v4, 0
	v_mov_b32_e32 v10, 0
	;; [unrolled: 1-line block ×3, first 2 shown]
	buffer_store_dword v10, off, s[0:3], 0 offset:4
	buffer_store_dword v10, off, s[0:3], 0
	buffer_store_dword v10, off, s[0:3], 0 offset:12
	buffer_store_dword v10, off, s[0:3], 0 offset:8
	;; [unrolled: 1-line block ×11, first 2 shown]
	s_add_i32 s7, s40, -1
	v_cmp_le_i32_e32 vcc_lo, s42, v86
	s_ashr_i32 s8, s7, 31
	buffer_store_dword v10, off, s[0:3], 0 offset:48
	s_lshr_b32 s8, s8, 25
	buffer_store_dword v10, off, s[0:3], 0 offset:60
	s_add_i32 s7, s7, s8
	buffer_store_dword v10, off, s[0:3], 0 offset:56
	s_ashr_i32 s7, s7, 7
	buffer_store_dword v10, off, s[0:3], 0 offset:68
	buffer_store_dword v10, off, s[0:3], 0 offset:64
	buffer_store_dword v10, off, s[0:3], 0 offset:76
	buffer_store_dword v10, off, s[0:3], 0 offset:72
	s_add_i32 s8, s7, 1
	s_not_b32 s7, s7
	v_cvt_f32_u32_e32 v2, s8
	buffer_store_dword v10, off, s[0:3], 0 offset:84
	buffer_store_dword v10, off, s[0:3], 0 offset:80
	;; [unrolled: 1-line block ×19, first 2 shown]
	v_rcp_iflag_f32_e32 v2, v2
	buffer_store_dword v10, off, s[0:3], 0 offset:152
	buffer_store_dword v10, off, s[0:3], 0 offset:164
	buffer_store_dword v10, off, s[0:3], 0 offset:160
	buffer_store_dword v10, off, s[0:3], 0 offset:172
	buffer_store_dword v10, off, s[0:3], 0 offset:168
	buffer_store_dword v10, off, s[0:3], 0 offset:180
	buffer_store_dword v10, off, s[0:3], 0 offset:176
	buffer_store_dword v10, off, s[0:3], 0 offset:188
	buffer_store_dword v10, off, s[0:3], 0 offset:184
	v_mul_f32_e32 v2, 0x4f7ffffe, v2
	buffer_store_dword v10, off, s[0:3], 0 offset:196
	buffer_store_dword v10, off, s[0:3], 0 offset:192
	buffer_store_dword v10, off, s[0:3], 0 offset:204
	buffer_store_dword v10, off, s[0:3], 0 offset:200
	buffer_store_dword v10, off, s[0:3], 0 offset:212
	buffer_store_dword v10, off, s[0:3], 0 offset:208
	buffer_store_dword v10, off, s[0:3], 0 offset:220
	buffer_store_dword v10, off, s[0:3], 0 offset:216
	buffer_store_dword v10, off, s[0:3], 0 offset:228
	buffer_store_dword v10, off, s[0:3], 0 offset:224
	buffer_store_dword v10, off, s[0:3], 0 offset:236
	buffer_store_dword v10, off, s[0:3], 0 offset:232
	buffer_store_dword v10, off, s[0:3], 0 offset:244
	buffer_store_dword v10, off, s[0:3], 0 offset:240
	buffer_store_dword v10, off, s[0:3], 0 offset:252
	buffer_store_dword v10, off, s[0:3], 0 offset:248
	buffer_store_dword v10, off, s[0:3], 0 offset:260
	buffer_store_dword v10, off, s[0:3], 0 offset:256
	buffer_store_dword v10, off, s[0:3], 0 offset:268
	buffer_store_dword v10, off, s[0:3], 0 offset:264
	buffer_store_dword v10, off, s[0:3], 0 offset:276
	buffer_store_dword v10, off, s[0:3], 0 offset:272
	buffer_store_dword v10, off, s[0:3], 0 offset:284
	buffer_store_dword v10, off, s[0:3], 0 offset:280
	buffer_store_dword v10, off, s[0:3], 0 offset:292
	buffer_store_dword v10, off, s[0:3], 0 offset:288
	buffer_store_dword v10, off, s[0:3], 0 offset:300
	buffer_store_dword v10, off, s[0:3], 0 offset:296
	buffer_store_dword v10, off, s[0:3], 0 offset:308
	buffer_store_dword v10, off, s[0:3], 0 offset:304
	buffer_store_dword v10, off, s[0:3], 0 offset:316
	buffer_store_dword v10, off, s[0:3], 0 offset:312
	buffer_store_dword v10, off, s[0:3], 0 offset:324
	buffer_store_dword v10, off, s[0:3], 0 offset:320
	buffer_store_dword v10, off, s[0:3], 0 offset:332
	buffer_store_dword v10, off, s[0:3], 0 offset:328
	buffer_store_dword v10, off, s[0:3], 0 offset:340
	buffer_store_dword v10, off, s[0:3], 0 offset:336
	buffer_store_dword v10, off, s[0:3], 0 offset:348
	buffer_store_dword v10, off, s[0:3], 0 offset:344
	buffer_store_dword v10, off, s[0:3], 0 offset:356
	buffer_store_dword v10, off, s[0:3], 0 offset:352
	buffer_store_dword v10, off, s[0:3], 0 offset:364
	buffer_store_dword v10, off, s[0:3], 0 offset:360
	buffer_store_dword v10, off, s[0:3], 0 offset:372
	buffer_store_dword v10, off, s[0:3], 0 offset:368
	buffer_store_dword v10, off, s[0:3], 0 offset:380
	buffer_store_dword v10, off, s[0:3], 0 offset:376
	buffer_store_dword v10, off, s[0:3], 0 offset:388
	buffer_store_dword v10, off, s[0:3], 0 offset:384
	buffer_store_dword v10, off, s[0:3], 0 offset:396
	buffer_store_dword v10, off, s[0:3], 0 offset:392
	buffer_store_dword v10, off, s[0:3], 0 offset:404
	buffer_store_dword v10, off, s[0:3], 0 offset:400
	buffer_store_dword v10, off, s[0:3], 0 offset:412
	buffer_store_dword v10, off, s[0:3], 0 offset:408
	buffer_store_dword v10, off, s[0:3], 0 offset:420
	buffer_store_dword v10, off, s[0:3], 0 offset:416
	buffer_store_dword v10, off, s[0:3], 0 offset:428
	buffer_store_dword v10, off, s[0:3], 0 offset:424
	buffer_store_dword v10, off, s[0:3], 0 offset:436
	buffer_store_dword v10, off, s[0:3], 0 offset:432
	buffer_store_dword v10, off, s[0:3], 0 offset:444
	buffer_store_dword v10, off, s[0:3], 0 offset:440
	buffer_store_dword v10, off, s[0:3], 0 offset:452
	buffer_store_dword v10, off, s[0:3], 0 offset:448
	buffer_store_dword v10, off, s[0:3], 0 offset:460
	buffer_store_dword v10, off, s[0:3], 0 offset:456
	buffer_store_dword v10, off, s[0:3], 0 offset:468
	buffer_store_dword v10, off, s[0:3], 0 offset:464
	buffer_store_dword v10, off, s[0:3], 0 offset:476
	buffer_store_dword v10, off, s[0:3], 0 offset:472
	buffer_store_dword v10, off, s[0:3], 0 offset:484
	buffer_store_dword v10, off, s[0:3], 0 offset:480
	buffer_store_dword v10, off, s[0:3], 0 offset:492
	v_cvt_u32_f32_e32 v2, v2
	buffer_store_dword v10, off, s[0:3], 0 offset:488
	buffer_store_dword v10, off, s[0:3], 0 offset:500
	;; [unrolled: 1-line block ×5, first 2 shown]
	v_readfirstlane_b32 s9, v2
	s_mul_i32 s7, s7, s9
	s_mul_hi_u32 s7, s9, s7
	s_add_i32 s9, s9, s7
	s_mul_hi_u32 s7, s6, s9
	s_mul_i32 s9, s7, s8
	s_add_i32 s10, s7, 1
	s_sub_i32 s9, s6, s9
	s_sub_i32 s11, s9, s8
	s_cmp_ge_u32 s9, s8
	s_cselect_b32 s7, s10, s7
	s_cselect_b32 s9, s11, s9
	s_add_i32 s10, s7, 1
	s_cmp_ge_u32 s9, s8
	s_cselect_b32 s9, s10, s7
	s_add_i32 s21, s42, -1
	s_mul_i32 s7, s9, s8
	v_min_i32_e32 v2, s21, v86
	s_sub_i32 s6, s6, s7
	s_lshl_b32 s11, s6, 7
	v_ashrrev_i32_e32 v3, 31, v2
	v_add_nc_u32_e32 v79, s11, v78
	v_lshlrev_b64 v[6:7], 3, v[2:3]
	v_cmp_le_i32_e64 s6, s40, v79
	v_mov_b32_e32 v2, 0
	v_mov_b32_e32 v3, 0
	v_add_co_u32 v8, s7, s16, v6
	v_add_co_ci_u32_e64 v9, null, s17, v7, s7
	s_or_b32 s7, vcc_lo, s6
	s_nor_b32 s7, s24, s7
	s_and_saveexec_b32 s8, s7
	s_cbranch_execz .LBB140_10
; %bb.9:
	v_mad_i64_i32 v[4:5], null, v79, s22, 0
	v_lshlrev_b64 v[4:5], 3, v[4:5]
	v_add_co_u32 v4, s7, v8, v4
	v_add_co_ci_u32_e64 v5, null, v9, v5, s7
	flat_load_dwordx2 v[4:5], v[4:5]
	s_waitcnt vmcnt(0) lgkmcnt(0)
	v_mul_f64 v[4:5], s[12:13], v[4:5]
.LBB140_10:
	s_or_b32 exec_lo, exec_lo, s8
	v_add_nc_u32_e32 v80, 64, v79
	v_cmp_le_i32_e64 s7, s40, v80
	s_or_b32 s8, vcc_lo, s7
	s_nor_b32 s8, s24, s8
	s_and_saveexec_b32 s10, s8
	s_cbranch_execz .LBB140_12
; %bb.11:
	v_mad_i64_i32 v[2:3], null, v80, s22, 0
	v_lshlrev_b64 v[2:3], 3, v[2:3]
	v_add_co_u32 v2, s8, v8, v2
	v_add_co_ci_u32_e64 v3, null, v9, v3, s8
	flat_load_dwordx2 v[2:3], v[2:3]
	s_waitcnt vmcnt(0) lgkmcnt(0)
	v_mul_f64 v[2:3], s[12:13], v[2:3]
.LBB140_12:
	s_or_b32 exec_lo, exec_lo, s10
	s_load_dword s23, s[4:5], 0x38
	s_lshl_b32 s20, s9, 7
	v_add_co_u32 v6, s9, s18, v6
	v_add_nc_u32_e32 v81, s20, v78
	v_mov_b32_e32 v14, 0
	v_mov_b32_e32 v16, 0
	;; [unrolled: 1-line block ×4, first 2 shown]
	v_cmp_le_i32_e64 s8, s41, v81
	v_add_co_ci_u32_e64 v7, null, s19, v7, s9
	s_or_b32 s9, vcc_lo, s8
	s_nor_b32 s9, s24, s9
	s_and_saveexec_b32 s10, s9
	s_cbranch_execz .LBB140_14
; %bb.13:
	s_waitcnt lgkmcnt(0)
	v_mad_i64_i32 v[8:9], null, v81, s23, 0
	v_lshlrev_b64 v[8:9], 3, v[8:9]
	v_add_co_u32 v8, s9, v6, v8
	v_add_co_ci_u32_e64 v9, null, v7, v9, s9
	flat_load_dwordx2 v[8:9], v[8:9]
	s_waitcnt vmcnt(0) lgkmcnt(0)
	v_mul_f64 v[16:17], s[12:13], v[8:9]
.LBB140_14:
	s_or_b32 exec_lo, exec_lo, s10
	v_add_nc_u32_e32 v82, 64, v81
	v_cmp_le_i32_e64 s9, s41, v82
	s_or_b32 s10, vcc_lo, s9
	s_nor_b32 s25, s24, s10
	s_and_saveexec_b32 s10, s25
	s_cbranch_execz .LBB140_16
; %bb.15:
	s_waitcnt lgkmcnt(0)
	v_mad_i64_i32 v[8:9], null, v82, s23, 0
	v_lshlrev_b64 v[8:9], 3, v[8:9]
	v_add_co_u32 v6, vcc_lo, v6, v8
	v_add_co_ci_u32_e64 v7, null, v7, v9, vcc_lo
	flat_load_dwordx2 v[6:7], v[6:7]
	s_waitcnt vmcnt(0) lgkmcnt(0)
	v_mul_f64 v[14:15], s[12:13], v[6:7]
.LBB140_16:
	s_or_b32 exec_lo, exec_lo, s10
	v_or_b32_e32 v10, 4, v86
	v_mov_b32_e32 v8, 0
	v_mov_b32_e32 v9, 0
	v_min_i32_e32 v6, s21, v10
	v_cmp_le_i32_e32 vcc_lo, s42, v10
	v_ashrrev_i32_e32 v7, 31, v6
	v_lshlrev_b64 v[18:19], 3, v[6:7]
	v_mov_b32_e32 v6, 0
	v_mov_b32_e32 v7, 0
	v_add_co_u32 v10, s10, s16, v18
	v_add_co_ci_u32_e64 v11, null, s17, v19, s10
	s_or_b32 s10, vcc_lo, s6
	s_nor_b32 s10, s24, s10
	s_and_saveexec_b32 s25, s10
	s_cbranch_execz .LBB140_18
; %bb.17:
	v_mad_i64_i32 v[8:9], null, v79, s22, 0
	v_lshlrev_b64 v[8:9], 3, v[8:9]
	v_add_co_u32 v8, s10, v10, v8
	v_add_co_ci_u32_e64 v9, null, v11, v9, s10
	flat_load_dwordx2 v[8:9], v[8:9]
	s_waitcnt vmcnt(0) lgkmcnt(0)
	v_mul_f64 v[8:9], s[12:13], v[8:9]
.LBB140_18:
	s_or_b32 exec_lo, exec_lo, s25
	s_or_b32 s10, vcc_lo, s7
	s_nor_b32 s10, s24, s10
	s_and_saveexec_b32 s25, s10
	s_cbranch_execz .LBB140_20
; %bb.19:
	v_mad_i64_i32 v[6:7], null, v80, s22, 0
	v_lshlrev_b64 v[6:7], 3, v[6:7]
	v_add_co_u32 v6, s10, v10, v6
	v_add_co_ci_u32_e64 v7, null, v11, v7, s10
	flat_load_dwordx2 v[6:7], v[6:7]
	s_waitcnt vmcnt(0) lgkmcnt(0)
	v_mul_f64 v[6:7], s[12:13], v[6:7]
.LBB140_20:
	s_or_b32 exec_lo, exec_lo, s25
	v_add_co_u32 v18, s10, s18, v18
	v_mov_b32_e32 v10, 0
	v_mov_b32_e32 v12, 0
	;; [unrolled: 1-line block ×4, first 2 shown]
	v_add_co_ci_u32_e64 v19, null, s19, v19, s10
	s_or_b32 s10, vcc_lo, s8
	s_nor_b32 s10, s24, s10
	s_and_saveexec_b32 s25, s10
	s_cbranch_execz .LBB140_22
; %bb.21:
	s_waitcnt lgkmcnt(0)
	v_mad_i64_i32 v[12:13], null, v81, s23, 0
	v_lshlrev_b64 v[12:13], 3, v[12:13]
	v_add_co_u32 v12, s10, v18, v12
	v_add_co_ci_u32_e64 v13, null, v19, v13, s10
	flat_load_dwordx2 v[12:13], v[12:13]
	s_waitcnt vmcnt(0) lgkmcnt(0)
	v_mul_f64 v[12:13], s[12:13], v[12:13]
.LBB140_22:
	s_or_b32 exec_lo, exec_lo, s25
	s_or_b32 s10, vcc_lo, s9
	s_nor_b32 s25, s24, s10
	s_and_saveexec_b32 s10, s25
	s_cbranch_execz .LBB140_24
; %bb.23:
	s_waitcnt lgkmcnt(0)
	v_mad_i64_i32 v[10:11], null, v82, s23, 0
	v_lshlrev_b64 v[10:11], 3, v[10:11]
	v_add_co_u32 v10, vcc_lo, v18, v10
	v_add_co_ci_u32_e64 v11, null, v19, v11, vcc_lo
	flat_load_dwordx2 v[10:11], v[10:11]
	s_waitcnt vmcnt(0) lgkmcnt(0)
	v_mul_f64 v[10:11], s[12:13], v[10:11]
.LBB140_24:
	s_or_b32 exec_lo, exec_lo, s10
	v_lshlrev_b32_e32 v18, 5, v78
	v_lshlrev_b32_e32 v88, 5, v0
	v_lshl_or_b32 v90, v1, 5, 0x2000
	s_mov_b32 s10, 0
	s_mov_b32 s25, 0
	v_lshl_or_b32 v87, v86, 3, v18
	s_addk_i32 s10, 0x100
	v_add_nc_u32_e32 v89, 0x2000, v87
	ds_write2st64_b64 v87, v[4:5], v[2:3] offset1:4
	ds_write2st64_b64 v87, v[16:17], v[14:15] offset0:16 offset1:20
	s_waitcnt lgkmcnt(0)
	s_waitcnt_vscnt null, 0x0
	s_barrier
	buffer_gl0_inv
.LBB140_25:                             ; =>This Loop Header: Depth=1
                                        ;     Child Loop BB140_26 Depth 2
	s_lshl_b32 s26, s25, 3
	s_mov_b32 s27, 0
	v_add_nc_u32_e32 v14, s26, v88
	v_add_nc_u32_e32 v83, s26, v90
	s_mov_b32 s26, -1
	ds_read2_b64 v[2:5], v14 offset1:16
	ds_read2_b64 v[18:21], v14 offset0:32 offset1:48
	ds_read2_b64 v[22:25], v14 offset0:64 offset1:80
	;; [unrolled: 1-line block ×4, first 2 shown]
	v_add_nc_u32_e32 v74, 0x800, v14
	ds_read2_b64 v[34:37], v14 offset0:160 offset1:176
	ds_read2_b64 v[38:41], v14 offset0:192 offset1:208
	;; [unrolled: 1-line block ×3, first 2 shown]
	ds_read2_b64 v[46:49], v74 offset1:16
	ds_read2_b64 v[50:53], v74 offset0:32 offset1:48
	ds_read2_b64 v[54:57], v74 offset0:64 offset1:80
	;; [unrolled: 1-line block ×6, first 2 shown]
	s_waitcnt lgkmcnt(9)
	v_max_f64 v[34:35], v[34:35], v[34:35]
	v_max_f64 v[36:37], v[36:37], v[36:37]
	;; [unrolled: 1-line block ×4, first 2 shown]
	ds_read2_b64 v[2:5], v74 offset0:224 offset1:240
	v_max_f64 v[18:19], v[18:19], v[18:19]
	v_max_f64 v[20:21], v[20:21], v[20:21]
	;; [unrolled: 1-line block ×8, first 2 shown]
	s_waitcnt lgkmcnt(9)
	v_max_f64 v[38:39], v[38:39], v[38:39]
	v_max_f64 v[40:41], v[40:41], v[40:41]
	s_waitcnt lgkmcnt(8)
	v_max_f64 v[42:43], v[42:43], v[42:43]
	v_max_f64 v[44:45], v[44:45], v[44:45]
	;; [unrolled: 3-line block ×10, first 2 shown]
	ds_read2st64_b64 v[2:5], v83 offset1:4
.LBB140_26:                             ;   Parent Loop BB140_25 Depth=1
                                        ; =>  This Inner Loop Header: Depth=2
	v_mov_b32_e32 v85, s27
	s_waitcnt lgkmcnt(0)
	v_max_f64 v[153:154], v[2:3], v[2:3]
	v_mov_b32_e32 v2, v4
	v_mov_b32_e32 v3, v5
	s_and_b32 vcc_lo, exec_lo, s26
	s_clause 0x3e
	buffer_load_dword v83, v85, s[0:3], 0 offen
	buffer_load_dword v84, v85, s[0:3], 0 offen offset:4
	buffer_load_dword v91, v85, s[0:3], 0 offen offset:8
	buffer_load_dword v92, v85, s[0:3], 0 offen offset:12
	buffer_load_dword v93, v85, s[0:3], 0 offen offset:16
	buffer_load_dword v94, v85, s[0:3], 0 offen offset:20
	buffer_load_dword v95, v85, s[0:3], 0 offen offset:24
	buffer_load_dword v96, v85, s[0:3], 0 offen offset:28
	buffer_load_dword v97, v85, s[0:3], 0 offen offset:32
	buffer_load_dword v98, v85, s[0:3], 0 offen offset:36
	buffer_load_dword v99, v85, s[0:3], 0 offen offset:40
	buffer_load_dword v100, v85, s[0:3], 0 offen offset:44
	buffer_load_dword v101, v85, s[0:3], 0 offen offset:48
	buffer_load_dword v102, v85, s[0:3], 0 offen offset:52
	buffer_load_dword v103, v85, s[0:3], 0 offen offset:56
	buffer_load_dword v104, v85, s[0:3], 0 offen offset:60
	buffer_load_dword v105, v85, s[0:3], 0 offen offset:72
	buffer_load_dword v106, v85, s[0:3], 0 offen offset:76
	buffer_load_dword v107, v85, s[0:3], 0 offen offset:80
	buffer_load_dword v108, v85, s[0:3], 0 offen offset:84
	buffer_load_dword v109, v85, s[0:3], 0 offen offset:88
	buffer_load_dword v110, v85, s[0:3], 0 offen offset:92
	buffer_load_dword v112, v85, s[0:3], 0 offen offset:68
	buffer_load_dword v111, v85, s[0:3], 0 offen offset:64
	buffer_load_dword v113, v85, s[0:3], 0 offen offset:96
	buffer_load_dword v114, v85, s[0:3], 0 offen offset:100
	buffer_load_dword v115, v85, s[0:3], 0 offen offset:104
	buffer_load_dword v116, v85, s[0:3], 0 offen offset:108
	buffer_load_dword v117, v85, s[0:3], 0 offen offset:112
	buffer_load_dword v118, v85, s[0:3], 0 offen offset:116
	buffer_load_dword v119, v85, s[0:3], 0 offen offset:120
	buffer_load_dword v120, v85, s[0:3], 0 offen offset:124
	buffer_load_dword v121, v85, s[0:3], 0 offen offset:128
	buffer_load_dword v122, v85, s[0:3], 0 offen offset:132
	buffer_load_dword v123, v85, s[0:3], 0 offen offset:136
	buffer_load_dword v124, v85, s[0:3], 0 offen offset:140
	buffer_load_dword v125, v85, s[0:3], 0 offen offset:144
	buffer_load_dword v126, v85, s[0:3], 0 offen offset:148
	buffer_load_dword v127, v85, s[0:3], 0 offen offset:152
	buffer_load_dword v128, v85, s[0:3], 0 offen offset:156
	buffer_load_dword v129, v85, s[0:3], 0 offen offset:160
	buffer_load_dword v130, v85, s[0:3], 0 offen offset:164
	buffer_load_dword v131, v85, s[0:3], 0 offen offset:168
	buffer_load_dword v132, v85, s[0:3], 0 offen offset:172
	buffer_load_dword v133, v85, s[0:3], 0 offen offset:176
	buffer_load_dword v134, v85, s[0:3], 0 offen offset:180
	buffer_load_dword v135, v85, s[0:3], 0 offen offset:184
	buffer_load_dword v136, v85, s[0:3], 0 offen offset:188
	buffer_load_dword v137, v85, s[0:3], 0 offen offset:192
	buffer_load_dword v138, v85, s[0:3], 0 offen offset:196
	buffer_load_dword v139, v85, s[0:3], 0 offen offset:200
	buffer_load_dword v140, v85, s[0:3], 0 offen offset:204
	buffer_load_dword v141, v85, s[0:3], 0 offen offset:208
	buffer_load_dword v142, v85, s[0:3], 0 offen offset:212
	buffer_load_dword v143, v85, s[0:3], 0 offen offset:216
	buffer_load_dword v144, v85, s[0:3], 0 offen offset:220
	buffer_load_dword v145, v85, s[0:3], 0 offen offset:224
	buffer_load_dword v146, v85, s[0:3], 0 offen offset:228
	buffer_load_dword v147, v85, s[0:3], 0 offen offset:232
	buffer_load_dword v148, v85, s[0:3], 0 offen offset:236
	buffer_load_dword v149, v85, s[0:3], 0 offen offset:240
	buffer_load_dword v150, v85, s[0:3], 0 offen offset:244
	buffer_load_dword v151, v85, s[0:3], 0 offen offset:248
	buffer_load_dword v152, v85, s[0:3], 0 offen offset:252
	s_mov_b32 s26, 0
	s_mov_b32 s27, s10
	v_min_f64 v[155:156], v[14:15], v[153:154]
	v_min_f64 v[157:158], v[16:17], v[153:154]
	;; [unrolled: 1-line block ×32, first 2 shown]
	s_waitcnt vmcnt(62)
	v_add_f64 v[83:84], v[155:156], v[83:84]
	s_waitcnt vmcnt(60)
	v_add_f64 v[91:92], v[157:158], v[91:92]
	;; [unrolled: 2-line block ×32, first 2 shown]
	buffer_store_dword v83, v85, s[0:3], 0 offen
	buffer_store_dword v84, v85, s[0:3], 0 offen offset:4
	buffer_store_dword v91, v85, s[0:3], 0 offen offset:8
	;; [unrolled: 1-line block ×63, first 2 shown]
	s_cbranch_vccnz .LBB140_26
; %bb.27:                               ;   in Loop: Header=BB140_25 Depth=1
	s_add_i32 s25, s25, 1
	s_cmp_eq_u32 s25, 4
	s_cbranch_scc0 .LBB140_25
; %bb.28:
	v_lshlrev_b32_e32 v2, 3, v86
	v_lshl_add_u32 v91, v0, 5, 0x1000
	v_lshl_add_u32 v92, v1, 5, 0x3000
	s_cmp_lt_i32 s42, 9
	v_lshl_or_b32 v2, v78, 5, v2
	ds_write2st64_b64 v2, v[8:9], v[6:7] offset0:8 offset1:12
	ds_write2st64_b64 v2, v[12:13], v[10:11] offset0:24 offset1:28
	s_waitcnt lgkmcnt(0)
	s_waitcnt_vscnt null, 0x0
	s_barrier
	buffer_gl0_inv
	s_cbranch_scc1 .LBB140_55
; %bb.29:
	v_mad_i64_i32 v[3:4], null, v79, s22, 0
	v_mad_i64_i32 v[5:6], null, v80, s22, 0
	;; [unrolled: 1-line block ×4, first 2 shown]
	v_lshlrev_b64 v[70:71], 3, v[3:4]
	v_add_nc_u32_e32 v93, 0x1000, v2
	v_lshlrev_b64 v[72:73], 3, v[5:6]
	v_add_nc_u32_e32 v94, 0x3000, v2
	v_lshlrev_b64 v[74:75], 3, v[7:8]
	s_add_i32 s22, s42, -8
	v_lshlrev_b64 v[76:77], 3, v[9:10]
	s_or_b32 s23, s6, s24
	s_or_b32 s7, s7, s24
	;; [unrolled: 1-line block ×4, first 2 shown]
	s_mov_b32 s24, 8
	s_mov_b32 s25, 0
.LBB140_30:                             ; =>This Loop Header: Depth=1
                                        ;     Child Loop BB140_39 Depth 2
                                        ;       Child Loop BB140_40 Depth 3
                                        ;     Child Loop BB140_51 Depth 2
                                        ;       Child Loop BB140_52 Depth 3
	v_or_b32_e32 v95, s24, v86
	v_mov_b32_e32 v6, 0
	v_mov_b32_e32 v8, 0
	;; [unrolled: 1-line block ×4, first 2 shown]
	v_min_i32_e32 v2, s21, v95
	v_cmp_le_i32_e32 vcc_lo, s42, v95
	v_ashrrev_i32_e32 v3, 31, v2
	v_lshlrev_b64 v[2:3], 3, v[2:3]
	v_add_co_u32 v4, s6, s16, v2
	v_add_co_ci_u32_e64 v5, null, s17, v3, s6
	s_nor_b32 s6, vcc_lo, s23
	s_and_saveexec_b32 s26, s6
	s_cbranch_execz .LBB140_32
; %bb.31:                               ;   in Loop: Header=BB140_30 Depth=1
	v_add_co_u32 v8, s6, v4, v70
	v_add_co_ci_u32_e64 v9, null, v5, v71, s6
	flat_load_dwordx2 v[8:9], v[8:9]
	s_waitcnt vmcnt(0) lgkmcnt(0)
	v_mul_f64 v[8:9], s[12:13], v[8:9]
.LBB140_32:                             ;   in Loop: Header=BB140_30 Depth=1
	s_or_b32 exec_lo, exec_lo, s26
	s_nor_b32 s6, vcc_lo, s7
	s_and_saveexec_b32 s26, s6
	s_cbranch_execz .LBB140_34
; %bb.33:                               ;   in Loop: Header=BB140_30 Depth=1
	v_add_co_u32 v4, s6, v4, v72
	v_add_co_ci_u32_e64 v5, null, v5, v73, s6
	flat_load_dwordx2 v[4:5], v[4:5]
	s_waitcnt vmcnt(0) lgkmcnt(0)
	v_mul_f64 v[6:7], s[12:13], v[4:5]
.LBB140_34:                             ;   in Loop: Header=BB140_30 Depth=1
	s_or_b32 exec_lo, exec_lo, s26
	v_add_co_u32 v2, s6, s18, v2
	v_mov_b32_e32 v10, 0
	v_mov_b32_e32 v12, 0
	;; [unrolled: 1-line block ×4, first 2 shown]
	v_add_co_ci_u32_e64 v3, null, s19, v3, s6
	s_nor_b32 s6, vcc_lo, s8
	s_and_saveexec_b32 s26, s6
	s_cbranch_execz .LBB140_36
; %bb.35:                               ;   in Loop: Header=BB140_30 Depth=1
	v_add_co_u32 v4, s6, v2, v74
	v_add_co_ci_u32_e64 v5, null, v3, v75, s6
	flat_load_dwordx2 v[4:5], v[4:5]
	s_waitcnt vmcnt(0) lgkmcnt(0)
	v_mul_f64 v[12:13], s[12:13], v[4:5]
.LBB140_36:                             ;   in Loop: Header=BB140_30 Depth=1
	s_or_b32 exec_lo, exec_lo, s26
	s_nor_b32 s26, vcc_lo, s9
	s_and_saveexec_b32 s6, s26
	s_cbranch_execz .LBB140_38
; %bb.37:                               ;   in Loop: Header=BB140_30 Depth=1
	v_add_co_u32 v2, vcc_lo, v2, v76
	v_add_co_ci_u32_e64 v3, null, v3, v77, vcc_lo
	flat_load_dwordx2 v[2:3], v[2:3]
	s_waitcnt vmcnt(0) lgkmcnt(0)
	v_mul_f64 v[10:11], s[12:13], v[2:3]
.LBB140_38:                             ;   in Loop: Header=BB140_30 Depth=1
	s_or_b32 exec_lo, exec_lo, s6
	s_mov_b32 s6, 0
.LBB140_39:                             ;   Parent Loop BB140_30 Depth=1
                                        ; =>  This Loop Header: Depth=2
                                        ;       Child Loop BB140_40 Depth 3
	s_lshl_b32 s26, s6, 3
	s_mov_b32 s27, 0
	v_add_nc_u32_e32 v14, s26, v91
	v_add_nc_u32_e32 v96, s26, v92
	s_mov_b32 s26, -1
	ds_read2_b64 v[2:5], v14 offset1:16
	ds_read2_b64 v[18:21], v14 offset0:32 offset1:48
	ds_read2_b64 v[22:25], v14 offset0:64 offset1:80
	v_add_nc_u32_e32 v15, 0x800, v14
	ds_read2_b64 v[26:29], v14 offset0:96 offset1:112
	ds_read2_b64 v[30:33], v14 offset0:128 offset1:144
	;; [unrolled: 1-line block ×5, first 2 shown]
	ds_read2_b64 v[46:49], v15 offset1:16
	ds_read2_b64 v[50:53], v15 offset0:32 offset1:48
	ds_read2_b64 v[54:57], v15 offset0:64 offset1:80
	;; [unrolled: 1-line block ×7, first 2 shown]
	s_waitcnt lgkmcnt(11)
	v_max_f64 v[30:31], v[30:31], v[30:31]
	v_max_f64 v[32:33], v[32:33], v[32:33]
	s_waitcnt lgkmcnt(10)
	v_max_f64 v[34:35], v[34:35], v[34:35]
	v_max_f64 v[36:37], v[36:37], v[36:37]
	;; [unrolled: 3-line block ×3, first 2 shown]
	v_max_f64 v[14:15], v[2:3], v[2:3]
	v_max_f64 v[16:17], v[4:5], v[4:5]
	;; [unrolled: 1-line block ×8, first 2 shown]
	s_waitcnt lgkmcnt(8)
	v_max_f64 v[42:43], v[42:43], v[42:43]
	v_max_f64 v[44:45], v[44:45], v[44:45]
	s_waitcnt lgkmcnt(7)
	v_max_f64 v[46:47], v[46:47], v[46:47]
	v_max_f64 v[48:49], v[48:49], v[48:49]
	;; [unrolled: 3-line block ×9, first 2 shown]
	ds_read2st64_b64 v[2:5], v96 offset1:4
.LBB140_40:                             ;   Parent Loop BB140_30 Depth=1
                                        ;     Parent Loop BB140_39 Depth=2
                                        ; =>    This Inner Loop Header: Depth=3
	v_mov_b32_e32 v224, s27
	s_waitcnt lgkmcnt(0)
	v_max_f64 v[160:161], v[2:3], v[2:3]
	v_mov_b32_e32 v2, v4
	v_mov_b32_e32 v3, v5
	s_and_b32 vcc_lo, exec_lo, s26
	s_clause 0x3e
	buffer_load_dword v96, v224, s[0:3], 0 offen
	buffer_load_dword v97, v224, s[0:3], 0 offen offset:4
	buffer_load_dword v98, v224, s[0:3], 0 offen offset:8
	;; [unrolled: 1-line block ×63, first 2 shown]
	s_mov_b32 s26, 0
	s_mov_b32 s27, s10
	v_min_f64 v[162:163], v[14:15], v[160:161]
	v_min_f64 v[164:165], v[16:17], v[160:161]
	;; [unrolled: 1-line block ×32, first 2 shown]
	s_waitcnt vmcnt(62)
	v_add_f64 v[96:97], v[162:163], v[96:97]
	s_waitcnt vmcnt(60)
	v_add_f64 v[98:99], v[164:165], v[98:99]
	;; [unrolled: 2-line block ×32, first 2 shown]
	buffer_store_dword v96, v224, s[0:3], 0 offen
	buffer_store_dword v97, v224, s[0:3], 0 offen offset:4
	buffer_store_dword v98, v224, s[0:3], 0 offen offset:8
	;; [unrolled: 1-line block ×63, first 2 shown]
	s_cbranch_vccnz .LBB140_40
; %bb.41:                               ;   in Loop: Header=BB140_39 Depth=2
	s_add_i32 s6, s6, 1
	s_cmp_eq_u32 s6, 4
	s_cbranch_scc0 .LBB140_39
; %bb.42:                               ;   in Loop: Header=BB140_30 Depth=1
	v_or_b32_e32 v4, 4, v95
	v_mov_b32_e32 v78, 0
	v_mov_b32_e32 v80, 0
	;; [unrolled: 1-line block ×4, first 2 shown]
	v_min_i32_e32 v2, s21, v4
	v_cmp_le_i32_e32 vcc_lo, s42, v4
	ds_write2st64_b64 v87, v[8:9], v[6:7] offset1:4
	ds_write2st64_b64 v89, v[12:13], v[10:11] offset1:4
	s_waitcnt lgkmcnt(0)
	s_waitcnt_vscnt null, 0x0
	v_ashrrev_i32_e32 v3, 31, v2
	s_barrier
	buffer_gl0_inv
	v_lshlrev_b64 v[2:3], 3, v[2:3]
	v_add_co_u32 v4, s6, s16, v2
	v_add_co_ci_u32_e64 v5, null, s17, v3, s6
	s_nor_b32 s6, vcc_lo, s23
	s_and_saveexec_b32 s26, s6
	s_cbranch_execz .LBB140_44
; %bb.43:                               ;   in Loop: Header=BB140_30 Depth=1
	v_add_co_u32 v6, s6, v4, v70
	v_add_co_ci_u32_e64 v7, null, v5, v71, s6
	flat_load_dwordx2 v[6:7], v[6:7]
	s_waitcnt vmcnt(0) lgkmcnt(0)
	v_mul_f64 v[80:81], s[12:13], v[6:7]
.LBB140_44:                             ;   in Loop: Header=BB140_30 Depth=1
	s_or_b32 exec_lo, exec_lo, s26
	s_nor_b32 s6, vcc_lo, s7
	s_and_saveexec_b32 s26, s6
	s_cbranch_execz .LBB140_46
; %bb.45:                               ;   in Loop: Header=BB140_30 Depth=1
	v_add_co_u32 v4, s6, v4, v72
	v_add_co_ci_u32_e64 v5, null, v5, v73, s6
	flat_load_dwordx2 v[4:5], v[4:5]
	s_waitcnt vmcnt(0) lgkmcnt(0)
	v_mul_f64 v[78:79], s[12:13], v[4:5]
.LBB140_46:                             ;   in Loop: Header=BB140_30 Depth=1
	s_or_b32 exec_lo, exec_lo, s26
	v_add_co_u32 v2, s6, s18, v2
	v_mov_b32_e32 v82, 0
	v_mov_b32_e32 v84, 0
	;; [unrolled: 1-line block ×4, first 2 shown]
	v_add_co_ci_u32_e64 v3, null, s19, v3, s6
	s_nor_b32 s6, vcc_lo, s8
	s_and_saveexec_b32 s26, s6
	s_cbranch_execz .LBB140_48
; %bb.47:                               ;   in Loop: Header=BB140_30 Depth=1
	v_add_co_u32 v4, s6, v2, v74
	v_add_co_ci_u32_e64 v5, null, v3, v75, s6
	flat_load_dwordx2 v[4:5], v[4:5]
	s_waitcnt vmcnt(0) lgkmcnt(0)
	v_mul_f64 v[84:85], s[12:13], v[4:5]
.LBB140_48:                             ;   in Loop: Header=BB140_30 Depth=1
	s_or_b32 exec_lo, exec_lo, s26
	s_nor_b32 s26, vcc_lo, s9
	s_and_saveexec_b32 s6, s26
	s_cbranch_execz .LBB140_50
; %bb.49:                               ;   in Loop: Header=BB140_30 Depth=1
	v_add_co_u32 v2, vcc_lo, v2, v76
	v_add_co_ci_u32_e64 v3, null, v3, v77, vcc_lo
	flat_load_dwordx2 v[2:3], v[2:3]
	s_waitcnt vmcnt(0) lgkmcnt(0)
	v_mul_f64 v[82:83], s[12:13], v[2:3]
.LBB140_50:                             ;   in Loop: Header=BB140_30 Depth=1
	s_or_b32 exec_lo, exec_lo, s6
	s_mov_b32 s6, 0
.LBB140_51:                             ;   Parent Loop BB140_30 Depth=1
                                        ; =>  This Loop Header: Depth=2
                                        ;       Child Loop BB140_52 Depth 3
	s_lshl_b32 s26, s6, 3
	s_mov_b32 s27, 0
	v_add_nc_u32_e32 v30, s26, v88
	v_add_nc_u32_e32 v66, s26, v90
	s_mov_b32 s26, -1
	ds_read2_b64 v[2:5], v30 offset1:16
	ds_read2_b64 v[6:9], v30 offset0:32 offset1:48
	ds_read2_b64 v[10:13], v30 offset0:64 offset1:80
	;; [unrolled: 1-line block ×3, first 2 shown]
	v_add_nc_u32_e32 v62, 0x800, v30
	ds_read2_b64 v[18:21], v30 offset0:128 offset1:144
	ds_read2_b64 v[22:25], v30 offset0:160 offset1:176
	;; [unrolled: 1-line block ×4, first 2 shown]
	ds_read2_b64 v[34:37], v62 offset1:16
	ds_read2_b64 v[38:41], v62 offset0:32 offset1:48
	ds_read2_b64 v[42:45], v62 offset0:64 offset1:80
	;; [unrolled: 1-line block ×7, first 2 shown]
	ds_read2st64_b64 v[66:69], v66 offset1:4
.LBB140_52:                             ;   Parent Loop BB140_30 Depth=1
                                        ;     Parent Loop BB140_51 Depth=2
                                        ; =>    This Inner Loop Header: Depth=3
	v_mov_b32_e32 v95, s27
	s_waitcnt lgkmcnt(16)
	v_max_f64 v[160:161], v[2:3], v[2:3]
	s_waitcnt lgkmcnt(0)
	v_max_f64 v[162:163], v[66:67], v[66:67]
	v_max_f64 v[164:165], v[4:5], v[4:5]
	;; [unrolled: 1-line block ×3, first 2 shown]
	s_clause 0x3e
	buffer_load_dword v96, v95, s[0:3], 0 offen
	buffer_load_dword v97, v95, s[0:3], 0 offen offset:4
	buffer_load_dword v98, v95, s[0:3], 0 offen offset:8
	;; [unrolled: 1-line block ×63, first 2 shown]
	v_max_f64 v[168:169], v[8:9], v[8:9]
	v_max_f64 v[170:171], v[10:11], v[10:11]
	;; [unrolled: 1-line block ×29, first 2 shown]
	v_min_f64 v[160:161], v[160:161], v[162:163]
	v_min_f64 v[164:165], v[164:165], v[162:163]
	v_min_f64 v[166:167], v[166:167], v[162:163]
	v_min_f64 v[168:169], v[168:169], v[162:163]
	v_min_f64 v[170:171], v[170:171], v[162:163]
	v_min_f64 v[172:173], v[172:173], v[162:163]
	v_min_f64 v[174:175], v[174:175], v[162:163]
	v_min_f64 v[176:177], v[176:177], v[162:163]
	v_min_f64 v[178:179], v[178:179], v[162:163]
	v_min_f64 v[180:181], v[180:181], v[162:163]
	v_min_f64 v[182:183], v[182:183], v[162:163]
	v_min_f64 v[184:185], v[184:185], v[162:163]
	v_min_f64 v[186:187], v[186:187], v[162:163]
	v_min_f64 v[188:189], v[188:189], v[162:163]
	v_min_f64 v[190:191], v[190:191], v[162:163]
	v_min_f64 v[192:193], v[192:193], v[162:163]
	v_min_f64 v[194:195], v[194:195], v[162:163]
	v_min_f64 v[196:197], v[196:197], v[162:163]
	v_min_f64 v[198:199], v[198:199], v[162:163]
	v_min_f64 v[200:201], v[200:201], v[162:163]
	v_min_f64 v[202:203], v[202:203], v[162:163]
	v_min_f64 v[204:205], v[204:205], v[162:163]
	v_min_f64 v[206:207], v[206:207], v[162:163]
	v_min_f64 v[208:209], v[208:209], v[162:163]
	v_min_f64 v[210:211], v[210:211], v[162:163]
	v_min_f64 v[212:213], v[212:213], v[162:163]
	v_min_f64 v[214:215], v[214:215], v[162:163]
	v_min_f64 v[216:217], v[216:217], v[162:163]
	v_min_f64 v[218:219], v[218:219], v[162:163]
	v_min_f64 v[220:221], v[220:221], v[162:163]
	v_min_f64 v[222:223], v[222:223], v[162:163]
	v_min_f64 v[162:163], v[224:225], v[162:163]
	v_mov_b32_e32 v66, v68
	v_mov_b32_e32 v67, v69
	s_and_b32 vcc_lo, exec_lo, s26
	s_mov_b32 s26, 0
	s_mov_b32 s27, s10
	s_waitcnt vmcnt(62)
	v_add_f64 v[96:97], v[160:161], v[96:97]
	s_waitcnt vmcnt(60)
	v_add_f64 v[98:99], v[164:165], v[98:99]
	;; [unrolled: 2-line block ×32, first 2 shown]
	buffer_store_dword v96, v95, s[0:3], 0 offen
	buffer_store_dword v97, v95, s[0:3], 0 offen offset:4
	buffer_store_dword v98, v95, s[0:3], 0 offen offset:8
	;; [unrolled: 1-line block ×63, first 2 shown]
	s_cbranch_vccnz .LBB140_52
; %bb.53:                               ;   in Loop: Header=BB140_51 Depth=2
	s_add_i32 s6, s6, 1
	s_cmp_eq_u32 s6, 4
	s_cbranch_scc0 .LBB140_51
; %bb.54:                               ;   in Loop: Header=BB140_30 Depth=1
	s_add_i32 s25, s25, 8
	s_add_i32 s24, s24, 8
	s_cmp_ge_i32 s25, s22
	ds_write2st64_b64 v93, v[80:81], v[78:79] offset1:4
	ds_write2st64_b64 v94, v[84:85], v[82:83] offset1:4
	s_waitcnt lgkmcnt(0)
	s_waitcnt_vscnt null, 0x0
	s_barrier
	buffer_gl0_inv
	s_cbranch_scc0 .LBB140_30
.LBB140_55:
	s_mov_b32 s6, 0
.LBB140_56:                             ; =>This Loop Header: Depth=1
                                        ;     Child Loop BB140_57 Depth 2
	s_lshl_b32 s7, s6, 3
	s_mov_b32 s8, 0
	v_add_nc_u32_e32 v6, s7, v91
	v_add_nc_u32_e32 v70, s7, v92
	s_mov_b32 s7, -1
	ds_read2_b64 v[2:5], v6 offset1:16
	ds_read2_b64 v[10:13], v6 offset0:32 offset1:48
	ds_read2_b64 v[14:17], v6 offset0:64 offset1:80
	v_add_nc_u32_e32 v7, 0x800, v6
	ds_read2_b64 v[18:21], v6 offset0:96 offset1:112
	ds_read2_b64 v[22:25], v6 offset0:128 offset1:144
	;; [unrolled: 1-line block ×5, first 2 shown]
	ds_read2_b64 v[38:41], v7 offset1:16
	ds_read2_b64 v[42:45], v7 offset0:32 offset1:48
	ds_read2_b64 v[46:49], v7 offset0:64 offset1:80
	;; [unrolled: 1-line block ×7, first 2 shown]
	s_waitcnt lgkmcnt(11)
	v_max_f64 v[22:23], v[22:23], v[22:23]
	v_max_f64 v[24:25], v[24:25], v[24:25]
	s_waitcnt lgkmcnt(10)
	v_max_f64 v[26:27], v[26:27], v[26:27]
	v_max_f64 v[28:29], v[28:29], v[28:29]
	;; [unrolled: 3-line block ×3, first 2 shown]
	v_max_f64 v[6:7], v[2:3], v[2:3]
	v_max_f64 v[8:9], v[4:5], v[4:5]
	;; [unrolled: 1-line block ×8, first 2 shown]
	s_waitcnt lgkmcnt(8)
	v_max_f64 v[34:35], v[34:35], v[34:35]
	v_max_f64 v[36:37], v[36:37], v[36:37]
	s_waitcnt lgkmcnt(7)
	v_max_f64 v[38:39], v[38:39], v[38:39]
	v_max_f64 v[40:41], v[40:41], v[40:41]
	;; [unrolled: 3-line block ×9, first 2 shown]
	ds_read2st64_b64 v[2:5], v70 offset1:4
.LBB140_57:                             ;   Parent Loop BB140_56 Depth=1
                                        ; =>  This Inner Loop Header: Depth=2
	v_mov_b32_e32 v90, s8
	s_waitcnt lgkmcnt(0)
	v_max_f64 v[137:138], v[2:3], v[2:3]
	v_mov_b32_e32 v2, v4
	v_mov_b32_e32 v3, v5
	s_and_b32 vcc_lo, exec_lo, s7
	s_clause 0x3e
	buffer_load_dword v70, v90, s[0:3], 0 offen
	buffer_load_dword v71, v90, s[0:3], 0 offen offset:4
	buffer_load_dword v72, v90, s[0:3], 0 offen offset:8
	;; [unrolled: 1-line block ×63, first 2 shown]
	s_mov_b32 s7, 0
	s_mov_b32 s8, s10
	v_min_f64 v[139:140], v[6:7], v[137:138]
	v_min_f64 v[141:142], v[8:9], v[137:138]
	;; [unrolled: 1-line block ×32, first 2 shown]
	s_waitcnt vmcnt(62)
	v_add_f64 v[70:71], v[139:140], v[70:71]
	s_waitcnt vmcnt(60)
	v_add_f64 v[72:73], v[141:142], v[72:73]
	s_waitcnt vmcnt(58)
	v_add_f64 v[74:75], v[143:144], v[74:75]
	s_waitcnt vmcnt(56)
	v_add_f64 v[76:77], v[145:146], v[76:77]
	s_waitcnt vmcnt(54)
	v_add_f64 v[78:79], v[147:148], v[78:79]
	s_waitcnt vmcnt(52)
	v_add_f64 v[80:81], v[149:150], v[80:81]
	s_waitcnt vmcnt(50)
	v_add_f64 v[82:83], v[151:152], v[82:83]
	s_waitcnt vmcnt(48)
	v_add_f64 v[84:85], v[153:154], v[84:85]
	s_waitcnt vmcnt(45)
	v_add_f64 v[88:89], v[157:158], v[88:89]
	s_waitcnt vmcnt(43)
	v_add_f64 v[93:94], v[159:160], v[93:94]
	s_waitcnt vmcnt(41)
	v_add_f64 v[95:96], v[161:162], v[95:96]
	s_waitcnt vmcnt(40)
	v_add_f64 v[86:87], v[155:156], v[86:87]
	s_waitcnt vmcnt(38)
	v_add_f64 v[97:98], v[163:164], v[97:98]
	s_waitcnt vmcnt(36)
	v_add_f64 v[99:100], v[165:166], v[99:100]
	s_waitcnt vmcnt(34)
	v_add_f64 v[101:102], v[167:168], v[101:102]
	s_waitcnt vmcnt(32)
	v_add_f64 v[103:104], v[169:170], v[103:104]
	s_waitcnt vmcnt(30)
	v_add_f64 v[105:106], v[171:172], v[105:106]
	s_waitcnt vmcnt(28)
	v_add_f64 v[107:108], v[173:174], v[107:108]
	s_waitcnt vmcnt(26)
	v_add_f64 v[109:110], v[175:176], v[109:110]
	s_waitcnt vmcnt(24)
	v_add_f64 v[111:112], v[177:178], v[111:112]
	s_waitcnt vmcnt(22)
	v_add_f64 v[113:114], v[179:180], v[113:114]
	s_waitcnt vmcnt(20)
	v_add_f64 v[115:116], v[181:182], v[115:116]
	s_waitcnt vmcnt(18)
	v_add_f64 v[117:118], v[183:184], v[117:118]
	s_waitcnt vmcnt(16)
	v_add_f64 v[119:120], v[185:186], v[119:120]
	s_waitcnt vmcnt(14)
	v_add_f64 v[121:122], v[187:188], v[121:122]
	s_waitcnt vmcnt(12)
	v_add_f64 v[123:124], v[189:190], v[123:124]
	s_waitcnt vmcnt(10)
	v_add_f64 v[125:126], v[191:192], v[125:126]
	s_waitcnt vmcnt(8)
	v_add_f64 v[127:128], v[193:194], v[127:128]
	s_waitcnt vmcnt(6)
	v_add_f64 v[129:130], v[195:196], v[129:130]
	s_waitcnt vmcnt(4)
	v_add_f64 v[131:132], v[197:198], v[131:132]
	s_waitcnt vmcnt(2)
	v_add_f64 v[133:134], v[199:200], v[133:134]
	s_waitcnt vmcnt(0)
	v_add_f64 v[135:136], v[137:138], v[135:136]
	buffer_store_dword v70, v90, s[0:3], 0 offen
	buffer_store_dword v71, v90, s[0:3], 0 offen offset:4
	buffer_store_dword v72, v90, s[0:3], 0 offen offset:8
	;; [unrolled: 1-line block ×63, first 2 shown]
	s_cbranch_vccnz .LBB140_57
; %bb.58:                               ;   in Loop: Header=BB140_56 Depth=1
	s_add_i32 s6, s6, 1
	s_cmp_eq_u32 s6, 4
	s_cbranch_scc0 .LBB140_56
; %bb.59:
	s_clause 0x2
	s_load_dword s43, s[4:5], 0x58
	s_load_dword s42, s[4:5], 0x70
	s_load_dwordx2 s[6:7], s[4:5], 0x78
	v_add_nc_u32_e32 v71, s20, v1
	v_add_nc_u32_e32 v0, s11, v0
	v_cndmask_b32_e64 v70, 0, 1, s46
	v_cmp_gt_i32_e64 s16, s41, v71
	v_cmp_gt_i32_e64 s4, s40, v0
	s_waitcnt lgkmcnt(0)
	v_mad_i64_i32 v[1:2], null, v71, s43, 0
	v_mad_i64_i32 v[3:4], null, v71, s42, 0
	s_lshl_b64 s[6:7], s[6:7], 3
	s_add_u32 s47, s14, s6
	s_addc_u32 s48, s15, s7
	v_lshlrev_b64 v[5:6], 3, v[1:2]
	v_ashrrev_i32_e32 v1, 31, v0
	v_lshlrev_b64 v[2:3], 3, v[3:4]
	s_and_b32 s6, s16, s4
	v_add_co_u32 v68, vcc_lo, s44, v5
	v_add_co_ci_u32_e64 v69, null, s45, v6, vcc_lo
	v_add_co_u32 v72, vcc_lo, s47, v2
	v_add_co_ci_u32_e64 v73, null, s48, v3, vcc_lo
	s_and_saveexec_b32 s5, s6
	s_cbranch_execz .LBB140_64
; %bb.60:
	s_clause 0x1
	buffer_load_dword v2, off, s[0:3], 0
	buffer_load_dword v3, off, s[0:3], 0 offset:4
	v_lshlrev_b64 v[4:5], 3, v[0:1]
	s_andn2_b32 vcc_lo, exec_lo, s46
	s_cbranch_vccnz .LBB140_62
; %bb.61:
	v_add_co_u32 v6, vcc_lo, v68, v4
	v_add_co_ci_u32_e64 v7, null, v69, v5, vcc_lo
	flat_load_dwordx2 v[6:7], v[6:7]
	s_waitcnt vmcnt(0) lgkmcnt(0)
	v_mul_f64 v[6:7], s[38:39], v[6:7]
	s_branch .LBB140_63
.LBB140_62:
	v_mov_b32_e32 v6, 0
	v_mov_b32_e32 v7, 0
.LBB140_63:
	s_waitcnt vmcnt(0)
	v_add_f64 v[2:3], v[2:3], v[6:7]
	v_add_co_u32 v4, vcc_lo, v72, v4
	v_add_co_ci_u32_e64 v5, null, v73, v5, vcc_lo
	flat_store_dwordx2 v[4:5], v[2:3]
.LBB140_64:
	s_or_b32 exec_lo, exec_lo, s5
	v_add_nc_u32_e32 v2, 4, v0
	v_cmp_gt_i32_e64 s5, s40, v2
	v_ashrrev_i32_e32 v3, 31, v2
	s_and_b32 s7, s16, s5
	s_and_saveexec_b32 s6, s7
	s_cbranch_execz .LBB140_69
; %bb.65:
	s_clause 0x1
	buffer_load_dword v4, off, s[0:3], 0 offset:8
	buffer_load_dword v5, off, s[0:3], 0 offset:12
	v_lshlrev_b64 v[6:7], 3, v[2:3]
	s_andn2_b32 vcc_lo, exec_lo, s46
	s_cbranch_vccnz .LBB140_67
; %bb.66:
	v_add_co_u32 v8, vcc_lo, v68, v6
	v_add_co_ci_u32_e64 v9, null, v69, v7, vcc_lo
	flat_load_dwordx2 v[8:9], v[8:9]
	s_waitcnt vmcnt(0) lgkmcnt(0)
	v_mul_f64 v[8:9], s[38:39], v[8:9]
	s_branch .LBB140_68
.LBB140_67:
	v_mov_b32_e32 v8, 0
	v_mov_b32_e32 v9, 0
.LBB140_68:
	s_waitcnt vmcnt(0)
	v_add_f64 v[4:5], v[4:5], v[8:9]
	v_add_co_u32 v6, vcc_lo, v72, v6
	v_add_co_ci_u32_e64 v7, null, v73, v7, vcc_lo
	flat_store_dwordx2 v[6:7], v[4:5]
.LBB140_69:
	s_or_b32 exec_lo, exec_lo, s6
	v_add_nc_u32_e32 v4, 8, v0
	v_cmp_gt_i32_e64 s6, s40, v4
	v_ashrrev_i32_e32 v5, 31, v4
	s_and_b32 s8, s16, s6
	s_and_saveexec_b32 s7, s8
	s_cbranch_execz .LBB140_74
; %bb.70:
	s_clause 0x1
	buffer_load_dword v6, off, s[0:3], 0 offset:16
	buffer_load_dword v7, off, s[0:3], 0 offset:20
	v_lshlrev_b64 v[8:9], 3, v[4:5]
	s_andn2_b32 vcc_lo, exec_lo, s46
	s_cbranch_vccnz .LBB140_72
; %bb.71:
	v_add_co_u32 v10, vcc_lo, v68, v8
	v_add_co_ci_u32_e64 v11, null, v69, v9, vcc_lo
	flat_load_dwordx2 v[10:11], v[10:11]
	s_waitcnt vmcnt(0) lgkmcnt(0)
	v_mul_f64 v[10:11], s[38:39], v[10:11]
	s_branch .LBB140_73
.LBB140_72:
	v_mov_b32_e32 v10, 0
	v_mov_b32_e32 v11, 0
.LBB140_73:
	s_waitcnt vmcnt(0)
	v_add_f64 v[6:7], v[6:7], v[10:11]
	v_add_co_u32 v8, vcc_lo, v72, v8
	v_add_co_ci_u32_e64 v9, null, v73, v9, vcc_lo
	flat_store_dwordx2 v[8:9], v[6:7]
.LBB140_74:
	s_or_b32 exec_lo, exec_lo, s7
	v_add_nc_u32_e32 v6, 12, v0
	v_cmp_gt_i32_e64 s7, s40, v6
	v_ashrrev_i32_e32 v7, 31, v6
	s_and_b32 s9, s16, s7
	s_and_saveexec_b32 s8, s9
	s_cbranch_execz .LBB140_79
; %bb.75:
	s_clause 0x1
	buffer_load_dword v8, off, s[0:3], 0 offset:24
	buffer_load_dword v9, off, s[0:3], 0 offset:28
	v_lshlrev_b64 v[10:11], 3, v[6:7]
	s_andn2_b32 vcc_lo, exec_lo, s46
	s_cbranch_vccnz .LBB140_77
; %bb.76:
	v_add_co_u32 v12, vcc_lo, v68, v10
	v_add_co_ci_u32_e64 v13, null, v69, v11, vcc_lo
	flat_load_dwordx2 v[12:13], v[12:13]
	s_waitcnt vmcnt(0) lgkmcnt(0)
	v_mul_f64 v[12:13], s[38:39], v[12:13]
	s_branch .LBB140_78
.LBB140_77:
	v_mov_b32_e32 v12, 0
	v_mov_b32_e32 v13, 0
.LBB140_78:
	s_waitcnt vmcnt(0)
	v_add_f64 v[8:9], v[8:9], v[12:13]
	v_add_co_u32 v10, vcc_lo, v72, v10
	v_add_co_ci_u32_e64 v11, null, v73, v11, vcc_lo
	flat_store_dwordx2 v[10:11], v[8:9]
.LBB140_79:
	s_or_b32 exec_lo, exec_lo, s8
	v_add_nc_u32_e32 v8, 16, v0
	v_cmp_gt_i32_e64 s8, s40, v8
	v_ashrrev_i32_e32 v9, 31, v8
	s_and_b32 s10, s16, s8
	s_and_saveexec_b32 s9, s10
	s_cbranch_execz .LBB140_84
; %bb.80:
	s_clause 0x1
	buffer_load_dword v10, off, s[0:3], 0 offset:32
	buffer_load_dword v11, off, s[0:3], 0 offset:36
	v_lshlrev_b64 v[12:13], 3, v[8:9]
	s_andn2_b32 vcc_lo, exec_lo, s46
	s_cbranch_vccnz .LBB140_82
; %bb.81:
	v_add_co_u32 v14, vcc_lo, v68, v12
	v_add_co_ci_u32_e64 v15, null, v69, v13, vcc_lo
	flat_load_dwordx2 v[14:15], v[14:15]
	s_waitcnt vmcnt(0) lgkmcnt(0)
	v_mul_f64 v[14:15], s[38:39], v[14:15]
	s_branch .LBB140_83
.LBB140_82:
	v_mov_b32_e32 v14, 0
	v_mov_b32_e32 v15, 0
.LBB140_83:
	s_waitcnt vmcnt(0)
	v_add_f64 v[10:11], v[10:11], v[14:15]
	v_add_co_u32 v12, vcc_lo, v72, v12
	v_add_co_ci_u32_e64 v13, null, v73, v13, vcc_lo
	flat_store_dwordx2 v[12:13], v[10:11]
.LBB140_84:
	s_or_b32 exec_lo, exec_lo, s9
	v_add_nc_u32_e32 v10, 20, v0
	v_cmp_gt_i32_e64 s9, s40, v10
	v_ashrrev_i32_e32 v11, 31, v10
	s_and_b32 s11, s16, s9
	s_and_saveexec_b32 s10, s11
	s_cbranch_execz .LBB140_89
; %bb.85:
	s_clause 0x1
	buffer_load_dword v12, off, s[0:3], 0 offset:40
	buffer_load_dword v13, off, s[0:3], 0 offset:44
	v_lshlrev_b64 v[14:15], 3, v[10:11]
	s_andn2_b32 vcc_lo, exec_lo, s46
	s_cbranch_vccnz .LBB140_87
; %bb.86:
	v_add_co_u32 v16, vcc_lo, v68, v14
	v_add_co_ci_u32_e64 v17, null, v69, v15, vcc_lo
	flat_load_dwordx2 v[16:17], v[16:17]
	s_waitcnt vmcnt(0) lgkmcnt(0)
	v_mul_f64 v[16:17], s[38:39], v[16:17]
	s_branch .LBB140_88
.LBB140_87:
	v_mov_b32_e32 v16, 0
	v_mov_b32_e32 v17, 0
.LBB140_88:
	s_waitcnt vmcnt(0)
	v_add_f64 v[12:13], v[12:13], v[16:17]
	v_add_co_u32 v14, vcc_lo, v72, v14
	v_add_co_ci_u32_e64 v15, null, v73, v15, vcc_lo
	flat_store_dwordx2 v[14:15], v[12:13]
.LBB140_89:
	s_or_b32 exec_lo, exec_lo, s10
	v_add_nc_u32_e32 v12, 24, v0
	v_cmp_gt_i32_e64 s10, s40, v12
	v_ashrrev_i32_e32 v13, 31, v12
	s_and_b32 s12, s16, s10
	s_and_saveexec_b32 s11, s12
	s_cbranch_execz .LBB140_94
; %bb.90:
	s_clause 0x1
	buffer_load_dword v14, off, s[0:3], 0 offset:48
	buffer_load_dword v15, off, s[0:3], 0 offset:52
	v_lshlrev_b64 v[16:17], 3, v[12:13]
	s_andn2_b32 vcc_lo, exec_lo, s46
	s_cbranch_vccnz .LBB140_92
; %bb.91:
	v_add_co_u32 v18, vcc_lo, v68, v16
	v_add_co_ci_u32_e64 v19, null, v69, v17, vcc_lo
	flat_load_dwordx2 v[18:19], v[18:19]
	s_waitcnt vmcnt(0) lgkmcnt(0)
	v_mul_f64 v[18:19], s[38:39], v[18:19]
	s_branch .LBB140_93
.LBB140_92:
	v_mov_b32_e32 v18, 0
	v_mov_b32_e32 v19, 0
.LBB140_93:
	s_waitcnt vmcnt(0)
	v_add_f64 v[14:15], v[14:15], v[18:19]
	v_add_co_u32 v16, vcc_lo, v72, v16
	v_add_co_ci_u32_e64 v17, null, v73, v17, vcc_lo
	flat_store_dwordx2 v[16:17], v[14:15]
.LBB140_94:
	s_or_b32 exec_lo, exec_lo, s11
	v_add_nc_u32_e32 v14, 28, v0
	v_cmp_gt_i32_e64 s11, s40, v14
	v_ashrrev_i32_e32 v15, 31, v14
	s_and_b32 s13, s16, s11
	s_and_saveexec_b32 s12, s13
	s_cbranch_execz .LBB140_99
; %bb.95:
	s_clause 0x1
	buffer_load_dword v16, off, s[0:3], 0 offset:56
	buffer_load_dword v17, off, s[0:3], 0 offset:60
	v_lshlrev_b64 v[18:19], 3, v[14:15]
	s_andn2_b32 vcc_lo, exec_lo, s46
	s_cbranch_vccnz .LBB140_97
; %bb.96:
	v_add_co_u32 v20, vcc_lo, v68, v18
	v_add_co_ci_u32_e64 v21, null, v69, v19, vcc_lo
	flat_load_dwordx2 v[20:21], v[20:21]
	s_waitcnt vmcnt(0) lgkmcnt(0)
	v_mul_f64 v[20:21], s[38:39], v[20:21]
	s_branch .LBB140_98
.LBB140_97:
	v_mov_b32_e32 v20, 0
	v_mov_b32_e32 v21, 0
.LBB140_98:
	s_waitcnt vmcnt(0)
	v_add_f64 v[16:17], v[16:17], v[20:21]
	v_add_co_u32 v18, vcc_lo, v72, v18
	v_add_co_ci_u32_e64 v19, null, v73, v19, vcc_lo
	flat_store_dwordx2 v[18:19], v[16:17]
.LBB140_99:
	s_or_b32 exec_lo, exec_lo, s12
	v_add_nc_u32_e32 v16, 32, v0
	v_cmp_gt_i32_e64 s12, s40, v16
	v_ashrrev_i32_e32 v17, 31, v16
	s_and_b32 s14, s16, s12
	s_and_saveexec_b32 s13, s14
	s_cbranch_execz .LBB140_104
; %bb.100:
	s_clause 0x1
	buffer_load_dword v18, off, s[0:3], 0 offset:64
	buffer_load_dword v19, off, s[0:3], 0 offset:68
	v_lshlrev_b64 v[20:21], 3, v[16:17]
	s_andn2_b32 vcc_lo, exec_lo, s46
	s_cbranch_vccnz .LBB140_102
; %bb.101:
	v_add_co_u32 v22, vcc_lo, v68, v20
	v_add_co_ci_u32_e64 v23, null, v69, v21, vcc_lo
	flat_load_dwordx2 v[22:23], v[22:23]
	s_waitcnt vmcnt(0) lgkmcnt(0)
	v_mul_f64 v[22:23], s[38:39], v[22:23]
	s_branch .LBB140_103
.LBB140_102:
	v_mov_b32_e32 v22, 0
	v_mov_b32_e32 v23, 0
.LBB140_103:
	s_waitcnt vmcnt(0)
	v_add_f64 v[18:19], v[18:19], v[22:23]
	v_add_co_u32 v20, vcc_lo, v72, v20
	v_add_co_ci_u32_e64 v21, null, v73, v21, vcc_lo
	flat_store_dwordx2 v[20:21], v[18:19]
.LBB140_104:
	s_or_b32 exec_lo, exec_lo, s13
	v_add_nc_u32_e32 v18, 36, v0
	v_cmp_gt_i32_e64 s13, s40, v18
	v_ashrrev_i32_e32 v19, 31, v18
	s_and_b32 s15, s16, s13
	s_and_saveexec_b32 s14, s15
	s_cbranch_execz .LBB140_109
; %bb.105:
	s_clause 0x1
	buffer_load_dword v20, off, s[0:3], 0 offset:72
	buffer_load_dword v21, off, s[0:3], 0 offset:76
	v_lshlrev_b64 v[22:23], 3, v[18:19]
	s_andn2_b32 vcc_lo, exec_lo, s46
	s_cbranch_vccnz .LBB140_107
; %bb.106:
	v_add_co_u32 v24, vcc_lo, v68, v22
	v_add_co_ci_u32_e64 v25, null, v69, v23, vcc_lo
	flat_load_dwordx2 v[24:25], v[24:25]
	s_waitcnt vmcnt(0) lgkmcnt(0)
	v_mul_f64 v[24:25], s[38:39], v[24:25]
	s_branch .LBB140_108
.LBB140_107:
	v_mov_b32_e32 v24, 0
	v_mov_b32_e32 v25, 0
.LBB140_108:
	s_waitcnt vmcnt(0)
	v_add_f64 v[20:21], v[20:21], v[24:25]
	v_add_co_u32 v22, vcc_lo, v72, v22
	v_add_co_ci_u32_e64 v23, null, v73, v23, vcc_lo
	flat_store_dwordx2 v[22:23], v[20:21]
.LBB140_109:
	s_or_b32 exec_lo, exec_lo, s14
	v_add_nc_u32_e32 v20, 40, v0
	v_cmp_gt_i32_e64 s14, s40, v20
	v_ashrrev_i32_e32 v21, 31, v20
	s_and_b32 s17, s16, s14
	s_and_saveexec_b32 s15, s17
	s_cbranch_execz .LBB140_114
; %bb.110:
	s_clause 0x1
	buffer_load_dword v22, off, s[0:3], 0 offset:80
	buffer_load_dword v23, off, s[0:3], 0 offset:84
	v_lshlrev_b64 v[24:25], 3, v[20:21]
	s_andn2_b32 vcc_lo, exec_lo, s46
	s_cbranch_vccnz .LBB140_112
; %bb.111:
	v_add_co_u32 v26, vcc_lo, v68, v24
	v_add_co_ci_u32_e64 v27, null, v69, v25, vcc_lo
	flat_load_dwordx2 v[26:27], v[26:27]
	s_waitcnt vmcnt(0) lgkmcnt(0)
	v_mul_f64 v[26:27], s[38:39], v[26:27]
	s_branch .LBB140_113
.LBB140_112:
	v_mov_b32_e32 v26, 0
	v_mov_b32_e32 v27, 0
.LBB140_113:
	s_waitcnt vmcnt(0)
	v_add_f64 v[22:23], v[22:23], v[26:27]
	v_add_co_u32 v24, vcc_lo, v72, v24
	v_add_co_ci_u32_e64 v25, null, v73, v25, vcc_lo
	flat_store_dwordx2 v[24:25], v[22:23]
.LBB140_114:
	s_or_b32 exec_lo, exec_lo, s15
	v_add_nc_u32_e32 v22, 44, v0
	v_cmp_gt_i32_e64 s15, s40, v22
	v_ashrrev_i32_e32 v23, 31, v22
	s_and_b32 s18, s16, s15
	s_and_saveexec_b32 s17, s18
	s_cbranch_execz .LBB140_119
; %bb.115:
	s_clause 0x1
	buffer_load_dword v24, off, s[0:3], 0 offset:88
	buffer_load_dword v25, off, s[0:3], 0 offset:92
	v_lshlrev_b64 v[26:27], 3, v[22:23]
	s_andn2_b32 vcc_lo, exec_lo, s46
	s_cbranch_vccnz .LBB140_117
; %bb.116:
	v_add_co_u32 v28, vcc_lo, v68, v26
	v_add_co_ci_u32_e64 v29, null, v69, v27, vcc_lo
	flat_load_dwordx2 v[28:29], v[28:29]
	s_waitcnt vmcnt(0) lgkmcnt(0)
	v_mul_f64 v[28:29], s[38:39], v[28:29]
	s_branch .LBB140_118
.LBB140_117:
	v_mov_b32_e32 v28, 0
	v_mov_b32_e32 v29, 0
.LBB140_118:
	s_waitcnt vmcnt(0)
	v_add_f64 v[24:25], v[24:25], v[28:29]
	v_add_co_u32 v26, vcc_lo, v72, v26
	v_add_co_ci_u32_e64 v27, null, v73, v27, vcc_lo
	flat_store_dwordx2 v[26:27], v[24:25]
.LBB140_119:
	s_or_b32 exec_lo, exec_lo, s17
	v_add_nc_u32_e32 v24, 48, v0
	v_cmp_gt_i32_e64 s17, s40, v24
	v_ashrrev_i32_e32 v25, 31, v24
	s_and_b32 s19, s16, s17
	s_and_saveexec_b32 s18, s19
	s_cbranch_execz .LBB140_124
; %bb.120:
	s_clause 0x1
	buffer_load_dword v26, off, s[0:3], 0 offset:96
	buffer_load_dword v27, off, s[0:3], 0 offset:100
	v_lshlrev_b64 v[28:29], 3, v[24:25]
	s_andn2_b32 vcc_lo, exec_lo, s46
	s_cbranch_vccnz .LBB140_122
; %bb.121:
	v_add_co_u32 v30, vcc_lo, v68, v28
	v_add_co_ci_u32_e64 v31, null, v69, v29, vcc_lo
	flat_load_dwordx2 v[30:31], v[30:31]
	s_waitcnt vmcnt(0) lgkmcnt(0)
	v_mul_f64 v[30:31], s[38:39], v[30:31]
	s_branch .LBB140_123
.LBB140_122:
	v_mov_b32_e32 v30, 0
	v_mov_b32_e32 v31, 0
.LBB140_123:
	s_waitcnt vmcnt(0)
	v_add_f64 v[26:27], v[26:27], v[30:31]
	v_add_co_u32 v28, vcc_lo, v72, v28
	v_add_co_ci_u32_e64 v29, null, v73, v29, vcc_lo
	flat_store_dwordx2 v[28:29], v[26:27]
.LBB140_124:
	s_or_b32 exec_lo, exec_lo, s18
	v_add_nc_u32_e32 v26, 52, v0
	v_cmp_gt_i32_e64 s18, s40, v26
	v_ashrrev_i32_e32 v27, 31, v26
	s_and_b32 s20, s16, s18
	s_and_saveexec_b32 s19, s20
	s_cbranch_execz .LBB140_129
; %bb.125:
	s_clause 0x1
	buffer_load_dword v28, off, s[0:3], 0 offset:104
	buffer_load_dword v29, off, s[0:3], 0 offset:108
	v_lshlrev_b64 v[30:31], 3, v[26:27]
	s_andn2_b32 vcc_lo, exec_lo, s46
	s_cbranch_vccnz .LBB140_127
; %bb.126:
	v_add_co_u32 v32, vcc_lo, v68, v30
	v_add_co_ci_u32_e64 v33, null, v69, v31, vcc_lo
	flat_load_dwordx2 v[32:33], v[32:33]
	s_waitcnt vmcnt(0) lgkmcnt(0)
	v_mul_f64 v[32:33], s[38:39], v[32:33]
	s_branch .LBB140_128
.LBB140_127:
	v_mov_b32_e32 v32, 0
	v_mov_b32_e32 v33, 0
.LBB140_128:
	s_waitcnt vmcnt(0)
	v_add_f64 v[28:29], v[28:29], v[32:33]
	v_add_co_u32 v30, vcc_lo, v72, v30
	v_add_co_ci_u32_e64 v31, null, v73, v31, vcc_lo
	flat_store_dwordx2 v[30:31], v[28:29]
.LBB140_129:
	s_or_b32 exec_lo, exec_lo, s19
	v_add_nc_u32_e32 v28, 56, v0
	v_cmp_gt_i32_e64 s19, s40, v28
	v_ashrrev_i32_e32 v29, 31, v28
	s_and_b32 s21, s16, s19
	s_and_saveexec_b32 s20, s21
	s_cbranch_execz .LBB140_134
; %bb.130:
	s_clause 0x1
	buffer_load_dword v30, off, s[0:3], 0 offset:112
	buffer_load_dword v31, off, s[0:3], 0 offset:116
	v_lshlrev_b64 v[32:33], 3, v[28:29]
	s_andn2_b32 vcc_lo, exec_lo, s46
	s_cbranch_vccnz .LBB140_132
; %bb.131:
	v_add_co_u32 v34, vcc_lo, v68, v32
	v_add_co_ci_u32_e64 v35, null, v69, v33, vcc_lo
	flat_load_dwordx2 v[34:35], v[34:35]
	s_waitcnt vmcnt(0) lgkmcnt(0)
	v_mul_f64 v[34:35], s[38:39], v[34:35]
	s_branch .LBB140_133
.LBB140_132:
	v_mov_b32_e32 v34, 0
	v_mov_b32_e32 v35, 0
.LBB140_133:
	s_waitcnt vmcnt(0)
	v_add_f64 v[30:31], v[30:31], v[34:35]
	v_add_co_u32 v32, vcc_lo, v72, v32
	v_add_co_ci_u32_e64 v33, null, v73, v33, vcc_lo
	flat_store_dwordx2 v[32:33], v[30:31]
.LBB140_134:
	s_or_b32 exec_lo, exec_lo, s20
	v_add_nc_u32_e32 v30, 60, v0
	v_cmp_gt_i32_e64 s20, s40, v30
	v_ashrrev_i32_e32 v31, 31, v30
	s_and_b32 s22, s16, s20
	s_and_saveexec_b32 s21, s22
	s_cbranch_execz .LBB140_139
; %bb.135:
	s_clause 0x1
	buffer_load_dword v32, off, s[0:3], 0 offset:120
	buffer_load_dword v33, off, s[0:3], 0 offset:124
	v_lshlrev_b64 v[34:35], 3, v[30:31]
	s_andn2_b32 vcc_lo, exec_lo, s46
	s_cbranch_vccnz .LBB140_137
; %bb.136:
	v_add_co_u32 v36, vcc_lo, v68, v34
	v_add_co_ci_u32_e64 v37, null, v69, v35, vcc_lo
	flat_load_dwordx2 v[36:37], v[36:37]
	s_waitcnt vmcnt(0) lgkmcnt(0)
	v_mul_f64 v[36:37], s[38:39], v[36:37]
	s_branch .LBB140_138
.LBB140_137:
	v_mov_b32_e32 v36, 0
	v_mov_b32_e32 v37, 0
.LBB140_138:
	s_waitcnt vmcnt(0)
	v_add_f64 v[32:33], v[32:33], v[36:37]
	v_add_co_u32 v34, vcc_lo, v72, v34
	v_add_co_ci_u32_e64 v35, null, v73, v35, vcc_lo
	flat_store_dwordx2 v[34:35], v[32:33]
.LBB140_139:
	s_or_b32 exec_lo, exec_lo, s21
	v_add_nc_u32_e32 v32, 64, v0
	v_cmp_gt_i32_e64 s21, s40, v32
	v_ashrrev_i32_e32 v33, 31, v32
	s_and_b32 s23, s16, s21
	s_and_saveexec_b32 s22, s23
	s_cbranch_execz .LBB140_144
; %bb.140:
	s_clause 0x1
	buffer_load_dword v34, off, s[0:3], 0 offset:128
	buffer_load_dword v35, off, s[0:3], 0 offset:132
	v_lshlrev_b64 v[36:37], 3, v[32:33]
	s_andn2_b32 vcc_lo, exec_lo, s46
	s_cbranch_vccnz .LBB140_142
; %bb.141:
	v_add_co_u32 v38, vcc_lo, v68, v36
	v_add_co_ci_u32_e64 v39, null, v69, v37, vcc_lo
	flat_load_dwordx2 v[38:39], v[38:39]
	s_waitcnt vmcnt(0) lgkmcnt(0)
	v_mul_f64 v[38:39], s[38:39], v[38:39]
	s_branch .LBB140_143
.LBB140_142:
	v_mov_b32_e32 v38, 0
	v_mov_b32_e32 v39, 0
.LBB140_143:
	s_waitcnt vmcnt(0)
	v_add_f64 v[34:35], v[34:35], v[38:39]
	v_add_co_u32 v36, vcc_lo, v72, v36
	v_add_co_ci_u32_e64 v37, null, v73, v37, vcc_lo
	flat_store_dwordx2 v[36:37], v[34:35]
.LBB140_144:
	s_or_b32 exec_lo, exec_lo, s22
	v_add_nc_u32_e32 v34, 0x44, v0
	v_cmp_gt_i32_e64 s22, s40, v34
	v_ashrrev_i32_e32 v35, 31, v34
	s_and_b32 s24, s16, s22
	s_and_saveexec_b32 s23, s24
	s_cbranch_execz .LBB140_149
; %bb.145:
	s_clause 0x1
	buffer_load_dword v36, off, s[0:3], 0 offset:136
	buffer_load_dword v37, off, s[0:3], 0 offset:140
	v_lshlrev_b64 v[38:39], 3, v[34:35]
	s_andn2_b32 vcc_lo, exec_lo, s46
	s_cbranch_vccnz .LBB140_147
; %bb.146:
	v_add_co_u32 v40, vcc_lo, v68, v38
	v_add_co_ci_u32_e64 v41, null, v69, v39, vcc_lo
	flat_load_dwordx2 v[40:41], v[40:41]
	s_waitcnt vmcnt(0) lgkmcnt(0)
	v_mul_f64 v[40:41], s[38:39], v[40:41]
	s_branch .LBB140_148
.LBB140_147:
	v_mov_b32_e32 v40, 0
	v_mov_b32_e32 v41, 0
.LBB140_148:
	s_waitcnt vmcnt(0)
	v_add_f64 v[36:37], v[36:37], v[40:41]
	v_add_co_u32 v38, vcc_lo, v72, v38
	v_add_co_ci_u32_e64 v39, null, v73, v39, vcc_lo
	flat_store_dwordx2 v[38:39], v[36:37]
.LBB140_149:
	s_or_b32 exec_lo, exec_lo, s23
	v_add_nc_u32_e32 v36, 0x48, v0
	v_cmp_gt_i32_e64 s23, s40, v36
	v_ashrrev_i32_e32 v37, 31, v36
	s_and_b32 s25, s16, s23
	s_and_saveexec_b32 s24, s25
	s_cbranch_execz .LBB140_154
; %bb.150:
	s_clause 0x1
	buffer_load_dword v38, off, s[0:3], 0 offset:144
	buffer_load_dword v39, off, s[0:3], 0 offset:148
	v_lshlrev_b64 v[40:41], 3, v[36:37]
	s_andn2_b32 vcc_lo, exec_lo, s46
	s_cbranch_vccnz .LBB140_152
; %bb.151:
	v_add_co_u32 v42, vcc_lo, v68, v40
	v_add_co_ci_u32_e64 v43, null, v69, v41, vcc_lo
	flat_load_dwordx2 v[42:43], v[42:43]
	s_waitcnt vmcnt(0) lgkmcnt(0)
	v_mul_f64 v[42:43], s[38:39], v[42:43]
	s_branch .LBB140_153
.LBB140_152:
	v_mov_b32_e32 v42, 0
	v_mov_b32_e32 v43, 0
.LBB140_153:
	s_waitcnt vmcnt(0)
	v_add_f64 v[38:39], v[38:39], v[42:43]
	v_add_co_u32 v40, vcc_lo, v72, v40
	v_add_co_ci_u32_e64 v41, null, v73, v41, vcc_lo
	flat_store_dwordx2 v[40:41], v[38:39]
.LBB140_154:
	s_or_b32 exec_lo, exec_lo, s24
	v_add_nc_u32_e32 v38, 0x4c, v0
	v_cmp_gt_i32_e64 s24, s40, v38
	v_ashrrev_i32_e32 v39, 31, v38
	s_and_b32 s26, s16, s24
	s_and_saveexec_b32 s25, s26
	s_cbranch_execz .LBB140_159
; %bb.155:
	s_clause 0x1
	buffer_load_dword v40, off, s[0:3], 0 offset:152
	buffer_load_dword v41, off, s[0:3], 0 offset:156
	v_lshlrev_b64 v[42:43], 3, v[38:39]
	s_andn2_b32 vcc_lo, exec_lo, s46
	s_cbranch_vccnz .LBB140_157
; %bb.156:
	v_add_co_u32 v44, vcc_lo, v68, v42
	v_add_co_ci_u32_e64 v45, null, v69, v43, vcc_lo
	flat_load_dwordx2 v[44:45], v[44:45]
	s_waitcnt vmcnt(0) lgkmcnt(0)
	v_mul_f64 v[44:45], s[38:39], v[44:45]
	s_branch .LBB140_158
.LBB140_157:
	v_mov_b32_e32 v44, 0
	v_mov_b32_e32 v45, 0
.LBB140_158:
	s_waitcnt vmcnt(0)
	v_add_f64 v[40:41], v[40:41], v[44:45]
	v_add_co_u32 v42, vcc_lo, v72, v42
	v_add_co_ci_u32_e64 v43, null, v73, v43, vcc_lo
	flat_store_dwordx2 v[42:43], v[40:41]
.LBB140_159:
	s_or_b32 exec_lo, exec_lo, s25
	v_add_nc_u32_e32 v40, 0x50, v0
	v_cmp_gt_i32_e64 s25, s40, v40
	v_ashrrev_i32_e32 v41, 31, v40
	s_and_b32 s27, s16, s25
	s_and_saveexec_b32 s26, s27
	s_cbranch_execz .LBB140_164
; %bb.160:
	s_clause 0x1
	buffer_load_dword v42, off, s[0:3], 0 offset:160
	buffer_load_dword v43, off, s[0:3], 0 offset:164
	v_lshlrev_b64 v[44:45], 3, v[40:41]
	s_andn2_b32 vcc_lo, exec_lo, s46
	s_cbranch_vccnz .LBB140_162
; %bb.161:
	v_add_co_u32 v46, vcc_lo, v68, v44
	v_add_co_ci_u32_e64 v47, null, v69, v45, vcc_lo
	flat_load_dwordx2 v[46:47], v[46:47]
	s_waitcnt vmcnt(0) lgkmcnt(0)
	v_mul_f64 v[46:47], s[38:39], v[46:47]
	s_branch .LBB140_163
.LBB140_162:
	v_mov_b32_e32 v46, 0
	v_mov_b32_e32 v47, 0
.LBB140_163:
	s_waitcnt vmcnt(0)
	v_add_f64 v[42:43], v[42:43], v[46:47]
	v_add_co_u32 v44, vcc_lo, v72, v44
	v_add_co_ci_u32_e64 v45, null, v73, v45, vcc_lo
	flat_store_dwordx2 v[44:45], v[42:43]
.LBB140_164:
	s_or_b32 exec_lo, exec_lo, s26
	v_add_nc_u32_e32 v42, 0x54, v0
	v_cmp_gt_i32_e64 s26, s40, v42
	v_ashrrev_i32_e32 v43, 31, v42
	s_and_b32 s28, s16, s26
	s_and_saveexec_b32 s27, s28
	s_cbranch_execz .LBB140_169
; %bb.165:
	s_clause 0x1
	buffer_load_dword v44, off, s[0:3], 0 offset:168
	buffer_load_dword v45, off, s[0:3], 0 offset:172
	v_lshlrev_b64 v[46:47], 3, v[42:43]
	s_andn2_b32 vcc_lo, exec_lo, s46
	s_cbranch_vccnz .LBB140_167
; %bb.166:
	v_add_co_u32 v48, vcc_lo, v68, v46
	v_add_co_ci_u32_e64 v49, null, v69, v47, vcc_lo
	flat_load_dwordx2 v[48:49], v[48:49]
	s_waitcnt vmcnt(0) lgkmcnt(0)
	v_mul_f64 v[48:49], s[38:39], v[48:49]
	s_branch .LBB140_168
.LBB140_167:
	v_mov_b32_e32 v48, 0
	v_mov_b32_e32 v49, 0
.LBB140_168:
	s_waitcnt vmcnt(0)
	v_add_f64 v[44:45], v[44:45], v[48:49]
	v_add_co_u32 v46, vcc_lo, v72, v46
	v_add_co_ci_u32_e64 v47, null, v73, v47, vcc_lo
	flat_store_dwordx2 v[46:47], v[44:45]
.LBB140_169:
	s_or_b32 exec_lo, exec_lo, s27
	v_add_nc_u32_e32 v44, 0x58, v0
	v_cmp_gt_i32_e64 s27, s40, v44
	v_ashrrev_i32_e32 v45, 31, v44
	s_and_b32 s29, s16, s27
	s_and_saveexec_b32 s28, s29
	s_cbranch_execz .LBB140_174
; %bb.170:
	s_clause 0x1
	buffer_load_dword v46, off, s[0:3], 0 offset:176
	buffer_load_dword v47, off, s[0:3], 0 offset:180
	v_lshlrev_b64 v[48:49], 3, v[44:45]
	s_andn2_b32 vcc_lo, exec_lo, s46
	s_cbranch_vccnz .LBB140_172
; %bb.171:
	v_add_co_u32 v50, vcc_lo, v68, v48
	v_add_co_ci_u32_e64 v51, null, v69, v49, vcc_lo
	flat_load_dwordx2 v[50:51], v[50:51]
	s_waitcnt vmcnt(0) lgkmcnt(0)
	v_mul_f64 v[50:51], s[38:39], v[50:51]
	s_branch .LBB140_173
.LBB140_172:
	v_mov_b32_e32 v50, 0
	v_mov_b32_e32 v51, 0
.LBB140_173:
	s_waitcnt vmcnt(0)
	v_add_f64 v[46:47], v[46:47], v[50:51]
	v_add_co_u32 v48, vcc_lo, v72, v48
	v_add_co_ci_u32_e64 v49, null, v73, v49, vcc_lo
	flat_store_dwordx2 v[48:49], v[46:47]
.LBB140_174:
	s_or_b32 exec_lo, exec_lo, s28
	v_add_nc_u32_e32 v46, 0x5c, v0
	v_cmp_gt_i32_e64 s28, s40, v46
	v_ashrrev_i32_e32 v47, 31, v46
	s_and_b32 s30, s16, s28
	s_and_saveexec_b32 s29, s30
	s_cbranch_execz .LBB140_179
; %bb.175:
	s_clause 0x1
	buffer_load_dword v48, off, s[0:3], 0 offset:184
	buffer_load_dword v49, off, s[0:3], 0 offset:188
	v_lshlrev_b64 v[50:51], 3, v[46:47]
	s_andn2_b32 vcc_lo, exec_lo, s46
	s_cbranch_vccnz .LBB140_177
; %bb.176:
	v_add_co_u32 v52, vcc_lo, v68, v50
	v_add_co_ci_u32_e64 v53, null, v69, v51, vcc_lo
	flat_load_dwordx2 v[52:53], v[52:53]
	s_waitcnt vmcnt(0) lgkmcnt(0)
	v_mul_f64 v[52:53], s[38:39], v[52:53]
	s_branch .LBB140_178
.LBB140_177:
	v_mov_b32_e32 v52, 0
	v_mov_b32_e32 v53, 0
.LBB140_178:
	s_waitcnt vmcnt(0)
	v_add_f64 v[48:49], v[48:49], v[52:53]
	v_add_co_u32 v50, vcc_lo, v72, v50
	v_add_co_ci_u32_e64 v51, null, v73, v51, vcc_lo
	flat_store_dwordx2 v[50:51], v[48:49]
.LBB140_179:
	s_or_b32 exec_lo, exec_lo, s29
	v_add_nc_u32_e32 v48, 0x60, v0
	v_cmp_gt_i32_e64 s29, s40, v48
	v_ashrrev_i32_e32 v49, 31, v48
	s_and_b32 s31, s16, s29
	s_and_saveexec_b32 s30, s31
	s_cbranch_execz .LBB140_184
; %bb.180:
	s_clause 0x1
	buffer_load_dword v50, off, s[0:3], 0 offset:192
	buffer_load_dword v51, off, s[0:3], 0 offset:196
	v_lshlrev_b64 v[52:53], 3, v[48:49]
	s_andn2_b32 vcc_lo, exec_lo, s46
	s_cbranch_vccnz .LBB140_182
; %bb.181:
	v_add_co_u32 v54, vcc_lo, v68, v52
	v_add_co_ci_u32_e64 v55, null, v69, v53, vcc_lo
	flat_load_dwordx2 v[54:55], v[54:55]
	s_waitcnt vmcnt(0) lgkmcnt(0)
	v_mul_f64 v[54:55], s[38:39], v[54:55]
	s_branch .LBB140_183
.LBB140_182:
	v_mov_b32_e32 v54, 0
	v_mov_b32_e32 v55, 0
.LBB140_183:
	s_waitcnt vmcnt(0)
	v_add_f64 v[50:51], v[50:51], v[54:55]
	v_add_co_u32 v52, vcc_lo, v72, v52
	v_add_co_ci_u32_e64 v53, null, v73, v53, vcc_lo
	flat_store_dwordx2 v[52:53], v[50:51]
.LBB140_184:
	s_or_b32 exec_lo, exec_lo, s30
	v_add_nc_u32_e32 v50, 0x64, v0
	v_cmp_gt_i32_e64 s30, s40, v50
	v_ashrrev_i32_e32 v51, 31, v50
	s_and_b32 s33, s16, s30
	s_and_saveexec_b32 s31, s33
	s_cbranch_execz .LBB140_189
; %bb.185:
	s_clause 0x1
	buffer_load_dword v52, off, s[0:3], 0 offset:200
	buffer_load_dword v53, off, s[0:3], 0 offset:204
	v_lshlrev_b64 v[54:55], 3, v[50:51]
	s_andn2_b32 vcc_lo, exec_lo, s46
	s_cbranch_vccnz .LBB140_187
; %bb.186:
	v_add_co_u32 v56, vcc_lo, v68, v54
	v_add_co_ci_u32_e64 v57, null, v69, v55, vcc_lo
	flat_load_dwordx2 v[56:57], v[56:57]
	s_waitcnt vmcnt(0) lgkmcnt(0)
	v_mul_f64 v[56:57], s[38:39], v[56:57]
	s_branch .LBB140_188
.LBB140_187:
	v_mov_b32_e32 v56, 0
	v_mov_b32_e32 v57, 0
.LBB140_188:
	s_waitcnt vmcnt(0)
	v_add_f64 v[52:53], v[52:53], v[56:57]
	v_add_co_u32 v54, vcc_lo, v72, v54
	v_add_co_ci_u32_e64 v55, null, v73, v55, vcc_lo
	flat_store_dwordx2 v[54:55], v[52:53]
.LBB140_189:
	s_or_b32 exec_lo, exec_lo, s31
	v_add_nc_u32_e32 v52, 0x68, v0
	v_cmp_gt_i32_e64 s31, s40, v52
	v_ashrrev_i32_e32 v53, 31, v52
	s_and_b32 s34, s16, s31
	s_and_saveexec_b32 s33, s34
	s_cbranch_execz .LBB140_194
; %bb.190:
	s_clause 0x1
	buffer_load_dword v54, off, s[0:3], 0 offset:208
	buffer_load_dword v55, off, s[0:3], 0 offset:212
	v_lshlrev_b64 v[56:57], 3, v[52:53]
	s_andn2_b32 vcc_lo, exec_lo, s46
	s_cbranch_vccnz .LBB140_192
; %bb.191:
	v_add_co_u32 v58, vcc_lo, v68, v56
	v_add_co_ci_u32_e64 v59, null, v69, v57, vcc_lo
	flat_load_dwordx2 v[58:59], v[58:59]
	s_waitcnt vmcnt(0) lgkmcnt(0)
	v_mul_f64 v[58:59], s[38:39], v[58:59]
	s_branch .LBB140_193
.LBB140_192:
	v_mov_b32_e32 v58, 0
	v_mov_b32_e32 v59, 0
.LBB140_193:
	s_waitcnt vmcnt(0)
	v_add_f64 v[54:55], v[54:55], v[58:59]
	v_add_co_u32 v56, vcc_lo, v72, v56
	v_add_co_ci_u32_e64 v57, null, v73, v57, vcc_lo
	flat_store_dwordx2 v[56:57], v[54:55]
.LBB140_194:
	s_or_b32 exec_lo, exec_lo, s33
	v_add_nc_u32_e32 v54, 0x6c, v0
	v_cmp_gt_i32_e64 s33, s40, v54
	v_ashrrev_i32_e32 v55, 31, v54
	s_and_b32 s35, s16, s33
	s_and_saveexec_b32 s34, s35
	s_cbranch_execz .LBB140_199
; %bb.195:
	s_clause 0x1
	buffer_load_dword v56, off, s[0:3], 0 offset:216
	buffer_load_dword v57, off, s[0:3], 0 offset:220
	v_lshlrev_b64 v[58:59], 3, v[54:55]
	s_andn2_b32 vcc_lo, exec_lo, s46
	s_cbranch_vccnz .LBB140_197
; %bb.196:
	v_add_co_u32 v60, vcc_lo, v68, v58
	v_add_co_ci_u32_e64 v61, null, v69, v59, vcc_lo
	flat_load_dwordx2 v[60:61], v[60:61]
	s_waitcnt vmcnt(0) lgkmcnt(0)
	v_mul_f64 v[60:61], s[38:39], v[60:61]
	s_branch .LBB140_198
.LBB140_197:
	v_mov_b32_e32 v60, 0
	v_mov_b32_e32 v61, 0
.LBB140_198:
	s_waitcnt vmcnt(0)
	v_add_f64 v[56:57], v[56:57], v[60:61]
	v_add_co_u32 v58, vcc_lo, v72, v58
	v_add_co_ci_u32_e64 v59, null, v73, v59, vcc_lo
	flat_store_dwordx2 v[58:59], v[56:57]
.LBB140_199:
	s_or_b32 exec_lo, exec_lo, s34
	v_add_nc_u32_e32 v56, 0x70, v0
	v_cmp_gt_i32_e64 s34, s40, v56
	v_ashrrev_i32_e32 v57, 31, v56
	s_and_b32 s36, s16, s34
	s_and_saveexec_b32 s35, s36
	s_cbranch_execz .LBB140_204
; %bb.200:
	s_clause 0x1
	buffer_load_dword v58, off, s[0:3], 0 offset:224
	buffer_load_dword v59, off, s[0:3], 0 offset:228
	v_lshlrev_b64 v[60:61], 3, v[56:57]
	s_andn2_b32 vcc_lo, exec_lo, s46
	s_cbranch_vccnz .LBB140_202
; %bb.201:
	v_add_co_u32 v62, vcc_lo, v68, v60
	v_add_co_ci_u32_e64 v63, null, v69, v61, vcc_lo
	flat_load_dwordx2 v[62:63], v[62:63]
	s_waitcnt vmcnt(0) lgkmcnt(0)
	v_mul_f64 v[62:63], s[38:39], v[62:63]
	s_branch .LBB140_203
.LBB140_202:
	v_mov_b32_e32 v62, 0
	v_mov_b32_e32 v63, 0
.LBB140_203:
	s_waitcnt vmcnt(0)
	v_add_f64 v[58:59], v[58:59], v[62:63]
	v_add_co_u32 v60, vcc_lo, v72, v60
	v_add_co_ci_u32_e64 v61, null, v73, v61, vcc_lo
	flat_store_dwordx2 v[60:61], v[58:59]
.LBB140_204:
	s_or_b32 exec_lo, exec_lo, s35
	v_add_nc_u32_e32 v58, 0x74, v0
	v_cmp_gt_i32_e64 s35, s40, v58
	v_ashrrev_i32_e32 v59, 31, v58
	s_and_b32 s37, s16, s35
	s_and_saveexec_b32 s36, s37
	s_cbranch_execz .LBB140_209
; %bb.205:
	s_clause 0x1
	buffer_load_dword v60, off, s[0:3], 0 offset:232
	buffer_load_dword v61, off, s[0:3], 0 offset:236
	v_lshlrev_b64 v[62:63], 3, v[58:59]
	s_andn2_b32 vcc_lo, exec_lo, s46
	s_cbranch_vccnz .LBB140_207
; %bb.206:
	v_add_co_u32 v64, vcc_lo, v68, v62
	v_add_co_ci_u32_e64 v65, null, v69, v63, vcc_lo
	flat_load_dwordx2 v[64:65], v[64:65]
	s_waitcnt vmcnt(0) lgkmcnt(0)
	v_mul_f64 v[64:65], s[38:39], v[64:65]
	s_branch .LBB140_208
.LBB140_207:
	v_mov_b32_e32 v64, 0
	v_mov_b32_e32 v65, 0
.LBB140_208:
	s_waitcnt vmcnt(0)
	v_add_f64 v[60:61], v[60:61], v[64:65]
	v_add_co_u32 v62, vcc_lo, v72, v62
	v_add_co_ci_u32_e64 v63, null, v73, v63, vcc_lo
	flat_store_dwordx2 v[62:63], v[60:61]
.LBB140_209:
	s_or_b32 exec_lo, exec_lo, s36
	v_add_nc_u32_e32 v60, 0x78, v0
	v_cmp_gt_i32_e64 s36, s40, v60
	v_ashrrev_i32_e32 v61, 31, v60
	s_and_b32 s49, s16, s36
	s_and_saveexec_b32 s37, s49
	s_cbranch_execz .LBB140_214
; %bb.210:
	s_clause 0x1
	buffer_load_dword v62, off, s[0:3], 0 offset:240
	buffer_load_dword v63, off, s[0:3], 0 offset:244
	v_lshlrev_b64 v[64:65], 3, v[60:61]
	s_andn2_b32 vcc_lo, exec_lo, s46
	s_cbranch_vccnz .LBB140_212
; %bb.211:
	v_add_co_u32 v66, vcc_lo, v68, v64
	v_add_co_ci_u32_e64 v67, null, v69, v65, vcc_lo
	flat_load_dwordx2 v[66:67], v[66:67]
	s_waitcnt vmcnt(0) lgkmcnt(0)
	v_mul_f64 v[66:67], s[38:39], v[66:67]
	s_branch .LBB140_213
.LBB140_212:
	v_mov_b32_e32 v66, 0
	v_mov_b32_e32 v67, 0
.LBB140_213:
	s_waitcnt vmcnt(0)
	v_add_f64 v[62:63], v[62:63], v[66:67]
	v_add_co_u32 v64, vcc_lo, v72, v64
	v_add_co_ci_u32_e64 v65, null, v73, v65, vcc_lo
	flat_store_dwordx2 v[64:65], v[62:63]
.LBB140_214:
	s_or_b32 exec_lo, exec_lo, s37
	v_add_nc_u32_e32 v62, 0x7c, v0
	v_cmp_gt_i32_e64 s37, s40, v62
	v_ashrrev_i32_e32 v63, 31, v62
	s_and_b32 s40, s16, s37
	s_and_saveexec_b32 s16, s40
	s_cbranch_execz .LBB140_219
; %bb.215:
	s_clause 0x1
	buffer_load_dword v64, off, s[0:3], 0 offset:248
	buffer_load_dword v65, off, s[0:3], 0 offset:252
	v_lshlrev_b64 v[66:67], 3, v[62:63]
	s_andn2_b32 vcc_lo, exec_lo, s46
	s_cbranch_vccnz .LBB140_217
; %bb.216:
	v_add_co_u32 v68, vcc_lo, v68, v66
	v_add_co_ci_u32_e64 v69, null, v69, v67, vcc_lo
	flat_load_dwordx2 v[68:69], v[68:69]
	s_waitcnt vmcnt(0) lgkmcnt(0)
	v_mul_f64 v[68:69], s[38:39], v[68:69]
	s_branch .LBB140_218
.LBB140_217:
	v_mov_b32_e32 v68, 0
	v_mov_b32_e32 v69, 0
.LBB140_218:
	s_waitcnt vmcnt(0)
	v_add_f64 v[64:65], v[64:65], v[68:69]
	v_add_co_u32 v66, vcc_lo, v72, v66
	v_add_co_ci_u32_e64 v67, null, v73, v67, vcc_lo
	flat_store_dwordx2 v[66:67], v[64:65]
.LBB140_219:
	s_or_b32 exec_lo, exec_lo, s16
	v_add_nc_u32_e32 v68, 64, v71
	v_mad_i64_i32 v[64:65], null, v68, s43, 0
	v_mad_i64_i32 v[66:67], null, v68, s42, 0
	v_cmp_gt_i32_e64 s16, s41, v68
	v_lshlrev_b64 v[64:65], 3, v[64:65]
	s_and_b32 s4, s16, s4
	v_lshlrev_b64 v[66:67], 3, v[66:67]
	v_add_co_u32 v71, vcc_lo, s44, v64
	v_add_co_ci_u32_e64 v72, null, s45, v65, vcc_lo
	v_add_co_u32 v68, vcc_lo, s47, v66
	v_add_co_ci_u32_e64 v69, null, s48, v67, vcc_lo
	s_and_saveexec_b32 s40, s4
	s_xor_b32 s4, exec_lo, s40
	s_cbranch_execnz .LBB140_252
; %bb.220:
	s_or_b32 exec_lo, exec_lo, s4
	s_and_b32 s5, s16, s5
	s_and_saveexec_b32 s4, s5
	s_cbranch_execnz .LBB140_256
.LBB140_221:
	s_or_b32 exec_lo, exec_lo, s4
	s_and_b32 s5, s16, s6
	s_and_saveexec_b32 s4, s5
	s_cbranch_execnz .LBB140_260
.LBB140_222:
	s_or_b32 exec_lo, exec_lo, s4
	s_and_b32 s5, s16, s7
	s_and_saveexec_b32 s4, s5
	s_cbranch_execnz .LBB140_264
.LBB140_223:
	s_or_b32 exec_lo, exec_lo, s4
	s_and_b32 s5, s16, s8
	s_and_saveexec_b32 s4, s5
	s_cbranch_execnz .LBB140_268
.LBB140_224:
	s_or_b32 exec_lo, exec_lo, s4
	s_and_b32 s5, s16, s9
	s_and_saveexec_b32 s4, s5
	s_cbranch_execnz .LBB140_272
.LBB140_225:
	s_or_b32 exec_lo, exec_lo, s4
	s_and_b32 s5, s16, s10
	s_and_saveexec_b32 s4, s5
	s_cbranch_execnz .LBB140_276
.LBB140_226:
	s_or_b32 exec_lo, exec_lo, s4
	s_and_b32 s5, s16, s11
	s_and_saveexec_b32 s4, s5
	s_cbranch_execnz .LBB140_280
.LBB140_227:
	s_or_b32 exec_lo, exec_lo, s4
	s_and_b32 s5, s16, s12
	s_and_saveexec_b32 s4, s5
	s_cbranch_execnz .LBB140_284
.LBB140_228:
	s_or_b32 exec_lo, exec_lo, s4
	s_and_b32 s5, s16, s13
	s_and_saveexec_b32 s4, s5
	s_cbranch_execnz .LBB140_288
.LBB140_229:
	s_or_b32 exec_lo, exec_lo, s4
	s_and_b32 s5, s16, s14
	s_and_saveexec_b32 s4, s5
	s_cbranch_execnz .LBB140_292
.LBB140_230:
	s_or_b32 exec_lo, exec_lo, s4
	s_and_b32 s5, s16, s15
	s_and_saveexec_b32 s4, s5
	s_cbranch_execnz .LBB140_296
.LBB140_231:
	s_or_b32 exec_lo, exec_lo, s4
	s_and_b32 s5, s16, s17
	s_and_saveexec_b32 s4, s5
	s_cbranch_execnz .LBB140_300
.LBB140_232:
	s_or_b32 exec_lo, exec_lo, s4
	s_and_b32 s5, s16, s18
	s_and_saveexec_b32 s4, s5
	s_cbranch_execnz .LBB140_304
.LBB140_233:
	s_or_b32 exec_lo, exec_lo, s4
	s_and_b32 s5, s16, s19
	s_and_saveexec_b32 s4, s5
	s_cbranch_execnz .LBB140_308
.LBB140_234:
	s_or_b32 exec_lo, exec_lo, s4
	s_and_b32 s5, s16, s20
	s_and_saveexec_b32 s4, s5
	s_cbranch_execnz .LBB140_312
.LBB140_235:
	s_or_b32 exec_lo, exec_lo, s4
	s_and_b32 s5, s16, s21
	s_and_saveexec_b32 s4, s5
	s_cbranch_execnz .LBB140_316
.LBB140_236:
	s_or_b32 exec_lo, exec_lo, s4
	s_and_b32 s5, s16, s22
	s_and_saveexec_b32 s4, s5
	s_cbranch_execnz .LBB140_320
.LBB140_237:
	s_or_b32 exec_lo, exec_lo, s4
	s_and_b32 s5, s16, s23
	s_and_saveexec_b32 s4, s5
	s_cbranch_execnz .LBB140_324
.LBB140_238:
	s_or_b32 exec_lo, exec_lo, s4
	s_and_b32 s5, s16, s24
	s_and_saveexec_b32 s4, s5
	s_cbranch_execnz .LBB140_328
.LBB140_239:
	s_or_b32 exec_lo, exec_lo, s4
	s_and_b32 s5, s16, s25
	s_and_saveexec_b32 s4, s5
	s_cbranch_execnz .LBB140_332
.LBB140_240:
	s_or_b32 exec_lo, exec_lo, s4
	s_and_b32 s5, s16, s26
	s_and_saveexec_b32 s4, s5
	s_cbranch_execnz .LBB140_336
.LBB140_241:
	s_or_b32 exec_lo, exec_lo, s4
	s_and_b32 s5, s16, s27
	s_and_saveexec_b32 s4, s5
	s_cbranch_execnz .LBB140_340
.LBB140_242:
	s_or_b32 exec_lo, exec_lo, s4
	s_and_b32 s5, s16, s28
	s_and_saveexec_b32 s4, s5
	s_cbranch_execnz .LBB140_344
.LBB140_243:
	s_or_b32 exec_lo, exec_lo, s4
	s_and_b32 s5, s16, s29
	s_and_saveexec_b32 s4, s5
	s_cbranch_execnz .LBB140_348
.LBB140_244:
	s_or_b32 exec_lo, exec_lo, s4
	s_and_b32 s5, s16, s30
	s_and_saveexec_b32 s4, s5
	s_cbranch_execnz .LBB140_352
.LBB140_245:
	s_or_b32 exec_lo, exec_lo, s4
	s_and_b32 s5, s16, s31
	s_and_saveexec_b32 s4, s5
	s_cbranch_execnz .LBB140_356
.LBB140_246:
	s_or_b32 exec_lo, exec_lo, s4
	s_and_b32 s5, s16, s33
	s_and_saveexec_b32 s4, s5
	s_cbranch_execnz .LBB140_360
.LBB140_247:
	s_or_b32 exec_lo, exec_lo, s4
	s_and_b32 s5, s16, s34
	s_and_saveexec_b32 s4, s5
	s_cbranch_execnz .LBB140_364
.LBB140_248:
	s_or_b32 exec_lo, exec_lo, s4
	s_and_b32 s5, s16, s35
	s_and_saveexec_b32 s4, s5
	s_cbranch_execnz .LBB140_368
.LBB140_249:
	s_or_b32 exec_lo, exec_lo, s4
	s_and_b32 s5, s16, s36
	s_and_saveexec_b32 s4, s5
	s_cbranch_execnz .LBB140_372
.LBB140_250:
	s_or_b32 exec_lo, exec_lo, s4
	s_and_b32 s4, s16, s37
	s_and_saveexec_b32 s5, s4
	s_cbranch_execnz .LBB140_376
.LBB140_251:
	s_endpgm
.LBB140_252:
	s_clause 0x1
	buffer_load_dword v64, off, s[0:3], 0 offset:256
	buffer_load_dword v65, off, s[0:3], 0 offset:260
	v_lshlrev_b64 v[0:1], 3, v[0:1]
	s_andn2_b32 vcc_lo, exec_lo, s46
	s_cbranch_vccnz .LBB140_254
; %bb.253:
	v_add_co_u32 v66, vcc_lo, v71, v0
	v_add_co_ci_u32_e64 v67, null, v72, v1, vcc_lo
	flat_load_dwordx2 v[66:67], v[66:67]
	s_waitcnt vmcnt(0) lgkmcnt(0)
	v_mul_f64 v[66:67], s[38:39], v[66:67]
	s_branch .LBB140_255
.LBB140_254:
	v_mov_b32_e32 v66, 0
	v_mov_b32_e32 v67, 0
.LBB140_255:
	s_waitcnt vmcnt(0)
	v_add_f64 v[64:65], v[64:65], v[66:67]
	v_add_co_u32 v0, vcc_lo, v68, v0
	v_add_co_ci_u32_e64 v1, null, v69, v1, vcc_lo
	flat_store_dwordx2 v[0:1], v[64:65]
	s_or_b32 exec_lo, exec_lo, s4
	s_and_b32 s5, s16, s5
	s_and_saveexec_b32 s4, s5
	s_cbranch_execz .LBB140_221
.LBB140_256:
	s_clause 0x1
	buffer_load_dword v0, off, s[0:3], 0 offset:264
	buffer_load_dword v1, off, s[0:3], 0 offset:268
	v_cmp_ne_u32_e32 vcc_lo, 1, v70
	v_lshlrev_b64 v[2:3], 3, v[2:3]
	s_cbranch_vccnz .LBB140_258
; %bb.257:
	v_add_co_u32 v64, vcc_lo, v71, v2
	v_add_co_ci_u32_e64 v65, null, v72, v3, vcc_lo
	flat_load_dwordx2 v[64:65], v[64:65]
	s_waitcnt vmcnt(0) lgkmcnt(0)
	v_mul_f64 v[64:65], s[38:39], v[64:65]
	s_branch .LBB140_259
.LBB140_258:
	v_mov_b32_e32 v64, 0
	v_mov_b32_e32 v65, 0
.LBB140_259:
	s_waitcnt vmcnt(0)
	v_add_f64 v[0:1], v[0:1], v[64:65]
	v_add_co_u32 v2, vcc_lo, v68, v2
	v_add_co_ci_u32_e64 v3, null, v69, v3, vcc_lo
	flat_store_dwordx2 v[2:3], v[0:1]
	s_or_b32 exec_lo, exec_lo, s4
	s_and_b32 s5, s16, s6
	s_and_saveexec_b32 s4, s5
	s_cbranch_execz .LBB140_222
.LBB140_260:
	s_clause 0x1
	buffer_load_dword v0, off, s[0:3], 0 offset:272
	buffer_load_dword v1, off, s[0:3], 0 offset:276
	v_cmp_ne_u32_e32 vcc_lo, 1, v70
	v_lshlrev_b64 v[2:3], 3, v[4:5]
	s_cbranch_vccnz .LBB140_262
; %bb.261:
	v_add_co_u32 v4, vcc_lo, v71, v2
	v_add_co_ci_u32_e64 v5, null, v72, v3, vcc_lo
	flat_load_dwordx2 v[4:5], v[4:5]
	s_waitcnt vmcnt(0) lgkmcnt(0)
	v_mul_f64 v[4:5], s[38:39], v[4:5]
	s_branch .LBB140_263
.LBB140_262:
	v_mov_b32_e32 v4, 0
	v_mov_b32_e32 v5, 0
.LBB140_263:
	s_waitcnt vmcnt(0)
	v_add_f64 v[0:1], v[0:1], v[4:5]
	v_add_co_u32 v2, vcc_lo, v68, v2
	v_add_co_ci_u32_e64 v3, null, v69, v3, vcc_lo
	flat_store_dwordx2 v[2:3], v[0:1]
	s_or_b32 exec_lo, exec_lo, s4
	s_and_b32 s5, s16, s7
	s_and_saveexec_b32 s4, s5
	s_cbranch_execz .LBB140_223
.LBB140_264:
	s_clause 0x1
	buffer_load_dword v0, off, s[0:3], 0 offset:280
	buffer_load_dword v1, off, s[0:3], 0 offset:284
	v_cmp_ne_u32_e32 vcc_lo, 1, v70
	v_lshlrev_b64 v[2:3], 3, v[6:7]
	s_cbranch_vccnz .LBB140_266
; %bb.265:
	v_add_co_u32 v4, vcc_lo, v71, v2
	v_add_co_ci_u32_e64 v5, null, v72, v3, vcc_lo
	flat_load_dwordx2 v[4:5], v[4:5]
	s_waitcnt vmcnt(0) lgkmcnt(0)
	v_mul_f64 v[4:5], s[38:39], v[4:5]
	s_branch .LBB140_267
.LBB140_266:
	v_mov_b32_e32 v4, 0
	v_mov_b32_e32 v5, 0
.LBB140_267:
	s_waitcnt vmcnt(0)
	v_add_f64 v[0:1], v[0:1], v[4:5]
	v_add_co_u32 v2, vcc_lo, v68, v2
	v_add_co_ci_u32_e64 v3, null, v69, v3, vcc_lo
	flat_store_dwordx2 v[2:3], v[0:1]
	s_or_b32 exec_lo, exec_lo, s4
	s_and_b32 s5, s16, s8
	s_and_saveexec_b32 s4, s5
	s_cbranch_execz .LBB140_224
.LBB140_268:
	s_clause 0x1
	buffer_load_dword v0, off, s[0:3], 0 offset:288
	buffer_load_dword v1, off, s[0:3], 0 offset:292
	v_cmp_ne_u32_e32 vcc_lo, 1, v70
	v_lshlrev_b64 v[2:3], 3, v[8:9]
	s_cbranch_vccnz .LBB140_270
; %bb.269:
	v_add_co_u32 v4, vcc_lo, v71, v2
	v_add_co_ci_u32_e64 v5, null, v72, v3, vcc_lo
	flat_load_dwordx2 v[4:5], v[4:5]
	s_waitcnt vmcnt(0) lgkmcnt(0)
	v_mul_f64 v[4:5], s[38:39], v[4:5]
	s_branch .LBB140_271
.LBB140_270:
	v_mov_b32_e32 v4, 0
	v_mov_b32_e32 v5, 0
.LBB140_271:
	s_waitcnt vmcnt(0)
	v_add_f64 v[0:1], v[0:1], v[4:5]
	v_add_co_u32 v2, vcc_lo, v68, v2
	v_add_co_ci_u32_e64 v3, null, v69, v3, vcc_lo
	flat_store_dwordx2 v[2:3], v[0:1]
	s_or_b32 exec_lo, exec_lo, s4
	s_and_b32 s5, s16, s9
	s_and_saveexec_b32 s4, s5
	s_cbranch_execz .LBB140_225
.LBB140_272:
	s_clause 0x1
	buffer_load_dword v0, off, s[0:3], 0 offset:296
	buffer_load_dword v1, off, s[0:3], 0 offset:300
	v_cmp_ne_u32_e32 vcc_lo, 1, v70
	v_lshlrev_b64 v[2:3], 3, v[10:11]
	s_cbranch_vccnz .LBB140_274
; %bb.273:
	v_add_co_u32 v4, vcc_lo, v71, v2
	v_add_co_ci_u32_e64 v5, null, v72, v3, vcc_lo
	flat_load_dwordx2 v[4:5], v[4:5]
	s_waitcnt vmcnt(0) lgkmcnt(0)
	v_mul_f64 v[4:5], s[38:39], v[4:5]
	s_branch .LBB140_275
.LBB140_274:
	v_mov_b32_e32 v4, 0
	v_mov_b32_e32 v5, 0
.LBB140_275:
	s_waitcnt vmcnt(0)
	v_add_f64 v[0:1], v[0:1], v[4:5]
	v_add_co_u32 v2, vcc_lo, v68, v2
	v_add_co_ci_u32_e64 v3, null, v69, v3, vcc_lo
	flat_store_dwordx2 v[2:3], v[0:1]
	s_or_b32 exec_lo, exec_lo, s4
	s_and_b32 s5, s16, s10
	s_and_saveexec_b32 s4, s5
	s_cbranch_execz .LBB140_226
.LBB140_276:
	s_clause 0x1
	buffer_load_dword v0, off, s[0:3], 0 offset:304
	buffer_load_dword v1, off, s[0:3], 0 offset:308
	v_cmp_ne_u32_e32 vcc_lo, 1, v70
	v_lshlrev_b64 v[2:3], 3, v[12:13]
	s_cbranch_vccnz .LBB140_278
; %bb.277:
	v_add_co_u32 v4, vcc_lo, v71, v2
	v_add_co_ci_u32_e64 v5, null, v72, v3, vcc_lo
	flat_load_dwordx2 v[4:5], v[4:5]
	s_waitcnt vmcnt(0) lgkmcnt(0)
	v_mul_f64 v[4:5], s[38:39], v[4:5]
	s_branch .LBB140_279
.LBB140_278:
	v_mov_b32_e32 v4, 0
	v_mov_b32_e32 v5, 0
.LBB140_279:
	s_waitcnt vmcnt(0)
	v_add_f64 v[0:1], v[0:1], v[4:5]
	v_add_co_u32 v2, vcc_lo, v68, v2
	v_add_co_ci_u32_e64 v3, null, v69, v3, vcc_lo
	flat_store_dwordx2 v[2:3], v[0:1]
	s_or_b32 exec_lo, exec_lo, s4
	s_and_b32 s5, s16, s11
	s_and_saveexec_b32 s4, s5
	s_cbranch_execz .LBB140_227
.LBB140_280:
	s_clause 0x1
	buffer_load_dword v0, off, s[0:3], 0 offset:312
	buffer_load_dword v1, off, s[0:3], 0 offset:316
	v_cmp_ne_u32_e32 vcc_lo, 1, v70
	v_lshlrev_b64 v[2:3], 3, v[14:15]
	s_cbranch_vccnz .LBB140_282
; %bb.281:
	v_add_co_u32 v4, vcc_lo, v71, v2
	v_add_co_ci_u32_e64 v5, null, v72, v3, vcc_lo
	flat_load_dwordx2 v[4:5], v[4:5]
	s_waitcnt vmcnt(0) lgkmcnt(0)
	v_mul_f64 v[4:5], s[38:39], v[4:5]
	s_branch .LBB140_283
.LBB140_282:
	v_mov_b32_e32 v4, 0
	v_mov_b32_e32 v5, 0
.LBB140_283:
	s_waitcnt vmcnt(0)
	v_add_f64 v[0:1], v[0:1], v[4:5]
	v_add_co_u32 v2, vcc_lo, v68, v2
	v_add_co_ci_u32_e64 v3, null, v69, v3, vcc_lo
	flat_store_dwordx2 v[2:3], v[0:1]
	s_or_b32 exec_lo, exec_lo, s4
	s_and_b32 s5, s16, s12
	s_and_saveexec_b32 s4, s5
	s_cbranch_execz .LBB140_228
.LBB140_284:
	s_clause 0x1
	buffer_load_dword v0, off, s[0:3], 0 offset:320
	buffer_load_dword v1, off, s[0:3], 0 offset:324
	v_cmp_ne_u32_e32 vcc_lo, 1, v70
	v_lshlrev_b64 v[2:3], 3, v[16:17]
	s_cbranch_vccnz .LBB140_286
; %bb.285:
	v_add_co_u32 v4, vcc_lo, v71, v2
	v_add_co_ci_u32_e64 v5, null, v72, v3, vcc_lo
	flat_load_dwordx2 v[4:5], v[4:5]
	s_waitcnt vmcnt(0) lgkmcnt(0)
	v_mul_f64 v[4:5], s[38:39], v[4:5]
	s_branch .LBB140_287
.LBB140_286:
	v_mov_b32_e32 v4, 0
	v_mov_b32_e32 v5, 0
.LBB140_287:
	s_waitcnt vmcnt(0)
	v_add_f64 v[0:1], v[0:1], v[4:5]
	v_add_co_u32 v2, vcc_lo, v68, v2
	v_add_co_ci_u32_e64 v3, null, v69, v3, vcc_lo
	flat_store_dwordx2 v[2:3], v[0:1]
	s_or_b32 exec_lo, exec_lo, s4
	s_and_b32 s5, s16, s13
	s_and_saveexec_b32 s4, s5
	s_cbranch_execz .LBB140_229
.LBB140_288:
	s_clause 0x1
	buffer_load_dword v0, off, s[0:3], 0 offset:328
	buffer_load_dword v1, off, s[0:3], 0 offset:332
	v_cmp_ne_u32_e32 vcc_lo, 1, v70
	v_lshlrev_b64 v[2:3], 3, v[18:19]
	s_cbranch_vccnz .LBB140_290
; %bb.289:
	v_add_co_u32 v4, vcc_lo, v71, v2
	v_add_co_ci_u32_e64 v5, null, v72, v3, vcc_lo
	flat_load_dwordx2 v[4:5], v[4:5]
	s_waitcnt vmcnt(0) lgkmcnt(0)
	v_mul_f64 v[4:5], s[38:39], v[4:5]
	s_branch .LBB140_291
.LBB140_290:
	v_mov_b32_e32 v4, 0
	v_mov_b32_e32 v5, 0
.LBB140_291:
	s_waitcnt vmcnt(0)
	v_add_f64 v[0:1], v[0:1], v[4:5]
	v_add_co_u32 v2, vcc_lo, v68, v2
	v_add_co_ci_u32_e64 v3, null, v69, v3, vcc_lo
	flat_store_dwordx2 v[2:3], v[0:1]
	s_or_b32 exec_lo, exec_lo, s4
	s_and_b32 s5, s16, s14
	s_and_saveexec_b32 s4, s5
	s_cbranch_execz .LBB140_230
.LBB140_292:
	s_clause 0x1
	buffer_load_dword v0, off, s[0:3], 0 offset:336
	buffer_load_dword v1, off, s[0:3], 0 offset:340
	v_cmp_ne_u32_e32 vcc_lo, 1, v70
	v_lshlrev_b64 v[2:3], 3, v[20:21]
	s_cbranch_vccnz .LBB140_294
; %bb.293:
	v_add_co_u32 v4, vcc_lo, v71, v2
	v_add_co_ci_u32_e64 v5, null, v72, v3, vcc_lo
	flat_load_dwordx2 v[4:5], v[4:5]
	s_waitcnt vmcnt(0) lgkmcnt(0)
	v_mul_f64 v[4:5], s[38:39], v[4:5]
	s_branch .LBB140_295
.LBB140_294:
	v_mov_b32_e32 v4, 0
	v_mov_b32_e32 v5, 0
.LBB140_295:
	s_waitcnt vmcnt(0)
	v_add_f64 v[0:1], v[0:1], v[4:5]
	v_add_co_u32 v2, vcc_lo, v68, v2
	v_add_co_ci_u32_e64 v3, null, v69, v3, vcc_lo
	flat_store_dwordx2 v[2:3], v[0:1]
	s_or_b32 exec_lo, exec_lo, s4
	s_and_b32 s5, s16, s15
	s_and_saveexec_b32 s4, s5
	s_cbranch_execz .LBB140_231
.LBB140_296:
	s_clause 0x1
	buffer_load_dword v0, off, s[0:3], 0 offset:344
	buffer_load_dword v1, off, s[0:3], 0 offset:348
	v_cmp_ne_u32_e32 vcc_lo, 1, v70
	v_lshlrev_b64 v[2:3], 3, v[22:23]
	s_cbranch_vccnz .LBB140_298
; %bb.297:
	v_add_co_u32 v4, vcc_lo, v71, v2
	v_add_co_ci_u32_e64 v5, null, v72, v3, vcc_lo
	flat_load_dwordx2 v[4:5], v[4:5]
	s_waitcnt vmcnt(0) lgkmcnt(0)
	v_mul_f64 v[4:5], s[38:39], v[4:5]
	s_branch .LBB140_299
.LBB140_298:
	v_mov_b32_e32 v4, 0
	v_mov_b32_e32 v5, 0
.LBB140_299:
	s_waitcnt vmcnt(0)
	v_add_f64 v[0:1], v[0:1], v[4:5]
	v_add_co_u32 v2, vcc_lo, v68, v2
	v_add_co_ci_u32_e64 v3, null, v69, v3, vcc_lo
	flat_store_dwordx2 v[2:3], v[0:1]
	s_or_b32 exec_lo, exec_lo, s4
	s_and_b32 s5, s16, s17
	s_and_saveexec_b32 s4, s5
	s_cbranch_execz .LBB140_232
.LBB140_300:
	s_clause 0x1
	buffer_load_dword v0, off, s[0:3], 0 offset:352
	buffer_load_dword v1, off, s[0:3], 0 offset:356
	v_cmp_ne_u32_e32 vcc_lo, 1, v70
	v_lshlrev_b64 v[2:3], 3, v[24:25]
	s_cbranch_vccnz .LBB140_302
; %bb.301:
	v_add_co_u32 v4, vcc_lo, v71, v2
	v_add_co_ci_u32_e64 v5, null, v72, v3, vcc_lo
	flat_load_dwordx2 v[4:5], v[4:5]
	s_waitcnt vmcnt(0) lgkmcnt(0)
	v_mul_f64 v[4:5], s[38:39], v[4:5]
	s_branch .LBB140_303
.LBB140_302:
	v_mov_b32_e32 v4, 0
	v_mov_b32_e32 v5, 0
.LBB140_303:
	s_waitcnt vmcnt(0)
	v_add_f64 v[0:1], v[0:1], v[4:5]
	v_add_co_u32 v2, vcc_lo, v68, v2
	v_add_co_ci_u32_e64 v3, null, v69, v3, vcc_lo
	flat_store_dwordx2 v[2:3], v[0:1]
	s_or_b32 exec_lo, exec_lo, s4
	s_and_b32 s5, s16, s18
	s_and_saveexec_b32 s4, s5
	s_cbranch_execz .LBB140_233
.LBB140_304:
	s_clause 0x1
	buffer_load_dword v0, off, s[0:3], 0 offset:360
	buffer_load_dword v1, off, s[0:3], 0 offset:364
	v_cmp_ne_u32_e32 vcc_lo, 1, v70
	v_lshlrev_b64 v[2:3], 3, v[26:27]
	s_cbranch_vccnz .LBB140_306
; %bb.305:
	v_add_co_u32 v4, vcc_lo, v71, v2
	v_add_co_ci_u32_e64 v5, null, v72, v3, vcc_lo
	flat_load_dwordx2 v[4:5], v[4:5]
	s_waitcnt vmcnt(0) lgkmcnt(0)
	v_mul_f64 v[4:5], s[38:39], v[4:5]
	s_branch .LBB140_307
.LBB140_306:
	v_mov_b32_e32 v4, 0
	v_mov_b32_e32 v5, 0
.LBB140_307:
	s_waitcnt vmcnt(0)
	v_add_f64 v[0:1], v[0:1], v[4:5]
	v_add_co_u32 v2, vcc_lo, v68, v2
	v_add_co_ci_u32_e64 v3, null, v69, v3, vcc_lo
	flat_store_dwordx2 v[2:3], v[0:1]
	s_or_b32 exec_lo, exec_lo, s4
	s_and_b32 s5, s16, s19
	s_and_saveexec_b32 s4, s5
	s_cbranch_execz .LBB140_234
.LBB140_308:
	s_clause 0x1
	buffer_load_dword v0, off, s[0:3], 0 offset:368
	buffer_load_dword v1, off, s[0:3], 0 offset:372
	v_cmp_ne_u32_e32 vcc_lo, 1, v70
	v_lshlrev_b64 v[2:3], 3, v[28:29]
	s_cbranch_vccnz .LBB140_310
; %bb.309:
	v_add_co_u32 v4, vcc_lo, v71, v2
	v_add_co_ci_u32_e64 v5, null, v72, v3, vcc_lo
	flat_load_dwordx2 v[4:5], v[4:5]
	s_waitcnt vmcnt(0) lgkmcnt(0)
	v_mul_f64 v[4:5], s[38:39], v[4:5]
	s_branch .LBB140_311
.LBB140_310:
	v_mov_b32_e32 v4, 0
	v_mov_b32_e32 v5, 0
.LBB140_311:
	s_waitcnt vmcnt(0)
	v_add_f64 v[0:1], v[0:1], v[4:5]
	v_add_co_u32 v2, vcc_lo, v68, v2
	v_add_co_ci_u32_e64 v3, null, v69, v3, vcc_lo
	flat_store_dwordx2 v[2:3], v[0:1]
	s_or_b32 exec_lo, exec_lo, s4
	s_and_b32 s5, s16, s20
	s_and_saveexec_b32 s4, s5
	s_cbranch_execz .LBB140_235
.LBB140_312:
	s_clause 0x1
	buffer_load_dword v0, off, s[0:3], 0 offset:376
	buffer_load_dword v1, off, s[0:3], 0 offset:380
	v_cmp_ne_u32_e32 vcc_lo, 1, v70
	v_lshlrev_b64 v[2:3], 3, v[30:31]
	s_cbranch_vccnz .LBB140_314
; %bb.313:
	v_add_co_u32 v4, vcc_lo, v71, v2
	v_add_co_ci_u32_e64 v5, null, v72, v3, vcc_lo
	flat_load_dwordx2 v[4:5], v[4:5]
	s_waitcnt vmcnt(0) lgkmcnt(0)
	v_mul_f64 v[4:5], s[38:39], v[4:5]
	s_branch .LBB140_315
.LBB140_314:
	v_mov_b32_e32 v4, 0
	v_mov_b32_e32 v5, 0
.LBB140_315:
	s_waitcnt vmcnt(0)
	v_add_f64 v[0:1], v[0:1], v[4:5]
	v_add_co_u32 v2, vcc_lo, v68, v2
	v_add_co_ci_u32_e64 v3, null, v69, v3, vcc_lo
	flat_store_dwordx2 v[2:3], v[0:1]
	s_or_b32 exec_lo, exec_lo, s4
	s_and_b32 s5, s16, s21
	s_and_saveexec_b32 s4, s5
	s_cbranch_execz .LBB140_236
.LBB140_316:
	s_clause 0x1
	buffer_load_dword v0, off, s[0:3], 0 offset:384
	buffer_load_dword v1, off, s[0:3], 0 offset:388
	v_cmp_ne_u32_e32 vcc_lo, 1, v70
	v_lshlrev_b64 v[2:3], 3, v[32:33]
	s_cbranch_vccnz .LBB140_318
; %bb.317:
	v_add_co_u32 v4, vcc_lo, v71, v2
	v_add_co_ci_u32_e64 v5, null, v72, v3, vcc_lo
	flat_load_dwordx2 v[4:5], v[4:5]
	s_waitcnt vmcnt(0) lgkmcnt(0)
	v_mul_f64 v[4:5], s[38:39], v[4:5]
	s_branch .LBB140_319
.LBB140_318:
	v_mov_b32_e32 v4, 0
	v_mov_b32_e32 v5, 0
.LBB140_319:
	s_waitcnt vmcnt(0)
	v_add_f64 v[0:1], v[0:1], v[4:5]
	v_add_co_u32 v2, vcc_lo, v68, v2
	v_add_co_ci_u32_e64 v3, null, v69, v3, vcc_lo
	flat_store_dwordx2 v[2:3], v[0:1]
	s_or_b32 exec_lo, exec_lo, s4
	s_and_b32 s5, s16, s22
	s_and_saveexec_b32 s4, s5
	s_cbranch_execz .LBB140_237
.LBB140_320:
	s_clause 0x1
	buffer_load_dword v0, off, s[0:3], 0 offset:392
	buffer_load_dword v1, off, s[0:3], 0 offset:396
	v_cmp_ne_u32_e32 vcc_lo, 1, v70
	v_lshlrev_b64 v[2:3], 3, v[34:35]
	s_cbranch_vccnz .LBB140_322
; %bb.321:
	v_add_co_u32 v4, vcc_lo, v71, v2
	v_add_co_ci_u32_e64 v5, null, v72, v3, vcc_lo
	flat_load_dwordx2 v[4:5], v[4:5]
	s_waitcnt vmcnt(0) lgkmcnt(0)
	v_mul_f64 v[4:5], s[38:39], v[4:5]
	s_branch .LBB140_323
.LBB140_322:
	v_mov_b32_e32 v4, 0
	v_mov_b32_e32 v5, 0
.LBB140_323:
	s_waitcnt vmcnt(0)
	v_add_f64 v[0:1], v[0:1], v[4:5]
	v_add_co_u32 v2, vcc_lo, v68, v2
	v_add_co_ci_u32_e64 v3, null, v69, v3, vcc_lo
	flat_store_dwordx2 v[2:3], v[0:1]
	s_or_b32 exec_lo, exec_lo, s4
	s_and_b32 s5, s16, s23
	s_and_saveexec_b32 s4, s5
	s_cbranch_execz .LBB140_238
.LBB140_324:
	s_clause 0x1
	buffer_load_dword v0, off, s[0:3], 0 offset:400
	buffer_load_dword v1, off, s[0:3], 0 offset:404
	v_cmp_ne_u32_e32 vcc_lo, 1, v70
	v_lshlrev_b64 v[2:3], 3, v[36:37]
	s_cbranch_vccnz .LBB140_326
; %bb.325:
	v_add_co_u32 v4, vcc_lo, v71, v2
	v_add_co_ci_u32_e64 v5, null, v72, v3, vcc_lo
	flat_load_dwordx2 v[4:5], v[4:5]
	s_waitcnt vmcnt(0) lgkmcnt(0)
	v_mul_f64 v[4:5], s[38:39], v[4:5]
	s_branch .LBB140_327
.LBB140_326:
	v_mov_b32_e32 v4, 0
	v_mov_b32_e32 v5, 0
.LBB140_327:
	s_waitcnt vmcnt(0)
	v_add_f64 v[0:1], v[0:1], v[4:5]
	v_add_co_u32 v2, vcc_lo, v68, v2
	v_add_co_ci_u32_e64 v3, null, v69, v3, vcc_lo
	flat_store_dwordx2 v[2:3], v[0:1]
	s_or_b32 exec_lo, exec_lo, s4
	s_and_b32 s5, s16, s24
	s_and_saveexec_b32 s4, s5
	s_cbranch_execz .LBB140_239
.LBB140_328:
	s_clause 0x1
	buffer_load_dword v0, off, s[0:3], 0 offset:408
	buffer_load_dword v1, off, s[0:3], 0 offset:412
	v_cmp_ne_u32_e32 vcc_lo, 1, v70
	v_lshlrev_b64 v[2:3], 3, v[38:39]
	s_cbranch_vccnz .LBB140_330
; %bb.329:
	v_add_co_u32 v4, vcc_lo, v71, v2
	v_add_co_ci_u32_e64 v5, null, v72, v3, vcc_lo
	flat_load_dwordx2 v[4:5], v[4:5]
	s_waitcnt vmcnt(0) lgkmcnt(0)
	v_mul_f64 v[4:5], s[38:39], v[4:5]
	s_branch .LBB140_331
.LBB140_330:
	v_mov_b32_e32 v4, 0
	v_mov_b32_e32 v5, 0
.LBB140_331:
	s_waitcnt vmcnt(0)
	v_add_f64 v[0:1], v[0:1], v[4:5]
	v_add_co_u32 v2, vcc_lo, v68, v2
	v_add_co_ci_u32_e64 v3, null, v69, v3, vcc_lo
	flat_store_dwordx2 v[2:3], v[0:1]
	s_or_b32 exec_lo, exec_lo, s4
	s_and_b32 s5, s16, s25
	s_and_saveexec_b32 s4, s5
	s_cbranch_execz .LBB140_240
.LBB140_332:
	s_clause 0x1
	buffer_load_dword v0, off, s[0:3], 0 offset:416
	buffer_load_dword v1, off, s[0:3], 0 offset:420
	v_cmp_ne_u32_e32 vcc_lo, 1, v70
	v_lshlrev_b64 v[2:3], 3, v[40:41]
	s_cbranch_vccnz .LBB140_334
; %bb.333:
	v_add_co_u32 v4, vcc_lo, v71, v2
	v_add_co_ci_u32_e64 v5, null, v72, v3, vcc_lo
	flat_load_dwordx2 v[4:5], v[4:5]
	s_waitcnt vmcnt(0) lgkmcnt(0)
	v_mul_f64 v[4:5], s[38:39], v[4:5]
	s_branch .LBB140_335
.LBB140_334:
	v_mov_b32_e32 v4, 0
	v_mov_b32_e32 v5, 0
.LBB140_335:
	s_waitcnt vmcnt(0)
	v_add_f64 v[0:1], v[0:1], v[4:5]
	v_add_co_u32 v2, vcc_lo, v68, v2
	v_add_co_ci_u32_e64 v3, null, v69, v3, vcc_lo
	flat_store_dwordx2 v[2:3], v[0:1]
	s_or_b32 exec_lo, exec_lo, s4
	s_and_b32 s5, s16, s26
	s_and_saveexec_b32 s4, s5
	s_cbranch_execz .LBB140_241
.LBB140_336:
	s_clause 0x1
	buffer_load_dword v0, off, s[0:3], 0 offset:424
	buffer_load_dword v1, off, s[0:3], 0 offset:428
	v_cmp_ne_u32_e32 vcc_lo, 1, v70
	v_lshlrev_b64 v[2:3], 3, v[42:43]
	s_cbranch_vccnz .LBB140_338
; %bb.337:
	v_add_co_u32 v4, vcc_lo, v71, v2
	v_add_co_ci_u32_e64 v5, null, v72, v3, vcc_lo
	flat_load_dwordx2 v[4:5], v[4:5]
	s_waitcnt vmcnt(0) lgkmcnt(0)
	v_mul_f64 v[4:5], s[38:39], v[4:5]
	s_branch .LBB140_339
.LBB140_338:
	v_mov_b32_e32 v4, 0
	v_mov_b32_e32 v5, 0
.LBB140_339:
	s_waitcnt vmcnt(0)
	v_add_f64 v[0:1], v[0:1], v[4:5]
	v_add_co_u32 v2, vcc_lo, v68, v2
	v_add_co_ci_u32_e64 v3, null, v69, v3, vcc_lo
	flat_store_dwordx2 v[2:3], v[0:1]
	s_or_b32 exec_lo, exec_lo, s4
	s_and_b32 s5, s16, s27
	s_and_saveexec_b32 s4, s5
	s_cbranch_execz .LBB140_242
.LBB140_340:
	s_clause 0x1
	buffer_load_dword v0, off, s[0:3], 0 offset:432
	buffer_load_dword v1, off, s[0:3], 0 offset:436
	v_cmp_ne_u32_e32 vcc_lo, 1, v70
	v_lshlrev_b64 v[2:3], 3, v[44:45]
	s_cbranch_vccnz .LBB140_342
; %bb.341:
	v_add_co_u32 v4, vcc_lo, v71, v2
	v_add_co_ci_u32_e64 v5, null, v72, v3, vcc_lo
	flat_load_dwordx2 v[4:5], v[4:5]
	s_waitcnt vmcnt(0) lgkmcnt(0)
	v_mul_f64 v[4:5], s[38:39], v[4:5]
	s_branch .LBB140_343
.LBB140_342:
	v_mov_b32_e32 v4, 0
	v_mov_b32_e32 v5, 0
.LBB140_343:
	s_waitcnt vmcnt(0)
	v_add_f64 v[0:1], v[0:1], v[4:5]
	v_add_co_u32 v2, vcc_lo, v68, v2
	v_add_co_ci_u32_e64 v3, null, v69, v3, vcc_lo
	flat_store_dwordx2 v[2:3], v[0:1]
	s_or_b32 exec_lo, exec_lo, s4
	s_and_b32 s5, s16, s28
	s_and_saveexec_b32 s4, s5
	s_cbranch_execz .LBB140_243
.LBB140_344:
	s_clause 0x1
	buffer_load_dword v0, off, s[0:3], 0 offset:440
	buffer_load_dword v1, off, s[0:3], 0 offset:444
	v_cmp_ne_u32_e32 vcc_lo, 1, v70
	v_lshlrev_b64 v[2:3], 3, v[46:47]
	s_cbranch_vccnz .LBB140_346
; %bb.345:
	v_add_co_u32 v4, vcc_lo, v71, v2
	v_add_co_ci_u32_e64 v5, null, v72, v3, vcc_lo
	flat_load_dwordx2 v[4:5], v[4:5]
	s_waitcnt vmcnt(0) lgkmcnt(0)
	v_mul_f64 v[4:5], s[38:39], v[4:5]
	s_branch .LBB140_347
.LBB140_346:
	v_mov_b32_e32 v4, 0
	v_mov_b32_e32 v5, 0
.LBB140_347:
	s_waitcnt vmcnt(0)
	v_add_f64 v[0:1], v[0:1], v[4:5]
	v_add_co_u32 v2, vcc_lo, v68, v2
	v_add_co_ci_u32_e64 v3, null, v69, v3, vcc_lo
	flat_store_dwordx2 v[2:3], v[0:1]
	s_or_b32 exec_lo, exec_lo, s4
	s_and_b32 s5, s16, s29
	s_and_saveexec_b32 s4, s5
	s_cbranch_execz .LBB140_244
.LBB140_348:
	s_clause 0x1
	buffer_load_dword v0, off, s[0:3], 0 offset:448
	buffer_load_dword v1, off, s[0:3], 0 offset:452
	v_cmp_ne_u32_e32 vcc_lo, 1, v70
	v_lshlrev_b64 v[2:3], 3, v[48:49]
	s_cbranch_vccnz .LBB140_350
; %bb.349:
	v_add_co_u32 v4, vcc_lo, v71, v2
	v_add_co_ci_u32_e64 v5, null, v72, v3, vcc_lo
	flat_load_dwordx2 v[4:5], v[4:5]
	s_waitcnt vmcnt(0) lgkmcnt(0)
	v_mul_f64 v[4:5], s[38:39], v[4:5]
	s_branch .LBB140_351
.LBB140_350:
	v_mov_b32_e32 v4, 0
	v_mov_b32_e32 v5, 0
.LBB140_351:
	s_waitcnt vmcnt(0)
	v_add_f64 v[0:1], v[0:1], v[4:5]
	v_add_co_u32 v2, vcc_lo, v68, v2
	v_add_co_ci_u32_e64 v3, null, v69, v3, vcc_lo
	flat_store_dwordx2 v[2:3], v[0:1]
	s_or_b32 exec_lo, exec_lo, s4
	s_and_b32 s5, s16, s30
	s_and_saveexec_b32 s4, s5
	s_cbranch_execz .LBB140_245
.LBB140_352:
	s_clause 0x1
	buffer_load_dword v0, off, s[0:3], 0 offset:456
	buffer_load_dword v1, off, s[0:3], 0 offset:460
	v_cmp_ne_u32_e32 vcc_lo, 1, v70
	v_lshlrev_b64 v[2:3], 3, v[50:51]
	s_cbranch_vccnz .LBB140_354
; %bb.353:
	v_add_co_u32 v4, vcc_lo, v71, v2
	v_add_co_ci_u32_e64 v5, null, v72, v3, vcc_lo
	flat_load_dwordx2 v[4:5], v[4:5]
	s_waitcnt vmcnt(0) lgkmcnt(0)
	v_mul_f64 v[4:5], s[38:39], v[4:5]
	s_branch .LBB140_355
.LBB140_354:
	v_mov_b32_e32 v4, 0
	v_mov_b32_e32 v5, 0
.LBB140_355:
	s_waitcnt vmcnt(0)
	v_add_f64 v[0:1], v[0:1], v[4:5]
	v_add_co_u32 v2, vcc_lo, v68, v2
	v_add_co_ci_u32_e64 v3, null, v69, v3, vcc_lo
	flat_store_dwordx2 v[2:3], v[0:1]
	s_or_b32 exec_lo, exec_lo, s4
	s_and_b32 s5, s16, s31
	s_and_saveexec_b32 s4, s5
	s_cbranch_execz .LBB140_246
.LBB140_356:
	s_clause 0x1
	buffer_load_dword v0, off, s[0:3], 0 offset:464
	buffer_load_dword v1, off, s[0:3], 0 offset:468
	v_cmp_ne_u32_e32 vcc_lo, 1, v70
	v_lshlrev_b64 v[2:3], 3, v[52:53]
	s_cbranch_vccnz .LBB140_358
; %bb.357:
	v_add_co_u32 v4, vcc_lo, v71, v2
	v_add_co_ci_u32_e64 v5, null, v72, v3, vcc_lo
	flat_load_dwordx2 v[4:5], v[4:5]
	s_waitcnt vmcnt(0) lgkmcnt(0)
	v_mul_f64 v[4:5], s[38:39], v[4:5]
	s_branch .LBB140_359
.LBB140_358:
	v_mov_b32_e32 v4, 0
	v_mov_b32_e32 v5, 0
.LBB140_359:
	s_waitcnt vmcnt(0)
	v_add_f64 v[0:1], v[0:1], v[4:5]
	v_add_co_u32 v2, vcc_lo, v68, v2
	v_add_co_ci_u32_e64 v3, null, v69, v3, vcc_lo
	flat_store_dwordx2 v[2:3], v[0:1]
	s_or_b32 exec_lo, exec_lo, s4
	s_and_b32 s5, s16, s33
	s_and_saveexec_b32 s4, s5
	s_cbranch_execz .LBB140_247
.LBB140_360:
	s_clause 0x1
	buffer_load_dword v0, off, s[0:3], 0 offset:472
	buffer_load_dword v1, off, s[0:3], 0 offset:476
	v_cmp_ne_u32_e32 vcc_lo, 1, v70
	v_lshlrev_b64 v[2:3], 3, v[54:55]
	s_cbranch_vccnz .LBB140_362
; %bb.361:
	v_add_co_u32 v4, vcc_lo, v71, v2
	v_add_co_ci_u32_e64 v5, null, v72, v3, vcc_lo
	flat_load_dwordx2 v[4:5], v[4:5]
	s_waitcnt vmcnt(0) lgkmcnt(0)
	v_mul_f64 v[4:5], s[38:39], v[4:5]
	s_branch .LBB140_363
.LBB140_362:
	v_mov_b32_e32 v4, 0
	v_mov_b32_e32 v5, 0
.LBB140_363:
	s_waitcnt vmcnt(0)
	v_add_f64 v[0:1], v[0:1], v[4:5]
	v_add_co_u32 v2, vcc_lo, v68, v2
	v_add_co_ci_u32_e64 v3, null, v69, v3, vcc_lo
	flat_store_dwordx2 v[2:3], v[0:1]
	s_or_b32 exec_lo, exec_lo, s4
	s_and_b32 s5, s16, s34
	s_and_saveexec_b32 s4, s5
	s_cbranch_execz .LBB140_248
.LBB140_364:
	s_clause 0x1
	buffer_load_dword v0, off, s[0:3], 0 offset:480
	buffer_load_dword v1, off, s[0:3], 0 offset:484
	v_cmp_ne_u32_e32 vcc_lo, 1, v70
	v_lshlrev_b64 v[2:3], 3, v[56:57]
	s_cbranch_vccnz .LBB140_366
; %bb.365:
	v_add_co_u32 v4, vcc_lo, v71, v2
	v_add_co_ci_u32_e64 v5, null, v72, v3, vcc_lo
	flat_load_dwordx2 v[4:5], v[4:5]
	s_waitcnt vmcnt(0) lgkmcnt(0)
	v_mul_f64 v[4:5], s[38:39], v[4:5]
	s_branch .LBB140_367
.LBB140_366:
	v_mov_b32_e32 v4, 0
	v_mov_b32_e32 v5, 0
.LBB140_367:
	s_waitcnt vmcnt(0)
	v_add_f64 v[0:1], v[0:1], v[4:5]
	v_add_co_u32 v2, vcc_lo, v68, v2
	v_add_co_ci_u32_e64 v3, null, v69, v3, vcc_lo
	flat_store_dwordx2 v[2:3], v[0:1]
	s_or_b32 exec_lo, exec_lo, s4
	s_and_b32 s5, s16, s35
	s_and_saveexec_b32 s4, s5
	s_cbranch_execz .LBB140_249
.LBB140_368:
	s_clause 0x1
	buffer_load_dword v0, off, s[0:3], 0 offset:488
	buffer_load_dword v1, off, s[0:3], 0 offset:492
	v_cmp_ne_u32_e32 vcc_lo, 1, v70
	v_lshlrev_b64 v[2:3], 3, v[58:59]
	s_cbranch_vccnz .LBB140_370
; %bb.369:
	v_add_co_u32 v4, vcc_lo, v71, v2
	v_add_co_ci_u32_e64 v5, null, v72, v3, vcc_lo
	flat_load_dwordx2 v[4:5], v[4:5]
	s_waitcnt vmcnt(0) lgkmcnt(0)
	v_mul_f64 v[4:5], s[38:39], v[4:5]
	s_branch .LBB140_371
.LBB140_370:
	v_mov_b32_e32 v4, 0
	v_mov_b32_e32 v5, 0
.LBB140_371:
	s_waitcnt vmcnt(0)
	v_add_f64 v[0:1], v[0:1], v[4:5]
	v_add_co_u32 v2, vcc_lo, v68, v2
	v_add_co_ci_u32_e64 v3, null, v69, v3, vcc_lo
	flat_store_dwordx2 v[2:3], v[0:1]
	s_or_b32 exec_lo, exec_lo, s4
	s_and_b32 s5, s16, s36
	s_and_saveexec_b32 s4, s5
	s_cbranch_execz .LBB140_250
.LBB140_372:
	s_clause 0x1
	buffer_load_dword v0, off, s[0:3], 0 offset:496
	buffer_load_dword v1, off, s[0:3], 0 offset:500
	v_cmp_ne_u32_e32 vcc_lo, 1, v70
	v_lshlrev_b64 v[2:3], 3, v[60:61]
	s_cbranch_vccnz .LBB140_374
; %bb.373:
	v_add_co_u32 v4, vcc_lo, v71, v2
	v_add_co_ci_u32_e64 v5, null, v72, v3, vcc_lo
	flat_load_dwordx2 v[4:5], v[4:5]
	s_waitcnt vmcnt(0) lgkmcnt(0)
	v_mul_f64 v[4:5], s[38:39], v[4:5]
	s_branch .LBB140_375
.LBB140_374:
	v_mov_b32_e32 v4, 0
	v_mov_b32_e32 v5, 0
.LBB140_375:
	s_waitcnt vmcnt(0)
	v_add_f64 v[0:1], v[0:1], v[4:5]
	v_add_co_u32 v2, vcc_lo, v68, v2
	v_add_co_ci_u32_e64 v3, null, v69, v3, vcc_lo
	flat_store_dwordx2 v[2:3], v[0:1]
	s_or_b32 exec_lo, exec_lo, s4
	s_and_b32 s4, s16, s37
	s_and_saveexec_b32 s5, s4
	s_cbranch_execz .LBB140_251
.LBB140_376:
	s_clause 0x1
	buffer_load_dword v0, off, s[0:3], 0 offset:504
	buffer_load_dword v1, off, s[0:3], 0 offset:508
	v_cmp_ne_u32_e32 vcc_lo, 1, v70
	v_lshlrev_b64 v[2:3], 3, v[62:63]
	s_cbranch_vccnz .LBB140_378
; %bb.377:
	v_add_co_u32 v4, vcc_lo, v71, v2
	v_add_co_ci_u32_e64 v5, null, v72, v3, vcc_lo
	flat_load_dwordx2 v[4:5], v[4:5]
	s_waitcnt vmcnt(0) lgkmcnt(0)
	v_mul_f64 v[4:5], s[38:39], v[4:5]
	s_branch .LBB140_379
.LBB140_378:
	v_mov_b32_e32 v4, 0
	v_mov_b32_e32 v5, 0
.LBB140_379:
	s_waitcnt vmcnt(0)
	v_add_f64 v[0:1], v[0:1], v[4:5]
	v_add_co_u32 v2, vcc_lo, v68, v2
	v_add_co_ci_u32_e64 v3, null, v69, v3, vcc_lo
	flat_store_dwordx2 v[2:3], v[0:1]
	s_endpgm
	.section	.rodata,"a",@progbits
	.p2align	6, 0x0
	.amdhsa_kernel _ZN12_GLOBAL__N_120geam_min_plus_kernelIdddLi4ELi64ELi128ELi128ELi4ELi4ELi64ELi4ELi64ELc84ELc78ELb0ELb1ELb0EdKPKdKPdEEviiiT16_PT17_ilS8_ilS6_S8_ilPT18_ili26rocblas_geam_ex_operation_
		.amdhsa_group_segment_fixed_size 16384
		.amdhsa_private_segment_fixed_size 528
		.amdhsa_kernarg_size 136
		.amdhsa_user_sgpr_count 6
		.amdhsa_user_sgpr_private_segment_buffer 1
		.amdhsa_user_sgpr_dispatch_ptr 0
		.amdhsa_user_sgpr_queue_ptr 0
		.amdhsa_user_sgpr_kernarg_segment_ptr 1
		.amdhsa_user_sgpr_dispatch_id 0
		.amdhsa_user_sgpr_flat_scratch_init 0
		.amdhsa_user_sgpr_private_segment_size 0
		.amdhsa_wavefront_size32 1
		.amdhsa_uses_dynamic_stack 0
		.amdhsa_system_sgpr_private_segment_wavefront_offset 1
		.amdhsa_system_sgpr_workgroup_id_x 1
		.amdhsa_system_sgpr_workgroup_id_y 0
		.amdhsa_system_sgpr_workgroup_id_z 1
		.amdhsa_system_sgpr_workgroup_info 0
		.amdhsa_system_vgpr_workitem_id 1
		.amdhsa_next_free_vgpr 226
		.amdhsa_next_free_sgpr 50
		.amdhsa_reserve_vcc 1
		.amdhsa_reserve_flat_scratch 0
		.amdhsa_float_round_mode_32 0
		.amdhsa_float_round_mode_16_64 0
		.amdhsa_float_denorm_mode_32 3
		.amdhsa_float_denorm_mode_16_64 3
		.amdhsa_dx10_clamp 1
		.amdhsa_ieee_mode 1
		.amdhsa_fp16_overflow 0
		.amdhsa_workgroup_processor_mode 1
		.amdhsa_memory_ordered 1
		.amdhsa_forward_progress 1
		.amdhsa_shared_vgpr_count 0
		.amdhsa_exception_fp_ieee_invalid_op 0
		.amdhsa_exception_fp_denorm_src 0
		.amdhsa_exception_fp_ieee_div_zero 0
		.amdhsa_exception_fp_ieee_overflow 0
		.amdhsa_exception_fp_ieee_underflow 0
		.amdhsa_exception_fp_ieee_inexact 0
		.amdhsa_exception_int_div_zero 0
	.end_amdhsa_kernel
	.section	.text._ZN12_GLOBAL__N_120geam_min_plus_kernelIdddLi4ELi64ELi128ELi128ELi4ELi4ELi64ELi4ELi64ELc84ELc78ELb0ELb1ELb0EdKPKdKPdEEviiiT16_PT17_ilS8_ilS6_S8_ilPT18_ili26rocblas_geam_ex_operation_,"axG",@progbits,_ZN12_GLOBAL__N_120geam_min_plus_kernelIdddLi4ELi64ELi128ELi128ELi4ELi4ELi64ELi4ELi64ELc84ELc78ELb0ELb1ELb0EdKPKdKPdEEviiiT16_PT17_ilS8_ilS6_S8_ilPT18_ili26rocblas_geam_ex_operation_,comdat
.Lfunc_end140:
	.size	_ZN12_GLOBAL__N_120geam_min_plus_kernelIdddLi4ELi64ELi128ELi128ELi4ELi4ELi64ELi4ELi64ELc84ELc78ELb0ELb1ELb0EdKPKdKPdEEviiiT16_PT17_ilS8_ilS6_S8_ilPT18_ili26rocblas_geam_ex_operation_, .Lfunc_end140-_ZN12_GLOBAL__N_120geam_min_plus_kernelIdddLi4ELi64ELi128ELi128ELi4ELi4ELi64ELi4ELi64ELc84ELc78ELb0ELb1ELb0EdKPKdKPdEEviiiT16_PT17_ilS8_ilS6_S8_ilPT18_ili26rocblas_geam_ex_operation_
                                        ; -- End function
	.set _ZN12_GLOBAL__N_120geam_min_plus_kernelIdddLi4ELi64ELi128ELi128ELi4ELi4ELi64ELi4ELi64ELc84ELc78ELb0ELb1ELb0EdKPKdKPdEEviiiT16_PT17_ilS8_ilS6_S8_ilPT18_ili26rocblas_geam_ex_operation_.num_vgpr, 226
	.set _ZN12_GLOBAL__N_120geam_min_plus_kernelIdddLi4ELi64ELi128ELi128ELi4ELi4ELi64ELi4ELi64ELc84ELc78ELb0ELb1ELb0EdKPKdKPdEEviiiT16_PT17_ilS8_ilS6_S8_ilPT18_ili26rocblas_geam_ex_operation_.num_agpr, 0
	.set _ZN12_GLOBAL__N_120geam_min_plus_kernelIdddLi4ELi64ELi128ELi128ELi4ELi4ELi64ELi4ELi64ELc84ELc78ELb0ELb1ELb0EdKPKdKPdEEviiiT16_PT17_ilS8_ilS6_S8_ilPT18_ili26rocblas_geam_ex_operation_.numbered_sgpr, 50
	.set _ZN12_GLOBAL__N_120geam_min_plus_kernelIdddLi4ELi64ELi128ELi128ELi4ELi4ELi64ELi4ELi64ELc84ELc78ELb0ELb1ELb0EdKPKdKPdEEviiiT16_PT17_ilS8_ilS6_S8_ilPT18_ili26rocblas_geam_ex_operation_.num_named_barrier, 0
	.set _ZN12_GLOBAL__N_120geam_min_plus_kernelIdddLi4ELi64ELi128ELi128ELi4ELi4ELi64ELi4ELi64ELc84ELc78ELb0ELb1ELb0EdKPKdKPdEEviiiT16_PT17_ilS8_ilS6_S8_ilPT18_ili26rocblas_geam_ex_operation_.private_seg_size, 528
	.set _ZN12_GLOBAL__N_120geam_min_plus_kernelIdddLi4ELi64ELi128ELi128ELi4ELi4ELi64ELi4ELi64ELc84ELc78ELb0ELb1ELb0EdKPKdKPdEEviiiT16_PT17_ilS8_ilS6_S8_ilPT18_ili26rocblas_geam_ex_operation_.uses_vcc, 1
	.set _ZN12_GLOBAL__N_120geam_min_plus_kernelIdddLi4ELi64ELi128ELi128ELi4ELi4ELi64ELi4ELi64ELc84ELc78ELb0ELb1ELb0EdKPKdKPdEEviiiT16_PT17_ilS8_ilS6_S8_ilPT18_ili26rocblas_geam_ex_operation_.uses_flat_scratch, 0
	.set _ZN12_GLOBAL__N_120geam_min_plus_kernelIdddLi4ELi64ELi128ELi128ELi4ELi4ELi64ELi4ELi64ELc84ELc78ELb0ELb1ELb0EdKPKdKPdEEviiiT16_PT17_ilS8_ilS6_S8_ilPT18_ili26rocblas_geam_ex_operation_.has_dyn_sized_stack, 0
	.set _ZN12_GLOBAL__N_120geam_min_plus_kernelIdddLi4ELi64ELi128ELi128ELi4ELi4ELi64ELi4ELi64ELc84ELc78ELb0ELb1ELb0EdKPKdKPdEEviiiT16_PT17_ilS8_ilS6_S8_ilPT18_ili26rocblas_geam_ex_operation_.has_recursion, 0
	.set _ZN12_GLOBAL__N_120geam_min_plus_kernelIdddLi4ELi64ELi128ELi128ELi4ELi4ELi64ELi4ELi64ELc84ELc78ELb0ELb1ELb0EdKPKdKPdEEviiiT16_PT17_ilS8_ilS6_S8_ilPT18_ili26rocblas_geam_ex_operation_.has_indirect_call, 0
	.section	.AMDGPU.csdata,"",@progbits
; Kernel info:
; codeLenInByte = 21968
; TotalNumSgprs: 52
; NumVgprs: 226
; ScratchSize: 528
; MemoryBound: 0
; FloatMode: 240
; IeeeMode: 1
; LDSByteSize: 16384 bytes/workgroup (compile time only)
; SGPRBlocks: 0
; VGPRBlocks: 28
; NumSGPRsForWavesPerEU: 52
; NumVGPRsForWavesPerEU: 226
; Occupancy: 4
; WaveLimiterHint : 1
; COMPUTE_PGM_RSRC2:SCRATCH_EN: 1
; COMPUTE_PGM_RSRC2:USER_SGPR: 6
; COMPUTE_PGM_RSRC2:TRAP_HANDLER: 0
; COMPUTE_PGM_RSRC2:TGID_X_EN: 1
; COMPUTE_PGM_RSRC2:TGID_Y_EN: 0
; COMPUTE_PGM_RSRC2:TGID_Z_EN: 1
; COMPUTE_PGM_RSRC2:TIDIG_COMP_CNT: 1
	.section	.text._ZN12_GLOBAL__N_120geam_min_plus_kernelIdddLi4ELi64ELi128ELi128ELi4ELi64ELi4ELi64ELi4ELc78ELc84ELb0ELb0ELb0EPKdKS2_KPdEEviiiT16_PT17_ilS8_ilS6_S8_ilPT18_ili26rocblas_geam_ex_operation_,"axG",@progbits,_ZN12_GLOBAL__N_120geam_min_plus_kernelIdddLi4ELi64ELi128ELi128ELi4ELi64ELi4ELi64ELi4ELc78ELc84ELb0ELb0ELb0EPKdKS2_KPdEEviiiT16_PT17_ilS8_ilS6_S8_ilPT18_ili26rocblas_geam_ex_operation_,comdat
	.globl	_ZN12_GLOBAL__N_120geam_min_plus_kernelIdddLi4ELi64ELi128ELi128ELi4ELi64ELi4ELi64ELi4ELc78ELc84ELb0ELb0ELb0EPKdKS2_KPdEEviiiT16_PT17_ilS8_ilS6_S8_ilPT18_ili26rocblas_geam_ex_operation_ ; -- Begin function _ZN12_GLOBAL__N_120geam_min_plus_kernelIdddLi4ELi64ELi128ELi128ELi4ELi64ELi4ELi64ELi4ELc78ELc84ELb0ELb0ELb0EPKdKS2_KPdEEviiiT16_PT17_ilS8_ilS6_S8_ilPT18_ili26rocblas_geam_ex_operation_
	.p2align	8
	.type	_ZN12_GLOBAL__N_120geam_min_plus_kernelIdddLi4ELi64ELi128ELi128ELi4ELi64ELi4ELi64ELi4ELc78ELc84ELb0ELb0ELb0EPKdKS2_KPdEEviiiT16_PT17_ilS8_ilS6_S8_ilPT18_ili26rocblas_geam_ex_operation_,@function
_ZN12_GLOBAL__N_120geam_min_plus_kernelIdddLi4ELi64ELi128ELi128ELi4ELi64ELi4ELi64ELi4ELc78ELc84ELb0ELb0ELb0EPKdKS2_KPdEEviiiT16_PT17_ilS8_ilS6_S8_ilPT18_ili26rocblas_geam_ex_operation_: ; @_ZN12_GLOBAL__N_120geam_min_plus_kernelIdddLi4ELi64ELi128ELi128ELi4ELi64ELi4ELi64ELi4ELc78ELc84ELb0ELb0ELb0EPKdKS2_KPdEEviiiT16_PT17_ilS8_ilS6_S8_ilPT18_ili26rocblas_geam_ex_operation_
; %bb.0:
	s_load_dwordx4 s[16:19], s[4:5], 0x10
	s_add_u32 s0, s0, s8
	s_mov_b32 s8, s7
	s_mov_b32 s9, 0
	s_addc_u32 s1, s1, 0
	s_lshl_b64 s[24:25], s[8:9], 3
	s_clause 0x1
	s_load_dwordx4 s[8:11], s[4:5], 0x28
	s_load_dwordx2 s[26:27], s[4:5], 0x50
	s_mov_b64 s[20:21], 0
	s_mov_b64 s[22:23], 0
	s_waitcnt lgkmcnt(0)
	s_add_u32 s12, s16, s24
	s_addc_u32 s13, s17, s25
	s_load_dwordx2 s[16:17], s[12:13], 0x0
	s_load_dwordx4 s[12:15], s[4:5], 0x40
	s_waitcnt lgkmcnt(0)
	v_cmp_eq_f64_e64 s7, s[16:17], 0
	v_cmp_neq_f64_e64 s28, s[16:17], 0
	s_add_u32 s14, s14, s24
	s_addc_u32 s15, s15, s25
	s_and_b32 vcc_lo, exec_lo, s7
	s_cbranch_vccnz .LBB141_2
; %bb.1:
	s_add_u32 s18, s18, s24
	s_addc_u32 s19, s19, s25
	s_lshl_b64 s[8:9], s[8:9], 3
	s_load_dwordx2 s[18:19], s[18:19], 0x0
	s_waitcnt lgkmcnt(0)
	s_add_u32 s22, s18, s8
	s_addc_u32 s23, s19, s9
.LBB141_2:
	s_load_dwordx2 s[14:15], s[14:15], 0x0
	v_cndmask_b32_e64 v2, 0, 1, s28
	s_andn2_b32 vcc_lo, exec_lo, s28
	v_cmp_ne_u32_e64 s7, 1, v2
	s_cbranch_vccnz .LBB141_4
; %bb.3:
	s_add_u32 s8, s10, s24
	s_addc_u32 s9, s11, s25
	s_lshl_b64 s[10:11], s[12:13], 3
	s_load_dwordx2 s[8:9], s[8:9], 0x0
	s_waitcnt lgkmcnt(0)
	s_add_u32 s20, s8, s10
	s_addc_u32 s21, s9, s11
.LBB141_4:
	s_waitcnt lgkmcnt(0)
	v_cmp_eq_f64_e64 s12, s[14:15], 0
	s_load_dwordx4 s[8:11], s[4:5], 0x60
	s_and_b32 vcc_lo, exec_lo, s12
	s_mov_b64 s[12:13], 0
	s_cbranch_vccnz .LBB141_6
; %bb.5:
	s_add_u32 s12, s26, s24
	s_addc_u32 s13, s27, s25
	s_waitcnt lgkmcnt(0)
	s_lshl_b64 s[8:9], s[8:9], 3
	s_load_dwordx2 s[12:13], s[12:13], 0x0
	s_waitcnt lgkmcnt(0)
	s_add_u32 s12, s12, s8
	s_addc_u32 s13, s13, s9
.LBB141_6:
	s_clause 0x1
	s_load_dword s19, s[4:5], 0x20
	s_load_dword s18, s[4:5], 0x0
	v_lshl_add_u32 v2, v1, 2, v0
	v_mov_b32_e32 v8, 0
	v_mov_b32_e32 v4, 0
	buffer_store_dword v8, off, s[0:3], 0 offset:4
	buffer_store_dword v8, off, s[0:3], 0
	buffer_store_dword v8, off, s[0:3], 0 offset:12
	buffer_store_dword v8, off, s[0:3], 0 offset:8
	;; [unrolled: 1-line block ×11, first 2 shown]
	v_and_b32_e32 v88, 63, v2
	v_lshrrev_b32_e32 v82, 6, v2
	buffer_store_dword v8, off, s[0:3], 0 offset:48
	buffer_store_dword v8, off, s[0:3], 0 offset:60
	;; [unrolled: 1-line block ×23, first 2 shown]
	s_waitcnt lgkmcnt(0)
	s_ashr_i32 s26, s19, 31
	s_add_u32 s8, s10, s24
	s_addc_u32 s9, s11, s25
	s_add_i32 s10, s18, -1
	buffer_store_dword v8, off, s[0:3], 0 offset:148
	buffer_store_dword v8, off, s[0:3], 0 offset:144
	buffer_store_dword v8, off, s[0:3], 0 offset:156
	buffer_store_dword v8, off, s[0:3], 0 offset:152
	s_ashr_i32 s11, s10, 31
	buffer_store_dword v8, off, s[0:3], 0 offset:164
	buffer_store_dword v8, off, s[0:3], 0 offset:160
	s_lshr_b32 s11, s11, 25
	s_load_dwordx2 s[8:9], s[8:9], 0x0
	s_add_i32 s10, s10, s11
	v_mov_b32_e32 v18, 0
	s_ashr_i32 s10, s10, 7
	v_mov_b32_e32 v5, 0
	s_add_i32 s11, s10, 1
	s_not_b32 s10, s10
	v_cvt_f32_u32_e32 v2, s11
	v_mov_b32_e32 v19, 0
	buffer_store_dword v8, off, s[0:3], 0 offset:172
	buffer_store_dword v8, off, s[0:3], 0 offset:168
	buffer_store_dword v8, off, s[0:3], 0 offset:180
	v_rcp_iflag_f32_e32 v2, v2
	buffer_store_dword v8, off, s[0:3], 0 offset:176
	buffer_store_dword v8, off, s[0:3], 0 offset:188
	;; [unrolled: 1-line block ×80, first 2 shown]
	v_mul_f32_e32 v2, 0x4f7ffffe, v2
	buffer_store_dword v8, off, s[0:3], 0 offset:496
	buffer_store_dword v8, off, s[0:3], 0 offset:508
	;; [unrolled: 1-line block ×3, first 2 shown]
	v_cvt_u32_f32_e32 v2, v2
	v_readfirstlane_b32 s18, v2
	v_mov_b32_e32 v2, 0
	v_mov_b32_e32 v3, 0
	s_mul_i32 s10, s10, s18
	s_mul_hi_u32 s10, s18, s10
	s_add_i32 s18, s18, s10
	s_mul_hi_u32 s10, s6, s18
	s_mul_i32 s18, s10, s11
	s_add_i32 s24, s10, 1
	s_sub_i32 s18, s6, s18
	s_sub_i32 s25, s18, s11
	s_cmp_ge_u32 s18, s11
	s_cselect_b32 s10, s24, s10
	s_cselect_b32 s18, s25, s18
	s_add_i32 s24, s10, 1
	s_cmp_ge_u32 s18, s11
	s_cselect_b32 s10, s24, s10
	s_and_b32 vcc_lo, exec_lo, s7
	s_mul_i32 s11, s10, s11
	s_sub_i32 s6, s6, s11
	s_lshl_b32 s6, s6, 7
	v_or_b32_e32 v6, s6, v88
	v_ashrrev_i32_e32 v7, 31, v6
	s_cbranch_vccnz .LBB141_8
; %bb.7:
	v_mad_i64_i32 v[4:5], null, s19, v82, 0
	v_lshlrev_b64 v[8:9], 3, v[6:7]
	v_lshlrev_b64 v[4:5], 3, v[4:5]
	v_add_co_u32 v4, vcc_lo, s22, v4
	v_add_co_ci_u32_e64 v5, null, s23, v5, vcc_lo
	v_add_co_u32 v4, vcc_lo, v4, v8
	v_add_co_ci_u32_e64 v5, null, v5, v9, vcc_lo
	s_clause 0x1
	flat_load_dwordx2 v[8:9], v[4:5]
	flat_load_dwordx2 v[10:11], v[4:5] offset:512
	s_waitcnt vmcnt(1) lgkmcnt(0)
	v_mul_f64 v[4:5], s[16:17], v[8:9]
	s_waitcnt vmcnt(0)
	v_mul_f64 v[18:19], s[16:17], v[10:11]
.LBB141_8:
	s_load_dword s24, s[4:5], 0x38
	s_lshl_b32 s10, s10, 7
	v_mov_b32_e32 v20, 0
	v_or_b32_e32 v8, s10, v88
	v_mov_b32_e32 v21, 0
	s_and_b32 vcc_lo, exec_lo, s7
	v_ashrrev_i32_e32 v9, 31, v8
	s_waitcnt lgkmcnt(0)
	s_ashr_i32 s25, s24, 31
	s_cbranch_vccnz .LBB141_10
; %bb.9:
	v_mad_i64_i32 v[2:3], null, s24, v82, 0
	v_lshlrev_b64 v[10:11], 3, v[8:9]
	v_lshlrev_b64 v[2:3], 3, v[2:3]
	v_add_co_u32 v2, vcc_lo, s20, v2
	v_add_co_ci_u32_e64 v3, null, s21, v3, vcc_lo
	v_add_co_u32 v2, vcc_lo, v2, v10
	v_add_co_ci_u32_e64 v3, null, v3, v11, vcc_lo
	s_clause 0x1
	flat_load_dwordx2 v[10:11], v[2:3]
	flat_load_dwordx2 v[12:13], v[2:3] offset:512
	s_waitcnt vmcnt(1) lgkmcnt(1)
	v_mul_f64 v[2:3], s[16:17], v[10:11]
	s_waitcnt vmcnt(0) lgkmcnt(0)
	v_mul_f64 v[20:21], s[16:17], v[12:13]
.LBB141_10:
	v_mov_b32_e32 v10, 0
	v_mov_b32_e32 v12, 0
	;; [unrolled: 1-line block ×6, first 2 shown]
	v_add_nc_u32_e32 v83, 4, v82
	s_and_b32 vcc_lo, exec_lo, s7
	s_cbranch_vccnz .LBB141_12
; %bb.11:
	v_mad_i64_i32 v[12:13], null, s19, v83, 0
	v_lshlrev_b64 v[14:15], 3, v[6:7]
	v_lshlrev_b64 v[12:13], 3, v[12:13]
	v_add_co_u32 v12, vcc_lo, s22, v12
	v_add_co_ci_u32_e64 v13, null, s23, v13, vcc_lo
	v_add_co_u32 v12, vcc_lo, v12, v14
	v_add_co_ci_u32_e64 v13, null, v13, v15, vcc_lo
	s_clause 0x1
	flat_load_dwordx2 v[14:15], v[12:13]
	flat_load_dwordx2 v[16:17], v[12:13] offset:512
	s_waitcnt vmcnt(1) lgkmcnt(1)
	v_mul_f64 v[12:13], s[16:17], v[14:15]
	s_waitcnt vmcnt(0) lgkmcnt(0)
	v_mul_f64 v[14:15], s[16:17], v[16:17]
.LBB141_12:
	v_mov_b32_e32 v16, 0
	v_mov_b32_e32 v17, 0
	s_and_b32 vcc_lo, exec_lo, s7
	s_cbranch_vccnz .LBB141_14
; %bb.13:
	v_mad_i64_i32 v[10:11], null, s24, v83, 0
	v_lshlrev_b64 v[16:17], 3, v[8:9]
	v_lshlrev_b64 v[10:11], 3, v[10:11]
	v_add_co_u32 v10, vcc_lo, s20, v10
	v_add_co_ci_u32_e64 v11, null, s21, v11, vcc_lo
	v_add_co_u32 v10, vcc_lo, v10, v16
	v_add_co_ci_u32_e64 v11, null, v11, v17, vcc_lo
	s_clause 0x1
	flat_load_dwordx2 v[16:17], v[10:11]
	flat_load_dwordx2 v[22:23], v[10:11] offset:512
	s_waitcnt vmcnt(1) lgkmcnt(1)
	v_mul_f64 v[10:11], s[16:17], v[16:17]
	s_waitcnt vmcnt(0) lgkmcnt(0)
	v_mul_f64 v[16:17], s[16:17], v[22:23]
.LBB141_14:
	v_cmp_neq_f64_e64 s11, s[14:15], 0
	v_lshlrev_b32_e32 v22, 5, v88
	v_lshlrev_b32_e32 v86, 5, v0
	v_lshl_or_b32 v87, v1, 5, 0x2000
	s_mov_b32 s18, 0
	s_mov_b32 s27, 0
	v_lshl_add_u32 v84, v82, 3, v22
	s_addk_i32 s18, 0x100
	v_or_b32_e32 v85, 0x2000, v84
	ds_write2st64_b64 v84, v[4:5], v[18:19] offset1:4
	ds_write2st64_b64 v84, v[2:3], v[20:21] offset0:16 offset1:20
	s_waitcnt lgkmcnt(0)
	s_waitcnt_vscnt null, 0x0
	s_barrier
	buffer_gl0_inv
.LBB141_15:                             ; =>This Loop Header: Depth=1
                                        ;     Child Loop BB141_16 Depth 2
	s_lshl_b32 s28, s27, 3
	s_mov_b32 s29, 0
	v_add_nc_u32_e32 v18, s28, v86
	v_add_nc_u32_e32 v89, s28, v87
	s_mov_b32 s28, -1
	ds_read2_b64 v[2:5], v18 offset1:16
	ds_read2_b64 v[22:25], v18 offset0:32 offset1:48
	ds_read2_b64 v[26:29], v18 offset0:64 offset1:80
	;; [unrolled: 1-line block ×4, first 2 shown]
	v_add_nc_u32_e32 v78, 0x800, v18
	ds_read2_b64 v[38:41], v18 offset0:160 offset1:176
	ds_read2_b64 v[42:45], v18 offset0:192 offset1:208
	;; [unrolled: 1-line block ×3, first 2 shown]
	ds_read2_b64 v[50:53], v78 offset1:16
	ds_read2_b64 v[54:57], v78 offset0:32 offset1:48
	ds_read2_b64 v[58:61], v78 offset0:64 offset1:80
	;; [unrolled: 1-line block ×6, first 2 shown]
	s_waitcnt lgkmcnt(9)
	v_max_f64 v[38:39], v[38:39], v[38:39]
	v_max_f64 v[40:41], v[40:41], v[40:41]
	;; [unrolled: 1-line block ×4, first 2 shown]
	ds_read2_b64 v[2:5], v78 offset0:224 offset1:240
	v_max_f64 v[22:23], v[22:23], v[22:23]
	v_max_f64 v[24:25], v[24:25], v[24:25]
	;; [unrolled: 1-line block ×8, first 2 shown]
	s_waitcnt lgkmcnt(9)
	v_max_f64 v[42:43], v[42:43], v[42:43]
	v_max_f64 v[44:45], v[44:45], v[44:45]
	s_waitcnt lgkmcnt(8)
	v_max_f64 v[46:47], v[46:47], v[46:47]
	v_max_f64 v[48:49], v[48:49], v[48:49]
	;; [unrolled: 3-line block ×10, first 2 shown]
	ds_read2st64_b64 v[2:5], v89 offset1:4
.LBB141_16:                             ;   Parent Loop BB141_15 Depth=1
                                        ; =>  This Inner Loop Header: Depth=2
	v_mov_b32_e32 v217, s29
	s_waitcnt lgkmcnt(0)
	v_max_f64 v[153:154], v[2:3], v[2:3]
	v_mov_b32_e32 v2, v4
	v_mov_b32_e32 v3, v5
	s_and_b32 vcc_lo, exec_lo, s28
	s_clause 0x3e
	buffer_load_dword v89, v217, s[0:3], 0 offen
	buffer_load_dword v90, v217, s[0:3], 0 offen offset:4
	buffer_load_dword v91, v217, s[0:3], 0 offen offset:8
	;; [unrolled: 1-line block ×63, first 2 shown]
	s_mov_b32 s28, 0
	s_mov_b32 s29, s18
	v_min_f64 v[155:156], v[18:19], v[153:154]
	v_min_f64 v[157:158], v[20:21], v[153:154]
	;; [unrolled: 1-line block ×32, first 2 shown]
	s_waitcnt vmcnt(62)
	v_add_f64 v[89:90], v[155:156], v[89:90]
	s_waitcnt vmcnt(60)
	v_add_f64 v[91:92], v[157:158], v[91:92]
	;; [unrolled: 2-line block ×32, first 2 shown]
	buffer_store_dword v89, v217, s[0:3], 0 offen
	buffer_store_dword v90, v217, s[0:3], 0 offen offset:4
	buffer_store_dword v91, v217, s[0:3], 0 offen offset:8
	;; [unrolled: 1-line block ×63, first 2 shown]
	s_cbranch_vccnz .LBB141_16
; %bb.17:                               ;   in Loop: Header=BB141_15 Depth=1
	s_add_i32 s27, s27, 1
	s_cmp_eq_u32 s27, 4
	s_cbranch_scc0 .LBB141_15
; %bb.18:
	s_load_dword s27, s[4:5], 0x8
	v_lshlrev_b32_e32 v2, 3, v82
	v_lshl_add_u32 v78, v0, 5, 0x1000
	v_lshl_add_u32 v79, v1, 5, 0x3000
	;; [unrolled: 1-line block ×3, first 2 shown]
	ds_write2st64_b64 v2, v[12:13], v[14:15] offset0:8 offset1:12
	ds_write2st64_b64 v2, v[10:11], v[16:17] offset0:24 offset1:28
	s_waitcnt lgkmcnt(0)
	s_waitcnt_vscnt null, 0x0
	s_barrier
	buffer_gl0_inv
	s_cmp_lt_i32 s27, 9
	s_cbranch_scc1 .LBB141_37
; %bb.19:
	v_lshlrev_b64 v[3:4], 3, v[6:7]
	v_lshlrev_b64 v[5:6], 3, v[8:9]
	v_or_b32_e32 v80, 0x1000, v2
	v_or_b32_e32 v81, 0x3000, v2
	v_add_co_u32 v88, vcc_lo, s22, v3
	v_add_co_ci_u32_e64 v89, null, s23, v4, vcc_lo
	v_add_co_u32 v90, vcc_lo, s20, v5
	v_add_co_ci_u32_e64 v91, null, s21, v6, vcc_lo
	s_add_i32 s20, s27, -8
	s_mov_b32 s21, 8
	s_mov_b32 s22, 0
.LBB141_20:                             ; =>This Loop Header: Depth=1
                                        ;     Child Loop BB141_25 Depth 2
                                        ;       Child Loop BB141_26 Depth 3
                                        ;     Child Loop BB141_33 Depth 2
                                        ;       Child Loop BB141_34 Depth 3
	v_mov_b32_e32 v6, 0
	v_mov_b32_e32 v8, 0
	;; [unrolled: 1-line block ×6, first 2 shown]
	v_add_nc_u32_e32 v2, s21, v82
	s_and_b32 vcc_lo, exec_lo, s7
	s_cbranch_vccnz .LBB141_22
; %bb.21:                               ;   in Loop: Header=BB141_20 Depth=1
	v_mad_u64_u32 v[3:4], null, v2, s19, 0
	v_mad_u64_u32 v[4:5], null, v2, s26, v[4:5]
	v_lshlrev_b64 v[3:4], 3, v[3:4]
	v_add_co_u32 v3, vcc_lo, v88, v3
	v_add_co_ci_u32_e64 v4, null, v89, v4, vcc_lo
	s_clause 0x1
	flat_load_dwordx2 v[8:9], v[3:4]
	flat_load_dwordx2 v[3:4], v[3:4] offset:512
	s_waitcnt vmcnt(1) lgkmcnt(1)
	v_mul_f64 v[8:9], s[16:17], v[8:9]
	s_waitcnt vmcnt(0) lgkmcnt(0)
	v_mul_f64 v[10:11], s[16:17], v[3:4]
.LBB141_22:                             ;   in Loop: Header=BB141_20 Depth=1
	v_mov_b32_e32 v12, 0
	v_mov_b32_e32 v13, 0
	s_and_b32 vcc_lo, exec_lo, s7
	s_cbranch_vccnz .LBB141_24
; %bb.23:                               ;   in Loop: Header=BB141_20 Depth=1
	v_mad_u64_u32 v[3:4], null, v2, s24, 0
	v_mad_u64_u32 v[4:5], null, v2, s25, v[4:5]
	v_lshlrev_b64 v[2:3], 3, v[3:4]
	v_add_co_u32 v2, vcc_lo, v90, v2
	v_add_co_ci_u32_e64 v3, null, v91, v3, vcc_lo
	s_clause 0x1
	flat_load_dwordx2 v[4:5], v[2:3]
	flat_load_dwordx2 v[2:3], v[2:3] offset:512
	s_waitcnt vmcnt(1) lgkmcnt(1)
	v_mul_f64 v[6:7], s[16:17], v[4:5]
	s_waitcnt vmcnt(0) lgkmcnt(0)
	v_mul_f64 v[12:13], s[16:17], v[2:3]
.LBB141_24:                             ;   in Loop: Header=BB141_20 Depth=1
	s_mov_b32 s23, 0
.LBB141_25:                             ;   Parent Loop BB141_20 Depth=1
                                        ; =>  This Loop Header: Depth=2
                                        ;       Child Loop BB141_26 Depth 3
	s_lshl_b32 s27, s23, 3
	s_mov_b32 s28, 0
	v_add_nc_u32_e32 v14, s27, v78
	v_add_nc_u32_e32 v92, s27, v79
	s_mov_b32 s27, -1
	ds_read2_b64 v[2:5], v14 offset1:16
	ds_read2_b64 v[18:21], v14 offset0:32 offset1:48
	ds_read2_b64 v[22:25], v14 offset0:64 offset1:80
	v_add_nc_u32_e32 v15, 0x800, v14
	ds_read2_b64 v[26:29], v14 offset0:96 offset1:112
	ds_read2_b64 v[30:33], v14 offset0:128 offset1:144
	;; [unrolled: 1-line block ×5, first 2 shown]
	ds_read2_b64 v[46:49], v15 offset1:16
	ds_read2_b64 v[50:53], v15 offset0:32 offset1:48
	ds_read2_b64 v[54:57], v15 offset0:64 offset1:80
	;; [unrolled: 1-line block ×7, first 2 shown]
	s_waitcnt lgkmcnt(11)
	v_max_f64 v[30:31], v[30:31], v[30:31]
	v_max_f64 v[32:33], v[32:33], v[32:33]
	s_waitcnt lgkmcnt(10)
	v_max_f64 v[34:35], v[34:35], v[34:35]
	v_max_f64 v[36:37], v[36:37], v[36:37]
	;; [unrolled: 3-line block ×3, first 2 shown]
	v_max_f64 v[14:15], v[2:3], v[2:3]
	v_max_f64 v[16:17], v[4:5], v[4:5]
	;; [unrolled: 1-line block ×8, first 2 shown]
	s_waitcnt lgkmcnt(8)
	v_max_f64 v[42:43], v[42:43], v[42:43]
	v_max_f64 v[44:45], v[44:45], v[44:45]
	s_waitcnt lgkmcnt(7)
	v_max_f64 v[46:47], v[46:47], v[46:47]
	v_max_f64 v[48:49], v[48:49], v[48:49]
	;; [unrolled: 3-line block ×9, first 2 shown]
	ds_read2st64_b64 v[2:5], v92 offset1:4
.LBB141_26:                             ;   Parent Loop BB141_20 Depth=1
                                        ;     Parent Loop BB141_25 Depth=2
                                        ; =>    This Inner Loop Header: Depth=3
	v_mov_b32_e32 v220, s28
	s_waitcnt lgkmcnt(0)
	v_max_f64 v[156:157], v[2:3], v[2:3]
	v_mov_b32_e32 v2, v4
	v_mov_b32_e32 v3, v5
	s_and_b32 vcc_lo, exec_lo, s27
	s_clause 0x3e
	buffer_load_dword v92, v220, s[0:3], 0 offen
	buffer_load_dword v93, v220, s[0:3], 0 offen offset:4
	buffer_load_dword v94, v220, s[0:3], 0 offen offset:8
	;; [unrolled: 1-line block ×63, first 2 shown]
	s_mov_b32 s27, 0
	s_mov_b32 s28, s18
	v_min_f64 v[158:159], v[14:15], v[156:157]
	v_min_f64 v[160:161], v[16:17], v[156:157]
	;; [unrolled: 1-line block ×32, first 2 shown]
	s_waitcnt vmcnt(62)
	v_add_f64 v[92:93], v[158:159], v[92:93]
	s_waitcnt vmcnt(60)
	v_add_f64 v[94:95], v[160:161], v[94:95]
	;; [unrolled: 2-line block ×32, first 2 shown]
	buffer_store_dword v92, v220, s[0:3], 0 offen
	buffer_store_dword v93, v220, s[0:3], 0 offen offset:4
	buffer_store_dword v94, v220, s[0:3], 0 offen offset:8
	buffer_store_dword v95, v220, s[0:3], 0 offen offset:12
	buffer_store_dword v96, v220, s[0:3], 0 offen offset:16
	buffer_store_dword v97, v220, s[0:3], 0 offen offset:20
	buffer_store_dword v98, v220, s[0:3], 0 offen offset:24
	buffer_store_dword v99, v220, s[0:3], 0 offen offset:28
	buffer_store_dword v100, v220, s[0:3], 0 offen offset:32
	buffer_store_dword v101, v220, s[0:3], 0 offen offset:36
	buffer_store_dword v102, v220, s[0:3], 0 offen offset:40
	buffer_store_dword v103, v220, s[0:3], 0 offen offset:44
	buffer_store_dword v104, v220, s[0:3], 0 offen offset:48
	buffer_store_dword v105, v220, s[0:3], 0 offen offset:52
	buffer_store_dword v106, v220, s[0:3], 0 offen offset:56
	buffer_store_dword v107, v220, s[0:3], 0 offen offset:60
	buffer_store_dword v109, v220, s[0:3], 0 offen offset:68
	buffer_store_dword v108, v220, s[0:3], 0 offen offset:64
	buffer_store_dword v111, v220, s[0:3], 0 offen offset:76
	buffer_store_dword v110, v220, s[0:3], 0 offen offset:72
	buffer_store_dword v113, v220, s[0:3], 0 offen offset:84
	buffer_store_dword v112, v220, s[0:3], 0 offen offset:80
	buffer_store_dword v115, v220, s[0:3], 0 offen offset:92
	buffer_store_dword v114, v220, s[0:3], 0 offen offset:88
	buffer_store_dword v117, v220, s[0:3], 0 offen offset:100
	buffer_store_dword v116, v220, s[0:3], 0 offen offset:96
	buffer_store_dword v119, v220, s[0:3], 0 offen offset:108
	buffer_store_dword v118, v220, s[0:3], 0 offen offset:104
	buffer_store_dword v121, v220, s[0:3], 0 offen offset:116
	buffer_store_dword v120, v220, s[0:3], 0 offen offset:112
	buffer_store_dword v123, v220, s[0:3], 0 offen offset:124
	buffer_store_dword v122, v220, s[0:3], 0 offen offset:120
	buffer_store_dword v125, v220, s[0:3], 0 offen offset:132
	buffer_store_dword v124, v220, s[0:3], 0 offen offset:128
	buffer_store_dword v127, v220, s[0:3], 0 offen offset:140
	buffer_store_dword v126, v220, s[0:3], 0 offen offset:136
	buffer_store_dword v129, v220, s[0:3], 0 offen offset:148
	buffer_store_dword v128, v220, s[0:3], 0 offen offset:144
	buffer_store_dword v131, v220, s[0:3], 0 offen offset:156
	buffer_store_dword v130, v220, s[0:3], 0 offen offset:152
	buffer_store_dword v133, v220, s[0:3], 0 offen offset:164
	buffer_store_dword v132, v220, s[0:3], 0 offen offset:160
	buffer_store_dword v135, v220, s[0:3], 0 offen offset:172
	buffer_store_dword v134, v220, s[0:3], 0 offen offset:168
	buffer_store_dword v137, v220, s[0:3], 0 offen offset:180
	buffer_store_dword v136, v220, s[0:3], 0 offen offset:176
	buffer_store_dword v139, v220, s[0:3], 0 offen offset:188
	buffer_store_dword v138, v220, s[0:3], 0 offen offset:184
	buffer_store_dword v141, v220, s[0:3], 0 offen offset:196
	buffer_store_dword v140, v220, s[0:3], 0 offen offset:192
	buffer_store_dword v143, v220, s[0:3], 0 offen offset:204
	buffer_store_dword v142, v220, s[0:3], 0 offen offset:200
	buffer_store_dword v145, v220, s[0:3], 0 offen offset:212
	buffer_store_dword v144, v220, s[0:3], 0 offen offset:208
	buffer_store_dword v147, v220, s[0:3], 0 offen offset:220
	buffer_store_dword v146, v220, s[0:3], 0 offen offset:216
	buffer_store_dword v149, v220, s[0:3], 0 offen offset:228
	buffer_store_dword v148, v220, s[0:3], 0 offen offset:224
	buffer_store_dword v151, v220, s[0:3], 0 offen offset:236
	buffer_store_dword v150, v220, s[0:3], 0 offen offset:232
	buffer_store_dword v153, v220, s[0:3], 0 offen offset:244
	buffer_store_dword v152, v220, s[0:3], 0 offen offset:240
	buffer_store_dword v155, v220, s[0:3], 0 offen offset:252
	buffer_store_dword v154, v220, s[0:3], 0 offen offset:248
	s_cbranch_vccnz .LBB141_26
; %bb.27:                               ;   in Loop: Header=BB141_25 Depth=2
	s_add_i32 s23, s23, 1
	s_cmp_eq_u32 s23, 4
	s_cbranch_scc0 .LBB141_25
; %bb.28:                               ;   in Loop: Header=BB141_20 Depth=1
	v_mov_b32_e32 v70, 0
	v_mov_b32_e32 v72, 0
	;; [unrolled: 1-line block ×6, first 2 shown]
	v_add_nc_u32_e32 v2, s21, v83
	s_and_b32 vcc_lo, exec_lo, s7
	ds_write2st64_b64 v84, v[8:9], v[10:11] offset1:4
	ds_write2st64_b64 v85, v[6:7], v[12:13] offset1:4
	s_waitcnt lgkmcnt(0)
	s_waitcnt_vscnt null, 0x0
	s_barrier
	buffer_gl0_inv
	s_cbranch_vccnz .LBB141_30
; %bb.29:                               ;   in Loop: Header=BB141_20 Depth=1
	v_mad_u64_u32 v[3:4], null, v2, s19, 0
	v_mad_u64_u32 v[4:5], null, v2, s26, v[4:5]
	v_lshlrev_b64 v[3:4], 3, v[3:4]
	v_add_co_u32 v3, vcc_lo, v88, v3
	v_add_co_ci_u32_e64 v4, null, v89, v4, vcc_lo
	s_clause 0x1
	flat_load_dwordx2 v[5:6], v[3:4]
	flat_load_dwordx2 v[3:4], v[3:4] offset:512
	s_waitcnt vmcnt(1) lgkmcnt(1)
	v_mul_f64 v[72:73], s[16:17], v[5:6]
	s_waitcnt vmcnt(0) lgkmcnt(0)
	v_mul_f64 v[74:75], s[16:17], v[3:4]
.LBB141_30:                             ;   in Loop: Header=BB141_20 Depth=1
	v_mov_b32_e32 v76, 0
	v_mov_b32_e32 v77, 0
	s_and_b32 vcc_lo, exec_lo, s7
	s_cbranch_vccnz .LBB141_32
; %bb.31:                               ;   in Loop: Header=BB141_20 Depth=1
	v_mad_u64_u32 v[3:4], null, v2, s24, 0
	v_mad_u64_u32 v[4:5], null, v2, s25, v[4:5]
	v_lshlrev_b64 v[2:3], 3, v[3:4]
	v_add_co_u32 v2, vcc_lo, v90, v2
	v_add_co_ci_u32_e64 v3, null, v91, v3, vcc_lo
	s_clause 0x1
	flat_load_dwordx2 v[4:5], v[2:3]
	flat_load_dwordx2 v[2:3], v[2:3] offset:512
	s_waitcnt vmcnt(1) lgkmcnt(1)
	v_mul_f64 v[70:71], s[16:17], v[4:5]
	s_waitcnt vmcnt(0) lgkmcnt(0)
	v_mul_f64 v[76:77], s[16:17], v[2:3]
.LBB141_32:                             ;   in Loop: Header=BB141_20 Depth=1
	s_mov_b32 s23, 0
.LBB141_33:                             ;   Parent Loop BB141_20 Depth=1
                                        ; =>  This Loop Header: Depth=2
                                        ;       Child Loop BB141_34 Depth 3
	s_lshl_b32 s27, s23, 3
	s_mov_b32 s28, 0
	v_add_nc_u32_e32 v30, s27, v86
	v_add_nc_u32_e32 v66, s27, v87
	s_mov_b32 s27, -1
	ds_read2_b64 v[2:5], v30 offset1:16
	ds_read2_b64 v[6:9], v30 offset0:32 offset1:48
	ds_read2_b64 v[10:13], v30 offset0:64 offset1:80
	ds_read2_b64 v[14:17], v30 offset0:96 offset1:112
	v_add_nc_u32_e32 v62, 0x800, v30
	ds_read2_b64 v[18:21], v30 offset0:128 offset1:144
	ds_read2_b64 v[22:25], v30 offset0:160 offset1:176
	;; [unrolled: 1-line block ×4, first 2 shown]
	ds_read2_b64 v[34:37], v62 offset1:16
	ds_read2_b64 v[38:41], v62 offset0:32 offset1:48
	ds_read2_b64 v[42:45], v62 offset0:64 offset1:80
	;; [unrolled: 1-line block ×7, first 2 shown]
	ds_read2st64_b64 v[66:69], v66 offset1:4
.LBB141_34:                             ;   Parent Loop BB141_20 Depth=1
                                        ;     Parent Loop BB141_33 Depth=2
                                        ; =>    This Inner Loop Header: Depth=3
	v_mov_b32_e32 v92, s28
	s_waitcnt lgkmcnt(16)
	v_max_f64 v[157:158], v[2:3], v[2:3]
	s_waitcnt lgkmcnt(0)
	v_max_f64 v[159:160], v[66:67], v[66:67]
	v_max_f64 v[161:162], v[4:5], v[4:5]
	;; [unrolled: 1-line block ×3, first 2 shown]
	s_clause 0x3e
	buffer_load_dword v93, v92, s[0:3], 0 offen
	buffer_load_dword v94, v92, s[0:3], 0 offen offset:4
	buffer_load_dword v95, v92, s[0:3], 0 offen offset:8
	buffer_load_dword v96, v92, s[0:3], 0 offen offset:12
	buffer_load_dword v97, v92, s[0:3], 0 offen offset:16
	buffer_load_dword v98, v92, s[0:3], 0 offen offset:20
	buffer_load_dword v99, v92, s[0:3], 0 offen offset:24
	buffer_load_dword v100, v92, s[0:3], 0 offen offset:28
	buffer_load_dword v101, v92, s[0:3], 0 offen offset:32
	buffer_load_dword v102, v92, s[0:3], 0 offen offset:36
	buffer_load_dword v103, v92, s[0:3], 0 offen offset:40
	buffer_load_dword v104, v92, s[0:3], 0 offen offset:44
	buffer_load_dword v105, v92, s[0:3], 0 offen offset:48
	buffer_load_dword v106, v92, s[0:3], 0 offen offset:52
	buffer_load_dword v107, v92, s[0:3], 0 offen offset:56
	buffer_load_dword v108, v92, s[0:3], 0 offen offset:60
	buffer_load_dword v110, v92, s[0:3], 0 offen offset:68
	buffer_load_dword v111, v92, s[0:3], 0 offen offset:72
	buffer_load_dword v112, v92, s[0:3], 0 offen offset:76
	buffer_load_dword v113, v92, s[0:3], 0 offen offset:80
	buffer_load_dword v114, v92, s[0:3], 0 offen offset:84
	buffer_load_dword v115, v92, s[0:3], 0 offen offset:88
	buffer_load_dword v116, v92, s[0:3], 0 offen offset:92
	buffer_load_dword v109, v92, s[0:3], 0 offen offset:64
	buffer_load_dword v117, v92, s[0:3], 0 offen offset:96
	buffer_load_dword v118, v92, s[0:3], 0 offen offset:100
	buffer_load_dword v119, v92, s[0:3], 0 offen offset:104
	buffer_load_dword v120, v92, s[0:3], 0 offen offset:108
	buffer_load_dword v121, v92, s[0:3], 0 offen offset:112
	buffer_load_dword v122, v92, s[0:3], 0 offen offset:116
	buffer_load_dword v123, v92, s[0:3], 0 offen offset:120
	buffer_load_dword v124, v92, s[0:3], 0 offen offset:124
	buffer_load_dword v125, v92, s[0:3], 0 offen offset:128
	buffer_load_dword v126, v92, s[0:3], 0 offen offset:132
	buffer_load_dword v127, v92, s[0:3], 0 offen offset:136
	buffer_load_dword v128, v92, s[0:3], 0 offen offset:140
	buffer_load_dword v129, v92, s[0:3], 0 offen offset:144
	buffer_load_dword v130, v92, s[0:3], 0 offen offset:148
	buffer_load_dword v131, v92, s[0:3], 0 offen offset:152
	buffer_load_dword v132, v92, s[0:3], 0 offen offset:156
	buffer_load_dword v133, v92, s[0:3], 0 offen offset:160
	buffer_load_dword v134, v92, s[0:3], 0 offen offset:164
	buffer_load_dword v135, v92, s[0:3], 0 offen offset:168
	buffer_load_dword v136, v92, s[0:3], 0 offen offset:172
	buffer_load_dword v137, v92, s[0:3], 0 offen offset:176
	buffer_load_dword v138, v92, s[0:3], 0 offen offset:180
	buffer_load_dword v139, v92, s[0:3], 0 offen offset:184
	buffer_load_dword v140, v92, s[0:3], 0 offen offset:188
	buffer_load_dword v141, v92, s[0:3], 0 offen offset:192
	buffer_load_dword v142, v92, s[0:3], 0 offen offset:196
	buffer_load_dword v143, v92, s[0:3], 0 offen offset:200
	buffer_load_dword v144, v92, s[0:3], 0 offen offset:204
	buffer_load_dword v145, v92, s[0:3], 0 offen offset:208
	buffer_load_dword v146, v92, s[0:3], 0 offen offset:212
	buffer_load_dword v147, v92, s[0:3], 0 offen offset:216
	buffer_load_dword v148, v92, s[0:3], 0 offen offset:220
	buffer_load_dword v149, v92, s[0:3], 0 offen offset:224
	buffer_load_dword v150, v92, s[0:3], 0 offen offset:228
	buffer_load_dword v151, v92, s[0:3], 0 offen offset:232
	buffer_load_dword v152, v92, s[0:3], 0 offen offset:236
	buffer_load_dword v153, v92, s[0:3], 0 offen offset:240
	buffer_load_dword v154, v92, s[0:3], 0 offen offset:244
	buffer_load_dword v155, v92, s[0:3], 0 offen offset:248
	buffer_load_dword v156, v92, s[0:3], 0 offen offset:252
	v_max_f64 v[165:166], v[8:9], v[8:9]
	v_max_f64 v[167:168], v[10:11], v[10:11]
	;; [unrolled: 1-line block ×29, first 2 shown]
	v_min_f64 v[157:158], v[157:158], v[159:160]
	v_min_f64 v[161:162], v[161:162], v[159:160]
	;; [unrolled: 1-line block ×32, first 2 shown]
	v_mov_b32_e32 v66, v68
	v_mov_b32_e32 v67, v69
	s_and_b32 vcc_lo, exec_lo, s27
	s_mov_b32 s27, 0
	s_mov_b32 s28, s18
	s_waitcnt vmcnt(62)
	v_add_f64 v[93:94], v[157:158], v[93:94]
	s_waitcnt vmcnt(60)
	v_add_f64 v[95:96], v[161:162], v[95:96]
	;; [unrolled: 2-line block ×32, first 2 shown]
	buffer_store_dword v93, v92, s[0:3], 0 offen
	buffer_store_dword v94, v92, s[0:3], 0 offen offset:4
	buffer_store_dword v95, v92, s[0:3], 0 offen offset:8
	;; [unrolled: 1-line block ×63, first 2 shown]
	s_cbranch_vccnz .LBB141_34
; %bb.35:                               ;   in Loop: Header=BB141_33 Depth=2
	s_add_i32 s23, s23, 1
	s_cmp_eq_u32 s23, 4
	s_cbranch_scc0 .LBB141_33
; %bb.36:                               ;   in Loop: Header=BB141_20 Depth=1
	s_add_i32 s22, s22, 8
	s_add_i32 s21, s21, 8
	s_cmp_ge_i32 s22, s20
	ds_write2st64_b64 v80, v[72:73], v[74:75] offset1:4
	ds_write2st64_b64 v81, v[70:71], v[76:77] offset1:4
	s_waitcnt lgkmcnt(0)
	s_waitcnt_vscnt null, 0x0
	s_barrier
	buffer_gl0_inv
	s_cbranch_scc0 .LBB141_20
.LBB141_37:
	s_mov_b32 s7, 0
.LBB141_38:                             ; =>This Loop Header: Depth=1
                                        ;     Child Loop BB141_39 Depth 2
	s_lshl_b32 s16, s7, 3
	s_mov_b32 s17, 0
	v_add_nc_u32_e32 v6, s16, v78
	v_add_nc_u32_e32 v70, s16, v79
	s_mov_b32 s16, -1
	ds_read2_b64 v[2:5], v6 offset1:16
	ds_read2_b64 v[10:13], v6 offset0:32 offset1:48
	ds_read2_b64 v[14:17], v6 offset0:64 offset1:80
	v_add_nc_u32_e32 v7, 0x800, v6
	ds_read2_b64 v[18:21], v6 offset0:96 offset1:112
	ds_read2_b64 v[22:25], v6 offset0:128 offset1:144
	;; [unrolled: 1-line block ×5, first 2 shown]
	ds_read2_b64 v[38:41], v7 offset1:16
	ds_read2_b64 v[42:45], v7 offset0:32 offset1:48
	ds_read2_b64 v[46:49], v7 offset0:64 offset1:80
	;; [unrolled: 1-line block ×7, first 2 shown]
	s_waitcnt lgkmcnt(11)
	v_max_f64 v[22:23], v[22:23], v[22:23]
	v_max_f64 v[24:25], v[24:25], v[24:25]
	s_waitcnt lgkmcnt(10)
	v_max_f64 v[26:27], v[26:27], v[26:27]
	v_max_f64 v[28:29], v[28:29], v[28:29]
	;; [unrolled: 3-line block ×3, first 2 shown]
	v_max_f64 v[6:7], v[2:3], v[2:3]
	v_max_f64 v[8:9], v[4:5], v[4:5]
	;; [unrolled: 1-line block ×8, first 2 shown]
	s_waitcnt lgkmcnt(8)
	v_max_f64 v[34:35], v[34:35], v[34:35]
	v_max_f64 v[36:37], v[36:37], v[36:37]
	s_waitcnt lgkmcnt(7)
	v_max_f64 v[38:39], v[38:39], v[38:39]
	v_max_f64 v[40:41], v[40:41], v[40:41]
	;; [unrolled: 3-line block ×9, first 2 shown]
	ds_read2st64_b64 v[2:5], v70 offset1:4
.LBB141_39:                             ;   Parent Loop BB141_38 Depth=1
                                        ; =>  This Inner Loop Header: Depth=2
	v_mov_b32_e32 v200, s17
	s_waitcnt lgkmcnt(0)
	v_max_f64 v[136:137], v[2:3], v[2:3]
	v_mov_b32_e32 v2, v4
	v_mov_b32_e32 v3, v5
	s_and_b32 vcc_lo, exec_lo, s16
	s_clause 0x3e
	buffer_load_dword v70, v200, s[0:3], 0 offen
	buffer_load_dword v71, v200, s[0:3], 0 offen offset:4
	buffer_load_dword v72, v200, s[0:3], 0 offen offset:8
	;; [unrolled: 1-line block ×63, first 2 shown]
	s_mov_b32 s16, 0
	s_mov_b32 s17, s18
	v_min_f64 v[138:139], v[6:7], v[136:137]
	v_min_f64 v[140:141], v[8:9], v[136:137]
	;; [unrolled: 1-line block ×32, first 2 shown]
	s_waitcnt vmcnt(62)
	v_add_f64 v[70:71], v[138:139], v[70:71]
	s_waitcnt vmcnt(60)
	v_add_f64 v[72:73], v[140:141], v[72:73]
	;; [unrolled: 2-line block ×32, first 2 shown]
	buffer_store_dword v70, v200, s[0:3], 0 offen
	buffer_store_dword v71, v200, s[0:3], 0 offen offset:4
	buffer_store_dword v72, v200, s[0:3], 0 offen offset:8
	;; [unrolled: 1-line block ×63, first 2 shown]
	s_cbranch_vccnz .LBB141_39
; %bb.40:                               ;   in Loop: Header=BB141_38 Depth=1
	s_add_i32 s7, s7, 1
	s_cmp_eq_u32 s7, 4
	s_cbranch_scc0 .LBB141_38
; %bb.41:
	s_clause 0x1
	buffer_load_dword v2, off, s[0:3], 0
	buffer_load_dword v3, off, s[0:3], 0 offset:4
	s_load_dword s7, s[4:5], 0x58
	v_add_nc_u32_e32 v69, s10, v1
	v_add_nc_u32_e32 v12, s6, v0
	v_cndmask_b32_e64 v0, 0, 1, s11
	v_mov_b32_e32 v6, 0
	v_mov_b32_e32 v7, 0
	v_ashrrev_i32_e32 v13, 31, v12
	v_cmp_ne_u32_e64 s6, 1, v0
	v_lshlrev_b64 v[0:1], 3, v[12:13]
	s_waitcnt lgkmcnt(0)
	v_mad_i64_i32 v[4:5], null, v69, s7, 0
	v_lshlrev_b64 v[8:9], 3, v[4:5]
	v_mov_b32_e32 v4, 0
	v_mov_b32_e32 v5, 0
	v_add_co_u32 v70, vcc_lo, s12, v8
	v_add_co_ci_u32_e64 v71, null, s13, v9, vcc_lo
	s_andn2_b32 vcc_lo, exec_lo, s11
	s_cbranch_vccnz .LBB141_43
; %bb.42:
	v_add_co_u32 v6, vcc_lo, v70, v0
	v_add_co_ci_u32_e64 v7, null, v71, v1, vcc_lo
	flat_load_dwordx2 v[6:7], v[6:7]
	s_waitcnt vmcnt(0) lgkmcnt(0)
	v_mul_f64 v[6:7], s[14:15], v[6:7]
.LBB141_43:
	s_clause 0x1
	s_load_dword s10, s[4:5], 0x70
	s_load_dwordx2 s[4:5], s[4:5], 0x78
	s_waitcnt vmcnt(0)
	v_add_f64 v[2:3], v[2:3], v[6:7]
	s_waitcnt lgkmcnt(0)
	v_mad_i64_i32 v[8:9], null, v69, s10, 0
	s_lshl_b64 s[4:5], s[4:5], 3
	s_add_u32 s4, s8, s4
	s_addc_u32 s5, s9, s5
	v_lshlrev_b64 v[6:7], 3, v[8:9]
	v_add_co_u32 v72, vcc_lo, s4, v6
	v_add_co_ci_u32_e64 v73, null, s5, v7, vcc_lo
	v_add_co_u32 v6, vcc_lo, v72, v0
	v_add_co_ci_u32_e64 v7, null, v73, v1, vcc_lo
	s_and_b32 vcc_lo, exec_lo, s6
	flat_store_dwordx2 v[6:7], v[2:3]
	s_clause 0x1
	buffer_load_dword v6, off, s[0:3], 0 offset:8
	buffer_load_dword v7, off, s[0:3], 0 offset:12
	v_add_nc_u32_e32 v2, 4, v12
	v_ashrrev_i32_e32 v3, 31, v2
	v_lshlrev_b64 v[2:3], 3, v[2:3]
	s_cbranch_vccnz .LBB141_45
; %bb.44:
	v_add_co_u32 v4, vcc_lo, v70, v2
	v_add_co_ci_u32_e64 v5, null, v71, v3, vcc_lo
	flat_load_dwordx2 v[4:5], v[4:5]
	s_waitcnt vmcnt(0) lgkmcnt(0)
	v_mul_f64 v[4:5], s[14:15], v[4:5]
.LBB141_45:
	s_waitcnt vmcnt(0)
	v_add_f64 v[4:5], v[6:7], v[4:5]
	v_add_co_u32 v6, vcc_lo, v72, v2
	v_add_co_ci_u32_e64 v7, null, v73, v3, vcc_lo
	v_mov_b32_e32 v8, 0
	v_mov_b32_e32 v10, 0
	v_mov_b32_e32 v9, 0
	v_mov_b32_e32 v11, 0
	s_and_b32 vcc_lo, exec_lo, s6
	flat_store_dwordx2 v[6:7], v[4:5]
	s_clause 0x1
	buffer_load_dword v6, off, s[0:3], 0 offset:16
	buffer_load_dword v7, off, s[0:3], 0 offset:20
	v_add_nc_u32_e32 v4, 8, v12
	v_ashrrev_i32_e32 v5, 31, v4
	v_lshlrev_b64 v[4:5], 3, v[4:5]
	s_cbranch_vccnz .LBB141_47
; %bb.46:
	v_add_co_u32 v10, vcc_lo, v70, v4
	v_add_co_ci_u32_e64 v11, null, v71, v5, vcc_lo
	flat_load_dwordx2 v[10:11], v[10:11]
	s_waitcnt vmcnt(0) lgkmcnt(0)
	v_mul_f64 v[10:11], s[14:15], v[10:11]
.LBB141_47:
	s_waitcnt vmcnt(0)
	v_add_f64 v[6:7], v[6:7], v[10:11]
	v_add_co_u32 v10, vcc_lo, v72, v4
	v_add_co_ci_u32_e64 v11, null, v73, v5, vcc_lo
	s_and_b32 vcc_lo, exec_lo, s6
	flat_store_dwordx2 v[10:11], v[6:7]
	s_clause 0x1
	buffer_load_dword v10, off, s[0:3], 0 offset:24
	buffer_load_dword v11, off, s[0:3], 0 offset:28
	v_add_nc_u32_e32 v6, 12, v12
	v_ashrrev_i32_e32 v7, 31, v6
	v_lshlrev_b64 v[6:7], 3, v[6:7]
	s_cbranch_vccnz .LBB141_49
; %bb.48:
	v_add_co_u32 v8, vcc_lo, v70, v6
	v_add_co_ci_u32_e64 v9, null, v71, v7, vcc_lo
	flat_load_dwordx2 v[8:9], v[8:9]
	s_waitcnt vmcnt(0) lgkmcnt(0)
	v_mul_f64 v[8:9], s[14:15], v[8:9]
.LBB141_49:
	s_waitcnt vmcnt(0)
	v_add_f64 v[8:9], v[10:11], v[8:9]
	v_add_co_u32 v10, vcc_lo, v72, v6
	v_add_co_ci_u32_e64 v11, null, v73, v7, vcc_lo
	v_mov_b32_e32 v13, 0
	v_mov_b32_e32 v15, 0
	v_mov_b32_e32 v14, 0
	v_mov_b32_e32 v16, 0
	s_and_b32 vcc_lo, exec_lo, s6
	flat_store_dwordx2 v[10:11], v[8:9]
	s_clause 0x1
	buffer_load_dword v10, off, s[0:3], 0 offset:32
	buffer_load_dword v11, off, s[0:3], 0 offset:36
	v_add_nc_u32_e32 v8, 16, v12
	v_ashrrev_i32_e32 v9, 31, v8
	v_lshlrev_b64 v[8:9], 3, v[8:9]
	s_cbranch_vccnz .LBB141_51
; %bb.50:
	v_add_co_u32 v15, vcc_lo, v70, v8
	v_add_co_ci_u32_e64 v16, null, v71, v9, vcc_lo
	flat_load_dwordx2 v[15:16], v[15:16]
	s_waitcnt vmcnt(0) lgkmcnt(0)
	v_mul_f64 v[15:16], s[14:15], v[15:16]
.LBB141_51:
	s_waitcnt vmcnt(0)
	v_add_f64 v[10:11], v[10:11], v[15:16]
	;; [unrolled: 44-line block ×15, first 2 shown]
	v_add_co_u32 v67, vcc_lo, v72, v61
	v_add_co_ci_u32_e64 v68, null, v73, v62, vcc_lo
	s_and_b32 vcc_lo, exec_lo, s6
	flat_store_dwordx2 v[67:68], v[63:64]
	s_clause 0x1
	buffer_load_dword v67, off, s[0:3], 0 offset:248
	buffer_load_dword v68, off, s[0:3], 0 offset:252
	v_add_nc_u32_e32 v63, 0x7c, v12
	v_ashrrev_i32_e32 v64, 31, v63
	v_lshlrev_b64 v[63:64], 3, v[63:64]
	s_cbranch_vccnz .LBB141_105
; %bb.104:
	v_add_co_u32 v65, vcc_lo, v70, v63
	v_add_co_ci_u32_e64 v66, null, v71, v64, vcc_lo
	flat_load_dwordx2 v[65:66], v[65:66]
	s_waitcnt vmcnt(0) lgkmcnt(0)
	v_mul_f64 v[65:66], s[14:15], v[65:66]
.LBB141_105:
	s_waitcnt vmcnt(0)
	v_add_f64 v[65:66], v[67:68], v[65:66]
	v_add_co_u32 v67, vcc_lo, v72, v63
	v_add_co_ci_u32_e64 v68, null, v73, v64, vcc_lo
	v_add_nc_u32_e32 v72, 64, v69
	v_mov_b32_e32 v69, 0
	v_mov_b32_e32 v70, 0
	flat_store_dwordx2 v[67:68], v[65:66]
	s_clause 0x1
	buffer_load_dword v67, off, s[0:3], 0 offset:256
	buffer_load_dword v68, off, s[0:3], 0 offset:260
	v_mad_i64_i32 v[65:66], null, v72, s7, 0
	v_lshlrev_b64 v[73:74], 3, v[65:66]
	v_mov_b32_e32 v65, 0
	v_mov_b32_e32 v66, 0
	v_add_co_u32 v12, vcc_lo, s12, v73
	v_add_co_ci_u32_e64 v71, null, s13, v74, vcc_lo
	s_and_b32 vcc_lo, exec_lo, s6
	s_cbranch_vccnz .LBB141_107
; %bb.106:
	v_add_co_u32 v69, vcc_lo, v12, v0
	v_add_co_ci_u32_e64 v70, null, v71, v1, vcc_lo
	flat_load_dwordx2 v[69:70], v[69:70]
	s_waitcnt vmcnt(0) lgkmcnt(0)
	v_mul_f64 v[69:70], s[14:15], v[69:70]
.LBB141_107:
	v_mad_i64_i32 v[72:73], null, v72, s10, 0
	s_waitcnt vmcnt(0)
	v_add_f64 v[69:70], v[67:68], v[69:70]
	v_lshlrev_b64 v[67:68], 3, v[72:73]
	v_add_co_u32 v67, vcc_lo, s4, v67
	v_add_co_ci_u32_e64 v68, null, s5, v68, vcc_lo
	v_add_co_u32 v0, vcc_lo, v67, v0
	v_add_co_ci_u32_e64 v1, null, v68, v1, vcc_lo
	s_and_b32 vcc_lo, exec_lo, s6
	flat_store_dwordx2 v[0:1], v[69:70]
	s_clause 0x1
	buffer_load_dword v0, off, s[0:3], 0 offset:264
	buffer_load_dword v1, off, s[0:3], 0 offset:268
	s_cbranch_vccnz .LBB141_109
; %bb.108:
	v_add_co_u32 v65, vcc_lo, v12, v2
	v_add_co_ci_u32_e64 v66, null, v71, v3, vcc_lo
	flat_load_dwordx2 v[65:66], v[65:66]
	s_waitcnt vmcnt(0) lgkmcnt(0)
	v_mul_f64 v[65:66], s[14:15], v[65:66]
.LBB141_109:
	s_waitcnt vmcnt(0)
	v_add_f64 v[0:1], v[0:1], v[65:66]
	v_add_co_u32 v2, vcc_lo, v67, v2
	v_add_co_ci_u32_e64 v3, null, v68, v3, vcc_lo
	v_mov_b32_e32 v65, 0
	v_mov_b32_e32 v66, 0
	s_and_b32 vcc_lo, exec_lo, s6
	flat_store_dwordx2 v[2:3], v[0:1]
	s_clause 0x1
	buffer_load_dword v2, off, s[0:3], 0 offset:272
	buffer_load_dword v3, off, s[0:3], 0 offset:276
	v_mov_b32_e32 v0, 0
	v_mov_b32_e32 v1, 0
	s_cbranch_vccnz .LBB141_111
; %bb.110:
	v_add_co_u32 v65, vcc_lo, v12, v4
	v_add_co_ci_u32_e64 v66, null, v71, v5, vcc_lo
	flat_load_dwordx2 v[65:66], v[65:66]
	s_waitcnt vmcnt(0) lgkmcnt(0)
	v_mul_f64 v[65:66], s[14:15], v[65:66]
.LBB141_111:
	s_waitcnt vmcnt(0)
	v_add_f64 v[2:3], v[2:3], v[65:66]
	v_add_co_u32 v4, vcc_lo, v67, v4
	v_add_co_ci_u32_e64 v5, null, v68, v5, vcc_lo
	s_and_b32 vcc_lo, exec_lo, s6
	flat_store_dwordx2 v[4:5], v[2:3]
	s_clause 0x1
	buffer_load_dword v2, off, s[0:3], 0 offset:280
	buffer_load_dword v3, off, s[0:3], 0 offset:284
	s_cbranch_vccnz .LBB141_113
; %bb.112:
	v_add_co_u32 v0, vcc_lo, v12, v6
	v_add_co_ci_u32_e64 v1, null, v71, v7, vcc_lo
	flat_load_dwordx2 v[0:1], v[0:1]
	s_waitcnt vmcnt(0) lgkmcnt(0)
	v_mul_f64 v[0:1], s[14:15], v[0:1]
.LBB141_113:
	s_waitcnt vmcnt(0)
	v_add_f64 v[0:1], v[2:3], v[0:1]
	v_add_co_u32 v2, vcc_lo, v67, v6
	v_add_co_ci_u32_e64 v3, null, v68, v7, vcc_lo
	v_mov_b32_e32 v4, 0
	v_mov_b32_e32 v5, 0
	s_and_b32 vcc_lo, exec_lo, s6
	flat_store_dwordx2 v[2:3], v[0:1]
	s_clause 0x1
	buffer_load_dword v2, off, s[0:3], 0 offset:288
	buffer_load_dword v3, off, s[0:3], 0 offset:292
	v_mov_b32_e32 v0, 0
	v_mov_b32_e32 v1, 0
	s_cbranch_vccnz .LBB141_115
; %bb.114:
	v_add_co_u32 v4, vcc_lo, v12, v8
	v_add_co_ci_u32_e64 v5, null, v71, v9, vcc_lo
	flat_load_dwordx2 v[4:5], v[4:5]
	s_waitcnt vmcnt(0) lgkmcnt(0)
	v_mul_f64 v[4:5], s[14:15], v[4:5]
.LBB141_115:
	s_waitcnt vmcnt(0)
	v_add_f64 v[2:3], v[2:3], v[4:5]
	;; [unrolled: 38-line block ×15, first 2 shown]
	v_add_co_u32 v4, vcc_lo, v67, v61
	v_add_co_ci_u32_e64 v5, null, v68, v62, vcc_lo
	s_and_b32 vcc_lo, exec_lo, s6
	flat_store_dwordx2 v[4:5], v[2:3]
	s_clause 0x1
	buffer_load_dword v2, off, s[0:3], 0 offset:504
	buffer_load_dword v3, off, s[0:3], 0 offset:508
	s_cbranch_vccnz .LBB141_169
; %bb.168:
	v_add_co_u32 v0, vcc_lo, v12, v63
	v_add_co_ci_u32_e64 v1, null, v71, v64, vcc_lo
	flat_load_dwordx2 v[0:1], v[0:1]
	s_waitcnt vmcnt(0) lgkmcnt(0)
	v_mul_f64 v[0:1], s[14:15], v[0:1]
.LBB141_169:
	s_waitcnt vmcnt(0)
	v_add_f64 v[0:1], v[2:3], v[0:1]
	v_add_co_u32 v2, vcc_lo, v67, v63
	v_add_co_ci_u32_e64 v3, null, v68, v64, vcc_lo
	flat_store_dwordx2 v[2:3], v[0:1]
	s_endpgm
	.section	.rodata,"a",@progbits
	.p2align	6, 0x0
	.amdhsa_kernel _ZN12_GLOBAL__N_120geam_min_plus_kernelIdddLi4ELi64ELi128ELi128ELi4ELi64ELi4ELi64ELi4ELc78ELc84ELb0ELb0ELb0EPKdKS2_KPdEEviiiT16_PT17_ilS8_ilS6_S8_ilPT18_ili26rocblas_geam_ex_operation_
		.amdhsa_group_segment_fixed_size 16384
		.amdhsa_private_segment_fixed_size 528
		.amdhsa_kernarg_size 136
		.amdhsa_user_sgpr_count 6
		.amdhsa_user_sgpr_private_segment_buffer 1
		.amdhsa_user_sgpr_dispatch_ptr 0
		.amdhsa_user_sgpr_queue_ptr 0
		.amdhsa_user_sgpr_kernarg_segment_ptr 1
		.amdhsa_user_sgpr_dispatch_id 0
		.amdhsa_user_sgpr_flat_scratch_init 0
		.amdhsa_user_sgpr_private_segment_size 0
		.amdhsa_wavefront_size32 1
		.amdhsa_uses_dynamic_stack 0
		.amdhsa_system_sgpr_private_segment_wavefront_offset 1
		.amdhsa_system_sgpr_workgroup_id_x 1
		.amdhsa_system_sgpr_workgroup_id_y 0
		.amdhsa_system_sgpr_workgroup_id_z 1
		.amdhsa_system_sgpr_workgroup_info 0
		.amdhsa_system_vgpr_workitem_id 1
		.amdhsa_next_free_vgpr 223
		.amdhsa_next_free_sgpr 30
		.amdhsa_reserve_vcc 1
		.amdhsa_reserve_flat_scratch 1
		.amdhsa_float_round_mode_32 0
		.amdhsa_float_round_mode_16_64 0
		.amdhsa_float_denorm_mode_32 3
		.amdhsa_float_denorm_mode_16_64 3
		.amdhsa_dx10_clamp 1
		.amdhsa_ieee_mode 1
		.amdhsa_fp16_overflow 0
		.amdhsa_workgroup_processor_mode 1
		.amdhsa_memory_ordered 1
		.amdhsa_forward_progress 1
		.amdhsa_shared_vgpr_count 0
		.amdhsa_exception_fp_ieee_invalid_op 0
		.amdhsa_exception_fp_denorm_src 0
		.amdhsa_exception_fp_ieee_div_zero 0
		.amdhsa_exception_fp_ieee_overflow 0
		.amdhsa_exception_fp_ieee_underflow 0
		.amdhsa_exception_fp_ieee_inexact 0
		.amdhsa_exception_int_div_zero 0
	.end_amdhsa_kernel
	.section	.text._ZN12_GLOBAL__N_120geam_min_plus_kernelIdddLi4ELi64ELi128ELi128ELi4ELi64ELi4ELi64ELi4ELc78ELc84ELb0ELb0ELb0EPKdKS2_KPdEEviiiT16_PT17_ilS8_ilS6_S8_ilPT18_ili26rocblas_geam_ex_operation_,"axG",@progbits,_ZN12_GLOBAL__N_120geam_min_plus_kernelIdddLi4ELi64ELi128ELi128ELi4ELi64ELi4ELi64ELi4ELc78ELc84ELb0ELb0ELb0EPKdKS2_KPdEEviiiT16_PT17_ilS8_ilS6_S8_ilPT18_ili26rocblas_geam_ex_operation_,comdat
.Lfunc_end141:
	.size	_ZN12_GLOBAL__N_120geam_min_plus_kernelIdddLi4ELi64ELi128ELi128ELi4ELi64ELi4ELi64ELi4ELc78ELc84ELb0ELb0ELb0EPKdKS2_KPdEEviiiT16_PT17_ilS8_ilS6_S8_ilPT18_ili26rocblas_geam_ex_operation_, .Lfunc_end141-_ZN12_GLOBAL__N_120geam_min_plus_kernelIdddLi4ELi64ELi128ELi128ELi4ELi64ELi4ELi64ELi4ELc78ELc84ELb0ELb0ELb0EPKdKS2_KPdEEviiiT16_PT17_ilS8_ilS6_S8_ilPT18_ili26rocblas_geam_ex_operation_
                                        ; -- End function
	.set _ZN12_GLOBAL__N_120geam_min_plus_kernelIdddLi4ELi64ELi128ELi128ELi4ELi64ELi4ELi64ELi4ELc78ELc84ELb0ELb0ELb0EPKdKS2_KPdEEviiiT16_PT17_ilS8_ilS6_S8_ilPT18_ili26rocblas_geam_ex_operation_.num_vgpr, 223
	.set _ZN12_GLOBAL__N_120geam_min_plus_kernelIdddLi4ELi64ELi128ELi128ELi4ELi64ELi4ELi64ELi4ELc78ELc84ELb0ELb0ELb0EPKdKS2_KPdEEviiiT16_PT17_ilS8_ilS6_S8_ilPT18_ili26rocblas_geam_ex_operation_.num_agpr, 0
	.set _ZN12_GLOBAL__N_120geam_min_plus_kernelIdddLi4ELi64ELi128ELi128ELi4ELi64ELi4ELi64ELi4ELc78ELc84ELb0ELb0ELb0EPKdKS2_KPdEEviiiT16_PT17_ilS8_ilS6_S8_ilPT18_ili26rocblas_geam_ex_operation_.numbered_sgpr, 30
	.set _ZN12_GLOBAL__N_120geam_min_plus_kernelIdddLi4ELi64ELi128ELi128ELi4ELi64ELi4ELi64ELi4ELc78ELc84ELb0ELb0ELb0EPKdKS2_KPdEEviiiT16_PT17_ilS8_ilS6_S8_ilPT18_ili26rocblas_geam_ex_operation_.num_named_barrier, 0
	.set _ZN12_GLOBAL__N_120geam_min_plus_kernelIdddLi4ELi64ELi128ELi128ELi4ELi64ELi4ELi64ELi4ELc78ELc84ELb0ELb0ELb0EPKdKS2_KPdEEviiiT16_PT17_ilS8_ilS6_S8_ilPT18_ili26rocblas_geam_ex_operation_.private_seg_size, 528
	.set _ZN12_GLOBAL__N_120geam_min_plus_kernelIdddLi4ELi64ELi128ELi128ELi4ELi64ELi4ELi64ELi4ELc78ELc84ELb0ELb0ELb0EPKdKS2_KPdEEviiiT16_PT17_ilS8_ilS6_S8_ilPT18_ili26rocblas_geam_ex_operation_.uses_vcc, 1
	.set _ZN12_GLOBAL__N_120geam_min_plus_kernelIdddLi4ELi64ELi128ELi128ELi4ELi64ELi4ELi64ELi4ELc78ELc84ELb0ELb0ELb0EPKdKS2_KPdEEviiiT16_PT17_ilS8_ilS6_S8_ilPT18_ili26rocblas_geam_ex_operation_.uses_flat_scratch, 1
	.set _ZN12_GLOBAL__N_120geam_min_plus_kernelIdddLi4ELi64ELi128ELi128ELi4ELi64ELi4ELi64ELi4ELc78ELc84ELb0ELb0ELb0EPKdKS2_KPdEEviiiT16_PT17_ilS8_ilS6_S8_ilPT18_ili26rocblas_geam_ex_operation_.has_dyn_sized_stack, 0
	.set _ZN12_GLOBAL__N_120geam_min_plus_kernelIdddLi4ELi64ELi128ELi128ELi4ELi64ELi4ELi64ELi4ELc78ELc84ELb0ELb0ELb0EPKdKS2_KPdEEviiiT16_PT17_ilS8_ilS6_S8_ilPT18_ili26rocblas_geam_ex_operation_.has_recursion, 0
	.set _ZN12_GLOBAL__N_120geam_min_plus_kernelIdddLi4ELi64ELi128ELi128ELi4ELi64ELi4ELi64ELi4ELc78ELc84ELb0ELb0ELb0EPKdKS2_KPdEEviiiT16_PT17_ilS8_ilS6_S8_ilPT18_ili26rocblas_geam_ex_operation_.has_indirect_call, 0
	.section	.AMDGPU.csdata,"",@progbits
; Kernel info:
; codeLenInByte = 19216
; TotalNumSgprs: 32
; NumVgprs: 223
; ScratchSize: 528
; MemoryBound: 1
; FloatMode: 240
; IeeeMode: 1
; LDSByteSize: 16384 bytes/workgroup (compile time only)
; SGPRBlocks: 0
; VGPRBlocks: 27
; NumSGPRsForWavesPerEU: 32
; NumVGPRsForWavesPerEU: 223
; Occupancy: 4
; WaveLimiterHint : 1
; COMPUTE_PGM_RSRC2:SCRATCH_EN: 1
; COMPUTE_PGM_RSRC2:USER_SGPR: 6
; COMPUTE_PGM_RSRC2:TRAP_HANDLER: 0
; COMPUTE_PGM_RSRC2:TGID_X_EN: 1
; COMPUTE_PGM_RSRC2:TGID_Y_EN: 0
; COMPUTE_PGM_RSRC2:TGID_Z_EN: 1
; COMPUTE_PGM_RSRC2:TIDIG_COMP_CNT: 1
	.section	.text._ZN12_GLOBAL__N_120geam_min_plus_kernelIdddLi4ELi64ELi128ELi128ELi4ELi64ELi4ELi64ELi4ELc78ELc84ELb1ELb0ELb0EdKPKdKPdEEviiiT16_PT17_ilS8_ilS6_S8_ilPT18_ili26rocblas_geam_ex_operation_,"axG",@progbits,_ZN12_GLOBAL__N_120geam_min_plus_kernelIdddLi4ELi64ELi128ELi128ELi4ELi64ELi4ELi64ELi4ELc78ELc84ELb1ELb0ELb0EdKPKdKPdEEviiiT16_PT17_ilS8_ilS6_S8_ilPT18_ili26rocblas_geam_ex_operation_,comdat
	.globl	_ZN12_GLOBAL__N_120geam_min_plus_kernelIdddLi4ELi64ELi128ELi128ELi4ELi64ELi4ELi64ELi4ELc78ELc84ELb1ELb0ELb0EdKPKdKPdEEviiiT16_PT17_ilS8_ilS6_S8_ilPT18_ili26rocblas_geam_ex_operation_ ; -- Begin function _ZN12_GLOBAL__N_120geam_min_plus_kernelIdddLi4ELi64ELi128ELi128ELi4ELi64ELi4ELi64ELi4ELc78ELc84ELb1ELb0ELb0EdKPKdKPdEEviiiT16_PT17_ilS8_ilS6_S8_ilPT18_ili26rocblas_geam_ex_operation_
	.p2align	8
	.type	_ZN12_GLOBAL__N_120geam_min_plus_kernelIdddLi4ELi64ELi128ELi128ELi4ELi64ELi4ELi64ELi4ELc78ELc84ELb1ELb0ELb0EdKPKdKPdEEviiiT16_PT17_ilS8_ilS6_S8_ilPT18_ili26rocblas_geam_ex_operation_,@function
_ZN12_GLOBAL__N_120geam_min_plus_kernelIdddLi4ELi64ELi128ELi128ELi4ELi64ELi4ELi64ELi4ELc78ELc84ELb1ELb0ELb0EdKPKdKPdEEviiiT16_PT17_ilS8_ilS6_S8_ilPT18_ili26rocblas_geam_ex_operation_: ; @_ZN12_GLOBAL__N_120geam_min_plus_kernelIdddLi4ELi64ELi128ELi128ELi4ELi64ELi4ELi64ELi4ELc78ELc84ELb1ELb0ELb0EdKPKdKPdEEviiiT16_PT17_ilS8_ilS6_S8_ilPT18_ili26rocblas_geam_ex_operation_
; %bb.0:
	s_add_u32 s0, s0, s8
	s_clause 0x1
	s_load_dwordx4 s[8:11], s[4:5], 0x10
	s_load_dwordx4 s[12:15], s[4:5], 0x28
	s_mov_b32 s22, s7
	s_addc_u32 s1, s1, 0
	s_mov_b64 s[18:19], 0
	s_waitcnt lgkmcnt(0)
	v_cmp_eq_f64_e64 s7, s[8:9], 0
	s_and_b32 vcc_lo, exec_lo, s7
	s_cbranch_vccnz .LBB142_2
; %bb.1:
	s_mov_b32 s23, 0
	s_lshl_b64 s[8:9], s[22:23], 3
	s_add_u32 s8, s10, s8
	s_addc_u32 s9, s11, s9
	s_lshl_b64 s[10:11], s[12:13], 3
	s_load_dwordx2 s[8:9], s[8:9], 0x0
	s_waitcnt lgkmcnt(0)
	s_add_u32 s18, s8, s10
	s_addc_u32 s19, s9, s11
.LBB142_2:
	s_clause 0x1
	s_load_dwordx4 s[8:11], s[4:5], 0x40
	s_load_dwordx2 s[24:25], s[4:5], 0x50
	s_andn2_b32 vcc_lo, exec_lo, s7
	s_mov_b32 s23, 0
	s_cbranch_vccnz .LBB142_4
; %bb.3:
	s_mov_b32 s7, s23
	s_mov_b64 s[16:17], 0
	s_andn2_b32 vcc_lo, exec_lo, s7
	s_mov_b64 s[20:21], 0
	s_cbranch_vccz .LBB142_5
	s_branch .LBB142_6
.LBB142_4:
	s_mov_b64 s[16:17], 0
	s_mov_b64 s[20:21], 0
.LBB142_5:
	s_lshl_b64 s[12:13], s[22:23], 3
	s_add_u32 s12, s14, s12
	s_addc_u32 s13, s15, s13
	s_waitcnt lgkmcnt(0)
	s_lshl_b64 s[8:9], s[8:9], 3
	s_load_dwordx2 s[12:13], s[12:13], 0x0
	s_waitcnt lgkmcnt(0)
	s_add_u32 s20, s12, s8
	s_addc_u32 s21, s13, s9
.LBB142_6:
	s_waitcnt lgkmcnt(0)
	v_cmp_eq_f64_e64 s7, s[10:11], 0
	s_load_dwordx4 s[12:15], s[4:5], 0x60
	s_and_b32 vcc_lo, exec_lo, s7
	s_cbranch_vccnz .LBB142_8
; %bb.7:
	s_lshl_b64 s[8:9], s[22:23], 3
	s_add_u32 s8, s24, s8
	s_addc_u32 s9, s25, s9
	s_waitcnt lgkmcnt(0)
	s_lshl_b64 s[12:13], s[12:13], 3
	s_load_dwordx2 s[8:9], s[8:9], 0x0
	s_waitcnt lgkmcnt(0)
	s_add_u32 s16, s8, s12
	s_addc_u32 s17, s9, s13
.LBB142_8:
	s_clause 0x1
	s_load_dword s24, s[4:5], 0x20
	s_load_dword s25, s[4:5], 0x38
	s_waitcnt lgkmcnt(0)
	s_load_dword s12, s[4:5], 0x0
	s_mov_b32 s7, 0
	s_lshl_b64 s[8:9], s[22:23], 3
	s_addk_i32 s7, 0x100
	v_lshl_add_u32 v2, v1, 2, v0
	v_mov_b32_e32 v7, 0
	buffer_store_dword v7, off, s[0:3], 0 offset:4
	buffer_store_dword v7, off, s[0:3], 0
	buffer_store_dword v7, off, s[0:3], 0 offset:12
	buffer_store_dword v7, off, s[0:3], 0 offset:8
	;; [unrolled: 1-line block ×6, first 2 shown]
	v_and_b32_e32 v88, 63, v2
	v_lshrrev_b32_e32 v82, 6, v2
	buffer_store_dword v7, off, s[0:3], 0 offset:36
	buffer_store_dword v7, off, s[0:3], 0 offset:32
	buffer_store_dword v7, off, s[0:3], 0 offset:44
	buffer_store_dword v7, off, s[0:3], 0 offset:40
	v_add_nc_u32_e32 v83, 4, v82
	s_ashr_i32 s22, s24, 31
	s_ashr_i32 s23, s25, 31
	s_add_u32 s8, s14, s8
	s_addc_u32 s9, s15, s9
	s_waitcnt lgkmcnt(0)
	s_add_i32 s12, s12, -1
	v_mad_i64_i32 v[4:5], null, s25, v82, 0
	s_ashr_i32 s13, s12, 31
	buffer_store_dword v7, off, s[0:3], 0 offset:52
	s_lshr_b32 s13, s13, 25
	buffer_store_dword v7, off, s[0:3], 0 offset:48
	s_add_i32 s12, s12, s13
	buffer_store_dword v7, off, s[0:3], 0 offset:60
	buffer_store_dword v7, off, s[0:3], 0 offset:56
	;; [unrolled: 1-line block ×4, first 2 shown]
	s_ashr_i32 s12, s12, 7
	buffer_store_dword v7, off, s[0:3], 0 offset:76
	buffer_store_dword v7, off, s[0:3], 0 offset:72
	;; [unrolled: 1-line block ×9, first 2 shown]
	s_add_i32 s13, s12, 1
	s_not_b32 s12, s12
	v_cvt_f32_u32_e32 v2, s13
	buffer_store_dword v7, off, s[0:3], 0 offset:104
	buffer_store_dword v7, off, s[0:3], 0 offset:116
	;; [unrolled: 1-line block ×11, first 2 shown]
	v_rcp_iflag_f32_e32 v2, v2
	buffer_store_dword v7, off, s[0:3], 0 offset:156
	buffer_store_dword v7, off, s[0:3], 0 offset:152
	;; [unrolled: 1-line block ×9, first 2 shown]
	v_mul_f32_e32 v2, 0x4f7ffffe, v2
	buffer_store_dword v7, off, s[0:3], 0 offset:184
	buffer_store_dword v7, off, s[0:3], 0 offset:196
	;; [unrolled: 1-line block ×81, first 2 shown]
	v_cvt_u32_f32_e32 v2, v2
	v_lshlrev_b64 v[4:5], 3, v[4:5]
	v_mad_i64_i32 v[10:11], null, s24, v83, 0
	v_lshlrev_b32_e32 v85, 5, v0
	v_readfirstlane_b32 s14, v2
	v_mad_i64_i32 v[2:3], null, s24, v82, 0
	v_lshl_or_b32 v86, v1, 5, 0x2000
	s_mul_i32 s12, s12, s14
	v_lshlrev_b64 v[10:11], 3, v[10:11]
	s_mul_hi_u32 s12, s14, s12
	s_add_i32 s14, s14, s12
	v_lshlrev_b64 v[2:3], 3, v[2:3]
	s_mul_hi_u32 s12, s6, s14
	s_mul_i32 s14, s12, s13
	s_add_i32 s15, s12, 1
	s_sub_i32 s14, s6, s14
	v_add_co_u32 v12, vcc_lo, s18, v2
	s_sub_i32 s26, s14, s13
	s_cmp_ge_u32 s14, s13
	v_add_co_ci_u32_e64 v13, null, s19, v3, vcc_lo
	s_cselect_b32 s12, s15, s12
	s_cselect_b32 s14, s26, s14
	s_add_i32 s15, s12, 1
	s_cmp_ge_u32 s14, s13
	v_mad_i64_i32 v[2:3], null, s25, v83, 0
	s_cselect_b32 s12, s15, s12
	v_add_co_u32 v4, vcc_lo, s20, v4
	s_mul_i32 s13, s12, s13
	s_lshl_b32 s12, s12, 7
	s_sub_i32 s6, s6, s13
	v_or_b32_e32 v6, s12, v88
	s_lshl_b32 s6, s6, 7
	v_add_co_ci_u32_e64 v5, null, s21, v5, vcc_lo
	v_or_b32_e32 v8, s6, v88
	v_ashrrev_i32_e32 v7, 31, v6
	v_lshlrev_b64 v[2:3], 3, v[2:3]
	v_cmp_neq_f64_e64 s13, s[10:11], 0
	s_mov_b32 s14, 0
	v_ashrrev_i32_e32 v9, 31, v8
	v_lshlrev_b64 v[6:7], 3, v[6:7]
	v_lshlrev_b64 v[8:9], 3, v[8:9]
	v_add_co_u32 v4, vcc_lo, v4, v6
	v_add_co_ci_u32_e64 v5, null, v5, v7, vcc_lo
	v_add_co_u32 v12, vcc_lo, v12, v8
	v_add_co_ci_u32_e64 v13, null, v13, v9, vcc_lo
	;; [unrolled: 2-line block ×4, first 2 shown]
	v_add_co_u32 v2, vcc_lo, v2, v6
	s_clause 0x1
	flat_load_dwordx2 v[18:19], v[4:5]
	flat_load_dwordx2 v[4:5], v[4:5] offset:512
	v_add_co_ci_u32_e64 v3, null, v3, v7, vcc_lo
	v_add_co_u32 v16, vcc_lo, v10, v8
	v_add_co_ci_u32_e64 v17, null, v11, v9, vcc_lo
	s_clause 0x1
	flat_load_dwordx2 v[20:21], v[12:13]
	flat_load_dwordx2 v[22:23], v[12:13] offset:512
	s_clause 0x1
	flat_load_dwordx2 v[10:11], v[2:3]
	flat_load_dwordx2 v[12:13], v[2:3] offset:512
	;; [unrolled: 3-line block ×3, first 2 shown]
	s_load_dwordx2 s[8:9], s[8:9], 0x0
	v_lshlrev_b32_e32 v2, 5, v88
	v_lshl_add_u32 v84, v82, 3, v2
	s_waitcnt vmcnt(6) lgkmcnt(0)
	ds_write2st64_b64 v84, v[18:19], v[4:5] offset0:16 offset1:20
	s_waitcnt vmcnt(4)
	ds_write2st64_b64 v84, v[20:21], v[22:23] offset1:4
	v_or_b32_e32 v87, 0x2000, v84
	s_waitcnt vmcnt(0) lgkmcnt(0)
	s_waitcnt_vscnt null, 0x0
	s_barrier
	buffer_gl0_inv
.LBB142_9:                              ; =>This Loop Header: Depth=1
                                        ;     Child Loop BB142_10 Depth 2
	s_lshl_b32 s15, s14, 3
	s_mov_b32 s26, 0
	v_add_nc_u32_e32 v18, s15, v85
	v_add_nc_u32_e32 v89, s15, v86
	s_mov_b32 s15, -1
	ds_read2_b64 v[2:5], v18 offset1:16
	ds_read2_b64 v[22:25], v18 offset0:32 offset1:48
	ds_read2_b64 v[26:29], v18 offset0:64 offset1:80
	;; [unrolled: 1-line block ×4, first 2 shown]
	v_add_nc_u32_e32 v78, 0x800, v18
	ds_read2_b64 v[38:41], v18 offset0:160 offset1:176
	ds_read2_b64 v[42:45], v18 offset0:192 offset1:208
	;; [unrolled: 1-line block ×3, first 2 shown]
	ds_read2_b64 v[50:53], v78 offset1:16
	ds_read2_b64 v[54:57], v78 offset0:32 offset1:48
	ds_read2_b64 v[58:61], v78 offset0:64 offset1:80
	;; [unrolled: 1-line block ×6, first 2 shown]
	s_waitcnt lgkmcnt(9)
	v_max_f64 v[38:39], v[38:39], v[38:39]
	v_max_f64 v[40:41], v[40:41], v[40:41]
	v_max_f64 v[18:19], v[2:3], v[2:3]
	v_max_f64 v[20:21], v[4:5], v[4:5]
	ds_read2_b64 v[2:5], v78 offset0:224 offset1:240
	v_max_f64 v[22:23], v[22:23], v[22:23]
	v_max_f64 v[24:25], v[24:25], v[24:25]
	;; [unrolled: 1-line block ×8, first 2 shown]
	s_waitcnt lgkmcnt(9)
	v_max_f64 v[42:43], v[42:43], v[42:43]
	v_max_f64 v[44:45], v[44:45], v[44:45]
	s_waitcnt lgkmcnt(8)
	v_max_f64 v[46:47], v[46:47], v[46:47]
	v_max_f64 v[48:49], v[48:49], v[48:49]
	;; [unrolled: 3-line block ×10, first 2 shown]
	ds_read2st64_b64 v[2:5], v89 offset1:4
.LBB142_10:                             ;   Parent Loop BB142_9 Depth=1
                                        ; =>  This Inner Loop Header: Depth=2
	v_mov_b32_e32 v217, s26
	s_waitcnt lgkmcnt(0)
	v_max_f64 v[153:154], v[2:3], v[2:3]
	v_mov_b32_e32 v2, v4
	v_mov_b32_e32 v3, v5
	s_and_b32 vcc_lo, exec_lo, s15
	s_clause 0x3e
	buffer_load_dword v89, v217, s[0:3], 0 offen
	buffer_load_dword v90, v217, s[0:3], 0 offen offset:4
	buffer_load_dword v91, v217, s[0:3], 0 offen offset:8
	;; [unrolled: 1-line block ×63, first 2 shown]
	s_mov_b32 s15, 0
	s_mov_b32 s26, s7
	v_min_f64 v[155:156], v[18:19], v[153:154]
	v_min_f64 v[157:158], v[20:21], v[153:154]
	;; [unrolled: 1-line block ×32, first 2 shown]
	s_waitcnt vmcnt(62)
	v_add_f64 v[89:90], v[155:156], v[89:90]
	s_waitcnt vmcnt(60)
	v_add_f64 v[91:92], v[157:158], v[91:92]
	;; [unrolled: 2-line block ×32, first 2 shown]
	buffer_store_dword v89, v217, s[0:3], 0 offen
	buffer_store_dword v90, v217, s[0:3], 0 offen offset:4
	buffer_store_dword v91, v217, s[0:3], 0 offen offset:8
	;; [unrolled: 1-line block ×63, first 2 shown]
	s_cbranch_vccnz .LBB142_10
; %bb.11:                               ;   in Loop: Header=BB142_9 Depth=1
	s_add_i32 s14, s14, 1
	s_cmp_eq_u32 s14, 4
	s_cbranch_scc0 .LBB142_9
; %bb.12:
	s_load_dword s14, s[4:5], 0x8
	v_lshlrev_b32_e32 v2, 3, v82
	v_lshl_add_u32 v78, v0, 5, 0x1000
	v_lshl_add_u32 v79, v1, 5, 0x3000
	;; [unrolled: 1-line block ×3, first 2 shown]
	ds_write2st64_b64 v2, v[14:15], v[16:17] offset0:8 offset1:12
	ds_write2st64_b64 v2, v[10:11], v[12:13] offset0:24 offset1:28
	s_waitcnt lgkmcnt(0)
	s_waitcnt_vscnt null, 0x0
	s_barrier
	buffer_gl0_inv
	s_cmp_lt_i32 s14, 9
	s_cbranch_scc1 .LBB142_23
; %bb.13:
	v_add_co_u32 v88, vcc_lo, s18, v8
	v_add_co_ci_u32_e64 v89, null, s19, v9, vcc_lo
	v_add_co_u32 v90, vcc_lo, s20, v6
	v_or_b32_e32 v80, 0x1000, v2
	v_or_b32_e32 v81, 0x3000, v2
	v_add_co_ci_u32_e64 v91, null, s21, v7, vcc_lo
	s_add_i32 s14, s14, -8
	s_mov_b32 s15, 8
	s_mov_b32 s18, 0
.LBB142_14:                             ; =>This Loop Header: Depth=1
                                        ;     Child Loop BB142_15 Depth 2
                                        ;       Child Loop BB142_16 Depth 3
                                        ;     Child Loop BB142_19 Depth 2
                                        ;       Child Loop BB142_20 Depth 3
	v_add_nc_u32_e32 v8, s15, v82
	s_mov_b32 s19, 0
	v_mad_u64_u32 v[2:3], null, v8, s24, 0
	v_mad_u64_u32 v[4:5], null, v8, s25, 0
	;; [unrolled: 1-line block ×4, first 2 shown]
	v_mov_b32_e32 v3, v6
	v_lshlrev_b64 v[2:3], 3, v[2:3]
	v_mov_b32_e32 v5, v7
	v_add_co_u32 v2, vcc_lo, v88, v2
	v_lshlrev_b64 v[4:5], 3, v[4:5]
	v_add_co_ci_u32_e64 v3, null, v89, v3, vcc_lo
	v_add_co_u32 v4, vcc_lo, v90, v4
	v_add_co_ci_u32_e64 v5, null, v91, v5, vcc_lo
	s_clause 0x1
	flat_load_dwordx2 v[6:7], v[2:3]
	flat_load_dwordx2 v[8:9], v[2:3] offset:512
	s_clause 0x1
	flat_load_dwordx2 v[10:11], v[4:5]
	flat_load_dwordx2 v[12:13], v[4:5] offset:512
.LBB142_15:                             ;   Parent Loop BB142_14 Depth=1
                                        ; =>  This Loop Header: Depth=2
                                        ;       Child Loop BB142_16 Depth 3
	s_lshl_b32 s20, s19, 3
	s_mov_b32 s21, 0
	v_add_nc_u32_e32 v14, s20, v78
	v_add_nc_u32_e32 v92, s20, v79
	s_mov_b32 s20, -1
	ds_read2_b64 v[2:5], v14 offset1:16
	ds_read2_b64 v[18:21], v14 offset0:32 offset1:48
	ds_read2_b64 v[22:25], v14 offset0:64 offset1:80
	v_add_nc_u32_e32 v15, 0x800, v14
	ds_read2_b64 v[26:29], v14 offset0:96 offset1:112
	ds_read2_b64 v[30:33], v14 offset0:128 offset1:144
	;; [unrolled: 1-line block ×5, first 2 shown]
	ds_read2_b64 v[46:49], v15 offset1:16
	ds_read2_b64 v[50:53], v15 offset0:32 offset1:48
	ds_read2_b64 v[54:57], v15 offset0:64 offset1:80
	;; [unrolled: 1-line block ×7, first 2 shown]
	s_waitcnt lgkmcnt(11)
	v_max_f64 v[30:31], v[30:31], v[30:31]
	v_max_f64 v[32:33], v[32:33], v[32:33]
	s_waitcnt lgkmcnt(10)
	v_max_f64 v[34:35], v[34:35], v[34:35]
	v_max_f64 v[36:37], v[36:37], v[36:37]
	;; [unrolled: 3-line block ×3, first 2 shown]
	v_max_f64 v[14:15], v[2:3], v[2:3]
	v_max_f64 v[16:17], v[4:5], v[4:5]
	;; [unrolled: 1-line block ×8, first 2 shown]
	s_waitcnt lgkmcnt(8)
	v_max_f64 v[42:43], v[42:43], v[42:43]
	v_max_f64 v[44:45], v[44:45], v[44:45]
	s_waitcnt lgkmcnt(7)
	v_max_f64 v[46:47], v[46:47], v[46:47]
	v_max_f64 v[48:49], v[48:49], v[48:49]
	;; [unrolled: 3-line block ×9, first 2 shown]
	ds_read2st64_b64 v[2:5], v92 offset1:4
.LBB142_16:                             ;   Parent Loop BB142_14 Depth=1
                                        ;     Parent Loop BB142_15 Depth=2
                                        ; =>    This Inner Loop Header: Depth=3
	v_mov_b32_e32 v220, s21
	s_waitcnt lgkmcnt(0)
	v_max_f64 v[156:157], v[2:3], v[2:3]
	v_mov_b32_e32 v2, v4
	v_mov_b32_e32 v3, v5
	s_and_b32 vcc_lo, exec_lo, s20
	s_clause 0x3e
	buffer_load_dword v92, v220, s[0:3], 0 offen
	buffer_load_dword v93, v220, s[0:3], 0 offen offset:4
	buffer_load_dword v94, v220, s[0:3], 0 offen offset:8
	;; [unrolled: 1-line block ×63, first 2 shown]
	s_mov_b32 s20, 0
	s_mov_b32 s21, s7
	v_min_f64 v[158:159], v[14:15], v[156:157]
	v_min_f64 v[160:161], v[16:17], v[156:157]
	;; [unrolled: 1-line block ×32, first 2 shown]
	s_waitcnt vmcnt(62)
	v_add_f64 v[92:93], v[158:159], v[92:93]
	s_waitcnt vmcnt(60)
	v_add_f64 v[94:95], v[160:161], v[94:95]
	;; [unrolled: 2-line block ×32, first 2 shown]
	buffer_store_dword v92, v220, s[0:3], 0 offen
	buffer_store_dword v93, v220, s[0:3], 0 offen offset:4
	buffer_store_dword v94, v220, s[0:3], 0 offen offset:8
	;; [unrolled: 1-line block ×63, first 2 shown]
	s_cbranch_vccnz .LBB142_16
; %bb.17:                               ;   in Loop: Header=BB142_15 Depth=2
	s_add_i32 s19, s19, 1
	s_cmp_eq_u32 s19, 4
	s_cbranch_scc0 .LBB142_15
; %bb.18:                               ;   in Loop: Header=BB142_14 Depth=1
	v_add_nc_u32_e32 v16, s15, v83
	ds_write2st64_b64 v84, v[6:7], v[8:9] offset1:4
	ds_write2st64_b64 v87, v[10:11], v[12:13] offset1:4
	s_waitcnt lgkmcnt(0)
	s_waitcnt_vscnt null, 0x0
	s_barrier
	buffer_gl0_inv
	v_mad_u64_u32 v[2:3], null, v16, s24, 0
	v_mad_u64_u32 v[4:5], null, v16, s25, 0
	s_mov_b32 s19, 0
	v_mad_u64_u32 v[14:15], null, v16, s22, v[3:4]
	v_mad_u64_u32 v[15:16], null, v16, s23, v[5:6]
	v_mov_b32_e32 v3, v14
	v_mov_b32_e32 v5, v15
	v_lshlrev_b64 v[2:3], 3, v[2:3]
	v_lshlrev_b64 v[4:5], 3, v[4:5]
	v_add_co_u32 v2, vcc_lo, v88, v2
	v_add_co_ci_u32_e64 v3, null, v89, v3, vcc_lo
	v_add_co_u32 v4, vcc_lo, v90, v4
	v_add_co_ci_u32_e64 v5, null, v91, v5, vcc_lo
	s_clause 0x1
	flat_load_dwordx2 v[70:71], v[2:3]
	flat_load_dwordx2 v[72:73], v[2:3] offset:512
	s_clause 0x1
	flat_load_dwordx2 v[74:75], v[4:5]
	flat_load_dwordx2 v[76:77], v[4:5] offset:512
.LBB142_19:                             ;   Parent Loop BB142_14 Depth=1
                                        ; =>  This Loop Header: Depth=2
                                        ;       Child Loop BB142_20 Depth 3
	s_lshl_b32 s20, s19, 3
	s_mov_b32 s21, 0
	v_add_nc_u32_e32 v30, s20, v85
	v_add_nc_u32_e32 v66, s20, v86
	s_mov_b32 s20, -1
	ds_read2_b64 v[2:5], v30 offset1:16
	ds_read2_b64 v[6:9], v30 offset0:32 offset1:48
	ds_read2_b64 v[10:13], v30 offset0:64 offset1:80
	;; [unrolled: 1-line block ×3, first 2 shown]
	v_add_nc_u32_e32 v62, 0x800, v30
	ds_read2_b64 v[18:21], v30 offset0:128 offset1:144
	ds_read2_b64 v[22:25], v30 offset0:160 offset1:176
	;; [unrolled: 1-line block ×4, first 2 shown]
	ds_read2_b64 v[34:37], v62 offset1:16
	ds_read2_b64 v[38:41], v62 offset0:32 offset1:48
	ds_read2_b64 v[42:45], v62 offset0:64 offset1:80
	;; [unrolled: 1-line block ×7, first 2 shown]
	ds_read2st64_b64 v[66:69], v66 offset1:4
.LBB142_20:                             ;   Parent Loop BB142_14 Depth=1
                                        ;     Parent Loop BB142_19 Depth=2
                                        ; =>    This Inner Loop Header: Depth=3
	v_mov_b32_e32 v92, s21
	s_waitcnt lgkmcnt(16)
	v_max_f64 v[157:158], v[2:3], v[2:3]
	s_waitcnt lgkmcnt(0)
	v_max_f64 v[159:160], v[66:67], v[66:67]
	v_max_f64 v[161:162], v[4:5], v[4:5]
	;; [unrolled: 1-line block ×3, first 2 shown]
	s_clause 0x3e
	buffer_load_dword v93, v92, s[0:3], 0 offen
	buffer_load_dword v94, v92, s[0:3], 0 offen offset:4
	buffer_load_dword v95, v92, s[0:3], 0 offen offset:8
	;; [unrolled: 1-line block ×63, first 2 shown]
	v_max_f64 v[165:166], v[8:9], v[8:9]
	v_max_f64 v[167:168], v[10:11], v[10:11]
	v_max_f64 v[169:170], v[12:13], v[12:13]
	v_max_f64 v[171:172], v[14:15], v[14:15]
	v_max_f64 v[173:174], v[16:17], v[16:17]
	v_max_f64 v[175:176], v[18:19], v[18:19]
	v_max_f64 v[177:178], v[20:21], v[20:21]
	v_max_f64 v[179:180], v[22:23], v[22:23]
	v_max_f64 v[181:182], v[24:25], v[24:25]
	v_max_f64 v[183:184], v[26:27], v[26:27]
	v_max_f64 v[185:186], v[28:29], v[28:29]
	v_max_f64 v[187:188], v[30:31], v[30:31]
	v_max_f64 v[189:190], v[32:33], v[32:33]
	v_max_f64 v[191:192], v[34:35], v[34:35]
	v_max_f64 v[193:194], v[36:37], v[36:37]
	v_max_f64 v[195:196], v[38:39], v[38:39]
	v_max_f64 v[197:198], v[40:41], v[40:41]
	v_max_f64 v[199:200], v[42:43], v[42:43]
	v_max_f64 v[201:202], v[44:45], v[44:45]
	v_max_f64 v[203:204], v[46:47], v[46:47]
	v_max_f64 v[205:206], v[48:49], v[48:49]
	v_max_f64 v[207:208], v[50:51], v[50:51]
	v_max_f64 v[209:210], v[52:53], v[52:53]
	v_max_f64 v[211:212], v[54:55], v[54:55]
	v_max_f64 v[213:214], v[56:57], v[56:57]
	v_max_f64 v[215:216], v[58:59], v[58:59]
	v_max_f64 v[217:218], v[60:61], v[60:61]
	v_max_f64 v[219:220], v[62:63], v[62:63]
	v_max_f64 v[221:222], v[64:65], v[64:65]
	v_min_f64 v[157:158], v[157:158], v[159:160]
	v_min_f64 v[161:162], v[161:162], v[159:160]
	v_min_f64 v[163:164], v[163:164], v[159:160]
	v_min_f64 v[165:166], v[165:166], v[159:160]
	v_min_f64 v[167:168], v[167:168], v[159:160]
	v_min_f64 v[169:170], v[169:170], v[159:160]
	v_min_f64 v[171:172], v[171:172], v[159:160]
	v_min_f64 v[173:174], v[173:174], v[159:160]
	v_min_f64 v[175:176], v[175:176], v[159:160]
	v_min_f64 v[177:178], v[177:178], v[159:160]
	v_min_f64 v[179:180], v[179:180], v[159:160]
	v_min_f64 v[181:182], v[181:182], v[159:160]
	v_min_f64 v[183:184], v[183:184], v[159:160]
	v_min_f64 v[185:186], v[185:186], v[159:160]
	v_min_f64 v[187:188], v[187:188], v[159:160]
	v_min_f64 v[189:190], v[189:190], v[159:160]
	v_min_f64 v[191:192], v[191:192], v[159:160]
	v_min_f64 v[193:194], v[193:194], v[159:160]
	v_min_f64 v[195:196], v[195:196], v[159:160]
	v_min_f64 v[197:198], v[197:198], v[159:160]
	v_min_f64 v[199:200], v[199:200], v[159:160]
	v_min_f64 v[201:202], v[201:202], v[159:160]
	v_min_f64 v[203:204], v[203:204], v[159:160]
	v_min_f64 v[205:206], v[205:206], v[159:160]
	v_min_f64 v[207:208], v[207:208], v[159:160]
	v_min_f64 v[209:210], v[209:210], v[159:160]
	v_min_f64 v[211:212], v[211:212], v[159:160]
	v_min_f64 v[213:214], v[213:214], v[159:160]
	v_min_f64 v[215:216], v[215:216], v[159:160]
	v_min_f64 v[217:218], v[217:218], v[159:160]
	v_min_f64 v[219:220], v[219:220], v[159:160]
	v_min_f64 v[159:160], v[221:222], v[159:160]
	v_mov_b32_e32 v66, v68
	v_mov_b32_e32 v67, v69
	s_and_b32 vcc_lo, exec_lo, s20
	s_mov_b32 s20, 0
	s_mov_b32 s21, s7
	s_waitcnt vmcnt(62)
	v_add_f64 v[93:94], v[157:158], v[93:94]
	s_waitcnt vmcnt(60)
	v_add_f64 v[95:96], v[161:162], v[95:96]
	;; [unrolled: 2-line block ×32, first 2 shown]
	buffer_store_dword v93, v92, s[0:3], 0 offen
	buffer_store_dword v94, v92, s[0:3], 0 offen offset:4
	buffer_store_dword v95, v92, s[0:3], 0 offen offset:8
	;; [unrolled: 1-line block ×63, first 2 shown]
	s_cbranch_vccnz .LBB142_20
; %bb.21:                               ;   in Loop: Header=BB142_19 Depth=2
	s_add_i32 s19, s19, 1
	s_cmp_eq_u32 s19, 4
	s_cbranch_scc0 .LBB142_19
; %bb.22:                               ;   in Loop: Header=BB142_14 Depth=1
	s_add_i32 s18, s18, 8
	s_add_i32 s15, s15, 8
	s_cmp_ge_i32 s18, s14
	ds_write2st64_b64 v80, v[70:71], v[72:73] offset1:4
	ds_write2st64_b64 v81, v[74:75], v[76:77] offset1:4
	s_waitcnt lgkmcnt(0)
	s_waitcnt_vscnt null, 0x0
	s_barrier
	buffer_gl0_inv
	s_cbranch_scc0 .LBB142_14
.LBB142_23:
	s_mov_b32 s14, 0
.LBB142_24:                             ; =>This Loop Header: Depth=1
                                        ;     Child Loop BB142_25 Depth 2
	s_lshl_b32 s15, s14, 3
	s_mov_b32 s18, 0
	v_add_nc_u32_e32 v6, s15, v78
	v_add_nc_u32_e32 v70, s15, v79
	s_mov_b32 s15, -1
	ds_read2_b64 v[2:5], v6 offset1:16
	ds_read2_b64 v[10:13], v6 offset0:32 offset1:48
	ds_read2_b64 v[14:17], v6 offset0:64 offset1:80
	v_add_nc_u32_e32 v7, 0x800, v6
	ds_read2_b64 v[18:21], v6 offset0:96 offset1:112
	ds_read2_b64 v[22:25], v6 offset0:128 offset1:144
	;; [unrolled: 1-line block ×5, first 2 shown]
	ds_read2_b64 v[38:41], v7 offset1:16
	ds_read2_b64 v[42:45], v7 offset0:32 offset1:48
	ds_read2_b64 v[46:49], v7 offset0:64 offset1:80
	;; [unrolled: 1-line block ×7, first 2 shown]
	s_waitcnt lgkmcnt(11)
	v_max_f64 v[22:23], v[22:23], v[22:23]
	v_max_f64 v[24:25], v[24:25], v[24:25]
	s_waitcnt lgkmcnt(10)
	v_max_f64 v[26:27], v[26:27], v[26:27]
	v_max_f64 v[28:29], v[28:29], v[28:29]
	;; [unrolled: 3-line block ×3, first 2 shown]
	v_max_f64 v[6:7], v[2:3], v[2:3]
	v_max_f64 v[8:9], v[4:5], v[4:5]
	;; [unrolled: 1-line block ×8, first 2 shown]
	s_waitcnt lgkmcnt(8)
	v_max_f64 v[34:35], v[34:35], v[34:35]
	v_max_f64 v[36:37], v[36:37], v[36:37]
	s_waitcnt lgkmcnt(7)
	v_max_f64 v[38:39], v[38:39], v[38:39]
	v_max_f64 v[40:41], v[40:41], v[40:41]
	;; [unrolled: 3-line block ×9, first 2 shown]
	ds_read2st64_b64 v[2:5], v70 offset1:4
.LBB142_25:                             ;   Parent Loop BB142_24 Depth=1
                                        ; =>  This Inner Loop Header: Depth=2
	v_mov_b32_e32 v200, s18
	s_waitcnt lgkmcnt(0)
	v_max_f64 v[136:137], v[2:3], v[2:3]
	v_mov_b32_e32 v2, v4
	v_mov_b32_e32 v3, v5
	s_and_b32 vcc_lo, exec_lo, s15
	s_clause 0x3e
	buffer_load_dword v70, v200, s[0:3], 0 offen
	buffer_load_dword v71, v200, s[0:3], 0 offen offset:4
	buffer_load_dword v72, v200, s[0:3], 0 offen offset:8
	;; [unrolled: 1-line block ×63, first 2 shown]
	s_mov_b32 s15, 0
	s_mov_b32 s18, s7
	v_min_f64 v[138:139], v[6:7], v[136:137]
	v_min_f64 v[140:141], v[8:9], v[136:137]
	;; [unrolled: 1-line block ×32, first 2 shown]
	s_waitcnt vmcnt(62)
	v_add_f64 v[70:71], v[138:139], v[70:71]
	s_waitcnt vmcnt(60)
	v_add_f64 v[72:73], v[140:141], v[72:73]
	;; [unrolled: 2-line block ×32, first 2 shown]
	buffer_store_dword v70, v200, s[0:3], 0 offen
	buffer_store_dword v71, v200, s[0:3], 0 offen offset:4
	buffer_store_dword v72, v200, s[0:3], 0 offen offset:8
	;; [unrolled: 1-line block ×63, first 2 shown]
	s_cbranch_vccnz .LBB142_25
; %bb.26:                               ;   in Loop: Header=BB142_24 Depth=1
	s_add_i32 s14, s14, 1
	s_cmp_eq_u32 s14, 4
	s_cbranch_scc0 .LBB142_24
; %bb.27:
	s_clause 0x1
	buffer_load_dword v2, off, s[0:3], 0
	buffer_load_dword v3, off, s[0:3], 0 offset:4
	s_load_dword s7, s[4:5], 0x58
	v_add_nc_u32_e32 v69, s12, v1
	v_add_nc_u32_e32 v12, s6, v0
	v_cndmask_b32_e64 v0, 0, 1, s13
	v_mov_b32_e32 v6, 0
	v_mov_b32_e32 v7, 0
	v_ashrrev_i32_e32 v13, 31, v12
	v_cmp_ne_u32_e64 s6, 1, v0
	v_lshlrev_b64 v[0:1], 3, v[12:13]
	s_waitcnt lgkmcnt(0)
	v_mad_i64_i32 v[4:5], null, v69, s7, 0
	v_lshlrev_b64 v[8:9], 3, v[4:5]
	v_mov_b32_e32 v4, 0
	v_mov_b32_e32 v5, 0
	v_add_co_u32 v70, vcc_lo, s16, v8
	v_add_co_ci_u32_e64 v71, null, s17, v9, vcc_lo
	s_andn2_b32 vcc_lo, exec_lo, s13
	s_cbranch_vccnz .LBB142_29
; %bb.28:
	v_add_co_u32 v6, vcc_lo, v70, v0
	v_add_co_ci_u32_e64 v7, null, v71, v1, vcc_lo
	flat_load_dwordx2 v[6:7], v[6:7]
	s_waitcnt vmcnt(0) lgkmcnt(0)
	v_mul_f64 v[6:7], s[10:11], v[6:7]
.LBB142_29:
	s_clause 0x1
	s_load_dword s12, s[4:5], 0x70
	s_load_dwordx2 s[4:5], s[4:5], 0x78
	s_waitcnt vmcnt(0)
	v_add_f64 v[2:3], v[2:3], v[6:7]
	s_waitcnt lgkmcnt(0)
	v_mad_i64_i32 v[8:9], null, v69, s12, 0
	s_lshl_b64 s[4:5], s[4:5], 3
	s_add_u32 s4, s8, s4
	s_addc_u32 s5, s9, s5
	v_lshlrev_b64 v[6:7], 3, v[8:9]
	v_add_co_u32 v72, vcc_lo, s4, v6
	v_add_co_ci_u32_e64 v73, null, s5, v7, vcc_lo
	v_add_co_u32 v6, vcc_lo, v72, v0
	v_add_co_ci_u32_e64 v7, null, v73, v1, vcc_lo
	s_and_b32 vcc_lo, exec_lo, s6
	flat_store_dwordx2 v[6:7], v[2:3]
	s_clause 0x1
	buffer_load_dword v6, off, s[0:3], 0 offset:8
	buffer_load_dword v7, off, s[0:3], 0 offset:12
	v_add_nc_u32_e32 v2, 4, v12
	v_ashrrev_i32_e32 v3, 31, v2
	v_lshlrev_b64 v[2:3], 3, v[2:3]
	s_cbranch_vccnz .LBB142_31
; %bb.30:
	v_add_co_u32 v4, vcc_lo, v70, v2
	v_add_co_ci_u32_e64 v5, null, v71, v3, vcc_lo
	flat_load_dwordx2 v[4:5], v[4:5]
	s_waitcnt vmcnt(0) lgkmcnt(0)
	v_mul_f64 v[4:5], s[10:11], v[4:5]
.LBB142_31:
	s_waitcnt vmcnt(0)
	v_add_f64 v[4:5], v[6:7], v[4:5]
	v_add_co_u32 v6, vcc_lo, v72, v2
	v_add_co_ci_u32_e64 v7, null, v73, v3, vcc_lo
	v_mov_b32_e32 v8, 0
	v_mov_b32_e32 v10, 0
	v_mov_b32_e32 v9, 0
	v_mov_b32_e32 v11, 0
	s_and_b32 vcc_lo, exec_lo, s6
	flat_store_dwordx2 v[6:7], v[4:5]
	s_clause 0x1
	buffer_load_dword v6, off, s[0:3], 0 offset:16
	buffer_load_dword v7, off, s[0:3], 0 offset:20
	v_add_nc_u32_e32 v4, 8, v12
	v_ashrrev_i32_e32 v5, 31, v4
	v_lshlrev_b64 v[4:5], 3, v[4:5]
	s_cbranch_vccnz .LBB142_33
; %bb.32:
	v_add_co_u32 v10, vcc_lo, v70, v4
	v_add_co_ci_u32_e64 v11, null, v71, v5, vcc_lo
	flat_load_dwordx2 v[10:11], v[10:11]
	s_waitcnt vmcnt(0) lgkmcnt(0)
	v_mul_f64 v[10:11], s[10:11], v[10:11]
.LBB142_33:
	s_waitcnt vmcnt(0)
	v_add_f64 v[6:7], v[6:7], v[10:11]
	v_add_co_u32 v10, vcc_lo, v72, v4
	v_add_co_ci_u32_e64 v11, null, v73, v5, vcc_lo
	s_and_b32 vcc_lo, exec_lo, s6
	flat_store_dwordx2 v[10:11], v[6:7]
	s_clause 0x1
	buffer_load_dword v10, off, s[0:3], 0 offset:24
	buffer_load_dword v11, off, s[0:3], 0 offset:28
	v_add_nc_u32_e32 v6, 12, v12
	v_ashrrev_i32_e32 v7, 31, v6
	v_lshlrev_b64 v[6:7], 3, v[6:7]
	s_cbranch_vccnz .LBB142_35
; %bb.34:
	v_add_co_u32 v8, vcc_lo, v70, v6
	v_add_co_ci_u32_e64 v9, null, v71, v7, vcc_lo
	flat_load_dwordx2 v[8:9], v[8:9]
	s_waitcnt vmcnt(0) lgkmcnt(0)
	v_mul_f64 v[8:9], s[10:11], v[8:9]
.LBB142_35:
	s_waitcnt vmcnt(0)
	v_add_f64 v[8:9], v[10:11], v[8:9]
	v_add_co_u32 v10, vcc_lo, v72, v6
	v_add_co_ci_u32_e64 v11, null, v73, v7, vcc_lo
	v_mov_b32_e32 v13, 0
	v_mov_b32_e32 v15, 0
	v_mov_b32_e32 v14, 0
	v_mov_b32_e32 v16, 0
	s_and_b32 vcc_lo, exec_lo, s6
	flat_store_dwordx2 v[10:11], v[8:9]
	s_clause 0x1
	buffer_load_dword v10, off, s[0:3], 0 offset:32
	buffer_load_dword v11, off, s[0:3], 0 offset:36
	v_add_nc_u32_e32 v8, 16, v12
	v_ashrrev_i32_e32 v9, 31, v8
	v_lshlrev_b64 v[8:9], 3, v[8:9]
	s_cbranch_vccnz .LBB142_37
; %bb.36:
	v_add_co_u32 v15, vcc_lo, v70, v8
	v_add_co_ci_u32_e64 v16, null, v71, v9, vcc_lo
	flat_load_dwordx2 v[15:16], v[15:16]
	s_waitcnt vmcnt(0) lgkmcnt(0)
	v_mul_f64 v[15:16], s[10:11], v[15:16]
.LBB142_37:
	s_waitcnt vmcnt(0)
	v_add_f64 v[10:11], v[10:11], v[15:16]
	;; [unrolled: 44-line block ×15, first 2 shown]
	v_add_co_u32 v67, vcc_lo, v72, v61
	v_add_co_ci_u32_e64 v68, null, v73, v62, vcc_lo
	s_and_b32 vcc_lo, exec_lo, s6
	flat_store_dwordx2 v[67:68], v[63:64]
	s_clause 0x1
	buffer_load_dword v67, off, s[0:3], 0 offset:248
	buffer_load_dword v68, off, s[0:3], 0 offset:252
	v_add_nc_u32_e32 v63, 0x7c, v12
	v_ashrrev_i32_e32 v64, 31, v63
	v_lshlrev_b64 v[63:64], 3, v[63:64]
	s_cbranch_vccnz .LBB142_91
; %bb.90:
	v_add_co_u32 v65, vcc_lo, v70, v63
	v_add_co_ci_u32_e64 v66, null, v71, v64, vcc_lo
	flat_load_dwordx2 v[65:66], v[65:66]
	s_waitcnt vmcnt(0) lgkmcnt(0)
	v_mul_f64 v[65:66], s[10:11], v[65:66]
.LBB142_91:
	s_waitcnt vmcnt(0)
	v_add_f64 v[65:66], v[67:68], v[65:66]
	v_add_co_u32 v67, vcc_lo, v72, v63
	v_add_co_ci_u32_e64 v68, null, v73, v64, vcc_lo
	v_add_nc_u32_e32 v72, 64, v69
	v_mov_b32_e32 v69, 0
	v_mov_b32_e32 v70, 0
	flat_store_dwordx2 v[67:68], v[65:66]
	s_clause 0x1
	buffer_load_dword v67, off, s[0:3], 0 offset:256
	buffer_load_dword v68, off, s[0:3], 0 offset:260
	v_mad_i64_i32 v[65:66], null, v72, s7, 0
	v_lshlrev_b64 v[73:74], 3, v[65:66]
	v_mov_b32_e32 v65, 0
	v_mov_b32_e32 v66, 0
	v_add_co_u32 v12, vcc_lo, s16, v73
	v_add_co_ci_u32_e64 v71, null, s17, v74, vcc_lo
	s_and_b32 vcc_lo, exec_lo, s6
	s_cbranch_vccnz .LBB142_93
; %bb.92:
	v_add_co_u32 v69, vcc_lo, v12, v0
	v_add_co_ci_u32_e64 v70, null, v71, v1, vcc_lo
	flat_load_dwordx2 v[69:70], v[69:70]
	s_waitcnt vmcnt(0) lgkmcnt(0)
	v_mul_f64 v[69:70], s[10:11], v[69:70]
.LBB142_93:
	v_mad_i64_i32 v[72:73], null, v72, s12, 0
	s_waitcnt vmcnt(0)
	v_add_f64 v[69:70], v[67:68], v[69:70]
	v_lshlrev_b64 v[67:68], 3, v[72:73]
	v_add_co_u32 v67, vcc_lo, s4, v67
	v_add_co_ci_u32_e64 v68, null, s5, v68, vcc_lo
	v_add_co_u32 v0, vcc_lo, v67, v0
	v_add_co_ci_u32_e64 v1, null, v68, v1, vcc_lo
	s_and_b32 vcc_lo, exec_lo, s6
	flat_store_dwordx2 v[0:1], v[69:70]
	s_clause 0x1
	buffer_load_dword v0, off, s[0:3], 0 offset:264
	buffer_load_dword v1, off, s[0:3], 0 offset:268
	s_cbranch_vccnz .LBB142_95
; %bb.94:
	v_add_co_u32 v65, vcc_lo, v12, v2
	v_add_co_ci_u32_e64 v66, null, v71, v3, vcc_lo
	flat_load_dwordx2 v[65:66], v[65:66]
	s_waitcnt vmcnt(0) lgkmcnt(0)
	v_mul_f64 v[65:66], s[10:11], v[65:66]
.LBB142_95:
	s_waitcnt vmcnt(0)
	v_add_f64 v[0:1], v[0:1], v[65:66]
	v_add_co_u32 v2, vcc_lo, v67, v2
	v_add_co_ci_u32_e64 v3, null, v68, v3, vcc_lo
	v_mov_b32_e32 v65, 0
	v_mov_b32_e32 v66, 0
	s_and_b32 vcc_lo, exec_lo, s6
	flat_store_dwordx2 v[2:3], v[0:1]
	s_clause 0x1
	buffer_load_dword v2, off, s[0:3], 0 offset:272
	buffer_load_dword v3, off, s[0:3], 0 offset:276
	v_mov_b32_e32 v0, 0
	v_mov_b32_e32 v1, 0
	s_cbranch_vccnz .LBB142_97
; %bb.96:
	v_add_co_u32 v65, vcc_lo, v12, v4
	v_add_co_ci_u32_e64 v66, null, v71, v5, vcc_lo
	flat_load_dwordx2 v[65:66], v[65:66]
	s_waitcnt vmcnt(0) lgkmcnt(0)
	v_mul_f64 v[65:66], s[10:11], v[65:66]
.LBB142_97:
	s_waitcnt vmcnt(0)
	v_add_f64 v[2:3], v[2:3], v[65:66]
	v_add_co_u32 v4, vcc_lo, v67, v4
	v_add_co_ci_u32_e64 v5, null, v68, v5, vcc_lo
	s_and_b32 vcc_lo, exec_lo, s6
	flat_store_dwordx2 v[4:5], v[2:3]
	s_clause 0x1
	buffer_load_dword v2, off, s[0:3], 0 offset:280
	buffer_load_dword v3, off, s[0:3], 0 offset:284
	s_cbranch_vccnz .LBB142_99
; %bb.98:
	v_add_co_u32 v0, vcc_lo, v12, v6
	v_add_co_ci_u32_e64 v1, null, v71, v7, vcc_lo
	flat_load_dwordx2 v[0:1], v[0:1]
	s_waitcnt vmcnt(0) lgkmcnt(0)
	v_mul_f64 v[0:1], s[10:11], v[0:1]
.LBB142_99:
	s_waitcnt vmcnt(0)
	v_add_f64 v[0:1], v[2:3], v[0:1]
	v_add_co_u32 v2, vcc_lo, v67, v6
	v_add_co_ci_u32_e64 v3, null, v68, v7, vcc_lo
	v_mov_b32_e32 v4, 0
	v_mov_b32_e32 v5, 0
	s_and_b32 vcc_lo, exec_lo, s6
	flat_store_dwordx2 v[2:3], v[0:1]
	s_clause 0x1
	buffer_load_dword v2, off, s[0:3], 0 offset:288
	buffer_load_dword v3, off, s[0:3], 0 offset:292
	v_mov_b32_e32 v0, 0
	v_mov_b32_e32 v1, 0
	s_cbranch_vccnz .LBB142_101
; %bb.100:
	v_add_co_u32 v4, vcc_lo, v12, v8
	v_add_co_ci_u32_e64 v5, null, v71, v9, vcc_lo
	flat_load_dwordx2 v[4:5], v[4:5]
	s_waitcnt vmcnt(0) lgkmcnt(0)
	v_mul_f64 v[4:5], s[10:11], v[4:5]
.LBB142_101:
	s_waitcnt vmcnt(0)
	v_add_f64 v[2:3], v[2:3], v[4:5]
	;; [unrolled: 38-line block ×15, first 2 shown]
	v_add_co_u32 v4, vcc_lo, v67, v61
	v_add_co_ci_u32_e64 v5, null, v68, v62, vcc_lo
	s_and_b32 vcc_lo, exec_lo, s6
	flat_store_dwordx2 v[4:5], v[2:3]
	s_clause 0x1
	buffer_load_dword v2, off, s[0:3], 0 offset:504
	buffer_load_dword v3, off, s[0:3], 0 offset:508
	s_cbranch_vccnz .LBB142_155
; %bb.154:
	v_add_co_u32 v0, vcc_lo, v12, v63
	v_add_co_ci_u32_e64 v1, null, v71, v64, vcc_lo
	flat_load_dwordx2 v[0:1], v[0:1]
	s_waitcnt vmcnt(0) lgkmcnt(0)
	v_mul_f64 v[0:1], s[10:11], v[0:1]
.LBB142_155:
	s_waitcnt vmcnt(0)
	v_add_f64 v[0:1], v[2:3], v[0:1]
	v_add_co_u32 v2, vcc_lo, v67, v63
	v_add_co_ci_u32_e64 v3, null, v68, v64, vcc_lo
	flat_store_dwordx2 v[2:3], v[0:1]
	s_endpgm
	.section	.rodata,"a",@progbits
	.p2align	6, 0x0
	.amdhsa_kernel _ZN12_GLOBAL__N_120geam_min_plus_kernelIdddLi4ELi64ELi128ELi128ELi4ELi64ELi4ELi64ELi4ELc78ELc84ELb1ELb0ELb0EdKPKdKPdEEviiiT16_PT17_ilS8_ilS6_S8_ilPT18_ili26rocblas_geam_ex_operation_
		.amdhsa_group_segment_fixed_size 16384
		.amdhsa_private_segment_fixed_size 528
		.amdhsa_kernarg_size 136
		.amdhsa_user_sgpr_count 6
		.amdhsa_user_sgpr_private_segment_buffer 1
		.amdhsa_user_sgpr_dispatch_ptr 0
		.amdhsa_user_sgpr_queue_ptr 0
		.amdhsa_user_sgpr_kernarg_segment_ptr 1
		.amdhsa_user_sgpr_dispatch_id 0
		.amdhsa_user_sgpr_flat_scratch_init 0
		.amdhsa_user_sgpr_private_segment_size 0
		.amdhsa_wavefront_size32 1
		.amdhsa_uses_dynamic_stack 0
		.amdhsa_system_sgpr_private_segment_wavefront_offset 1
		.amdhsa_system_sgpr_workgroup_id_x 1
		.amdhsa_system_sgpr_workgroup_id_y 0
		.amdhsa_system_sgpr_workgroup_id_z 1
		.amdhsa_system_sgpr_workgroup_info 0
		.amdhsa_system_vgpr_workitem_id 1
		.amdhsa_next_free_vgpr 223
		.amdhsa_next_free_sgpr 27
		.amdhsa_reserve_vcc 1
		.amdhsa_reserve_flat_scratch 1
		.amdhsa_float_round_mode_32 0
		.amdhsa_float_round_mode_16_64 0
		.amdhsa_float_denorm_mode_32 3
		.amdhsa_float_denorm_mode_16_64 3
		.amdhsa_dx10_clamp 1
		.amdhsa_ieee_mode 1
		.amdhsa_fp16_overflow 0
		.amdhsa_workgroup_processor_mode 1
		.amdhsa_memory_ordered 1
		.amdhsa_forward_progress 1
		.amdhsa_shared_vgpr_count 0
		.amdhsa_exception_fp_ieee_invalid_op 0
		.amdhsa_exception_fp_denorm_src 0
		.amdhsa_exception_fp_ieee_div_zero 0
		.amdhsa_exception_fp_ieee_overflow 0
		.amdhsa_exception_fp_ieee_underflow 0
		.amdhsa_exception_fp_ieee_inexact 0
		.amdhsa_exception_int_div_zero 0
	.end_amdhsa_kernel
	.section	.text._ZN12_GLOBAL__N_120geam_min_plus_kernelIdddLi4ELi64ELi128ELi128ELi4ELi64ELi4ELi64ELi4ELc78ELc84ELb1ELb0ELb0EdKPKdKPdEEviiiT16_PT17_ilS8_ilS6_S8_ilPT18_ili26rocblas_geam_ex_operation_,"axG",@progbits,_ZN12_GLOBAL__N_120geam_min_plus_kernelIdddLi4ELi64ELi128ELi128ELi4ELi64ELi4ELi64ELi4ELc78ELc84ELb1ELb0ELb0EdKPKdKPdEEviiiT16_PT17_ilS8_ilS6_S8_ilPT18_ili26rocblas_geam_ex_operation_,comdat
.Lfunc_end142:
	.size	_ZN12_GLOBAL__N_120geam_min_plus_kernelIdddLi4ELi64ELi128ELi128ELi4ELi64ELi4ELi64ELi4ELc78ELc84ELb1ELb0ELb0EdKPKdKPdEEviiiT16_PT17_ilS8_ilS6_S8_ilPT18_ili26rocblas_geam_ex_operation_, .Lfunc_end142-_ZN12_GLOBAL__N_120geam_min_plus_kernelIdddLi4ELi64ELi128ELi128ELi4ELi64ELi4ELi64ELi4ELc78ELc84ELb1ELb0ELb0EdKPKdKPdEEviiiT16_PT17_ilS8_ilS6_S8_ilPT18_ili26rocblas_geam_ex_operation_
                                        ; -- End function
	.set _ZN12_GLOBAL__N_120geam_min_plus_kernelIdddLi4ELi64ELi128ELi128ELi4ELi64ELi4ELi64ELi4ELc78ELc84ELb1ELb0ELb0EdKPKdKPdEEviiiT16_PT17_ilS8_ilS6_S8_ilPT18_ili26rocblas_geam_ex_operation_.num_vgpr, 223
	.set _ZN12_GLOBAL__N_120geam_min_plus_kernelIdddLi4ELi64ELi128ELi128ELi4ELi64ELi4ELi64ELi4ELc78ELc84ELb1ELb0ELb0EdKPKdKPdEEviiiT16_PT17_ilS8_ilS6_S8_ilPT18_ili26rocblas_geam_ex_operation_.num_agpr, 0
	.set _ZN12_GLOBAL__N_120geam_min_plus_kernelIdddLi4ELi64ELi128ELi128ELi4ELi64ELi4ELi64ELi4ELc78ELc84ELb1ELb0ELb0EdKPKdKPdEEviiiT16_PT17_ilS8_ilS6_S8_ilPT18_ili26rocblas_geam_ex_operation_.numbered_sgpr, 27
	.set _ZN12_GLOBAL__N_120geam_min_plus_kernelIdddLi4ELi64ELi128ELi128ELi4ELi64ELi4ELi64ELi4ELc78ELc84ELb1ELb0ELb0EdKPKdKPdEEviiiT16_PT17_ilS8_ilS6_S8_ilPT18_ili26rocblas_geam_ex_operation_.num_named_barrier, 0
	.set _ZN12_GLOBAL__N_120geam_min_plus_kernelIdddLi4ELi64ELi128ELi128ELi4ELi64ELi4ELi64ELi4ELc78ELc84ELb1ELb0ELb0EdKPKdKPdEEviiiT16_PT17_ilS8_ilS6_S8_ilPT18_ili26rocblas_geam_ex_operation_.private_seg_size, 528
	.set _ZN12_GLOBAL__N_120geam_min_plus_kernelIdddLi4ELi64ELi128ELi128ELi4ELi64ELi4ELi64ELi4ELc78ELc84ELb1ELb0ELb0EdKPKdKPdEEviiiT16_PT17_ilS8_ilS6_S8_ilPT18_ili26rocblas_geam_ex_operation_.uses_vcc, 1
	.set _ZN12_GLOBAL__N_120geam_min_plus_kernelIdddLi4ELi64ELi128ELi128ELi4ELi64ELi4ELi64ELi4ELc78ELc84ELb1ELb0ELb0EdKPKdKPdEEviiiT16_PT17_ilS8_ilS6_S8_ilPT18_ili26rocblas_geam_ex_operation_.uses_flat_scratch, 1
	.set _ZN12_GLOBAL__N_120geam_min_plus_kernelIdddLi4ELi64ELi128ELi128ELi4ELi64ELi4ELi64ELi4ELc78ELc84ELb1ELb0ELb0EdKPKdKPdEEviiiT16_PT17_ilS8_ilS6_S8_ilPT18_ili26rocblas_geam_ex_operation_.has_dyn_sized_stack, 0
	.set _ZN12_GLOBAL__N_120geam_min_plus_kernelIdddLi4ELi64ELi128ELi128ELi4ELi64ELi4ELi64ELi4ELc78ELc84ELb1ELb0ELb0EdKPKdKPdEEviiiT16_PT17_ilS8_ilS6_S8_ilPT18_ili26rocblas_geam_ex_operation_.has_recursion, 0
	.set _ZN12_GLOBAL__N_120geam_min_plus_kernelIdddLi4ELi64ELi128ELi128ELi4ELi64ELi4ELi64ELi4ELc78ELc84ELb1ELb0ELb0EdKPKdKPdEEviiiT16_PT17_ilS8_ilS6_S8_ilPT18_ili26rocblas_geam_ex_operation_.has_indirect_call, 0
	.section	.AMDGPU.csdata,"",@progbits
; Kernel info:
; codeLenInByte = 18812
; TotalNumSgprs: 29
; NumVgprs: 223
; ScratchSize: 528
; MemoryBound: 1
; FloatMode: 240
; IeeeMode: 1
; LDSByteSize: 16384 bytes/workgroup (compile time only)
; SGPRBlocks: 0
; VGPRBlocks: 27
; NumSGPRsForWavesPerEU: 29
; NumVGPRsForWavesPerEU: 223
; Occupancy: 4
; WaveLimiterHint : 1
; COMPUTE_PGM_RSRC2:SCRATCH_EN: 1
; COMPUTE_PGM_RSRC2:USER_SGPR: 6
; COMPUTE_PGM_RSRC2:TRAP_HANDLER: 0
; COMPUTE_PGM_RSRC2:TGID_X_EN: 1
; COMPUTE_PGM_RSRC2:TGID_Y_EN: 0
; COMPUTE_PGM_RSRC2:TGID_Z_EN: 1
; COMPUTE_PGM_RSRC2:TIDIG_COMP_CNT: 1
	.section	.text._ZN12_GLOBAL__N_120geam_min_plus_kernelIdddLi4ELi64ELi128ELi128ELi4ELi64ELi4ELi64ELi4ELc78ELc84ELb0ELb0ELb0EdKPKdKPdEEviiiT16_PT17_ilS8_ilS6_S8_ilPT18_ili26rocblas_geam_ex_operation_,"axG",@progbits,_ZN12_GLOBAL__N_120geam_min_plus_kernelIdddLi4ELi64ELi128ELi128ELi4ELi64ELi4ELi64ELi4ELc78ELc84ELb0ELb0ELb0EdKPKdKPdEEviiiT16_PT17_ilS8_ilS6_S8_ilPT18_ili26rocblas_geam_ex_operation_,comdat
	.globl	_ZN12_GLOBAL__N_120geam_min_plus_kernelIdddLi4ELi64ELi128ELi128ELi4ELi64ELi4ELi64ELi4ELc78ELc84ELb0ELb0ELb0EdKPKdKPdEEviiiT16_PT17_ilS8_ilS6_S8_ilPT18_ili26rocblas_geam_ex_operation_ ; -- Begin function _ZN12_GLOBAL__N_120geam_min_plus_kernelIdddLi4ELi64ELi128ELi128ELi4ELi64ELi4ELi64ELi4ELc78ELc84ELb0ELb0ELb0EdKPKdKPdEEviiiT16_PT17_ilS8_ilS6_S8_ilPT18_ili26rocblas_geam_ex_operation_
	.p2align	8
	.type	_ZN12_GLOBAL__N_120geam_min_plus_kernelIdddLi4ELi64ELi128ELi128ELi4ELi64ELi4ELi64ELi4ELc78ELc84ELb0ELb0ELb0EdKPKdKPdEEviiiT16_PT17_ilS8_ilS6_S8_ilPT18_ili26rocblas_geam_ex_operation_,@function
_ZN12_GLOBAL__N_120geam_min_plus_kernelIdddLi4ELi64ELi128ELi128ELi4ELi64ELi4ELi64ELi4ELc78ELc84ELb0ELb0ELb0EdKPKdKPdEEviiiT16_PT17_ilS8_ilS6_S8_ilPT18_ili26rocblas_geam_ex_operation_: ; @_ZN12_GLOBAL__N_120geam_min_plus_kernelIdddLi4ELi64ELi128ELi128ELi4ELi64ELi4ELi64ELi4ELc78ELc84ELb0ELb0ELb0EdKPKdKPdEEviiiT16_PT17_ilS8_ilS6_S8_ilPT18_ili26rocblas_geam_ex_operation_
; %bb.0:
	s_clause 0x1
	s_load_dwordx4 s[12:15], s[4:5], 0x10
	s_load_dwordx4 s[16:19], s[4:5], 0x28
	s_mov_b32 s24, s7
	s_add_u32 s0, s0, s8
	s_addc_u32 s1, s1, 0
	s_mov_b64 s[20:21], 0
	s_waitcnt lgkmcnt(0)
	v_cmp_eq_f64_e64 s7, s[12:13], 0
	s_and_b32 vcc_lo, exec_lo, s7
	s_cbranch_vccnz .LBB143_2
; %bb.1:
	s_mov_b32 s25, 0
	s_lshl_b64 s[8:9], s[24:25], 3
	s_add_u32 s8, s14, s8
	s_addc_u32 s9, s15, s9
	s_lshl_b64 s[10:11], s[16:17], 3
	s_load_dwordx2 s[8:9], s[8:9], 0x0
	s_waitcnt lgkmcnt(0)
	s_add_u32 s20, s8, s10
	s_addc_u32 s21, s9, s11
.LBB143_2:
	s_clause 0x1
	s_load_dwordx4 s[8:11], s[4:5], 0x40
	s_load_dwordx2 s[26:27], s[4:5], 0x50
	s_andn2_b32 vcc_lo, exec_lo, s7
	s_mov_b32 s25, 0
	s_cbranch_vccnz .LBB143_4
; %bb.3:
	s_mov_b32 s7, s25
	s_mov_b64 s[14:15], 0
	s_andn2_b32 vcc_lo, exec_lo, s7
	s_mov_b64 s[22:23], 0
	s_cbranch_vccz .LBB143_5
	s_branch .LBB143_6
.LBB143_4:
	s_mov_b64 s[14:15], 0
	s_mov_b64 s[22:23], 0
.LBB143_5:
	s_lshl_b64 s[16:17], s[24:25], 3
	s_add_u32 s16, s18, s16
	s_addc_u32 s17, s19, s17
	s_waitcnt lgkmcnt(0)
	s_lshl_b64 s[8:9], s[8:9], 3
	s_load_dwordx2 s[16:17], s[16:17], 0x0
	s_waitcnt lgkmcnt(0)
	s_add_u32 s22, s16, s8
	s_addc_u32 s23, s17, s9
.LBB143_6:
	s_waitcnt lgkmcnt(0)
	v_cmp_eq_f64_e64 s7, s[10:11], 0
	v_cmp_neq_f64_e64 s28, s[12:13], 0
	s_load_dwordx4 s[16:19], s[4:5], 0x60
	s_and_b32 vcc_lo, exec_lo, s7
	s_cbranch_vccnz .LBB143_8
; %bb.7:
	s_lshl_b64 s[8:9], s[24:25], 3
	s_add_u32 s8, s26, s8
	s_addc_u32 s9, s27, s9
	s_waitcnt lgkmcnt(0)
	s_lshl_b64 s[14:15], s[16:17], 3
	s_load_dwordx2 s[8:9], s[8:9], 0x0
	s_waitcnt lgkmcnt(0)
	s_add_u32 s14, s8, s14
	s_addc_u32 s15, s9, s15
.LBB143_8:
	s_clause 0x1
	s_load_dword s26, s[4:5], 0x20
	s_load_dword s7, s[4:5], 0x0
	s_lshl_b64 s[8:9], s[24:25], 3
	v_lshl_add_u32 v2, v1, 2, v0
	v_mov_b32_e32 v8, 0
	buffer_store_dword v8, off, s[0:3], 0 offset:4
	buffer_store_dword v8, off, s[0:3], 0
	buffer_store_dword v8, off, s[0:3], 0 offset:12
	buffer_store_dword v8, off, s[0:3], 0 offset:8
	;; [unrolled: 1-line block ×10, first 2 shown]
	v_and_b32_e32 v88, 63, v2
	v_lshrrev_b32_e32 v82, 6, v2
	buffer_store_dword v8, off, s[0:3], 0 offset:52
	buffer_store_dword v8, off, s[0:3], 0 offset:48
	;; [unrolled: 1-line block ×19, first 2 shown]
	s_waitcnt lgkmcnt(0)
	s_ashr_i32 s24, s26, 31
	s_add_u32 s8, s18, s8
	s_addc_u32 s9, s19, s9
	s_add_i32 s7, s7, -1
	buffer_store_dword v8, off, s[0:3], 0 offset:120
	buffer_store_dword v8, off, s[0:3], 0 offset:132
	;; [unrolled: 1-line block ×4, first 2 shown]
	s_ashr_i32 s16, s7, 31
	buffer_store_dword v8, off, s[0:3], 0 offset:136
	buffer_store_dword v8, off, s[0:3], 0 offset:148
	;; [unrolled: 1-line block ×4, first 2 shown]
	s_lshr_b32 s16, s16, 25
	buffer_store_dword v8, off, s[0:3], 0 offset:152
	buffer_store_dword v8, off, s[0:3], 0 offset:164
	s_add_i32 s7, s7, s16
	s_load_dwordx2 s[8:9], s[8:9], 0x0
	s_ashr_i32 s7, s7, 7
	v_cndmask_b32_e64 v4, 0, 1, s28
	s_add_i32 s17, s7, 1
	s_not_b32 s7, s7
	v_cvt_f32_u32_e32 v2, s17
	v_mov_b32_e32 v18, 0
	v_mov_b32_e32 v19, 0
	buffer_store_dword v8, off, s[0:3], 0 offset:160
	buffer_store_dword v8, off, s[0:3], 0 offset:172
	v_rcp_iflag_f32_e32 v2, v2
	buffer_store_dword v8, off, s[0:3], 0 offset:168
	buffer_store_dword v8, off, s[0:3], 0 offset:180
	;; [unrolled: 1-line block ×80, first 2 shown]
	v_mul_f32_e32 v2, 0x4f7ffffe, v2
	buffer_store_dword v8, off, s[0:3], 0 offset:488
	buffer_store_dword v8, off, s[0:3], 0 offset:500
	;; [unrolled: 1-line block ×5, first 2 shown]
	v_cvt_u32_f32_e32 v2, v2
	v_readfirstlane_b32 s16, v2
	v_mov_b32_e32 v2, 0
	v_mov_b32_e32 v3, 0
	s_mul_i32 s7, s7, s16
	s_mul_hi_u32 s7, s16, s7
	s_add_i32 s16, s16, s7
	s_mul_hi_u32 s7, s6, s16
	s_mul_i32 s16, s7, s17
	s_add_i32 s18, s7, 1
	s_sub_i32 s16, s6, s16
	s_sub_i32 s19, s16, s17
	s_cmp_ge_u32 s16, s17
	s_cselect_b32 s7, s18, s7
	s_cselect_b32 s16, s19, s16
	s_add_i32 s18, s7, 1
	s_cmp_ge_u32 s16, s17
	s_cselect_b32 s16, s18, s7
	s_andn2_b32 vcc_lo, exec_lo, s28
	s_mul_i32 s7, s16, s17
	s_sub_i32 s6, s6, s7
	s_lshl_b32 s7, s6, 7
	v_cmp_ne_u32_e64 s6, 1, v4
	v_or_b32_e32 v6, s7, v88
	v_mov_b32_e32 v4, 0
	v_mov_b32_e32 v5, 0
	v_ashrrev_i32_e32 v7, 31, v6
	s_cbranch_vccnz .LBB143_10
; %bb.9:
	v_mad_i64_i32 v[4:5], null, s26, v82, 0
	v_lshlrev_b64 v[8:9], 3, v[6:7]
	v_lshlrev_b64 v[4:5], 3, v[4:5]
	v_add_co_u32 v4, vcc_lo, s20, v4
	v_add_co_ci_u32_e64 v5, null, s21, v5, vcc_lo
	v_add_co_u32 v4, vcc_lo, v4, v8
	v_add_co_ci_u32_e64 v5, null, v5, v9, vcc_lo
	s_clause 0x1
	flat_load_dwordx2 v[8:9], v[4:5]
	flat_load_dwordx2 v[10:11], v[4:5] offset:512
	s_waitcnt vmcnt(1) lgkmcnt(0)
	v_mul_f64 v[4:5], s[12:13], v[8:9]
	s_waitcnt vmcnt(0)
	v_mul_f64 v[18:19], s[12:13], v[10:11]
.LBB143_10:
	s_load_dword s19, s[4:5], 0x38
	s_lshl_b32 s16, s16, 7
	v_mov_b32_e32 v20, 0
	v_or_b32_e32 v8, s16, v88
	v_mov_b32_e32 v21, 0
	s_and_b32 vcc_lo, exec_lo, s6
	v_ashrrev_i32_e32 v9, 31, v8
	s_waitcnt lgkmcnt(0)
	s_ashr_i32 s25, s19, 31
	s_cbranch_vccnz .LBB143_12
; %bb.11:
	v_mad_i64_i32 v[2:3], null, s19, v82, 0
	v_lshlrev_b64 v[10:11], 3, v[8:9]
	v_lshlrev_b64 v[2:3], 3, v[2:3]
	v_add_co_u32 v2, vcc_lo, s22, v2
	v_add_co_ci_u32_e64 v3, null, s23, v3, vcc_lo
	v_add_co_u32 v2, vcc_lo, v2, v10
	v_add_co_ci_u32_e64 v3, null, v3, v11, vcc_lo
	s_clause 0x1
	flat_load_dwordx2 v[10:11], v[2:3]
	flat_load_dwordx2 v[12:13], v[2:3] offset:512
	s_waitcnt vmcnt(1) lgkmcnt(1)
	v_mul_f64 v[2:3], s[12:13], v[10:11]
	s_waitcnt vmcnt(0) lgkmcnt(0)
	v_mul_f64 v[20:21], s[12:13], v[12:13]
.LBB143_12:
	v_mov_b32_e32 v10, 0
	v_mov_b32_e32 v12, 0
	;; [unrolled: 1-line block ×6, first 2 shown]
	v_add_nc_u32_e32 v83, 4, v82
	s_and_b32 vcc_lo, exec_lo, s6
	s_cbranch_vccnz .LBB143_14
; %bb.13:
	v_mad_i64_i32 v[12:13], null, s26, v83, 0
	v_lshlrev_b64 v[14:15], 3, v[6:7]
	v_lshlrev_b64 v[12:13], 3, v[12:13]
	v_add_co_u32 v12, vcc_lo, s20, v12
	v_add_co_ci_u32_e64 v13, null, s21, v13, vcc_lo
	v_add_co_u32 v12, vcc_lo, v12, v14
	v_add_co_ci_u32_e64 v13, null, v13, v15, vcc_lo
	s_clause 0x1
	flat_load_dwordx2 v[14:15], v[12:13]
	flat_load_dwordx2 v[16:17], v[12:13] offset:512
	s_waitcnt vmcnt(1) lgkmcnt(1)
	v_mul_f64 v[12:13], s[12:13], v[14:15]
	s_waitcnt vmcnt(0) lgkmcnt(0)
	v_mul_f64 v[14:15], s[12:13], v[16:17]
.LBB143_14:
	v_mov_b32_e32 v16, 0
	v_mov_b32_e32 v17, 0
	s_and_b32 vcc_lo, exec_lo, s6
	s_cbranch_vccnz .LBB143_16
; %bb.15:
	v_mad_i64_i32 v[10:11], null, s19, v83, 0
	v_lshlrev_b64 v[16:17], 3, v[8:9]
	v_lshlrev_b64 v[10:11], 3, v[10:11]
	v_add_co_u32 v10, vcc_lo, s22, v10
	v_add_co_ci_u32_e64 v11, null, s23, v11, vcc_lo
	v_add_co_u32 v10, vcc_lo, v10, v16
	v_add_co_ci_u32_e64 v11, null, v11, v17, vcc_lo
	s_clause 0x1
	flat_load_dwordx2 v[16:17], v[10:11]
	flat_load_dwordx2 v[22:23], v[10:11] offset:512
	s_waitcnt vmcnt(1) lgkmcnt(1)
	v_mul_f64 v[10:11], s[12:13], v[16:17]
	s_waitcnt vmcnt(0) lgkmcnt(0)
	v_mul_f64 v[16:17], s[12:13], v[22:23]
.LBB143_16:
	v_cmp_neq_f64_e64 s17, s[10:11], 0
	v_lshlrev_b32_e32 v22, 5, v88
	v_lshlrev_b32_e32 v86, 5, v0
	v_lshl_or_b32 v87, v1, 5, 0x2000
	s_mov_b32 s18, 0
	s_mov_b32 s27, 0
	v_lshl_add_u32 v84, v82, 3, v22
	s_addk_i32 s18, 0x100
	v_or_b32_e32 v85, 0x2000, v84
	ds_write2st64_b64 v84, v[4:5], v[18:19] offset1:4
	ds_write2st64_b64 v84, v[2:3], v[20:21] offset0:16 offset1:20
	s_waitcnt lgkmcnt(0)
	s_waitcnt_vscnt null, 0x0
	s_barrier
	buffer_gl0_inv
.LBB143_17:                             ; =>This Loop Header: Depth=1
                                        ;     Child Loop BB143_18 Depth 2
	s_lshl_b32 s28, s27, 3
	s_mov_b32 s29, 0
	v_add_nc_u32_e32 v18, s28, v86
	v_add_nc_u32_e32 v89, s28, v87
	s_mov_b32 s28, -1
	ds_read2_b64 v[2:5], v18 offset1:16
	ds_read2_b64 v[22:25], v18 offset0:32 offset1:48
	ds_read2_b64 v[26:29], v18 offset0:64 offset1:80
	;; [unrolled: 1-line block ×4, first 2 shown]
	v_add_nc_u32_e32 v78, 0x800, v18
	ds_read2_b64 v[38:41], v18 offset0:160 offset1:176
	ds_read2_b64 v[42:45], v18 offset0:192 offset1:208
	;; [unrolled: 1-line block ×3, first 2 shown]
	ds_read2_b64 v[50:53], v78 offset1:16
	ds_read2_b64 v[54:57], v78 offset0:32 offset1:48
	ds_read2_b64 v[58:61], v78 offset0:64 offset1:80
	;; [unrolled: 1-line block ×6, first 2 shown]
	s_waitcnt lgkmcnt(9)
	v_max_f64 v[38:39], v[38:39], v[38:39]
	v_max_f64 v[40:41], v[40:41], v[40:41]
	;; [unrolled: 1-line block ×4, first 2 shown]
	ds_read2_b64 v[2:5], v78 offset0:224 offset1:240
	v_max_f64 v[22:23], v[22:23], v[22:23]
	v_max_f64 v[24:25], v[24:25], v[24:25]
	;; [unrolled: 1-line block ×8, first 2 shown]
	s_waitcnt lgkmcnt(9)
	v_max_f64 v[42:43], v[42:43], v[42:43]
	v_max_f64 v[44:45], v[44:45], v[44:45]
	s_waitcnt lgkmcnt(8)
	v_max_f64 v[46:47], v[46:47], v[46:47]
	v_max_f64 v[48:49], v[48:49], v[48:49]
	;; [unrolled: 3-line block ×10, first 2 shown]
	ds_read2st64_b64 v[2:5], v89 offset1:4
.LBB143_18:                             ;   Parent Loop BB143_17 Depth=1
                                        ; =>  This Inner Loop Header: Depth=2
	v_mov_b32_e32 v217, s29
	s_waitcnt lgkmcnt(0)
	v_max_f64 v[153:154], v[2:3], v[2:3]
	v_mov_b32_e32 v2, v4
	v_mov_b32_e32 v3, v5
	s_and_b32 vcc_lo, exec_lo, s28
	s_clause 0x3e
	buffer_load_dword v89, v217, s[0:3], 0 offen
	buffer_load_dword v90, v217, s[0:3], 0 offen offset:4
	buffer_load_dword v91, v217, s[0:3], 0 offen offset:8
	;; [unrolled: 1-line block ×63, first 2 shown]
	s_mov_b32 s28, 0
	s_mov_b32 s29, s18
	v_min_f64 v[155:156], v[18:19], v[153:154]
	v_min_f64 v[157:158], v[20:21], v[153:154]
	;; [unrolled: 1-line block ×32, first 2 shown]
	s_waitcnt vmcnt(62)
	v_add_f64 v[89:90], v[155:156], v[89:90]
	s_waitcnt vmcnt(60)
	v_add_f64 v[91:92], v[157:158], v[91:92]
	;; [unrolled: 2-line block ×32, first 2 shown]
	buffer_store_dword v89, v217, s[0:3], 0 offen
	buffer_store_dword v90, v217, s[0:3], 0 offen offset:4
	buffer_store_dword v91, v217, s[0:3], 0 offen offset:8
	;; [unrolled: 1-line block ×63, first 2 shown]
	s_cbranch_vccnz .LBB143_18
; %bb.19:                               ;   in Loop: Header=BB143_17 Depth=1
	s_add_i32 s27, s27, 1
	s_cmp_eq_u32 s27, 4
	s_cbranch_scc0 .LBB143_17
; %bb.20:
	s_load_dword s27, s[4:5], 0x8
	v_lshlrev_b32_e32 v2, 3, v82
	v_lshl_add_u32 v78, v0, 5, 0x1000
	v_lshl_add_u32 v79, v1, 5, 0x3000
	v_lshl_add_u32 v2, v88, 5, v2
	ds_write2st64_b64 v2, v[12:13], v[14:15] offset0:8 offset1:12
	ds_write2st64_b64 v2, v[10:11], v[16:17] offset0:24 offset1:28
	s_waitcnt lgkmcnt(0)
	s_waitcnt_vscnt null, 0x0
	s_barrier
	buffer_gl0_inv
	s_cmp_lt_i32 s27, 9
	s_cbranch_scc1 .LBB143_39
; %bb.21:
	v_lshlrev_b64 v[3:4], 3, v[6:7]
	v_lshlrev_b64 v[5:6], 3, v[8:9]
	v_or_b32_e32 v80, 0x1000, v2
	v_or_b32_e32 v81, 0x3000, v2
	v_add_co_u32 v88, vcc_lo, s20, v3
	v_add_co_ci_u32_e64 v89, null, s21, v4, vcc_lo
	v_add_co_u32 v90, vcc_lo, s22, v5
	v_add_co_ci_u32_e64 v91, null, s23, v6, vcc_lo
	s_add_i32 s20, s27, -8
	s_mov_b32 s21, 8
	s_mov_b32 s22, 0
.LBB143_22:                             ; =>This Loop Header: Depth=1
                                        ;     Child Loop BB143_27 Depth 2
                                        ;       Child Loop BB143_28 Depth 3
                                        ;     Child Loop BB143_35 Depth 2
                                        ;       Child Loop BB143_36 Depth 3
	v_mov_b32_e32 v6, 0
	v_mov_b32_e32 v8, 0
	;; [unrolled: 1-line block ×6, first 2 shown]
	v_add_nc_u32_e32 v2, s21, v82
	s_and_b32 vcc_lo, exec_lo, s6
	s_cbranch_vccnz .LBB143_24
; %bb.23:                               ;   in Loop: Header=BB143_22 Depth=1
	v_mad_u64_u32 v[3:4], null, v2, s26, 0
	v_mad_u64_u32 v[4:5], null, v2, s24, v[4:5]
	v_lshlrev_b64 v[3:4], 3, v[3:4]
	v_add_co_u32 v3, vcc_lo, v88, v3
	v_add_co_ci_u32_e64 v4, null, v89, v4, vcc_lo
	s_clause 0x1
	flat_load_dwordx2 v[8:9], v[3:4]
	flat_load_dwordx2 v[3:4], v[3:4] offset:512
	s_waitcnt vmcnt(1) lgkmcnt(1)
	v_mul_f64 v[8:9], s[12:13], v[8:9]
	s_waitcnt vmcnt(0) lgkmcnt(0)
	v_mul_f64 v[10:11], s[12:13], v[3:4]
.LBB143_24:                             ;   in Loop: Header=BB143_22 Depth=1
	v_mov_b32_e32 v12, 0
	v_mov_b32_e32 v13, 0
	s_and_b32 vcc_lo, exec_lo, s6
	s_cbranch_vccnz .LBB143_26
; %bb.25:                               ;   in Loop: Header=BB143_22 Depth=1
	v_mad_u64_u32 v[3:4], null, v2, s19, 0
	v_mad_u64_u32 v[4:5], null, v2, s25, v[4:5]
	v_lshlrev_b64 v[2:3], 3, v[3:4]
	v_add_co_u32 v2, vcc_lo, v90, v2
	v_add_co_ci_u32_e64 v3, null, v91, v3, vcc_lo
	s_clause 0x1
	flat_load_dwordx2 v[4:5], v[2:3]
	flat_load_dwordx2 v[2:3], v[2:3] offset:512
	s_waitcnt vmcnt(1) lgkmcnt(1)
	v_mul_f64 v[6:7], s[12:13], v[4:5]
	s_waitcnt vmcnt(0) lgkmcnt(0)
	v_mul_f64 v[12:13], s[12:13], v[2:3]
.LBB143_26:                             ;   in Loop: Header=BB143_22 Depth=1
	s_mov_b32 s23, 0
.LBB143_27:                             ;   Parent Loop BB143_22 Depth=1
                                        ; =>  This Loop Header: Depth=2
                                        ;       Child Loop BB143_28 Depth 3
	s_lshl_b32 s27, s23, 3
	s_mov_b32 s28, 0
	v_add_nc_u32_e32 v14, s27, v78
	v_add_nc_u32_e32 v92, s27, v79
	s_mov_b32 s27, -1
	ds_read2_b64 v[2:5], v14 offset1:16
	ds_read2_b64 v[18:21], v14 offset0:32 offset1:48
	ds_read2_b64 v[22:25], v14 offset0:64 offset1:80
	v_add_nc_u32_e32 v15, 0x800, v14
	ds_read2_b64 v[26:29], v14 offset0:96 offset1:112
	ds_read2_b64 v[30:33], v14 offset0:128 offset1:144
	;; [unrolled: 1-line block ×5, first 2 shown]
	ds_read2_b64 v[46:49], v15 offset1:16
	ds_read2_b64 v[50:53], v15 offset0:32 offset1:48
	ds_read2_b64 v[54:57], v15 offset0:64 offset1:80
	;; [unrolled: 1-line block ×7, first 2 shown]
	s_waitcnt lgkmcnt(11)
	v_max_f64 v[30:31], v[30:31], v[30:31]
	v_max_f64 v[32:33], v[32:33], v[32:33]
	s_waitcnt lgkmcnt(10)
	v_max_f64 v[34:35], v[34:35], v[34:35]
	v_max_f64 v[36:37], v[36:37], v[36:37]
	;; [unrolled: 3-line block ×3, first 2 shown]
	v_max_f64 v[14:15], v[2:3], v[2:3]
	v_max_f64 v[16:17], v[4:5], v[4:5]
	;; [unrolled: 1-line block ×8, first 2 shown]
	s_waitcnt lgkmcnt(8)
	v_max_f64 v[42:43], v[42:43], v[42:43]
	v_max_f64 v[44:45], v[44:45], v[44:45]
	s_waitcnt lgkmcnt(7)
	v_max_f64 v[46:47], v[46:47], v[46:47]
	v_max_f64 v[48:49], v[48:49], v[48:49]
	;; [unrolled: 3-line block ×9, first 2 shown]
	ds_read2st64_b64 v[2:5], v92 offset1:4
.LBB143_28:                             ;   Parent Loop BB143_22 Depth=1
                                        ;     Parent Loop BB143_27 Depth=2
                                        ; =>    This Inner Loop Header: Depth=3
	v_mov_b32_e32 v220, s28
	s_waitcnt lgkmcnt(0)
	v_max_f64 v[156:157], v[2:3], v[2:3]
	v_mov_b32_e32 v2, v4
	v_mov_b32_e32 v3, v5
	s_and_b32 vcc_lo, exec_lo, s27
	s_clause 0x3e
	buffer_load_dword v92, v220, s[0:3], 0 offen
	buffer_load_dword v93, v220, s[0:3], 0 offen offset:4
	buffer_load_dword v94, v220, s[0:3], 0 offen offset:8
	;; [unrolled: 1-line block ×63, first 2 shown]
	s_mov_b32 s27, 0
	s_mov_b32 s28, s18
	v_min_f64 v[158:159], v[14:15], v[156:157]
	v_min_f64 v[160:161], v[16:17], v[156:157]
	;; [unrolled: 1-line block ×32, first 2 shown]
	s_waitcnt vmcnt(62)
	v_add_f64 v[92:93], v[158:159], v[92:93]
	s_waitcnt vmcnt(60)
	v_add_f64 v[94:95], v[160:161], v[94:95]
	s_waitcnt vmcnt(58)
	v_add_f64 v[96:97], v[162:163], v[96:97]
	s_waitcnt vmcnt(56)
	v_add_f64 v[98:99], v[164:165], v[98:99]
	s_waitcnt vmcnt(54)
	v_add_f64 v[100:101], v[166:167], v[100:101]
	s_waitcnt vmcnt(52)
	v_add_f64 v[102:103], v[168:169], v[102:103]
	s_waitcnt vmcnt(50)
	v_add_f64 v[104:105], v[170:171], v[104:105]
	s_waitcnt vmcnt(48)
	v_add_f64 v[106:107], v[172:173], v[106:107]
	s_waitcnt vmcnt(45)
	v_add_f64 v[110:111], v[176:177], v[110:111]
	s_waitcnt vmcnt(43)
	v_add_f64 v[112:113], v[178:179], v[112:113]
	s_waitcnt vmcnt(41)
	v_add_f64 v[114:115], v[180:181], v[114:115]
	s_waitcnt vmcnt(40)
	v_add_f64 v[108:109], v[174:175], v[108:109]
	s_waitcnt vmcnt(38)
	v_add_f64 v[116:117], v[182:183], v[116:117]
	s_waitcnt vmcnt(36)
	v_add_f64 v[118:119], v[184:185], v[118:119]
	s_waitcnt vmcnt(34)
	v_add_f64 v[120:121], v[186:187], v[120:121]
	s_waitcnt vmcnt(32)
	v_add_f64 v[122:123], v[188:189], v[122:123]
	s_waitcnt vmcnt(30)
	v_add_f64 v[124:125], v[190:191], v[124:125]
	s_waitcnt vmcnt(28)
	v_add_f64 v[126:127], v[192:193], v[126:127]
	s_waitcnt vmcnt(26)
	v_add_f64 v[128:129], v[194:195], v[128:129]
	s_waitcnt vmcnt(24)
	v_add_f64 v[130:131], v[196:197], v[130:131]
	s_waitcnt vmcnt(22)
	v_add_f64 v[132:133], v[198:199], v[132:133]
	s_waitcnt vmcnt(20)
	v_add_f64 v[134:135], v[200:201], v[134:135]
	s_waitcnt vmcnt(18)
	v_add_f64 v[136:137], v[202:203], v[136:137]
	s_waitcnt vmcnt(16)
	v_add_f64 v[138:139], v[204:205], v[138:139]
	s_waitcnt vmcnt(14)
	v_add_f64 v[140:141], v[206:207], v[140:141]
	s_waitcnt vmcnt(12)
	v_add_f64 v[142:143], v[208:209], v[142:143]
	s_waitcnt vmcnt(10)
	v_add_f64 v[144:145], v[210:211], v[144:145]
	s_waitcnt vmcnt(8)
	v_add_f64 v[146:147], v[212:213], v[146:147]
	s_waitcnt vmcnt(6)
	v_add_f64 v[148:149], v[214:215], v[148:149]
	s_waitcnt vmcnt(4)
	v_add_f64 v[150:151], v[216:217], v[150:151]
	s_waitcnt vmcnt(2)
	v_add_f64 v[152:153], v[218:219], v[152:153]
	s_waitcnt vmcnt(0)
	v_add_f64 v[154:155], v[156:157], v[154:155]
	buffer_store_dword v92, v220, s[0:3], 0 offen
	buffer_store_dword v93, v220, s[0:3], 0 offen offset:4
	buffer_store_dword v94, v220, s[0:3], 0 offen offset:8
	buffer_store_dword v95, v220, s[0:3], 0 offen offset:12
	buffer_store_dword v96, v220, s[0:3], 0 offen offset:16
	buffer_store_dword v97, v220, s[0:3], 0 offen offset:20
	buffer_store_dword v98, v220, s[0:3], 0 offen offset:24
	buffer_store_dword v99, v220, s[0:3], 0 offen offset:28
	buffer_store_dword v100, v220, s[0:3], 0 offen offset:32
	buffer_store_dword v101, v220, s[0:3], 0 offen offset:36
	buffer_store_dword v102, v220, s[0:3], 0 offen offset:40
	buffer_store_dword v103, v220, s[0:3], 0 offen offset:44
	buffer_store_dword v104, v220, s[0:3], 0 offen offset:48
	buffer_store_dword v105, v220, s[0:3], 0 offen offset:52
	buffer_store_dword v106, v220, s[0:3], 0 offen offset:56
	buffer_store_dword v107, v220, s[0:3], 0 offen offset:60
	buffer_store_dword v109, v220, s[0:3], 0 offen offset:68
	buffer_store_dword v108, v220, s[0:3], 0 offen offset:64
	buffer_store_dword v111, v220, s[0:3], 0 offen offset:76
	buffer_store_dword v110, v220, s[0:3], 0 offen offset:72
	buffer_store_dword v113, v220, s[0:3], 0 offen offset:84
	buffer_store_dword v112, v220, s[0:3], 0 offen offset:80
	buffer_store_dword v115, v220, s[0:3], 0 offen offset:92
	buffer_store_dword v114, v220, s[0:3], 0 offen offset:88
	buffer_store_dword v117, v220, s[0:3], 0 offen offset:100
	buffer_store_dword v116, v220, s[0:3], 0 offen offset:96
	buffer_store_dword v119, v220, s[0:3], 0 offen offset:108
	buffer_store_dword v118, v220, s[0:3], 0 offen offset:104
	buffer_store_dword v121, v220, s[0:3], 0 offen offset:116
	buffer_store_dword v120, v220, s[0:3], 0 offen offset:112
	buffer_store_dword v123, v220, s[0:3], 0 offen offset:124
	buffer_store_dword v122, v220, s[0:3], 0 offen offset:120
	buffer_store_dword v125, v220, s[0:3], 0 offen offset:132
	buffer_store_dword v124, v220, s[0:3], 0 offen offset:128
	buffer_store_dword v127, v220, s[0:3], 0 offen offset:140
	buffer_store_dword v126, v220, s[0:3], 0 offen offset:136
	buffer_store_dword v129, v220, s[0:3], 0 offen offset:148
	buffer_store_dword v128, v220, s[0:3], 0 offen offset:144
	buffer_store_dword v131, v220, s[0:3], 0 offen offset:156
	buffer_store_dword v130, v220, s[0:3], 0 offen offset:152
	buffer_store_dword v133, v220, s[0:3], 0 offen offset:164
	buffer_store_dword v132, v220, s[0:3], 0 offen offset:160
	buffer_store_dword v135, v220, s[0:3], 0 offen offset:172
	buffer_store_dword v134, v220, s[0:3], 0 offen offset:168
	buffer_store_dword v137, v220, s[0:3], 0 offen offset:180
	buffer_store_dword v136, v220, s[0:3], 0 offen offset:176
	buffer_store_dword v139, v220, s[0:3], 0 offen offset:188
	buffer_store_dword v138, v220, s[0:3], 0 offen offset:184
	buffer_store_dword v141, v220, s[0:3], 0 offen offset:196
	buffer_store_dword v140, v220, s[0:3], 0 offen offset:192
	buffer_store_dword v143, v220, s[0:3], 0 offen offset:204
	buffer_store_dword v142, v220, s[0:3], 0 offen offset:200
	buffer_store_dword v145, v220, s[0:3], 0 offen offset:212
	buffer_store_dword v144, v220, s[0:3], 0 offen offset:208
	buffer_store_dword v147, v220, s[0:3], 0 offen offset:220
	buffer_store_dword v146, v220, s[0:3], 0 offen offset:216
	buffer_store_dword v149, v220, s[0:3], 0 offen offset:228
	buffer_store_dword v148, v220, s[0:3], 0 offen offset:224
	buffer_store_dword v151, v220, s[0:3], 0 offen offset:236
	buffer_store_dword v150, v220, s[0:3], 0 offen offset:232
	buffer_store_dword v153, v220, s[0:3], 0 offen offset:244
	buffer_store_dword v152, v220, s[0:3], 0 offen offset:240
	buffer_store_dword v155, v220, s[0:3], 0 offen offset:252
	buffer_store_dword v154, v220, s[0:3], 0 offen offset:248
	s_cbranch_vccnz .LBB143_28
; %bb.29:                               ;   in Loop: Header=BB143_27 Depth=2
	s_add_i32 s23, s23, 1
	s_cmp_eq_u32 s23, 4
	s_cbranch_scc0 .LBB143_27
; %bb.30:                               ;   in Loop: Header=BB143_22 Depth=1
	v_mov_b32_e32 v70, 0
	v_mov_b32_e32 v72, 0
	;; [unrolled: 1-line block ×6, first 2 shown]
	v_add_nc_u32_e32 v2, s21, v83
	s_and_b32 vcc_lo, exec_lo, s6
	ds_write2st64_b64 v84, v[8:9], v[10:11] offset1:4
	ds_write2st64_b64 v85, v[6:7], v[12:13] offset1:4
	s_waitcnt lgkmcnt(0)
	s_waitcnt_vscnt null, 0x0
	s_barrier
	buffer_gl0_inv
	s_cbranch_vccnz .LBB143_32
; %bb.31:                               ;   in Loop: Header=BB143_22 Depth=1
	v_mad_u64_u32 v[3:4], null, v2, s26, 0
	v_mad_u64_u32 v[4:5], null, v2, s24, v[4:5]
	v_lshlrev_b64 v[3:4], 3, v[3:4]
	v_add_co_u32 v3, vcc_lo, v88, v3
	v_add_co_ci_u32_e64 v4, null, v89, v4, vcc_lo
	s_clause 0x1
	flat_load_dwordx2 v[5:6], v[3:4]
	flat_load_dwordx2 v[3:4], v[3:4] offset:512
	s_waitcnt vmcnt(1) lgkmcnt(1)
	v_mul_f64 v[72:73], s[12:13], v[5:6]
	s_waitcnt vmcnt(0) lgkmcnt(0)
	v_mul_f64 v[74:75], s[12:13], v[3:4]
.LBB143_32:                             ;   in Loop: Header=BB143_22 Depth=1
	v_mov_b32_e32 v76, 0
	v_mov_b32_e32 v77, 0
	s_and_b32 vcc_lo, exec_lo, s6
	s_cbranch_vccnz .LBB143_34
; %bb.33:                               ;   in Loop: Header=BB143_22 Depth=1
	v_mad_u64_u32 v[3:4], null, v2, s19, 0
	v_mad_u64_u32 v[4:5], null, v2, s25, v[4:5]
	v_lshlrev_b64 v[2:3], 3, v[3:4]
	v_add_co_u32 v2, vcc_lo, v90, v2
	v_add_co_ci_u32_e64 v3, null, v91, v3, vcc_lo
	s_clause 0x1
	flat_load_dwordx2 v[4:5], v[2:3]
	flat_load_dwordx2 v[2:3], v[2:3] offset:512
	s_waitcnt vmcnt(1) lgkmcnt(1)
	v_mul_f64 v[70:71], s[12:13], v[4:5]
	s_waitcnt vmcnt(0) lgkmcnt(0)
	v_mul_f64 v[76:77], s[12:13], v[2:3]
.LBB143_34:                             ;   in Loop: Header=BB143_22 Depth=1
	s_mov_b32 s23, 0
.LBB143_35:                             ;   Parent Loop BB143_22 Depth=1
                                        ; =>  This Loop Header: Depth=2
                                        ;       Child Loop BB143_36 Depth 3
	s_lshl_b32 s27, s23, 3
	s_mov_b32 s28, 0
	v_add_nc_u32_e32 v30, s27, v86
	v_add_nc_u32_e32 v66, s27, v87
	s_mov_b32 s27, -1
	ds_read2_b64 v[2:5], v30 offset1:16
	ds_read2_b64 v[6:9], v30 offset0:32 offset1:48
	ds_read2_b64 v[10:13], v30 offset0:64 offset1:80
	;; [unrolled: 1-line block ×3, first 2 shown]
	v_add_nc_u32_e32 v62, 0x800, v30
	ds_read2_b64 v[18:21], v30 offset0:128 offset1:144
	ds_read2_b64 v[22:25], v30 offset0:160 offset1:176
	;; [unrolled: 1-line block ×4, first 2 shown]
	ds_read2_b64 v[34:37], v62 offset1:16
	ds_read2_b64 v[38:41], v62 offset0:32 offset1:48
	ds_read2_b64 v[42:45], v62 offset0:64 offset1:80
	;; [unrolled: 1-line block ×7, first 2 shown]
	ds_read2st64_b64 v[66:69], v66 offset1:4
.LBB143_36:                             ;   Parent Loop BB143_22 Depth=1
                                        ;     Parent Loop BB143_35 Depth=2
                                        ; =>    This Inner Loop Header: Depth=3
	v_mov_b32_e32 v92, s28
	s_waitcnt lgkmcnt(16)
	v_max_f64 v[157:158], v[2:3], v[2:3]
	s_waitcnt lgkmcnt(0)
	v_max_f64 v[159:160], v[66:67], v[66:67]
	v_max_f64 v[161:162], v[4:5], v[4:5]
	;; [unrolled: 1-line block ×3, first 2 shown]
	s_clause 0x3e
	buffer_load_dword v93, v92, s[0:3], 0 offen
	buffer_load_dword v94, v92, s[0:3], 0 offen offset:4
	buffer_load_dword v95, v92, s[0:3], 0 offen offset:8
	;; [unrolled: 1-line block ×63, first 2 shown]
	v_max_f64 v[165:166], v[8:9], v[8:9]
	v_max_f64 v[167:168], v[10:11], v[10:11]
	v_max_f64 v[169:170], v[12:13], v[12:13]
	v_max_f64 v[171:172], v[14:15], v[14:15]
	v_max_f64 v[173:174], v[16:17], v[16:17]
	v_max_f64 v[175:176], v[18:19], v[18:19]
	v_max_f64 v[177:178], v[20:21], v[20:21]
	v_max_f64 v[179:180], v[22:23], v[22:23]
	v_max_f64 v[181:182], v[24:25], v[24:25]
	v_max_f64 v[183:184], v[26:27], v[26:27]
	v_max_f64 v[185:186], v[28:29], v[28:29]
	v_max_f64 v[187:188], v[30:31], v[30:31]
	v_max_f64 v[189:190], v[32:33], v[32:33]
	v_max_f64 v[191:192], v[34:35], v[34:35]
	v_max_f64 v[193:194], v[36:37], v[36:37]
	v_max_f64 v[195:196], v[38:39], v[38:39]
	v_max_f64 v[197:198], v[40:41], v[40:41]
	v_max_f64 v[199:200], v[42:43], v[42:43]
	v_max_f64 v[201:202], v[44:45], v[44:45]
	v_max_f64 v[203:204], v[46:47], v[46:47]
	v_max_f64 v[205:206], v[48:49], v[48:49]
	v_max_f64 v[207:208], v[50:51], v[50:51]
	v_max_f64 v[209:210], v[52:53], v[52:53]
	v_max_f64 v[211:212], v[54:55], v[54:55]
	v_max_f64 v[213:214], v[56:57], v[56:57]
	v_max_f64 v[215:216], v[58:59], v[58:59]
	v_max_f64 v[217:218], v[60:61], v[60:61]
	v_max_f64 v[219:220], v[62:63], v[62:63]
	v_max_f64 v[221:222], v[64:65], v[64:65]
	v_min_f64 v[157:158], v[157:158], v[159:160]
	v_min_f64 v[161:162], v[161:162], v[159:160]
	;; [unrolled: 1-line block ×32, first 2 shown]
	v_mov_b32_e32 v66, v68
	v_mov_b32_e32 v67, v69
	s_and_b32 vcc_lo, exec_lo, s27
	s_mov_b32 s27, 0
	s_mov_b32 s28, s18
	s_waitcnt vmcnt(62)
	v_add_f64 v[93:94], v[157:158], v[93:94]
	s_waitcnt vmcnt(60)
	v_add_f64 v[95:96], v[161:162], v[95:96]
	;; [unrolled: 2-line block ×32, first 2 shown]
	buffer_store_dword v93, v92, s[0:3], 0 offen
	buffer_store_dword v94, v92, s[0:3], 0 offen offset:4
	buffer_store_dword v95, v92, s[0:3], 0 offen offset:8
	;; [unrolled: 1-line block ×63, first 2 shown]
	s_cbranch_vccnz .LBB143_36
; %bb.37:                               ;   in Loop: Header=BB143_35 Depth=2
	s_add_i32 s23, s23, 1
	s_cmp_eq_u32 s23, 4
	s_cbranch_scc0 .LBB143_35
; %bb.38:                               ;   in Loop: Header=BB143_22 Depth=1
	s_add_i32 s22, s22, 8
	s_add_i32 s21, s21, 8
	s_cmp_ge_i32 s22, s20
	ds_write2st64_b64 v80, v[72:73], v[74:75] offset1:4
	ds_write2st64_b64 v81, v[70:71], v[76:77] offset1:4
	s_waitcnt lgkmcnt(0)
	s_waitcnt_vscnt null, 0x0
	s_barrier
	buffer_gl0_inv
	s_cbranch_scc0 .LBB143_22
.LBB143_39:
	s_mov_b32 s6, 0
.LBB143_40:                             ; =>This Loop Header: Depth=1
                                        ;     Child Loop BB143_41 Depth 2
	s_lshl_b32 s12, s6, 3
	s_mov_b32 s13, 0
	v_add_nc_u32_e32 v6, s12, v78
	v_add_nc_u32_e32 v70, s12, v79
	s_mov_b32 s12, -1
	ds_read2_b64 v[2:5], v6 offset1:16
	ds_read2_b64 v[10:13], v6 offset0:32 offset1:48
	ds_read2_b64 v[14:17], v6 offset0:64 offset1:80
	v_add_nc_u32_e32 v7, 0x800, v6
	ds_read2_b64 v[18:21], v6 offset0:96 offset1:112
	ds_read2_b64 v[22:25], v6 offset0:128 offset1:144
	ds_read2_b64 v[26:29], v6 offset0:160 offset1:176
	ds_read2_b64 v[30:33], v6 offset0:192 offset1:208
	ds_read2_b64 v[34:37], v6 offset0:224 offset1:240
	ds_read2_b64 v[38:41], v7 offset1:16
	ds_read2_b64 v[42:45], v7 offset0:32 offset1:48
	ds_read2_b64 v[46:49], v7 offset0:64 offset1:80
	;; [unrolled: 1-line block ×7, first 2 shown]
	s_waitcnt lgkmcnt(11)
	v_max_f64 v[22:23], v[22:23], v[22:23]
	v_max_f64 v[24:25], v[24:25], v[24:25]
	s_waitcnt lgkmcnt(10)
	v_max_f64 v[26:27], v[26:27], v[26:27]
	v_max_f64 v[28:29], v[28:29], v[28:29]
	;; [unrolled: 3-line block ×3, first 2 shown]
	v_max_f64 v[6:7], v[2:3], v[2:3]
	v_max_f64 v[8:9], v[4:5], v[4:5]
	v_max_f64 v[10:11], v[10:11], v[10:11]
	v_max_f64 v[12:13], v[12:13], v[12:13]
	v_max_f64 v[14:15], v[14:15], v[14:15]
	v_max_f64 v[16:17], v[16:17], v[16:17]
	v_max_f64 v[18:19], v[18:19], v[18:19]
	v_max_f64 v[20:21], v[20:21], v[20:21]
	s_waitcnt lgkmcnt(8)
	v_max_f64 v[34:35], v[34:35], v[34:35]
	v_max_f64 v[36:37], v[36:37], v[36:37]
	s_waitcnt lgkmcnt(7)
	v_max_f64 v[38:39], v[38:39], v[38:39]
	v_max_f64 v[40:41], v[40:41], v[40:41]
	;; [unrolled: 3-line block ×9, first 2 shown]
	ds_read2st64_b64 v[2:5], v70 offset1:4
.LBB143_41:                             ;   Parent Loop BB143_40 Depth=1
                                        ; =>  This Inner Loop Header: Depth=2
	v_mov_b32_e32 v200, s13
	s_waitcnt lgkmcnt(0)
	v_max_f64 v[136:137], v[2:3], v[2:3]
	v_mov_b32_e32 v2, v4
	v_mov_b32_e32 v3, v5
	s_and_b32 vcc_lo, exec_lo, s12
	s_clause 0x3e
	buffer_load_dword v70, v200, s[0:3], 0 offen
	buffer_load_dword v71, v200, s[0:3], 0 offen offset:4
	buffer_load_dword v72, v200, s[0:3], 0 offen offset:8
	;; [unrolled: 1-line block ×63, first 2 shown]
	s_mov_b32 s12, 0
	s_mov_b32 s13, s18
	v_min_f64 v[138:139], v[6:7], v[136:137]
	v_min_f64 v[140:141], v[8:9], v[136:137]
	;; [unrolled: 1-line block ×32, first 2 shown]
	s_waitcnt vmcnt(62)
	v_add_f64 v[70:71], v[138:139], v[70:71]
	s_waitcnt vmcnt(60)
	v_add_f64 v[72:73], v[140:141], v[72:73]
	;; [unrolled: 2-line block ×32, first 2 shown]
	buffer_store_dword v70, v200, s[0:3], 0 offen
	buffer_store_dword v71, v200, s[0:3], 0 offen offset:4
	buffer_store_dword v72, v200, s[0:3], 0 offen offset:8
	;; [unrolled: 1-line block ×63, first 2 shown]
	s_cbranch_vccnz .LBB143_41
; %bb.42:                               ;   in Loop: Header=BB143_40 Depth=1
	s_add_i32 s6, s6, 1
	s_cmp_eq_u32 s6, 4
	s_cbranch_scc0 .LBB143_40
; %bb.43:
	s_clause 0x1
	buffer_load_dword v2, off, s[0:3], 0
	buffer_load_dword v3, off, s[0:3], 0 offset:4
	s_load_dword s12, s[4:5], 0x58
	v_add_nc_u32_e32 v69, s16, v1
	v_add_nc_u32_e32 v12, s7, v0
	v_cndmask_b32_e64 v0, 0, 1, s17
	v_mov_b32_e32 v6, 0
	v_mov_b32_e32 v7, 0
	v_ashrrev_i32_e32 v13, 31, v12
	v_cmp_ne_u32_e64 s6, 1, v0
	v_lshlrev_b64 v[0:1], 3, v[12:13]
	s_waitcnt lgkmcnt(0)
	v_mad_i64_i32 v[4:5], null, v69, s12, 0
	v_lshlrev_b64 v[8:9], 3, v[4:5]
	v_mov_b32_e32 v4, 0
	v_mov_b32_e32 v5, 0
	v_add_co_u32 v70, vcc_lo, s14, v8
	v_add_co_ci_u32_e64 v71, null, s15, v9, vcc_lo
	s_andn2_b32 vcc_lo, exec_lo, s17
	s_cbranch_vccnz .LBB143_45
; %bb.44:
	v_add_co_u32 v6, vcc_lo, v70, v0
	v_add_co_ci_u32_e64 v7, null, v71, v1, vcc_lo
	flat_load_dwordx2 v[6:7], v[6:7]
	s_waitcnt vmcnt(0) lgkmcnt(0)
	v_mul_f64 v[6:7], s[10:11], v[6:7]
.LBB143_45:
	s_clause 0x1
	s_load_dword s7, s[4:5], 0x70
	s_load_dwordx2 s[4:5], s[4:5], 0x78
	s_waitcnt vmcnt(0)
	v_add_f64 v[2:3], v[2:3], v[6:7]
	s_waitcnt lgkmcnt(0)
	v_mad_i64_i32 v[8:9], null, v69, s7, 0
	s_lshl_b64 s[4:5], s[4:5], 3
	s_add_u32 s4, s8, s4
	s_addc_u32 s5, s9, s5
	v_lshlrev_b64 v[6:7], 3, v[8:9]
	v_add_co_u32 v72, vcc_lo, s4, v6
	v_add_co_ci_u32_e64 v73, null, s5, v7, vcc_lo
	v_add_co_u32 v6, vcc_lo, v72, v0
	v_add_co_ci_u32_e64 v7, null, v73, v1, vcc_lo
	s_and_b32 vcc_lo, exec_lo, s6
	flat_store_dwordx2 v[6:7], v[2:3]
	s_clause 0x1
	buffer_load_dword v6, off, s[0:3], 0 offset:8
	buffer_load_dword v7, off, s[0:3], 0 offset:12
	v_add_nc_u32_e32 v2, 4, v12
	v_ashrrev_i32_e32 v3, 31, v2
	v_lshlrev_b64 v[2:3], 3, v[2:3]
	s_cbranch_vccnz .LBB143_47
; %bb.46:
	v_add_co_u32 v4, vcc_lo, v70, v2
	v_add_co_ci_u32_e64 v5, null, v71, v3, vcc_lo
	flat_load_dwordx2 v[4:5], v[4:5]
	s_waitcnt vmcnt(0) lgkmcnt(0)
	v_mul_f64 v[4:5], s[10:11], v[4:5]
.LBB143_47:
	s_waitcnt vmcnt(0)
	v_add_f64 v[4:5], v[6:7], v[4:5]
	v_add_co_u32 v6, vcc_lo, v72, v2
	v_add_co_ci_u32_e64 v7, null, v73, v3, vcc_lo
	v_mov_b32_e32 v8, 0
	v_mov_b32_e32 v10, 0
	v_mov_b32_e32 v9, 0
	v_mov_b32_e32 v11, 0
	s_and_b32 vcc_lo, exec_lo, s6
	flat_store_dwordx2 v[6:7], v[4:5]
	s_clause 0x1
	buffer_load_dword v6, off, s[0:3], 0 offset:16
	buffer_load_dword v7, off, s[0:3], 0 offset:20
	v_add_nc_u32_e32 v4, 8, v12
	v_ashrrev_i32_e32 v5, 31, v4
	v_lshlrev_b64 v[4:5], 3, v[4:5]
	s_cbranch_vccnz .LBB143_49
; %bb.48:
	v_add_co_u32 v10, vcc_lo, v70, v4
	v_add_co_ci_u32_e64 v11, null, v71, v5, vcc_lo
	flat_load_dwordx2 v[10:11], v[10:11]
	s_waitcnt vmcnt(0) lgkmcnt(0)
	v_mul_f64 v[10:11], s[10:11], v[10:11]
.LBB143_49:
	s_waitcnt vmcnt(0)
	v_add_f64 v[6:7], v[6:7], v[10:11]
	v_add_co_u32 v10, vcc_lo, v72, v4
	v_add_co_ci_u32_e64 v11, null, v73, v5, vcc_lo
	s_and_b32 vcc_lo, exec_lo, s6
	flat_store_dwordx2 v[10:11], v[6:7]
	s_clause 0x1
	buffer_load_dword v10, off, s[0:3], 0 offset:24
	buffer_load_dword v11, off, s[0:3], 0 offset:28
	v_add_nc_u32_e32 v6, 12, v12
	v_ashrrev_i32_e32 v7, 31, v6
	v_lshlrev_b64 v[6:7], 3, v[6:7]
	s_cbranch_vccnz .LBB143_51
; %bb.50:
	v_add_co_u32 v8, vcc_lo, v70, v6
	v_add_co_ci_u32_e64 v9, null, v71, v7, vcc_lo
	flat_load_dwordx2 v[8:9], v[8:9]
	s_waitcnt vmcnt(0) lgkmcnt(0)
	v_mul_f64 v[8:9], s[10:11], v[8:9]
.LBB143_51:
	s_waitcnt vmcnt(0)
	v_add_f64 v[8:9], v[10:11], v[8:9]
	v_add_co_u32 v10, vcc_lo, v72, v6
	v_add_co_ci_u32_e64 v11, null, v73, v7, vcc_lo
	v_mov_b32_e32 v13, 0
	v_mov_b32_e32 v15, 0
	v_mov_b32_e32 v14, 0
	v_mov_b32_e32 v16, 0
	s_and_b32 vcc_lo, exec_lo, s6
	flat_store_dwordx2 v[10:11], v[8:9]
	s_clause 0x1
	buffer_load_dword v10, off, s[0:3], 0 offset:32
	buffer_load_dword v11, off, s[0:3], 0 offset:36
	v_add_nc_u32_e32 v8, 16, v12
	v_ashrrev_i32_e32 v9, 31, v8
	v_lshlrev_b64 v[8:9], 3, v[8:9]
	s_cbranch_vccnz .LBB143_53
; %bb.52:
	v_add_co_u32 v15, vcc_lo, v70, v8
	v_add_co_ci_u32_e64 v16, null, v71, v9, vcc_lo
	flat_load_dwordx2 v[15:16], v[15:16]
	s_waitcnt vmcnt(0) lgkmcnt(0)
	v_mul_f64 v[15:16], s[10:11], v[15:16]
.LBB143_53:
	s_waitcnt vmcnt(0)
	v_add_f64 v[10:11], v[10:11], v[15:16]
	;; [unrolled: 44-line block ×15, first 2 shown]
	v_add_co_u32 v67, vcc_lo, v72, v61
	v_add_co_ci_u32_e64 v68, null, v73, v62, vcc_lo
	s_and_b32 vcc_lo, exec_lo, s6
	flat_store_dwordx2 v[67:68], v[63:64]
	s_clause 0x1
	buffer_load_dword v67, off, s[0:3], 0 offset:248
	buffer_load_dword v68, off, s[0:3], 0 offset:252
	v_add_nc_u32_e32 v63, 0x7c, v12
	v_ashrrev_i32_e32 v64, 31, v63
	v_lshlrev_b64 v[63:64], 3, v[63:64]
	s_cbranch_vccnz .LBB143_107
; %bb.106:
	v_add_co_u32 v65, vcc_lo, v70, v63
	v_add_co_ci_u32_e64 v66, null, v71, v64, vcc_lo
	flat_load_dwordx2 v[65:66], v[65:66]
	s_waitcnt vmcnt(0) lgkmcnt(0)
	v_mul_f64 v[65:66], s[10:11], v[65:66]
.LBB143_107:
	s_waitcnt vmcnt(0)
	v_add_f64 v[65:66], v[67:68], v[65:66]
	v_add_co_u32 v67, vcc_lo, v72, v63
	v_add_co_ci_u32_e64 v68, null, v73, v64, vcc_lo
	v_add_nc_u32_e32 v72, 64, v69
	v_mov_b32_e32 v69, 0
	v_mov_b32_e32 v70, 0
	flat_store_dwordx2 v[67:68], v[65:66]
	s_clause 0x1
	buffer_load_dword v67, off, s[0:3], 0 offset:256
	buffer_load_dword v68, off, s[0:3], 0 offset:260
	v_mad_i64_i32 v[65:66], null, v72, s12, 0
	v_lshlrev_b64 v[73:74], 3, v[65:66]
	v_mov_b32_e32 v65, 0
	v_mov_b32_e32 v66, 0
	v_add_co_u32 v12, vcc_lo, s14, v73
	v_add_co_ci_u32_e64 v71, null, s15, v74, vcc_lo
	s_and_b32 vcc_lo, exec_lo, s6
	s_cbranch_vccnz .LBB143_109
; %bb.108:
	v_add_co_u32 v69, vcc_lo, v12, v0
	v_add_co_ci_u32_e64 v70, null, v71, v1, vcc_lo
	flat_load_dwordx2 v[69:70], v[69:70]
	s_waitcnt vmcnt(0) lgkmcnt(0)
	v_mul_f64 v[69:70], s[10:11], v[69:70]
.LBB143_109:
	v_mad_i64_i32 v[72:73], null, v72, s7, 0
	s_waitcnt vmcnt(0)
	v_add_f64 v[69:70], v[67:68], v[69:70]
	v_lshlrev_b64 v[67:68], 3, v[72:73]
	v_add_co_u32 v67, vcc_lo, s4, v67
	v_add_co_ci_u32_e64 v68, null, s5, v68, vcc_lo
	v_add_co_u32 v0, vcc_lo, v67, v0
	v_add_co_ci_u32_e64 v1, null, v68, v1, vcc_lo
	s_and_b32 vcc_lo, exec_lo, s6
	flat_store_dwordx2 v[0:1], v[69:70]
	s_clause 0x1
	buffer_load_dword v0, off, s[0:3], 0 offset:264
	buffer_load_dword v1, off, s[0:3], 0 offset:268
	s_cbranch_vccnz .LBB143_111
; %bb.110:
	v_add_co_u32 v65, vcc_lo, v12, v2
	v_add_co_ci_u32_e64 v66, null, v71, v3, vcc_lo
	flat_load_dwordx2 v[65:66], v[65:66]
	s_waitcnt vmcnt(0) lgkmcnt(0)
	v_mul_f64 v[65:66], s[10:11], v[65:66]
.LBB143_111:
	s_waitcnt vmcnt(0)
	v_add_f64 v[0:1], v[0:1], v[65:66]
	v_add_co_u32 v2, vcc_lo, v67, v2
	v_add_co_ci_u32_e64 v3, null, v68, v3, vcc_lo
	v_mov_b32_e32 v65, 0
	v_mov_b32_e32 v66, 0
	s_and_b32 vcc_lo, exec_lo, s6
	flat_store_dwordx2 v[2:3], v[0:1]
	s_clause 0x1
	buffer_load_dword v2, off, s[0:3], 0 offset:272
	buffer_load_dword v3, off, s[0:3], 0 offset:276
	v_mov_b32_e32 v0, 0
	v_mov_b32_e32 v1, 0
	s_cbranch_vccnz .LBB143_113
; %bb.112:
	v_add_co_u32 v65, vcc_lo, v12, v4
	v_add_co_ci_u32_e64 v66, null, v71, v5, vcc_lo
	flat_load_dwordx2 v[65:66], v[65:66]
	s_waitcnt vmcnt(0) lgkmcnt(0)
	v_mul_f64 v[65:66], s[10:11], v[65:66]
.LBB143_113:
	s_waitcnt vmcnt(0)
	v_add_f64 v[2:3], v[2:3], v[65:66]
	v_add_co_u32 v4, vcc_lo, v67, v4
	v_add_co_ci_u32_e64 v5, null, v68, v5, vcc_lo
	s_and_b32 vcc_lo, exec_lo, s6
	flat_store_dwordx2 v[4:5], v[2:3]
	s_clause 0x1
	buffer_load_dword v2, off, s[0:3], 0 offset:280
	buffer_load_dword v3, off, s[0:3], 0 offset:284
	s_cbranch_vccnz .LBB143_115
; %bb.114:
	v_add_co_u32 v0, vcc_lo, v12, v6
	v_add_co_ci_u32_e64 v1, null, v71, v7, vcc_lo
	flat_load_dwordx2 v[0:1], v[0:1]
	s_waitcnt vmcnt(0) lgkmcnt(0)
	v_mul_f64 v[0:1], s[10:11], v[0:1]
.LBB143_115:
	s_waitcnt vmcnt(0)
	v_add_f64 v[0:1], v[2:3], v[0:1]
	v_add_co_u32 v2, vcc_lo, v67, v6
	v_add_co_ci_u32_e64 v3, null, v68, v7, vcc_lo
	v_mov_b32_e32 v4, 0
	v_mov_b32_e32 v5, 0
	s_and_b32 vcc_lo, exec_lo, s6
	flat_store_dwordx2 v[2:3], v[0:1]
	s_clause 0x1
	buffer_load_dword v2, off, s[0:3], 0 offset:288
	buffer_load_dword v3, off, s[0:3], 0 offset:292
	v_mov_b32_e32 v0, 0
	v_mov_b32_e32 v1, 0
	s_cbranch_vccnz .LBB143_117
; %bb.116:
	v_add_co_u32 v4, vcc_lo, v12, v8
	v_add_co_ci_u32_e64 v5, null, v71, v9, vcc_lo
	flat_load_dwordx2 v[4:5], v[4:5]
	s_waitcnt vmcnt(0) lgkmcnt(0)
	v_mul_f64 v[4:5], s[10:11], v[4:5]
.LBB143_117:
	s_waitcnt vmcnt(0)
	v_add_f64 v[2:3], v[2:3], v[4:5]
	;; [unrolled: 38-line block ×15, first 2 shown]
	v_add_co_u32 v4, vcc_lo, v67, v61
	v_add_co_ci_u32_e64 v5, null, v68, v62, vcc_lo
	s_and_b32 vcc_lo, exec_lo, s6
	flat_store_dwordx2 v[4:5], v[2:3]
	s_clause 0x1
	buffer_load_dword v2, off, s[0:3], 0 offset:504
	buffer_load_dword v3, off, s[0:3], 0 offset:508
	s_cbranch_vccnz .LBB143_171
; %bb.170:
	v_add_co_u32 v0, vcc_lo, v12, v63
	v_add_co_ci_u32_e64 v1, null, v71, v64, vcc_lo
	flat_load_dwordx2 v[0:1], v[0:1]
	s_waitcnt vmcnt(0) lgkmcnt(0)
	v_mul_f64 v[0:1], s[10:11], v[0:1]
.LBB143_171:
	s_waitcnt vmcnt(0)
	v_add_f64 v[0:1], v[2:3], v[0:1]
	v_add_co_u32 v2, vcc_lo, v67, v63
	v_add_co_ci_u32_e64 v3, null, v68, v64, vcc_lo
	flat_store_dwordx2 v[2:3], v[0:1]
	s_endpgm
	.section	.rodata,"a",@progbits
	.p2align	6, 0x0
	.amdhsa_kernel _ZN12_GLOBAL__N_120geam_min_plus_kernelIdddLi4ELi64ELi128ELi128ELi4ELi64ELi4ELi64ELi4ELc78ELc84ELb0ELb0ELb0EdKPKdKPdEEviiiT16_PT17_ilS8_ilS6_S8_ilPT18_ili26rocblas_geam_ex_operation_
		.amdhsa_group_segment_fixed_size 16384
		.amdhsa_private_segment_fixed_size 528
		.amdhsa_kernarg_size 136
		.amdhsa_user_sgpr_count 6
		.amdhsa_user_sgpr_private_segment_buffer 1
		.amdhsa_user_sgpr_dispatch_ptr 0
		.amdhsa_user_sgpr_queue_ptr 0
		.amdhsa_user_sgpr_kernarg_segment_ptr 1
		.amdhsa_user_sgpr_dispatch_id 0
		.amdhsa_user_sgpr_flat_scratch_init 0
		.amdhsa_user_sgpr_private_segment_size 0
		.amdhsa_wavefront_size32 1
		.amdhsa_uses_dynamic_stack 0
		.amdhsa_system_sgpr_private_segment_wavefront_offset 1
		.amdhsa_system_sgpr_workgroup_id_x 1
		.amdhsa_system_sgpr_workgroup_id_y 0
		.amdhsa_system_sgpr_workgroup_id_z 1
		.amdhsa_system_sgpr_workgroup_info 0
		.amdhsa_system_vgpr_workitem_id 1
		.amdhsa_next_free_vgpr 223
		.amdhsa_next_free_sgpr 30
		.amdhsa_reserve_vcc 1
		.amdhsa_reserve_flat_scratch 1
		.amdhsa_float_round_mode_32 0
		.amdhsa_float_round_mode_16_64 0
		.amdhsa_float_denorm_mode_32 3
		.amdhsa_float_denorm_mode_16_64 3
		.amdhsa_dx10_clamp 1
		.amdhsa_ieee_mode 1
		.amdhsa_fp16_overflow 0
		.amdhsa_workgroup_processor_mode 1
		.amdhsa_memory_ordered 1
		.amdhsa_forward_progress 1
		.amdhsa_shared_vgpr_count 0
		.amdhsa_exception_fp_ieee_invalid_op 0
		.amdhsa_exception_fp_denorm_src 0
		.amdhsa_exception_fp_ieee_div_zero 0
		.amdhsa_exception_fp_ieee_overflow 0
		.amdhsa_exception_fp_ieee_underflow 0
		.amdhsa_exception_fp_ieee_inexact 0
		.amdhsa_exception_int_div_zero 0
	.end_amdhsa_kernel
	.section	.text._ZN12_GLOBAL__N_120geam_min_plus_kernelIdddLi4ELi64ELi128ELi128ELi4ELi64ELi4ELi64ELi4ELc78ELc84ELb0ELb0ELb0EdKPKdKPdEEviiiT16_PT17_ilS8_ilS6_S8_ilPT18_ili26rocblas_geam_ex_operation_,"axG",@progbits,_ZN12_GLOBAL__N_120geam_min_plus_kernelIdddLi4ELi64ELi128ELi128ELi4ELi64ELi4ELi64ELi4ELc78ELc84ELb0ELb0ELb0EdKPKdKPdEEviiiT16_PT17_ilS8_ilS6_S8_ilPT18_ili26rocblas_geam_ex_operation_,comdat
.Lfunc_end143:
	.size	_ZN12_GLOBAL__N_120geam_min_plus_kernelIdddLi4ELi64ELi128ELi128ELi4ELi64ELi4ELi64ELi4ELc78ELc84ELb0ELb0ELb0EdKPKdKPdEEviiiT16_PT17_ilS8_ilS6_S8_ilPT18_ili26rocblas_geam_ex_operation_, .Lfunc_end143-_ZN12_GLOBAL__N_120geam_min_plus_kernelIdddLi4ELi64ELi128ELi128ELi4ELi64ELi4ELi64ELi4ELc78ELc84ELb0ELb0ELb0EdKPKdKPdEEviiiT16_PT17_ilS8_ilS6_S8_ilPT18_ili26rocblas_geam_ex_operation_
                                        ; -- End function
	.set _ZN12_GLOBAL__N_120geam_min_plus_kernelIdddLi4ELi64ELi128ELi128ELi4ELi64ELi4ELi64ELi4ELc78ELc84ELb0ELb0ELb0EdKPKdKPdEEviiiT16_PT17_ilS8_ilS6_S8_ilPT18_ili26rocblas_geam_ex_operation_.num_vgpr, 223
	.set _ZN12_GLOBAL__N_120geam_min_plus_kernelIdddLi4ELi64ELi128ELi128ELi4ELi64ELi4ELi64ELi4ELc78ELc84ELb0ELb0ELb0EdKPKdKPdEEviiiT16_PT17_ilS8_ilS6_S8_ilPT18_ili26rocblas_geam_ex_operation_.num_agpr, 0
	.set _ZN12_GLOBAL__N_120geam_min_plus_kernelIdddLi4ELi64ELi128ELi128ELi4ELi64ELi4ELi64ELi4ELc78ELc84ELb0ELb0ELb0EdKPKdKPdEEviiiT16_PT17_ilS8_ilS6_S8_ilPT18_ili26rocblas_geam_ex_operation_.numbered_sgpr, 30
	.set _ZN12_GLOBAL__N_120geam_min_plus_kernelIdddLi4ELi64ELi128ELi128ELi4ELi64ELi4ELi64ELi4ELc78ELc84ELb0ELb0ELb0EdKPKdKPdEEviiiT16_PT17_ilS8_ilS6_S8_ilPT18_ili26rocblas_geam_ex_operation_.num_named_barrier, 0
	.set _ZN12_GLOBAL__N_120geam_min_plus_kernelIdddLi4ELi64ELi128ELi128ELi4ELi64ELi4ELi64ELi4ELc78ELc84ELb0ELb0ELb0EdKPKdKPdEEviiiT16_PT17_ilS8_ilS6_S8_ilPT18_ili26rocblas_geam_ex_operation_.private_seg_size, 528
	.set _ZN12_GLOBAL__N_120geam_min_plus_kernelIdddLi4ELi64ELi128ELi128ELi4ELi64ELi4ELi64ELi4ELc78ELc84ELb0ELb0ELb0EdKPKdKPdEEviiiT16_PT17_ilS8_ilS6_S8_ilPT18_ili26rocblas_geam_ex_operation_.uses_vcc, 1
	.set _ZN12_GLOBAL__N_120geam_min_plus_kernelIdddLi4ELi64ELi128ELi128ELi4ELi64ELi4ELi64ELi4ELc78ELc84ELb0ELb0ELb0EdKPKdKPdEEviiiT16_PT17_ilS8_ilS6_S8_ilPT18_ili26rocblas_geam_ex_operation_.uses_flat_scratch, 1
	.set _ZN12_GLOBAL__N_120geam_min_plus_kernelIdddLi4ELi64ELi128ELi128ELi4ELi64ELi4ELi64ELi4ELc78ELc84ELb0ELb0ELb0EdKPKdKPdEEviiiT16_PT17_ilS8_ilS6_S8_ilPT18_ili26rocblas_geam_ex_operation_.has_dyn_sized_stack, 0
	.set _ZN12_GLOBAL__N_120geam_min_plus_kernelIdddLi4ELi64ELi128ELi128ELi4ELi64ELi4ELi64ELi4ELc78ELc84ELb0ELb0ELb0EdKPKdKPdEEviiiT16_PT17_ilS8_ilS6_S8_ilPT18_ili26rocblas_geam_ex_operation_.has_recursion, 0
	.set _ZN12_GLOBAL__N_120geam_min_plus_kernelIdddLi4ELi64ELi128ELi128ELi4ELi64ELi4ELi64ELi4ELc78ELc84ELb0ELb0ELb0EdKPKdKPdEEviiiT16_PT17_ilS8_ilS6_S8_ilPT18_ili26rocblas_geam_ex_operation_.has_indirect_call, 0
	.section	.AMDGPU.csdata,"",@progbits
; Kernel info:
; codeLenInByte = 19228
; TotalNumSgprs: 32
; NumVgprs: 223
; ScratchSize: 528
; MemoryBound: 1
; FloatMode: 240
; IeeeMode: 1
; LDSByteSize: 16384 bytes/workgroup (compile time only)
; SGPRBlocks: 0
; VGPRBlocks: 27
; NumSGPRsForWavesPerEU: 32
; NumVGPRsForWavesPerEU: 223
; Occupancy: 4
; WaveLimiterHint : 1
; COMPUTE_PGM_RSRC2:SCRATCH_EN: 1
; COMPUTE_PGM_RSRC2:USER_SGPR: 6
; COMPUTE_PGM_RSRC2:TRAP_HANDLER: 0
; COMPUTE_PGM_RSRC2:TGID_X_EN: 1
; COMPUTE_PGM_RSRC2:TGID_Y_EN: 0
; COMPUTE_PGM_RSRC2:TGID_Z_EN: 1
; COMPUTE_PGM_RSRC2:TIDIG_COMP_CNT: 1
	.section	.text._ZN12_GLOBAL__N_120geam_min_plus_kernelIdddLi4ELi64ELi128ELi128ELi4ELi64ELi4ELi64ELi4ELc78ELc84ELb0ELb1ELb0EPKdKS2_KPdEEviiiT16_PT17_ilS8_ilS6_S8_ilPT18_ili26rocblas_geam_ex_operation_,"axG",@progbits,_ZN12_GLOBAL__N_120geam_min_plus_kernelIdddLi4ELi64ELi128ELi128ELi4ELi64ELi4ELi64ELi4ELc78ELc84ELb0ELb1ELb0EPKdKS2_KPdEEviiiT16_PT17_ilS8_ilS6_S8_ilPT18_ili26rocblas_geam_ex_operation_,comdat
	.globl	_ZN12_GLOBAL__N_120geam_min_plus_kernelIdddLi4ELi64ELi128ELi128ELi4ELi64ELi4ELi64ELi4ELc78ELc84ELb0ELb1ELb0EPKdKS2_KPdEEviiiT16_PT17_ilS8_ilS6_S8_ilPT18_ili26rocblas_geam_ex_operation_ ; -- Begin function _ZN12_GLOBAL__N_120geam_min_plus_kernelIdddLi4ELi64ELi128ELi128ELi4ELi64ELi4ELi64ELi4ELc78ELc84ELb0ELb1ELb0EPKdKS2_KPdEEviiiT16_PT17_ilS8_ilS6_S8_ilPT18_ili26rocblas_geam_ex_operation_
	.p2align	8
	.type	_ZN12_GLOBAL__N_120geam_min_plus_kernelIdddLi4ELi64ELi128ELi128ELi4ELi64ELi4ELi64ELi4ELc78ELc84ELb0ELb1ELb0EPKdKS2_KPdEEviiiT16_PT17_ilS8_ilS6_S8_ilPT18_ili26rocblas_geam_ex_operation_,@function
_ZN12_GLOBAL__N_120geam_min_plus_kernelIdddLi4ELi64ELi128ELi128ELi4ELi64ELi4ELi64ELi4ELc78ELc84ELb0ELb1ELb0EPKdKS2_KPdEEviiiT16_PT17_ilS8_ilS6_S8_ilPT18_ili26rocblas_geam_ex_operation_: ; @_ZN12_GLOBAL__N_120geam_min_plus_kernelIdddLi4ELi64ELi128ELi128ELi4ELi64ELi4ELi64ELi4ELc78ELc84ELb0ELb1ELb0EPKdKS2_KPdEEviiiT16_PT17_ilS8_ilS6_S8_ilPT18_ili26rocblas_geam_ex_operation_
; %bb.0:
	s_load_dwordx4 s[16:19], s[4:5], 0x10
	s_add_u32 s0, s0, s8
	s_mov_b32 s8, s7
	s_mov_b32 s9, 0
	s_addc_u32 s1, s1, 0
	s_lshl_b64 s[22:23], s[8:9], 3
	s_clause 0x1
	s_load_dwordx4 s[8:11], s[4:5], 0x28
	s_load_dwordx2 s[24:25], s[4:5], 0x50
	s_waitcnt lgkmcnt(0)
	s_add_u32 s12, s16, s22
	s_addc_u32 s13, s17, s23
	s_load_dwordx2 s[16:17], s[12:13], 0x0
	s_load_dwordx4 s[12:15], s[4:5], 0x40
	s_waitcnt lgkmcnt(0)
	v_cmp_eq_f64_e64 s20, s[16:17], 0
	v_cmp_neq_f64_e64 s7, s[16:17], 0
	s_add_u32 s26, s14, s22
	s_addc_u32 s27, s15, s23
	s_mov_b64 s[14:15], 0
	s_and_b32 vcc_lo, exec_lo, s20
	s_mov_b64 s[20:21], 0
	s_cbranch_vccnz .LBB144_2
; %bb.1:
	s_add_u32 s18, s18, s22
	s_addc_u32 s19, s19, s23
	s_lshl_b64 s[8:9], s[8:9], 3
	s_load_dwordx2 s[18:19], s[18:19], 0x0
	s_waitcnt lgkmcnt(0)
	s_add_u32 s20, s18, s8
	s_addc_u32 s21, s19, s9
.LBB144_2:
	s_load_dwordx2 s[38:39], s[26:27], 0x0
	s_andn2_b32 vcc_lo, exec_lo, s7
	s_cbranch_vccnz .LBB144_4
; %bb.3:
	s_add_u32 s8, s10, s22
	s_addc_u32 s9, s11, s23
	s_lshl_b64 s[10:11], s[12:13], 3
	s_load_dwordx2 s[8:9], s[8:9], 0x0
	s_waitcnt lgkmcnt(0)
	s_add_u32 s14, s8, s10
	s_addc_u32 s15, s9, s11
.LBB144_4:
	s_waitcnt lgkmcnt(0)
	v_cmp_eq_f64_e64 s7, s[38:39], 0
	v_cmp_neq_f64_e64 s46, s[38:39], 0
	s_load_dwordx4 s[8:11], s[4:5], 0x60
	s_mov_b64 s[44:45], 0
	s_and_b32 vcc_lo, exec_lo, s7
	s_cbranch_vccnz .LBB144_6
; %bb.5:
	s_add_u32 s12, s24, s22
	s_addc_u32 s13, s25, s23
	s_waitcnt lgkmcnt(0)
	s_lshl_b64 s[8:9], s[8:9], 3
	s_load_dwordx2 s[12:13], s[12:13], 0x0
	s_waitcnt lgkmcnt(0)
	s_add_u32 s44, s12, s8
	s_addc_u32 s45, s13, s9
.LBB144_6:
	s_load_dwordx4 s[40:43], s[4:5], 0x0
	s_waitcnt lgkmcnt(0)
	s_add_u32 s8, s10, s22
	s_addc_u32 s9, s11, s23
	s_load_dword s22, s[4:5], 0x20
	s_load_dwordx2 s[12:13], s[8:9], 0x0
	v_lshl_add_u32 v2, v1, 2, v0
	v_cmp_eq_f64_e64 s24, s[16:17], 0
	v_mov_b32_e32 v11, 0
	buffer_store_dword v11, off, s[0:3], 0 offset:4
	buffer_store_dword v11, off, s[0:3], 0
	buffer_store_dword v11, off, s[0:3], 0 offset:12
	buffer_store_dword v11, off, s[0:3], 0 offset:8
	;; [unrolled: 1-line block ×9, first 2 shown]
	v_and_b32_e32 v22, 63, v2
	v_lshrrev_b32_e32 v82, 6, v2
	buffer_store_dword v11, off, s[0:3], 0 offset:40
	buffer_store_dword v11, off, s[0:3], 0 offset:52
	;; [unrolled: 1-line block ×6, first 2 shown]
	s_add_i32 s7, s40, -1
	v_cmp_le_i32_e32 vcc_lo, s42, v82
	s_ashr_i32 s8, s7, 31
	buffer_store_dword v11, off, s[0:3], 0 offset:64
	buffer_store_dword v11, off, s[0:3], 0 offset:76
	;; [unrolled: 1-line block ×4, first 2 shown]
	s_lshr_b32 s8, s8, 25
	buffer_store_dword v11, off, s[0:3], 0 offset:80
	buffer_store_dword v11, off, s[0:3], 0 offset:92
	;; [unrolled: 1-line block ×9, first 2 shown]
	s_add_i32 s7, s7, s8
	buffer_store_dword v11, off, s[0:3], 0 offset:124
	buffer_store_dword v11, off, s[0:3], 0 offset:120
	;; [unrolled: 1-line block ×4, first 2 shown]
	s_ashr_i32 s7, s7, 7
	buffer_store_dword v11, off, s[0:3], 0 offset:140
	buffer_store_dword v11, off, s[0:3], 0 offset:136
	;; [unrolled: 1-line block ×4, first 2 shown]
	s_add_i32 s8, s7, 1
	s_not_b32 s7, s7
	v_cvt_f32_u32_e32 v2, s8
	buffer_store_dword v11, off, s[0:3], 0 offset:156
	buffer_store_dword v11, off, s[0:3], 0 offset:152
	buffer_store_dword v11, off, s[0:3], 0 offset:164
	buffer_store_dword v11, off, s[0:3], 0 offset:160
	buffer_store_dword v11, off, s[0:3], 0 offset:172
	v_rcp_iflag_f32_e32 v2, v2
	buffer_store_dword v11, off, s[0:3], 0 offset:168
	buffer_store_dword v11, off, s[0:3], 0 offset:180
	;; [unrolled: 1-line block ×73, first 2 shown]
	v_mul_f32_e32 v2, 0x4f7ffffe, v2
	buffer_store_dword v11, off, s[0:3], 0 offset:468
	buffer_store_dword v11, off, s[0:3], 0 offset:464
	;; [unrolled: 1-line block ×10, first 2 shown]
	v_cvt_u32_f32_e32 v2, v2
	buffer_store_dword v11, off, s[0:3], 0 offset:508
	buffer_store_dword v11, off, s[0:3], 0 offset:504
	v_readfirstlane_b32 s9, v2
	s_mul_i32 s7, s7, s9
	s_mul_hi_u32 s7, s9, s7
	s_add_i32 s9, s9, s7
	s_mul_hi_u32 s7, s6, s9
	s_mul_i32 s9, s7, s8
	s_add_i32 s10, s7, 1
	s_sub_i32 s9, s6, s9
	s_sub_i32 s11, s9, s8
	s_cmp_ge_u32 s9, s8
	s_cselect_b32 s7, s10, s7
	s_cselect_b32 s9, s11, s9
	s_add_i32 s10, s7, 1
	s_cmp_ge_u32 s9, s8
	s_cselect_b32 s9, s10, s7
	s_add_i32 s23, s42, -1
	s_mul_i32 s7, s9, s8
	v_min_i32_e32 v8, s23, v82
	s_sub_i32 s6, s6, s7
	s_lshl_b32 s11, s6, 7
	s_waitcnt lgkmcnt(0)
	v_mad_i64_i32 v[2:3], null, s22, v8, 0
	v_or_b32_e32 v6, s11, v22
	v_cmp_le_i32_e64 s6, s40, v6
	v_lshlrev_b64 v[4:5], 3, v[2:3]
	v_mov_b32_e32 v2, 0
	v_mov_b32_e32 v3, 0
	v_ashrrev_i32_e32 v7, 31, v6
	v_add_co_u32 v9, s7, s20, v4
	v_add_co_ci_u32_e64 v10, null, s21, v5, s7
	v_mov_b32_e32 v4, 0
	v_mov_b32_e32 v5, 0
	s_or_b32 s7, s6, vcc_lo
	s_nor_b32 s7, s24, s7
	s_and_saveexec_b32 s8, s7
	s_cbranch_execz .LBB144_8
; %bb.7:
	v_lshlrev_b64 v[4:5], 3, v[6:7]
	v_add_co_u32 v4, s7, v9, v4
	v_add_co_ci_u32_e64 v5, null, v10, v5, s7
	flat_load_dwordx2 v[4:5], v[4:5]
	s_waitcnt vmcnt(0) lgkmcnt(0)
	v_mul_f64 v[4:5], s[16:17], v[4:5]
.LBB144_8:
	s_or_b32 exec_lo, exec_lo, s8
	v_or_b32_e32 v11, 64, v6
	v_cmp_le_i32_e64 s7, s40, v11
	s_or_b32 s8, s7, vcc_lo
	s_nor_b32 s8, s24, s8
	s_and_saveexec_b32 s10, s8
	s_cbranch_execz .LBB144_10
; %bb.9:
	v_lshlrev_b64 v[2:3], 3, v[6:7]
	v_add_co_u32 v2, s8, v9, v2
	v_add_co_ci_u32_e64 v3, null, v10, v3, s8
	flat_load_dwordx2 v[2:3], v[2:3] offset:512
	s_waitcnt vmcnt(0) lgkmcnt(0)
	v_mul_f64 v[2:3], s[16:17], v[2:3]
.LBB144_10:
	s_or_b32 exec_lo, exec_lo, s10
	s_load_dword s25, s[4:5], 0x38
	s_lshl_b32 s18, s9, 7
	v_mov_b32_e32 v18, 0
	v_mov_b32_e32 v20, 0
	;; [unrolled: 1-line block ×4, first 2 shown]
	s_waitcnt lgkmcnt(0)
	v_mad_i64_i32 v[9:10], null, s25, v8, 0
	v_or_b32_e32 v8, s18, v22
	v_cmp_le_i32_e64 s8, s41, v8
	v_lshlrev_b64 v[10:11], 3, v[9:10]
	v_ashrrev_i32_e32 v9, 31, v8
	v_add_co_u32 v10, s9, s14, v10
	v_add_co_ci_u32_e64 v11, null, s15, v11, s9
	s_or_b32 s9, s8, vcc_lo
	s_nor_b32 s9, s24, s9
	s_and_saveexec_b32 s10, s9
	s_cbranch_execz .LBB144_12
; %bb.11:
	v_lshlrev_b64 v[12:13], 3, v[8:9]
	v_add_co_u32 v12, s9, v10, v12
	v_add_co_ci_u32_e64 v13, null, v11, v13, s9
	flat_load_dwordx2 v[12:13], v[12:13]
	s_waitcnt vmcnt(0) lgkmcnt(0)
	v_mul_f64 v[20:21], s[16:17], v[12:13]
.LBB144_12:
	s_or_b32 exec_lo, exec_lo, s10
	v_or_b32_e32 v12, 64, v8
	v_cmp_le_i32_e64 s9, s41, v12
	s_or_b32 s10, s9, vcc_lo
	s_nor_b32 s19, s24, s10
	s_and_saveexec_b32 s10, s19
	s_cbranch_execz .LBB144_14
; %bb.13:
	v_lshlrev_b64 v[12:13], 3, v[8:9]
	v_add_co_u32 v10, vcc_lo, v10, v12
	v_add_co_ci_u32_e64 v11, null, v11, v13, vcc_lo
	flat_load_dwordx2 v[10:11], v[10:11] offset:512
	s_waitcnt vmcnt(0) lgkmcnt(0)
	v_mul_f64 v[18:19], s[16:17], v[10:11]
.LBB144_14:
	s_or_b32 exec_lo, exec_lo, s10
	v_add_nc_u32_e32 v17, 4, v82
	v_mov_b32_e32 v12, 0
	v_mov_b32_e32 v13, 0
	v_min_i32_e32 v14, s23, v17
	v_cmp_le_i32_e32 vcc_lo, s42, v17
	v_mad_i64_i32 v[10:11], null, s22, v14, 0
	v_lshlrev_b64 v[15:16], 3, v[10:11]
	v_mov_b32_e32 v10, 0
	v_mov_b32_e32 v11, 0
	v_add_co_u32 v15, s10, s20, v15
	v_add_co_ci_u32_e64 v16, null, s21, v16, s10
	s_or_b32 s10, s6, vcc_lo
	s_nor_b32 s10, s24, s10
	s_and_saveexec_b32 s19, s10
	s_cbranch_execz .LBB144_16
; %bb.15:
	v_lshlrev_b64 v[12:13], 3, v[6:7]
	v_add_co_u32 v12, s10, v15, v12
	v_add_co_ci_u32_e64 v13, null, v16, v13, s10
	flat_load_dwordx2 v[12:13], v[12:13]
	s_waitcnt vmcnt(0) lgkmcnt(0)
	v_mul_f64 v[12:13], s[16:17], v[12:13]
.LBB144_16:
	s_or_b32 exec_lo, exec_lo, s19
	s_or_b32 s10, s7, vcc_lo
	s_nor_b32 s10, s24, s10
	s_and_saveexec_b32 s19, s10
	s_cbranch_execz .LBB144_18
; %bb.17:
	v_lshlrev_b64 v[10:11], 3, v[6:7]
	v_add_co_u32 v10, s10, v15, v10
	v_add_co_ci_u32_e64 v11, null, v16, v11, s10
	flat_load_dwordx2 v[10:11], v[10:11] offset:512
	s_waitcnt vmcnt(0) lgkmcnt(0)
	v_mul_f64 v[10:11], s[16:17], v[10:11]
.LBB144_18:
	s_or_b32 exec_lo, exec_lo, s19
	v_mad_i64_i32 v[14:15], null, s25, v14, 0
	v_mov_b32_e32 v16, 0
	v_mov_b32_e32 v17, 0
	v_lshlrev_b64 v[23:24], 3, v[14:15]
	v_mov_b32_e32 v14, 0
	v_mov_b32_e32 v15, 0
	v_add_co_u32 v23, s10, s14, v23
	v_add_co_ci_u32_e64 v24, null, s15, v24, s10
	s_or_b32 s10, s8, vcc_lo
	s_nor_b32 s10, s24, s10
	s_and_saveexec_b32 s19, s10
	s_cbranch_execz .LBB144_20
; %bb.19:
	v_lshlrev_b64 v[16:17], 3, v[8:9]
	v_add_co_u32 v16, s10, v23, v16
	v_add_co_ci_u32_e64 v17, null, v24, v17, s10
	flat_load_dwordx2 v[16:17], v[16:17]
	s_waitcnt vmcnt(0) lgkmcnt(0)
	v_mul_f64 v[16:17], s[16:17], v[16:17]
.LBB144_20:
	s_or_b32 exec_lo, exec_lo, s19
	s_or_b32 s10, s9, vcc_lo
	s_nor_b32 s19, s24, s10
	s_and_saveexec_b32 s10, s19
	s_cbranch_execz .LBB144_22
; %bb.21:
	v_lshlrev_b64 v[14:15], 3, v[8:9]
	v_add_co_u32 v14, vcc_lo, v23, v14
	v_add_co_ci_u32_e64 v15, null, v24, v15, vcc_lo
	flat_load_dwordx2 v[14:15], v[14:15] offset:512
	s_waitcnt vmcnt(0) lgkmcnt(0)
	v_mul_f64 v[14:15], s[16:17], v[14:15]
.LBB144_22:
	s_or_b32 exec_lo, exec_lo, s10
	v_lshlrev_b32_e32 v22, 5, v22
	v_lshlrev_b32_e32 v84, 5, v0
	v_lshl_or_b32 v86, v1, 5, 0x2000
	s_mov_b32 s19, 0
	s_mov_b32 s10, 0
	v_lshl_add_u32 v83, v82, 3, v22
	s_addk_i32 s19, 0x100
	v_add_nc_u32_e32 v85, 0x2000, v83
	ds_write2st64_b64 v83, v[4:5], v[2:3] offset1:4
	ds_write2st64_b64 v83, v[20:21], v[18:19] offset0:16 offset1:20
	s_waitcnt lgkmcnt(0)
	s_waitcnt_vscnt null, 0x0
	s_barrier
	buffer_gl0_inv
.LBB144_23:                             ; =>This Loop Header: Depth=1
                                        ;     Child Loop BB144_24 Depth 2
	s_lshl_b32 s26, s10, 3
	s_mov_b32 s27, 0
	v_add_nc_u32_e32 v18, s26, v84
	v_add_nc_u32_e32 v87, s26, v86
	s_mov_b32 s26, -1
	ds_read2_b64 v[2:5], v18 offset1:16
	ds_read2_b64 v[22:25], v18 offset0:32 offset1:48
	ds_read2_b64 v[26:29], v18 offset0:64 offset1:80
	;; [unrolled: 1-line block ×4, first 2 shown]
	v_add_nc_u32_e32 v78, 0x800, v18
	ds_read2_b64 v[38:41], v18 offset0:160 offset1:176
	ds_read2_b64 v[42:45], v18 offset0:192 offset1:208
	;; [unrolled: 1-line block ×3, first 2 shown]
	ds_read2_b64 v[50:53], v78 offset1:16
	ds_read2_b64 v[54:57], v78 offset0:32 offset1:48
	ds_read2_b64 v[58:61], v78 offset0:64 offset1:80
	ds_read2_b64 v[62:65], v78 offset0:96 offset1:112
	ds_read2_b64 v[66:69], v78 offset0:128 offset1:144
	ds_read2_b64 v[70:73], v78 offset0:160 offset1:176
	ds_read2_b64 v[74:77], v78 offset0:192 offset1:208
	s_waitcnt lgkmcnt(9)
	v_max_f64 v[38:39], v[38:39], v[38:39]
	v_max_f64 v[40:41], v[40:41], v[40:41]
	;; [unrolled: 1-line block ×4, first 2 shown]
	ds_read2_b64 v[2:5], v78 offset0:224 offset1:240
	v_max_f64 v[22:23], v[22:23], v[22:23]
	v_max_f64 v[24:25], v[24:25], v[24:25]
	;; [unrolled: 1-line block ×8, first 2 shown]
	s_waitcnt lgkmcnt(9)
	v_max_f64 v[42:43], v[42:43], v[42:43]
	v_max_f64 v[44:45], v[44:45], v[44:45]
	s_waitcnt lgkmcnt(8)
	v_max_f64 v[46:47], v[46:47], v[46:47]
	v_max_f64 v[48:49], v[48:49], v[48:49]
	;; [unrolled: 3-line block ×10, first 2 shown]
	ds_read2st64_b64 v[2:5], v87 offset1:4
.LBB144_24:                             ;   Parent Loop BB144_23 Depth=1
                                        ; =>  This Inner Loop Header: Depth=2
	v_mov_b32_e32 v215, s27
	s_waitcnt lgkmcnt(0)
	v_max_f64 v[151:152], v[2:3], v[2:3]
	v_mov_b32_e32 v2, v4
	v_mov_b32_e32 v3, v5
	s_and_b32 vcc_lo, exec_lo, s26
	s_clause 0x3e
	buffer_load_dword v87, v215, s[0:3], 0 offen
	buffer_load_dword v88, v215, s[0:3], 0 offen offset:4
	buffer_load_dword v89, v215, s[0:3], 0 offen offset:8
	;; [unrolled: 1-line block ×63, first 2 shown]
	s_mov_b32 s26, 0
	s_mov_b32 s27, s19
	v_min_f64 v[153:154], v[18:19], v[151:152]
	v_min_f64 v[155:156], v[20:21], v[151:152]
	;; [unrolled: 1-line block ×32, first 2 shown]
	s_waitcnt vmcnt(62)
	v_add_f64 v[87:88], v[153:154], v[87:88]
	s_waitcnt vmcnt(60)
	v_add_f64 v[89:90], v[155:156], v[89:90]
	;; [unrolled: 2-line block ×32, first 2 shown]
	buffer_store_dword v87, v215, s[0:3], 0 offen
	buffer_store_dword v88, v215, s[0:3], 0 offen offset:4
	buffer_store_dword v89, v215, s[0:3], 0 offen offset:8
	;; [unrolled: 1-line block ×63, first 2 shown]
	s_cbranch_vccnz .LBB144_24
; %bb.25:                               ;   in Loop: Header=BB144_23 Depth=1
	s_add_i32 s10, s10, 1
	s_cmp_eq_u32 s10, 4
	s_cbranch_scc0 .LBB144_23
; %bb.26:
	v_lshl_add_u32 v87, v0, 5, 0x1000
	v_lshl_add_u32 v88, v1, 5, 0x3000
	s_cmp_lt_i32 s42, 9
	ds_write2st64_b64 v83, v[12:13], v[10:11] offset0:8 offset1:12
	ds_write2st64_b64 v83, v[16:17], v[14:15] offset0:24 offset1:28
	s_waitcnt lgkmcnt(0)
	s_waitcnt_vscnt null, 0x0
	s_barrier
	buffer_gl0_inv
	s_cbranch_scc1 .LBB144_53
; %bb.27:
	v_lshlrev_b64 v[70:71], 3, v[6:7]
	v_lshlrev_b64 v[72:73], 3, v[8:9]
	v_add_nc_u32_e32 v89, 0x1000, v83
	v_add_nc_u32_e32 v90, 0x3000, v83
	s_add_i32 s26, s42, -8
	s_mov_b32 s27, 8
	s_mov_b32 s28, 0
.LBB144_28:                             ; =>This Loop Header: Depth=1
                                        ;     Child Loop BB144_37 Depth 2
                                        ;       Child Loop BB144_38 Depth 3
                                        ;     Child Loop BB144_49 Depth 2
                                        ;       Child Loop BB144_50 Depth 3
	v_add_nc_u32_e32 v5, s27, v82
	v_mov_b32_e32 v6, 0
	v_mov_b32_e32 v8, 0
	;; [unrolled: 1-line block ×4, first 2 shown]
	v_min_i32_e32 v2, s23, v5
	v_cmp_le_i32_e32 vcc_lo, s42, v5
	v_mad_i64_i32 v[3:4], null, v2, s22, 0
	v_lshlrev_b64 v[3:4], 3, v[3:4]
	v_add_co_u32 v3, s10, s20, v3
	v_add_co_ci_u32_e64 v4, null, s21, v4, s10
	s_or_b32 s10, s6, vcc_lo
	s_nor_b32 s10, s24, s10
	s_and_saveexec_b32 s29, s10
	s_cbranch_execz .LBB144_30
; %bb.29:                               ;   in Loop: Header=BB144_28 Depth=1
	v_add_co_u32 v8, s10, v3, v70
	v_add_co_ci_u32_e64 v9, null, v4, v71, s10
	flat_load_dwordx2 v[8:9], v[8:9]
	s_waitcnt vmcnt(0) lgkmcnt(0)
	v_mul_f64 v[8:9], s[16:17], v[8:9]
.LBB144_30:                             ;   in Loop: Header=BB144_28 Depth=1
	s_or_b32 exec_lo, exec_lo, s29
	s_or_b32 s10, s7, vcc_lo
	s_nor_b32 s10, s24, s10
	s_and_saveexec_b32 s29, s10
	s_cbranch_execz .LBB144_32
; %bb.31:                               ;   in Loop: Header=BB144_28 Depth=1
	v_add_co_u32 v3, s10, v3, v70
	v_add_co_ci_u32_e64 v4, null, v4, v71, s10
	flat_load_dwordx2 v[3:4], v[3:4] offset:512
	s_waitcnt vmcnt(0) lgkmcnt(0)
	v_mul_f64 v[6:7], s[16:17], v[3:4]
.LBB144_32:                             ;   in Loop: Header=BB144_28 Depth=1
	s_or_b32 exec_lo, exec_lo, s29
	v_mad_i64_i32 v[2:3], null, v2, s25, 0
	v_mov_b32_e32 v10, 0
	v_mov_b32_e32 v12, 0
	;; [unrolled: 1-line block ×4, first 2 shown]
	v_lshlrev_b64 v[2:3], 3, v[2:3]
	v_add_co_u32 v2, s10, s14, v2
	v_add_co_ci_u32_e64 v3, null, s15, v3, s10
	s_or_b32 s10, s8, vcc_lo
	s_nor_b32 s10, s24, s10
	s_and_saveexec_b32 s29, s10
	s_cbranch_execz .LBB144_34
; %bb.33:                               ;   in Loop: Header=BB144_28 Depth=1
	v_add_co_u32 v4, s10, v2, v72
	v_add_co_ci_u32_e64 v5, null, v3, v73, s10
	flat_load_dwordx2 v[4:5], v[4:5]
	s_waitcnt vmcnt(0) lgkmcnt(0)
	v_mul_f64 v[12:13], s[16:17], v[4:5]
.LBB144_34:                             ;   in Loop: Header=BB144_28 Depth=1
	s_or_b32 exec_lo, exec_lo, s29
	s_or_b32 s10, s9, vcc_lo
	s_nor_b32 s29, s24, s10
	s_and_saveexec_b32 s10, s29
	s_cbranch_execz .LBB144_36
; %bb.35:                               ;   in Loop: Header=BB144_28 Depth=1
	v_add_co_u32 v2, vcc_lo, v2, v72
	v_add_co_ci_u32_e64 v3, null, v3, v73, vcc_lo
	flat_load_dwordx2 v[2:3], v[2:3] offset:512
	s_waitcnt vmcnt(0) lgkmcnt(0)
	v_mul_f64 v[10:11], s[16:17], v[2:3]
.LBB144_36:                             ;   in Loop: Header=BB144_28 Depth=1
	s_or_b32 exec_lo, exec_lo, s10
	s_mov_b32 s10, 0
.LBB144_37:                             ;   Parent Loop BB144_28 Depth=1
                                        ; =>  This Loop Header: Depth=2
                                        ;       Child Loop BB144_38 Depth 3
	s_lshl_b32 s29, s10, 3
	s_mov_b32 s30, 0
	v_add_nc_u32_e32 v14, s29, v87
	v_add_nc_u32_e32 v91, s29, v88
	s_mov_b32 s29, -1
	ds_read2_b64 v[2:5], v14 offset1:16
	ds_read2_b64 v[18:21], v14 offset0:32 offset1:48
	ds_read2_b64 v[22:25], v14 offset0:64 offset1:80
	v_add_nc_u32_e32 v15, 0x800, v14
	ds_read2_b64 v[26:29], v14 offset0:96 offset1:112
	ds_read2_b64 v[30:33], v14 offset0:128 offset1:144
	;; [unrolled: 1-line block ×5, first 2 shown]
	ds_read2_b64 v[46:49], v15 offset1:16
	ds_read2_b64 v[50:53], v15 offset0:32 offset1:48
	ds_read2_b64 v[54:57], v15 offset0:64 offset1:80
	;; [unrolled: 1-line block ×7, first 2 shown]
	s_waitcnt lgkmcnt(11)
	v_max_f64 v[30:31], v[30:31], v[30:31]
	v_max_f64 v[32:33], v[32:33], v[32:33]
	s_waitcnt lgkmcnt(10)
	v_max_f64 v[34:35], v[34:35], v[34:35]
	v_max_f64 v[36:37], v[36:37], v[36:37]
	;; [unrolled: 3-line block ×3, first 2 shown]
	v_max_f64 v[14:15], v[2:3], v[2:3]
	v_max_f64 v[16:17], v[4:5], v[4:5]
	;; [unrolled: 1-line block ×8, first 2 shown]
	s_waitcnt lgkmcnt(8)
	v_max_f64 v[42:43], v[42:43], v[42:43]
	v_max_f64 v[44:45], v[44:45], v[44:45]
	s_waitcnt lgkmcnt(7)
	v_max_f64 v[46:47], v[46:47], v[46:47]
	v_max_f64 v[48:49], v[48:49], v[48:49]
	;; [unrolled: 3-line block ×9, first 2 shown]
	ds_read2st64_b64 v[2:5], v91 offset1:4
.LBB144_38:                             ;   Parent Loop BB144_28 Depth=1
                                        ;     Parent Loop BB144_37 Depth=2
                                        ; =>    This Inner Loop Header: Depth=3
	v_mov_b32_e32 v219, s30
	s_waitcnt lgkmcnt(0)
	v_max_f64 v[155:156], v[2:3], v[2:3]
	v_mov_b32_e32 v2, v4
	v_mov_b32_e32 v3, v5
	s_and_b32 vcc_lo, exec_lo, s29
	s_clause 0x3e
	buffer_load_dword v91, v219, s[0:3], 0 offen
	buffer_load_dword v92, v219, s[0:3], 0 offen offset:4
	buffer_load_dword v93, v219, s[0:3], 0 offen offset:8
	buffer_load_dword v94, v219, s[0:3], 0 offen offset:12
	buffer_load_dword v95, v219, s[0:3], 0 offen offset:16
	buffer_load_dword v96, v219, s[0:3], 0 offen offset:20
	buffer_load_dword v97, v219, s[0:3], 0 offen offset:24
	buffer_load_dword v98, v219, s[0:3], 0 offen offset:28
	buffer_load_dword v99, v219, s[0:3], 0 offen offset:32
	buffer_load_dword v100, v219, s[0:3], 0 offen offset:36
	buffer_load_dword v101, v219, s[0:3], 0 offen offset:40
	buffer_load_dword v102, v219, s[0:3], 0 offen offset:44
	buffer_load_dword v103, v219, s[0:3], 0 offen offset:48
	buffer_load_dword v104, v219, s[0:3], 0 offen offset:52
	buffer_load_dword v105, v219, s[0:3], 0 offen offset:56
	buffer_load_dword v106, v219, s[0:3], 0 offen offset:60
	buffer_load_dword v108, v219, s[0:3], 0 offen offset:68
	buffer_load_dword v109, v219, s[0:3], 0 offen offset:72
	buffer_load_dword v110, v219, s[0:3], 0 offen offset:76
	buffer_load_dword v111, v219, s[0:3], 0 offen offset:80
	buffer_load_dword v112, v219, s[0:3], 0 offen offset:84
	buffer_load_dword v113, v219, s[0:3], 0 offen offset:88
	buffer_load_dword v114, v219, s[0:3], 0 offen offset:92
	buffer_load_dword v107, v219, s[0:3], 0 offen offset:64
	buffer_load_dword v115, v219, s[0:3], 0 offen offset:96
	buffer_load_dword v116, v219, s[0:3], 0 offen offset:100
	buffer_load_dword v117, v219, s[0:3], 0 offen offset:104
	buffer_load_dword v118, v219, s[0:3], 0 offen offset:108
	buffer_load_dword v119, v219, s[0:3], 0 offen offset:112
	buffer_load_dword v120, v219, s[0:3], 0 offen offset:116
	buffer_load_dword v121, v219, s[0:3], 0 offen offset:120
	buffer_load_dword v122, v219, s[0:3], 0 offen offset:124
	buffer_load_dword v123, v219, s[0:3], 0 offen offset:128
	buffer_load_dword v124, v219, s[0:3], 0 offen offset:132
	buffer_load_dword v125, v219, s[0:3], 0 offen offset:136
	buffer_load_dword v126, v219, s[0:3], 0 offen offset:140
	buffer_load_dword v127, v219, s[0:3], 0 offen offset:144
	buffer_load_dword v128, v219, s[0:3], 0 offen offset:148
	buffer_load_dword v129, v219, s[0:3], 0 offen offset:152
	buffer_load_dword v130, v219, s[0:3], 0 offen offset:156
	buffer_load_dword v131, v219, s[0:3], 0 offen offset:160
	buffer_load_dword v132, v219, s[0:3], 0 offen offset:164
	buffer_load_dword v133, v219, s[0:3], 0 offen offset:168
	buffer_load_dword v134, v219, s[0:3], 0 offen offset:172
	buffer_load_dword v135, v219, s[0:3], 0 offen offset:176
	buffer_load_dword v136, v219, s[0:3], 0 offen offset:180
	buffer_load_dword v137, v219, s[0:3], 0 offen offset:184
	buffer_load_dword v138, v219, s[0:3], 0 offen offset:188
	buffer_load_dword v139, v219, s[0:3], 0 offen offset:192
	buffer_load_dword v140, v219, s[0:3], 0 offen offset:196
	buffer_load_dword v141, v219, s[0:3], 0 offen offset:200
	buffer_load_dword v142, v219, s[0:3], 0 offen offset:204
	buffer_load_dword v143, v219, s[0:3], 0 offen offset:208
	buffer_load_dword v144, v219, s[0:3], 0 offen offset:212
	buffer_load_dword v145, v219, s[0:3], 0 offen offset:216
	buffer_load_dword v146, v219, s[0:3], 0 offen offset:220
	buffer_load_dword v147, v219, s[0:3], 0 offen offset:224
	buffer_load_dword v148, v219, s[0:3], 0 offen offset:228
	buffer_load_dword v149, v219, s[0:3], 0 offen offset:232
	buffer_load_dword v150, v219, s[0:3], 0 offen offset:236
	buffer_load_dword v151, v219, s[0:3], 0 offen offset:240
	buffer_load_dword v152, v219, s[0:3], 0 offen offset:244
	buffer_load_dword v153, v219, s[0:3], 0 offen offset:248
	buffer_load_dword v154, v219, s[0:3], 0 offen offset:252
	s_mov_b32 s29, 0
	s_mov_b32 s30, s19
	v_min_f64 v[157:158], v[14:15], v[155:156]
	v_min_f64 v[159:160], v[16:17], v[155:156]
	;; [unrolled: 1-line block ×32, first 2 shown]
	s_waitcnt vmcnt(62)
	v_add_f64 v[91:92], v[157:158], v[91:92]
	s_waitcnt vmcnt(60)
	v_add_f64 v[93:94], v[159:160], v[93:94]
	;; [unrolled: 2-line block ×32, first 2 shown]
	buffer_store_dword v91, v219, s[0:3], 0 offen
	buffer_store_dword v92, v219, s[0:3], 0 offen offset:4
	buffer_store_dword v93, v219, s[0:3], 0 offen offset:8
	;; [unrolled: 1-line block ×63, first 2 shown]
	s_cbranch_vccnz .LBB144_38
; %bb.39:                               ;   in Loop: Header=BB144_37 Depth=2
	s_add_i32 s10, s10, 1
	s_cmp_eq_u32 s10, 4
	s_cbranch_scc0 .LBB144_37
; %bb.40:                               ;   in Loop: Header=BB144_28 Depth=1
	v_add3_u32 v5, v82, s27, 4
	v_mov_b32_e32 v74, 0
	v_mov_b32_e32 v76, 0
	v_mov_b32_e32 v75, 0
	v_mov_b32_e32 v77, 0
	v_min_i32_e32 v2, s23, v5
	v_cmp_le_i32_e32 vcc_lo, s42, v5
	ds_write2st64_b64 v83, v[8:9], v[6:7] offset1:4
	ds_write2st64_b64 v85, v[12:13], v[10:11] offset1:4
	s_waitcnt lgkmcnt(0)
	s_waitcnt_vscnt null, 0x0
	s_barrier
	v_mad_i64_i32 v[3:4], null, v2, s22, 0
	buffer_gl0_inv
	v_lshlrev_b64 v[3:4], 3, v[3:4]
	v_add_co_u32 v3, s10, s20, v3
	v_add_co_ci_u32_e64 v4, null, s21, v4, s10
	s_or_b32 s10, s6, vcc_lo
	s_nor_b32 s10, s24, s10
	s_and_saveexec_b32 s29, s10
	s_cbranch_execz .LBB144_42
; %bb.41:                               ;   in Loop: Header=BB144_28 Depth=1
	v_add_co_u32 v5, s10, v3, v70
	v_add_co_ci_u32_e64 v6, null, v4, v71, s10
	flat_load_dwordx2 v[5:6], v[5:6]
	s_waitcnt vmcnt(0) lgkmcnt(0)
	v_mul_f64 v[76:77], s[16:17], v[5:6]
.LBB144_42:                             ;   in Loop: Header=BB144_28 Depth=1
	s_or_b32 exec_lo, exec_lo, s29
	s_or_b32 s10, s7, vcc_lo
	s_nor_b32 s10, s24, s10
	s_and_saveexec_b32 s29, s10
	s_cbranch_execz .LBB144_44
; %bb.43:                               ;   in Loop: Header=BB144_28 Depth=1
	v_add_co_u32 v3, s10, v3, v70
	v_add_co_ci_u32_e64 v4, null, v4, v71, s10
	flat_load_dwordx2 v[3:4], v[3:4] offset:512
	s_waitcnt vmcnt(0) lgkmcnt(0)
	v_mul_f64 v[74:75], s[16:17], v[3:4]
.LBB144_44:                             ;   in Loop: Header=BB144_28 Depth=1
	s_or_b32 exec_lo, exec_lo, s29
	v_mad_i64_i32 v[2:3], null, v2, s25, 0
	v_mov_b32_e32 v78, 0
	v_mov_b32_e32 v80, 0
	;; [unrolled: 1-line block ×4, first 2 shown]
	v_lshlrev_b64 v[2:3], 3, v[2:3]
	v_add_co_u32 v2, s10, s14, v2
	v_add_co_ci_u32_e64 v3, null, s15, v3, s10
	s_or_b32 s10, s8, vcc_lo
	s_nor_b32 s10, s24, s10
	s_and_saveexec_b32 s29, s10
	s_cbranch_execz .LBB144_46
; %bb.45:                               ;   in Loop: Header=BB144_28 Depth=1
	v_add_co_u32 v4, s10, v2, v72
	v_add_co_ci_u32_e64 v5, null, v3, v73, s10
	flat_load_dwordx2 v[4:5], v[4:5]
	s_waitcnt vmcnt(0) lgkmcnt(0)
	v_mul_f64 v[80:81], s[16:17], v[4:5]
.LBB144_46:                             ;   in Loop: Header=BB144_28 Depth=1
	s_or_b32 exec_lo, exec_lo, s29
	s_or_b32 s10, s9, vcc_lo
	s_nor_b32 s29, s24, s10
	s_and_saveexec_b32 s10, s29
	s_cbranch_execz .LBB144_48
; %bb.47:                               ;   in Loop: Header=BB144_28 Depth=1
	v_add_co_u32 v2, vcc_lo, v2, v72
	v_add_co_ci_u32_e64 v3, null, v3, v73, vcc_lo
	flat_load_dwordx2 v[2:3], v[2:3] offset:512
	s_waitcnt vmcnt(0) lgkmcnt(0)
	v_mul_f64 v[78:79], s[16:17], v[2:3]
.LBB144_48:                             ;   in Loop: Header=BB144_28 Depth=1
	s_or_b32 exec_lo, exec_lo, s10
	s_mov_b32 s10, 0
.LBB144_49:                             ;   Parent Loop BB144_28 Depth=1
                                        ; =>  This Loop Header: Depth=2
                                        ;       Child Loop BB144_50 Depth 3
	s_lshl_b32 s29, s10, 3
	s_mov_b32 s30, 0
	v_add_nc_u32_e32 v30, s29, v84
	v_add_nc_u32_e32 v66, s29, v86
	s_mov_b32 s29, -1
	ds_read2_b64 v[2:5], v30 offset1:16
	ds_read2_b64 v[6:9], v30 offset0:32 offset1:48
	ds_read2_b64 v[10:13], v30 offset0:64 offset1:80
	;; [unrolled: 1-line block ×3, first 2 shown]
	v_add_nc_u32_e32 v62, 0x800, v30
	ds_read2_b64 v[18:21], v30 offset0:128 offset1:144
	ds_read2_b64 v[22:25], v30 offset0:160 offset1:176
	;; [unrolled: 1-line block ×4, first 2 shown]
	ds_read2_b64 v[34:37], v62 offset1:16
	ds_read2_b64 v[38:41], v62 offset0:32 offset1:48
	ds_read2_b64 v[42:45], v62 offset0:64 offset1:80
	;; [unrolled: 1-line block ×7, first 2 shown]
	ds_read2st64_b64 v[66:69], v66 offset1:4
.LBB144_50:                             ;   Parent Loop BB144_28 Depth=1
                                        ;     Parent Loop BB144_49 Depth=2
                                        ; =>    This Inner Loop Header: Depth=3
	v_mov_b32_e32 v91, s30
	s_waitcnt lgkmcnt(16)
	v_max_f64 v[156:157], v[2:3], v[2:3]
	s_waitcnt lgkmcnt(0)
	v_max_f64 v[158:159], v[66:67], v[66:67]
	v_max_f64 v[160:161], v[4:5], v[4:5]
	;; [unrolled: 1-line block ×3, first 2 shown]
	s_clause 0x3e
	buffer_load_dword v92, v91, s[0:3], 0 offen
	buffer_load_dword v93, v91, s[0:3], 0 offen offset:4
	buffer_load_dword v94, v91, s[0:3], 0 offen offset:8
	;; [unrolled: 1-line block ×63, first 2 shown]
	v_max_f64 v[164:165], v[8:9], v[8:9]
	v_max_f64 v[166:167], v[10:11], v[10:11]
	;; [unrolled: 1-line block ×29, first 2 shown]
	v_min_f64 v[156:157], v[156:157], v[158:159]
	v_min_f64 v[160:161], v[160:161], v[158:159]
	;; [unrolled: 1-line block ×32, first 2 shown]
	v_mov_b32_e32 v66, v68
	v_mov_b32_e32 v67, v69
	s_and_b32 vcc_lo, exec_lo, s29
	s_mov_b32 s29, 0
	s_mov_b32 s30, s19
	s_waitcnt vmcnt(62)
	v_add_f64 v[92:93], v[156:157], v[92:93]
	s_waitcnt vmcnt(60)
	v_add_f64 v[94:95], v[160:161], v[94:95]
	;; [unrolled: 2-line block ×32, first 2 shown]
	buffer_store_dword v92, v91, s[0:3], 0 offen
	buffer_store_dword v93, v91, s[0:3], 0 offen offset:4
	buffer_store_dword v94, v91, s[0:3], 0 offen offset:8
	;; [unrolled: 1-line block ×63, first 2 shown]
	s_cbranch_vccnz .LBB144_50
; %bb.51:                               ;   in Loop: Header=BB144_49 Depth=2
	s_add_i32 s10, s10, 1
	s_cmp_eq_u32 s10, 4
	s_cbranch_scc0 .LBB144_49
; %bb.52:                               ;   in Loop: Header=BB144_28 Depth=1
	s_add_i32 s28, s28, 8
	s_add_i32 s27, s27, 8
	s_cmp_ge_i32 s28, s26
	ds_write2st64_b64 v89, v[76:77], v[74:75] offset1:4
	ds_write2st64_b64 v90, v[80:81], v[78:79] offset1:4
	s_waitcnt lgkmcnt(0)
	s_waitcnt_vscnt null, 0x0
	s_barrier
	buffer_gl0_inv
	s_cbranch_scc0 .LBB144_28
.LBB144_53:
	s_mov_b32 s6, 0
.LBB144_54:                             ; =>This Loop Header: Depth=1
                                        ;     Child Loop BB144_55 Depth 2
	s_lshl_b32 s7, s6, 3
	s_mov_b32 s8, 0
	v_add_nc_u32_e32 v6, s7, v87
	v_add_nc_u32_e32 v70, s7, v88
	s_mov_b32 s7, -1
	ds_read2_b64 v[2:5], v6 offset1:16
	ds_read2_b64 v[10:13], v6 offset0:32 offset1:48
	ds_read2_b64 v[14:17], v6 offset0:64 offset1:80
	v_add_nc_u32_e32 v7, 0x800, v6
	ds_read2_b64 v[18:21], v6 offset0:96 offset1:112
	ds_read2_b64 v[22:25], v6 offset0:128 offset1:144
	;; [unrolled: 1-line block ×5, first 2 shown]
	ds_read2_b64 v[38:41], v7 offset1:16
	ds_read2_b64 v[42:45], v7 offset0:32 offset1:48
	ds_read2_b64 v[46:49], v7 offset0:64 offset1:80
	;; [unrolled: 1-line block ×7, first 2 shown]
	s_waitcnt lgkmcnt(11)
	v_max_f64 v[22:23], v[22:23], v[22:23]
	v_max_f64 v[24:25], v[24:25], v[24:25]
	s_waitcnt lgkmcnt(10)
	v_max_f64 v[26:27], v[26:27], v[26:27]
	v_max_f64 v[28:29], v[28:29], v[28:29]
	;; [unrolled: 3-line block ×3, first 2 shown]
	v_max_f64 v[6:7], v[2:3], v[2:3]
	v_max_f64 v[8:9], v[4:5], v[4:5]
	;; [unrolled: 1-line block ×8, first 2 shown]
	s_waitcnt lgkmcnt(8)
	v_max_f64 v[34:35], v[34:35], v[34:35]
	v_max_f64 v[36:37], v[36:37], v[36:37]
	s_waitcnt lgkmcnt(7)
	v_max_f64 v[38:39], v[38:39], v[38:39]
	v_max_f64 v[40:41], v[40:41], v[40:41]
	;; [unrolled: 3-line block ×9, first 2 shown]
	ds_read2st64_b64 v[2:5], v70 offset1:4
.LBB144_55:                             ;   Parent Loop BB144_54 Depth=1
                                        ; =>  This Inner Loop Header: Depth=2
	v_mov_b32_e32 v86, s8
	s_waitcnt lgkmcnt(0)
	v_max_f64 v[137:138], v[2:3], v[2:3]
	v_mov_b32_e32 v2, v4
	v_mov_b32_e32 v3, v5
	s_and_b32 vcc_lo, exec_lo, s7
	s_clause 0x3e
	buffer_load_dword v70, v86, s[0:3], 0 offen
	buffer_load_dword v71, v86, s[0:3], 0 offen offset:4
	buffer_load_dword v72, v86, s[0:3], 0 offen offset:8
	;; [unrolled: 1-line block ×63, first 2 shown]
	s_mov_b32 s7, 0
	s_mov_b32 s8, s19
	v_min_f64 v[139:140], v[6:7], v[137:138]
	v_min_f64 v[141:142], v[8:9], v[137:138]
	;; [unrolled: 1-line block ×32, first 2 shown]
	s_waitcnt vmcnt(62)
	v_add_f64 v[70:71], v[139:140], v[70:71]
	s_waitcnt vmcnt(60)
	v_add_f64 v[72:73], v[141:142], v[72:73]
	;; [unrolled: 2-line block ×32, first 2 shown]
	buffer_store_dword v70, v86, s[0:3], 0 offen
	buffer_store_dword v71, v86, s[0:3], 0 offen offset:4
	buffer_store_dword v72, v86, s[0:3], 0 offen offset:8
	;; [unrolled: 1-line block ×63, first 2 shown]
	s_cbranch_vccnz .LBB144_55
; %bb.56:                               ;   in Loop: Header=BB144_54 Depth=1
	s_add_i32 s6, s6, 1
	s_cmp_eq_u32 s6, 4
	s_cbranch_scc0 .LBB144_54
; %bb.57:
	s_clause 0x2
	s_load_dword s43, s[4:5], 0x58
	s_load_dword s42, s[4:5], 0x70
	s_load_dwordx2 s[6:7], s[4:5], 0x78
	v_add_nc_u32_e32 v71, s18, v1
	v_add_nc_u32_e32 v0, s11, v0
	v_cndmask_b32_e64 v70, 0, 1, s46
	v_cmp_gt_i32_e64 s16, s41, v71
	v_cmp_gt_i32_e64 s4, s40, v0
	s_waitcnt lgkmcnt(0)
	v_mad_i64_i32 v[1:2], null, v71, s43, 0
	v_mad_i64_i32 v[3:4], null, v71, s42, 0
	s_lshl_b64 s[6:7], s[6:7], 3
	s_add_u32 s47, s12, s6
	s_addc_u32 s48, s13, s7
	v_lshlrev_b64 v[5:6], 3, v[1:2]
	v_ashrrev_i32_e32 v1, 31, v0
	v_lshlrev_b64 v[2:3], 3, v[3:4]
	s_and_b32 s6, s16, s4
	v_add_co_u32 v68, vcc_lo, s44, v5
	v_add_co_ci_u32_e64 v69, null, s45, v6, vcc_lo
	v_add_co_u32 v72, vcc_lo, s47, v2
	v_add_co_ci_u32_e64 v73, null, s48, v3, vcc_lo
	s_and_saveexec_b32 s5, s6
	s_cbranch_execz .LBB144_62
; %bb.58:
	s_clause 0x1
	buffer_load_dword v2, off, s[0:3], 0
	buffer_load_dword v3, off, s[0:3], 0 offset:4
	v_lshlrev_b64 v[4:5], 3, v[0:1]
	s_andn2_b32 vcc_lo, exec_lo, s46
	s_cbranch_vccnz .LBB144_60
; %bb.59:
	v_add_co_u32 v6, vcc_lo, v68, v4
	v_add_co_ci_u32_e64 v7, null, v69, v5, vcc_lo
	flat_load_dwordx2 v[6:7], v[6:7]
	s_waitcnt vmcnt(0) lgkmcnt(0)
	v_mul_f64 v[6:7], s[38:39], v[6:7]
	s_branch .LBB144_61
.LBB144_60:
	v_mov_b32_e32 v6, 0
	v_mov_b32_e32 v7, 0
.LBB144_61:
	s_waitcnt vmcnt(0)
	v_add_f64 v[2:3], v[2:3], v[6:7]
	v_add_co_u32 v4, vcc_lo, v72, v4
	v_add_co_ci_u32_e64 v5, null, v73, v5, vcc_lo
	flat_store_dwordx2 v[4:5], v[2:3]
.LBB144_62:
	s_or_b32 exec_lo, exec_lo, s5
	v_add_nc_u32_e32 v2, 4, v0
	v_cmp_gt_i32_e64 s5, s40, v2
	v_ashrrev_i32_e32 v3, 31, v2
	s_and_b32 s7, s16, s5
	s_and_saveexec_b32 s6, s7
	s_cbranch_execz .LBB144_67
; %bb.63:
	s_clause 0x1
	buffer_load_dword v4, off, s[0:3], 0 offset:8
	buffer_load_dword v5, off, s[0:3], 0 offset:12
	v_lshlrev_b64 v[6:7], 3, v[2:3]
	s_andn2_b32 vcc_lo, exec_lo, s46
	s_cbranch_vccnz .LBB144_65
; %bb.64:
	v_add_co_u32 v8, vcc_lo, v68, v6
	v_add_co_ci_u32_e64 v9, null, v69, v7, vcc_lo
	flat_load_dwordx2 v[8:9], v[8:9]
	s_waitcnt vmcnt(0) lgkmcnt(0)
	v_mul_f64 v[8:9], s[38:39], v[8:9]
	s_branch .LBB144_66
.LBB144_65:
	v_mov_b32_e32 v8, 0
	v_mov_b32_e32 v9, 0
.LBB144_66:
	s_waitcnt vmcnt(0)
	v_add_f64 v[4:5], v[4:5], v[8:9]
	v_add_co_u32 v6, vcc_lo, v72, v6
	v_add_co_ci_u32_e64 v7, null, v73, v7, vcc_lo
	flat_store_dwordx2 v[6:7], v[4:5]
.LBB144_67:
	s_or_b32 exec_lo, exec_lo, s6
	v_add_nc_u32_e32 v4, 8, v0
	v_cmp_gt_i32_e64 s6, s40, v4
	v_ashrrev_i32_e32 v5, 31, v4
	s_and_b32 s8, s16, s6
	s_and_saveexec_b32 s7, s8
	s_cbranch_execz .LBB144_72
; %bb.68:
	s_clause 0x1
	buffer_load_dword v6, off, s[0:3], 0 offset:16
	buffer_load_dword v7, off, s[0:3], 0 offset:20
	v_lshlrev_b64 v[8:9], 3, v[4:5]
	s_andn2_b32 vcc_lo, exec_lo, s46
	s_cbranch_vccnz .LBB144_70
; %bb.69:
	v_add_co_u32 v10, vcc_lo, v68, v8
	v_add_co_ci_u32_e64 v11, null, v69, v9, vcc_lo
	flat_load_dwordx2 v[10:11], v[10:11]
	s_waitcnt vmcnt(0) lgkmcnt(0)
	v_mul_f64 v[10:11], s[38:39], v[10:11]
	s_branch .LBB144_71
.LBB144_70:
	v_mov_b32_e32 v10, 0
	v_mov_b32_e32 v11, 0
.LBB144_71:
	s_waitcnt vmcnt(0)
	v_add_f64 v[6:7], v[6:7], v[10:11]
	v_add_co_u32 v8, vcc_lo, v72, v8
	v_add_co_ci_u32_e64 v9, null, v73, v9, vcc_lo
	flat_store_dwordx2 v[8:9], v[6:7]
.LBB144_72:
	;; [unrolled: 31-line block ×31, first 2 shown]
	s_or_b32 exec_lo, exec_lo, s16
	v_add_nc_u32_e32 v68, 64, v71
	v_mad_i64_i32 v[64:65], null, v68, s43, 0
	v_mad_i64_i32 v[66:67], null, v68, s42, 0
	v_cmp_gt_i32_e64 s16, s41, v68
	v_lshlrev_b64 v[64:65], 3, v[64:65]
	s_and_b32 s4, s16, s4
	v_lshlrev_b64 v[66:67], 3, v[66:67]
	v_add_co_u32 v71, vcc_lo, s44, v64
	v_add_co_ci_u32_e64 v72, null, s45, v65, vcc_lo
	v_add_co_u32 v68, vcc_lo, s47, v66
	v_add_co_ci_u32_e64 v69, null, s48, v67, vcc_lo
	s_and_saveexec_b32 s40, s4
	s_xor_b32 s4, exec_lo, s40
	s_cbranch_execnz .LBB144_250
; %bb.218:
	s_or_b32 exec_lo, exec_lo, s4
	s_and_b32 s5, s16, s5
	s_and_saveexec_b32 s4, s5
	s_cbranch_execnz .LBB144_254
.LBB144_219:
	s_or_b32 exec_lo, exec_lo, s4
	s_and_b32 s5, s16, s6
	s_and_saveexec_b32 s4, s5
	s_cbranch_execnz .LBB144_258
.LBB144_220:
	s_or_b32 exec_lo, exec_lo, s4
	s_and_b32 s5, s16, s7
	s_and_saveexec_b32 s4, s5
	s_cbranch_execnz .LBB144_262
.LBB144_221:
	s_or_b32 exec_lo, exec_lo, s4
	s_and_b32 s5, s16, s8
	s_and_saveexec_b32 s4, s5
	s_cbranch_execnz .LBB144_266
.LBB144_222:
	s_or_b32 exec_lo, exec_lo, s4
	s_and_b32 s5, s16, s9
	s_and_saveexec_b32 s4, s5
	s_cbranch_execnz .LBB144_270
.LBB144_223:
	s_or_b32 exec_lo, exec_lo, s4
	s_and_b32 s5, s16, s10
	s_and_saveexec_b32 s4, s5
	s_cbranch_execnz .LBB144_274
.LBB144_224:
	s_or_b32 exec_lo, exec_lo, s4
	s_and_b32 s5, s16, s11
	s_and_saveexec_b32 s4, s5
	s_cbranch_execnz .LBB144_278
.LBB144_225:
	s_or_b32 exec_lo, exec_lo, s4
	s_and_b32 s5, s16, s12
	s_and_saveexec_b32 s4, s5
	s_cbranch_execnz .LBB144_282
.LBB144_226:
	s_or_b32 exec_lo, exec_lo, s4
	s_and_b32 s5, s16, s13
	s_and_saveexec_b32 s4, s5
	s_cbranch_execnz .LBB144_286
.LBB144_227:
	s_or_b32 exec_lo, exec_lo, s4
	s_and_b32 s5, s16, s14
	s_and_saveexec_b32 s4, s5
	s_cbranch_execnz .LBB144_290
.LBB144_228:
	s_or_b32 exec_lo, exec_lo, s4
	s_and_b32 s5, s16, s15
	s_and_saveexec_b32 s4, s5
	s_cbranch_execnz .LBB144_294
.LBB144_229:
	s_or_b32 exec_lo, exec_lo, s4
	s_and_b32 s5, s16, s17
	s_and_saveexec_b32 s4, s5
	s_cbranch_execnz .LBB144_298
.LBB144_230:
	s_or_b32 exec_lo, exec_lo, s4
	s_and_b32 s5, s16, s18
	s_and_saveexec_b32 s4, s5
	s_cbranch_execnz .LBB144_302
.LBB144_231:
	s_or_b32 exec_lo, exec_lo, s4
	s_and_b32 s5, s16, s19
	s_and_saveexec_b32 s4, s5
	s_cbranch_execnz .LBB144_306
.LBB144_232:
	s_or_b32 exec_lo, exec_lo, s4
	s_and_b32 s5, s16, s20
	s_and_saveexec_b32 s4, s5
	s_cbranch_execnz .LBB144_310
.LBB144_233:
	s_or_b32 exec_lo, exec_lo, s4
	s_and_b32 s5, s16, s21
	s_and_saveexec_b32 s4, s5
	s_cbranch_execnz .LBB144_314
.LBB144_234:
	s_or_b32 exec_lo, exec_lo, s4
	s_and_b32 s5, s16, s22
	s_and_saveexec_b32 s4, s5
	s_cbranch_execnz .LBB144_318
.LBB144_235:
	s_or_b32 exec_lo, exec_lo, s4
	s_and_b32 s5, s16, s23
	s_and_saveexec_b32 s4, s5
	s_cbranch_execnz .LBB144_322
.LBB144_236:
	s_or_b32 exec_lo, exec_lo, s4
	s_and_b32 s5, s16, s24
	s_and_saveexec_b32 s4, s5
	s_cbranch_execnz .LBB144_326
.LBB144_237:
	s_or_b32 exec_lo, exec_lo, s4
	s_and_b32 s5, s16, s25
	s_and_saveexec_b32 s4, s5
	s_cbranch_execnz .LBB144_330
.LBB144_238:
	s_or_b32 exec_lo, exec_lo, s4
	s_and_b32 s5, s16, s26
	s_and_saveexec_b32 s4, s5
	s_cbranch_execnz .LBB144_334
.LBB144_239:
	s_or_b32 exec_lo, exec_lo, s4
	s_and_b32 s5, s16, s27
	s_and_saveexec_b32 s4, s5
	s_cbranch_execnz .LBB144_338
.LBB144_240:
	s_or_b32 exec_lo, exec_lo, s4
	s_and_b32 s5, s16, s28
	s_and_saveexec_b32 s4, s5
	s_cbranch_execnz .LBB144_342
.LBB144_241:
	s_or_b32 exec_lo, exec_lo, s4
	s_and_b32 s5, s16, s29
	s_and_saveexec_b32 s4, s5
	s_cbranch_execnz .LBB144_346
.LBB144_242:
	s_or_b32 exec_lo, exec_lo, s4
	s_and_b32 s5, s16, s30
	s_and_saveexec_b32 s4, s5
	s_cbranch_execnz .LBB144_350
.LBB144_243:
	s_or_b32 exec_lo, exec_lo, s4
	s_and_b32 s5, s16, s31
	s_and_saveexec_b32 s4, s5
	s_cbranch_execnz .LBB144_354
.LBB144_244:
	s_or_b32 exec_lo, exec_lo, s4
	s_and_b32 s5, s16, s33
	s_and_saveexec_b32 s4, s5
	s_cbranch_execnz .LBB144_358
.LBB144_245:
	s_or_b32 exec_lo, exec_lo, s4
	s_and_b32 s5, s16, s34
	s_and_saveexec_b32 s4, s5
	s_cbranch_execnz .LBB144_362
.LBB144_246:
	s_or_b32 exec_lo, exec_lo, s4
	s_and_b32 s5, s16, s35
	s_and_saveexec_b32 s4, s5
	s_cbranch_execnz .LBB144_366
.LBB144_247:
	s_or_b32 exec_lo, exec_lo, s4
	s_and_b32 s5, s16, s36
	s_and_saveexec_b32 s4, s5
	s_cbranch_execnz .LBB144_370
.LBB144_248:
	s_or_b32 exec_lo, exec_lo, s4
	s_and_b32 s4, s16, s37
	s_and_saveexec_b32 s5, s4
	s_cbranch_execnz .LBB144_374
.LBB144_249:
	s_endpgm
.LBB144_250:
	s_clause 0x1
	buffer_load_dword v64, off, s[0:3], 0 offset:256
	buffer_load_dword v65, off, s[0:3], 0 offset:260
	v_lshlrev_b64 v[0:1], 3, v[0:1]
	s_andn2_b32 vcc_lo, exec_lo, s46
	s_cbranch_vccnz .LBB144_252
; %bb.251:
	v_add_co_u32 v66, vcc_lo, v71, v0
	v_add_co_ci_u32_e64 v67, null, v72, v1, vcc_lo
	flat_load_dwordx2 v[66:67], v[66:67]
	s_waitcnt vmcnt(0) lgkmcnt(0)
	v_mul_f64 v[66:67], s[38:39], v[66:67]
	s_branch .LBB144_253
.LBB144_252:
	v_mov_b32_e32 v66, 0
	v_mov_b32_e32 v67, 0
.LBB144_253:
	s_waitcnt vmcnt(0)
	v_add_f64 v[64:65], v[64:65], v[66:67]
	v_add_co_u32 v0, vcc_lo, v68, v0
	v_add_co_ci_u32_e64 v1, null, v69, v1, vcc_lo
	flat_store_dwordx2 v[0:1], v[64:65]
	s_or_b32 exec_lo, exec_lo, s4
	s_and_b32 s5, s16, s5
	s_and_saveexec_b32 s4, s5
	s_cbranch_execz .LBB144_219
.LBB144_254:
	s_clause 0x1
	buffer_load_dword v0, off, s[0:3], 0 offset:264
	buffer_load_dword v1, off, s[0:3], 0 offset:268
	v_cmp_ne_u32_e32 vcc_lo, 1, v70
	v_lshlrev_b64 v[2:3], 3, v[2:3]
	s_cbranch_vccnz .LBB144_256
; %bb.255:
	v_add_co_u32 v64, vcc_lo, v71, v2
	v_add_co_ci_u32_e64 v65, null, v72, v3, vcc_lo
	flat_load_dwordx2 v[64:65], v[64:65]
	s_waitcnt vmcnt(0) lgkmcnt(0)
	v_mul_f64 v[64:65], s[38:39], v[64:65]
	s_branch .LBB144_257
.LBB144_256:
	v_mov_b32_e32 v64, 0
	v_mov_b32_e32 v65, 0
.LBB144_257:
	s_waitcnt vmcnt(0)
	v_add_f64 v[0:1], v[0:1], v[64:65]
	v_add_co_u32 v2, vcc_lo, v68, v2
	v_add_co_ci_u32_e64 v3, null, v69, v3, vcc_lo
	flat_store_dwordx2 v[2:3], v[0:1]
	s_or_b32 exec_lo, exec_lo, s4
	s_and_b32 s5, s16, s6
	s_and_saveexec_b32 s4, s5
	s_cbranch_execz .LBB144_220
.LBB144_258:
	s_clause 0x1
	buffer_load_dword v0, off, s[0:3], 0 offset:272
	buffer_load_dword v1, off, s[0:3], 0 offset:276
	v_cmp_ne_u32_e32 vcc_lo, 1, v70
	v_lshlrev_b64 v[2:3], 3, v[4:5]
	s_cbranch_vccnz .LBB144_260
; %bb.259:
	v_add_co_u32 v4, vcc_lo, v71, v2
	v_add_co_ci_u32_e64 v5, null, v72, v3, vcc_lo
	flat_load_dwordx2 v[4:5], v[4:5]
	s_waitcnt vmcnt(0) lgkmcnt(0)
	v_mul_f64 v[4:5], s[38:39], v[4:5]
	s_branch .LBB144_261
.LBB144_260:
	v_mov_b32_e32 v4, 0
	v_mov_b32_e32 v5, 0
.LBB144_261:
	s_waitcnt vmcnt(0)
	v_add_f64 v[0:1], v[0:1], v[4:5]
	v_add_co_u32 v2, vcc_lo, v68, v2
	v_add_co_ci_u32_e64 v3, null, v69, v3, vcc_lo
	flat_store_dwordx2 v[2:3], v[0:1]
	s_or_b32 exec_lo, exec_lo, s4
	s_and_b32 s5, s16, s7
	s_and_saveexec_b32 s4, s5
	s_cbranch_execz .LBB144_221
.LBB144_262:
	s_clause 0x1
	buffer_load_dword v0, off, s[0:3], 0 offset:280
	buffer_load_dword v1, off, s[0:3], 0 offset:284
	v_cmp_ne_u32_e32 vcc_lo, 1, v70
	v_lshlrev_b64 v[2:3], 3, v[6:7]
	s_cbranch_vccnz .LBB144_264
; %bb.263:
	v_add_co_u32 v4, vcc_lo, v71, v2
	v_add_co_ci_u32_e64 v5, null, v72, v3, vcc_lo
	flat_load_dwordx2 v[4:5], v[4:5]
	s_waitcnt vmcnt(0) lgkmcnt(0)
	v_mul_f64 v[4:5], s[38:39], v[4:5]
	s_branch .LBB144_265
.LBB144_264:
	v_mov_b32_e32 v4, 0
	v_mov_b32_e32 v5, 0
.LBB144_265:
	s_waitcnt vmcnt(0)
	v_add_f64 v[0:1], v[0:1], v[4:5]
	v_add_co_u32 v2, vcc_lo, v68, v2
	v_add_co_ci_u32_e64 v3, null, v69, v3, vcc_lo
	flat_store_dwordx2 v[2:3], v[0:1]
	s_or_b32 exec_lo, exec_lo, s4
	s_and_b32 s5, s16, s8
	s_and_saveexec_b32 s4, s5
	s_cbranch_execz .LBB144_222
.LBB144_266:
	s_clause 0x1
	buffer_load_dword v0, off, s[0:3], 0 offset:288
	buffer_load_dword v1, off, s[0:3], 0 offset:292
	v_cmp_ne_u32_e32 vcc_lo, 1, v70
	v_lshlrev_b64 v[2:3], 3, v[8:9]
	s_cbranch_vccnz .LBB144_268
; %bb.267:
	v_add_co_u32 v4, vcc_lo, v71, v2
	v_add_co_ci_u32_e64 v5, null, v72, v3, vcc_lo
	flat_load_dwordx2 v[4:5], v[4:5]
	s_waitcnt vmcnt(0) lgkmcnt(0)
	v_mul_f64 v[4:5], s[38:39], v[4:5]
	s_branch .LBB144_269
.LBB144_268:
	v_mov_b32_e32 v4, 0
	v_mov_b32_e32 v5, 0
.LBB144_269:
	s_waitcnt vmcnt(0)
	v_add_f64 v[0:1], v[0:1], v[4:5]
	v_add_co_u32 v2, vcc_lo, v68, v2
	v_add_co_ci_u32_e64 v3, null, v69, v3, vcc_lo
	flat_store_dwordx2 v[2:3], v[0:1]
	s_or_b32 exec_lo, exec_lo, s4
	s_and_b32 s5, s16, s9
	s_and_saveexec_b32 s4, s5
	s_cbranch_execz .LBB144_223
.LBB144_270:
	s_clause 0x1
	buffer_load_dword v0, off, s[0:3], 0 offset:296
	buffer_load_dword v1, off, s[0:3], 0 offset:300
	v_cmp_ne_u32_e32 vcc_lo, 1, v70
	v_lshlrev_b64 v[2:3], 3, v[10:11]
	s_cbranch_vccnz .LBB144_272
; %bb.271:
	v_add_co_u32 v4, vcc_lo, v71, v2
	v_add_co_ci_u32_e64 v5, null, v72, v3, vcc_lo
	flat_load_dwordx2 v[4:5], v[4:5]
	s_waitcnt vmcnt(0) lgkmcnt(0)
	v_mul_f64 v[4:5], s[38:39], v[4:5]
	s_branch .LBB144_273
.LBB144_272:
	v_mov_b32_e32 v4, 0
	v_mov_b32_e32 v5, 0
.LBB144_273:
	s_waitcnt vmcnt(0)
	v_add_f64 v[0:1], v[0:1], v[4:5]
	v_add_co_u32 v2, vcc_lo, v68, v2
	v_add_co_ci_u32_e64 v3, null, v69, v3, vcc_lo
	flat_store_dwordx2 v[2:3], v[0:1]
	s_or_b32 exec_lo, exec_lo, s4
	s_and_b32 s5, s16, s10
	s_and_saveexec_b32 s4, s5
	s_cbranch_execz .LBB144_224
.LBB144_274:
	s_clause 0x1
	buffer_load_dword v0, off, s[0:3], 0 offset:304
	buffer_load_dword v1, off, s[0:3], 0 offset:308
	v_cmp_ne_u32_e32 vcc_lo, 1, v70
	v_lshlrev_b64 v[2:3], 3, v[12:13]
	s_cbranch_vccnz .LBB144_276
; %bb.275:
	v_add_co_u32 v4, vcc_lo, v71, v2
	v_add_co_ci_u32_e64 v5, null, v72, v3, vcc_lo
	flat_load_dwordx2 v[4:5], v[4:5]
	s_waitcnt vmcnt(0) lgkmcnt(0)
	v_mul_f64 v[4:5], s[38:39], v[4:5]
	s_branch .LBB144_277
.LBB144_276:
	v_mov_b32_e32 v4, 0
	v_mov_b32_e32 v5, 0
.LBB144_277:
	s_waitcnt vmcnt(0)
	v_add_f64 v[0:1], v[0:1], v[4:5]
	v_add_co_u32 v2, vcc_lo, v68, v2
	v_add_co_ci_u32_e64 v3, null, v69, v3, vcc_lo
	flat_store_dwordx2 v[2:3], v[0:1]
	s_or_b32 exec_lo, exec_lo, s4
	s_and_b32 s5, s16, s11
	s_and_saveexec_b32 s4, s5
	s_cbranch_execz .LBB144_225
.LBB144_278:
	s_clause 0x1
	buffer_load_dword v0, off, s[0:3], 0 offset:312
	buffer_load_dword v1, off, s[0:3], 0 offset:316
	v_cmp_ne_u32_e32 vcc_lo, 1, v70
	v_lshlrev_b64 v[2:3], 3, v[14:15]
	s_cbranch_vccnz .LBB144_280
; %bb.279:
	v_add_co_u32 v4, vcc_lo, v71, v2
	v_add_co_ci_u32_e64 v5, null, v72, v3, vcc_lo
	flat_load_dwordx2 v[4:5], v[4:5]
	s_waitcnt vmcnt(0) lgkmcnt(0)
	v_mul_f64 v[4:5], s[38:39], v[4:5]
	s_branch .LBB144_281
.LBB144_280:
	v_mov_b32_e32 v4, 0
	v_mov_b32_e32 v5, 0
.LBB144_281:
	s_waitcnt vmcnt(0)
	v_add_f64 v[0:1], v[0:1], v[4:5]
	v_add_co_u32 v2, vcc_lo, v68, v2
	v_add_co_ci_u32_e64 v3, null, v69, v3, vcc_lo
	flat_store_dwordx2 v[2:3], v[0:1]
	s_or_b32 exec_lo, exec_lo, s4
	s_and_b32 s5, s16, s12
	s_and_saveexec_b32 s4, s5
	s_cbranch_execz .LBB144_226
.LBB144_282:
	s_clause 0x1
	buffer_load_dword v0, off, s[0:3], 0 offset:320
	buffer_load_dword v1, off, s[0:3], 0 offset:324
	v_cmp_ne_u32_e32 vcc_lo, 1, v70
	v_lshlrev_b64 v[2:3], 3, v[16:17]
	s_cbranch_vccnz .LBB144_284
; %bb.283:
	v_add_co_u32 v4, vcc_lo, v71, v2
	v_add_co_ci_u32_e64 v5, null, v72, v3, vcc_lo
	flat_load_dwordx2 v[4:5], v[4:5]
	s_waitcnt vmcnt(0) lgkmcnt(0)
	v_mul_f64 v[4:5], s[38:39], v[4:5]
	s_branch .LBB144_285
.LBB144_284:
	v_mov_b32_e32 v4, 0
	v_mov_b32_e32 v5, 0
.LBB144_285:
	s_waitcnt vmcnt(0)
	v_add_f64 v[0:1], v[0:1], v[4:5]
	v_add_co_u32 v2, vcc_lo, v68, v2
	v_add_co_ci_u32_e64 v3, null, v69, v3, vcc_lo
	flat_store_dwordx2 v[2:3], v[0:1]
	s_or_b32 exec_lo, exec_lo, s4
	s_and_b32 s5, s16, s13
	s_and_saveexec_b32 s4, s5
	s_cbranch_execz .LBB144_227
.LBB144_286:
	s_clause 0x1
	buffer_load_dword v0, off, s[0:3], 0 offset:328
	buffer_load_dword v1, off, s[0:3], 0 offset:332
	v_cmp_ne_u32_e32 vcc_lo, 1, v70
	v_lshlrev_b64 v[2:3], 3, v[18:19]
	s_cbranch_vccnz .LBB144_288
; %bb.287:
	v_add_co_u32 v4, vcc_lo, v71, v2
	v_add_co_ci_u32_e64 v5, null, v72, v3, vcc_lo
	flat_load_dwordx2 v[4:5], v[4:5]
	s_waitcnt vmcnt(0) lgkmcnt(0)
	v_mul_f64 v[4:5], s[38:39], v[4:5]
	s_branch .LBB144_289
.LBB144_288:
	v_mov_b32_e32 v4, 0
	v_mov_b32_e32 v5, 0
.LBB144_289:
	s_waitcnt vmcnt(0)
	v_add_f64 v[0:1], v[0:1], v[4:5]
	v_add_co_u32 v2, vcc_lo, v68, v2
	v_add_co_ci_u32_e64 v3, null, v69, v3, vcc_lo
	flat_store_dwordx2 v[2:3], v[0:1]
	s_or_b32 exec_lo, exec_lo, s4
	s_and_b32 s5, s16, s14
	s_and_saveexec_b32 s4, s5
	s_cbranch_execz .LBB144_228
.LBB144_290:
	s_clause 0x1
	buffer_load_dword v0, off, s[0:3], 0 offset:336
	buffer_load_dword v1, off, s[0:3], 0 offset:340
	v_cmp_ne_u32_e32 vcc_lo, 1, v70
	v_lshlrev_b64 v[2:3], 3, v[20:21]
	s_cbranch_vccnz .LBB144_292
; %bb.291:
	v_add_co_u32 v4, vcc_lo, v71, v2
	v_add_co_ci_u32_e64 v5, null, v72, v3, vcc_lo
	flat_load_dwordx2 v[4:5], v[4:5]
	s_waitcnt vmcnt(0) lgkmcnt(0)
	v_mul_f64 v[4:5], s[38:39], v[4:5]
	s_branch .LBB144_293
.LBB144_292:
	v_mov_b32_e32 v4, 0
	v_mov_b32_e32 v5, 0
.LBB144_293:
	s_waitcnt vmcnt(0)
	v_add_f64 v[0:1], v[0:1], v[4:5]
	v_add_co_u32 v2, vcc_lo, v68, v2
	v_add_co_ci_u32_e64 v3, null, v69, v3, vcc_lo
	flat_store_dwordx2 v[2:3], v[0:1]
	s_or_b32 exec_lo, exec_lo, s4
	s_and_b32 s5, s16, s15
	s_and_saveexec_b32 s4, s5
	s_cbranch_execz .LBB144_229
.LBB144_294:
	s_clause 0x1
	buffer_load_dword v0, off, s[0:3], 0 offset:344
	buffer_load_dword v1, off, s[0:3], 0 offset:348
	v_cmp_ne_u32_e32 vcc_lo, 1, v70
	v_lshlrev_b64 v[2:3], 3, v[22:23]
	s_cbranch_vccnz .LBB144_296
; %bb.295:
	v_add_co_u32 v4, vcc_lo, v71, v2
	v_add_co_ci_u32_e64 v5, null, v72, v3, vcc_lo
	flat_load_dwordx2 v[4:5], v[4:5]
	s_waitcnt vmcnt(0) lgkmcnt(0)
	v_mul_f64 v[4:5], s[38:39], v[4:5]
	s_branch .LBB144_297
.LBB144_296:
	v_mov_b32_e32 v4, 0
	v_mov_b32_e32 v5, 0
.LBB144_297:
	s_waitcnt vmcnt(0)
	v_add_f64 v[0:1], v[0:1], v[4:5]
	v_add_co_u32 v2, vcc_lo, v68, v2
	v_add_co_ci_u32_e64 v3, null, v69, v3, vcc_lo
	flat_store_dwordx2 v[2:3], v[0:1]
	s_or_b32 exec_lo, exec_lo, s4
	s_and_b32 s5, s16, s17
	s_and_saveexec_b32 s4, s5
	s_cbranch_execz .LBB144_230
.LBB144_298:
	s_clause 0x1
	buffer_load_dword v0, off, s[0:3], 0 offset:352
	buffer_load_dword v1, off, s[0:3], 0 offset:356
	v_cmp_ne_u32_e32 vcc_lo, 1, v70
	v_lshlrev_b64 v[2:3], 3, v[24:25]
	s_cbranch_vccnz .LBB144_300
; %bb.299:
	v_add_co_u32 v4, vcc_lo, v71, v2
	v_add_co_ci_u32_e64 v5, null, v72, v3, vcc_lo
	flat_load_dwordx2 v[4:5], v[4:5]
	s_waitcnt vmcnt(0) lgkmcnt(0)
	v_mul_f64 v[4:5], s[38:39], v[4:5]
	s_branch .LBB144_301
.LBB144_300:
	v_mov_b32_e32 v4, 0
	v_mov_b32_e32 v5, 0
.LBB144_301:
	s_waitcnt vmcnt(0)
	v_add_f64 v[0:1], v[0:1], v[4:5]
	v_add_co_u32 v2, vcc_lo, v68, v2
	v_add_co_ci_u32_e64 v3, null, v69, v3, vcc_lo
	flat_store_dwordx2 v[2:3], v[0:1]
	s_or_b32 exec_lo, exec_lo, s4
	s_and_b32 s5, s16, s18
	s_and_saveexec_b32 s4, s5
	s_cbranch_execz .LBB144_231
.LBB144_302:
	s_clause 0x1
	buffer_load_dword v0, off, s[0:3], 0 offset:360
	buffer_load_dword v1, off, s[0:3], 0 offset:364
	v_cmp_ne_u32_e32 vcc_lo, 1, v70
	v_lshlrev_b64 v[2:3], 3, v[26:27]
	s_cbranch_vccnz .LBB144_304
; %bb.303:
	v_add_co_u32 v4, vcc_lo, v71, v2
	v_add_co_ci_u32_e64 v5, null, v72, v3, vcc_lo
	flat_load_dwordx2 v[4:5], v[4:5]
	s_waitcnt vmcnt(0) lgkmcnt(0)
	v_mul_f64 v[4:5], s[38:39], v[4:5]
	s_branch .LBB144_305
.LBB144_304:
	v_mov_b32_e32 v4, 0
	v_mov_b32_e32 v5, 0
.LBB144_305:
	s_waitcnt vmcnt(0)
	v_add_f64 v[0:1], v[0:1], v[4:5]
	v_add_co_u32 v2, vcc_lo, v68, v2
	v_add_co_ci_u32_e64 v3, null, v69, v3, vcc_lo
	flat_store_dwordx2 v[2:3], v[0:1]
	s_or_b32 exec_lo, exec_lo, s4
	s_and_b32 s5, s16, s19
	s_and_saveexec_b32 s4, s5
	s_cbranch_execz .LBB144_232
.LBB144_306:
	s_clause 0x1
	buffer_load_dword v0, off, s[0:3], 0 offset:368
	buffer_load_dword v1, off, s[0:3], 0 offset:372
	v_cmp_ne_u32_e32 vcc_lo, 1, v70
	v_lshlrev_b64 v[2:3], 3, v[28:29]
	s_cbranch_vccnz .LBB144_308
; %bb.307:
	v_add_co_u32 v4, vcc_lo, v71, v2
	v_add_co_ci_u32_e64 v5, null, v72, v3, vcc_lo
	flat_load_dwordx2 v[4:5], v[4:5]
	s_waitcnt vmcnt(0) lgkmcnt(0)
	v_mul_f64 v[4:5], s[38:39], v[4:5]
	s_branch .LBB144_309
.LBB144_308:
	v_mov_b32_e32 v4, 0
	v_mov_b32_e32 v5, 0
.LBB144_309:
	s_waitcnt vmcnt(0)
	v_add_f64 v[0:1], v[0:1], v[4:5]
	v_add_co_u32 v2, vcc_lo, v68, v2
	v_add_co_ci_u32_e64 v3, null, v69, v3, vcc_lo
	flat_store_dwordx2 v[2:3], v[0:1]
	s_or_b32 exec_lo, exec_lo, s4
	s_and_b32 s5, s16, s20
	s_and_saveexec_b32 s4, s5
	s_cbranch_execz .LBB144_233
.LBB144_310:
	s_clause 0x1
	buffer_load_dword v0, off, s[0:3], 0 offset:376
	buffer_load_dword v1, off, s[0:3], 0 offset:380
	v_cmp_ne_u32_e32 vcc_lo, 1, v70
	v_lshlrev_b64 v[2:3], 3, v[30:31]
	s_cbranch_vccnz .LBB144_312
; %bb.311:
	v_add_co_u32 v4, vcc_lo, v71, v2
	v_add_co_ci_u32_e64 v5, null, v72, v3, vcc_lo
	flat_load_dwordx2 v[4:5], v[4:5]
	s_waitcnt vmcnt(0) lgkmcnt(0)
	v_mul_f64 v[4:5], s[38:39], v[4:5]
	s_branch .LBB144_313
.LBB144_312:
	v_mov_b32_e32 v4, 0
	v_mov_b32_e32 v5, 0
.LBB144_313:
	s_waitcnt vmcnt(0)
	v_add_f64 v[0:1], v[0:1], v[4:5]
	v_add_co_u32 v2, vcc_lo, v68, v2
	v_add_co_ci_u32_e64 v3, null, v69, v3, vcc_lo
	flat_store_dwordx2 v[2:3], v[0:1]
	s_or_b32 exec_lo, exec_lo, s4
	s_and_b32 s5, s16, s21
	s_and_saveexec_b32 s4, s5
	s_cbranch_execz .LBB144_234
.LBB144_314:
	s_clause 0x1
	buffer_load_dword v0, off, s[0:3], 0 offset:384
	buffer_load_dword v1, off, s[0:3], 0 offset:388
	v_cmp_ne_u32_e32 vcc_lo, 1, v70
	v_lshlrev_b64 v[2:3], 3, v[32:33]
	s_cbranch_vccnz .LBB144_316
; %bb.315:
	v_add_co_u32 v4, vcc_lo, v71, v2
	v_add_co_ci_u32_e64 v5, null, v72, v3, vcc_lo
	flat_load_dwordx2 v[4:5], v[4:5]
	s_waitcnt vmcnt(0) lgkmcnt(0)
	v_mul_f64 v[4:5], s[38:39], v[4:5]
	s_branch .LBB144_317
.LBB144_316:
	v_mov_b32_e32 v4, 0
	v_mov_b32_e32 v5, 0
.LBB144_317:
	s_waitcnt vmcnt(0)
	v_add_f64 v[0:1], v[0:1], v[4:5]
	v_add_co_u32 v2, vcc_lo, v68, v2
	v_add_co_ci_u32_e64 v3, null, v69, v3, vcc_lo
	flat_store_dwordx2 v[2:3], v[0:1]
	s_or_b32 exec_lo, exec_lo, s4
	s_and_b32 s5, s16, s22
	s_and_saveexec_b32 s4, s5
	s_cbranch_execz .LBB144_235
.LBB144_318:
	s_clause 0x1
	buffer_load_dword v0, off, s[0:3], 0 offset:392
	buffer_load_dword v1, off, s[0:3], 0 offset:396
	v_cmp_ne_u32_e32 vcc_lo, 1, v70
	v_lshlrev_b64 v[2:3], 3, v[34:35]
	s_cbranch_vccnz .LBB144_320
; %bb.319:
	v_add_co_u32 v4, vcc_lo, v71, v2
	v_add_co_ci_u32_e64 v5, null, v72, v3, vcc_lo
	flat_load_dwordx2 v[4:5], v[4:5]
	s_waitcnt vmcnt(0) lgkmcnt(0)
	v_mul_f64 v[4:5], s[38:39], v[4:5]
	s_branch .LBB144_321
.LBB144_320:
	v_mov_b32_e32 v4, 0
	v_mov_b32_e32 v5, 0
.LBB144_321:
	s_waitcnt vmcnt(0)
	v_add_f64 v[0:1], v[0:1], v[4:5]
	v_add_co_u32 v2, vcc_lo, v68, v2
	v_add_co_ci_u32_e64 v3, null, v69, v3, vcc_lo
	flat_store_dwordx2 v[2:3], v[0:1]
	s_or_b32 exec_lo, exec_lo, s4
	s_and_b32 s5, s16, s23
	s_and_saveexec_b32 s4, s5
	s_cbranch_execz .LBB144_236
.LBB144_322:
	s_clause 0x1
	buffer_load_dword v0, off, s[0:3], 0 offset:400
	buffer_load_dword v1, off, s[0:3], 0 offset:404
	v_cmp_ne_u32_e32 vcc_lo, 1, v70
	v_lshlrev_b64 v[2:3], 3, v[36:37]
	s_cbranch_vccnz .LBB144_324
; %bb.323:
	v_add_co_u32 v4, vcc_lo, v71, v2
	v_add_co_ci_u32_e64 v5, null, v72, v3, vcc_lo
	flat_load_dwordx2 v[4:5], v[4:5]
	s_waitcnt vmcnt(0) lgkmcnt(0)
	v_mul_f64 v[4:5], s[38:39], v[4:5]
	s_branch .LBB144_325
.LBB144_324:
	v_mov_b32_e32 v4, 0
	v_mov_b32_e32 v5, 0
.LBB144_325:
	s_waitcnt vmcnt(0)
	v_add_f64 v[0:1], v[0:1], v[4:5]
	v_add_co_u32 v2, vcc_lo, v68, v2
	v_add_co_ci_u32_e64 v3, null, v69, v3, vcc_lo
	flat_store_dwordx2 v[2:3], v[0:1]
	s_or_b32 exec_lo, exec_lo, s4
	s_and_b32 s5, s16, s24
	s_and_saveexec_b32 s4, s5
	s_cbranch_execz .LBB144_237
.LBB144_326:
	s_clause 0x1
	buffer_load_dword v0, off, s[0:3], 0 offset:408
	buffer_load_dword v1, off, s[0:3], 0 offset:412
	v_cmp_ne_u32_e32 vcc_lo, 1, v70
	v_lshlrev_b64 v[2:3], 3, v[38:39]
	s_cbranch_vccnz .LBB144_328
; %bb.327:
	v_add_co_u32 v4, vcc_lo, v71, v2
	v_add_co_ci_u32_e64 v5, null, v72, v3, vcc_lo
	flat_load_dwordx2 v[4:5], v[4:5]
	s_waitcnt vmcnt(0) lgkmcnt(0)
	v_mul_f64 v[4:5], s[38:39], v[4:5]
	s_branch .LBB144_329
.LBB144_328:
	v_mov_b32_e32 v4, 0
	v_mov_b32_e32 v5, 0
.LBB144_329:
	s_waitcnt vmcnt(0)
	v_add_f64 v[0:1], v[0:1], v[4:5]
	v_add_co_u32 v2, vcc_lo, v68, v2
	v_add_co_ci_u32_e64 v3, null, v69, v3, vcc_lo
	flat_store_dwordx2 v[2:3], v[0:1]
	s_or_b32 exec_lo, exec_lo, s4
	s_and_b32 s5, s16, s25
	s_and_saveexec_b32 s4, s5
	s_cbranch_execz .LBB144_238
.LBB144_330:
	s_clause 0x1
	buffer_load_dword v0, off, s[0:3], 0 offset:416
	buffer_load_dword v1, off, s[0:3], 0 offset:420
	v_cmp_ne_u32_e32 vcc_lo, 1, v70
	v_lshlrev_b64 v[2:3], 3, v[40:41]
	s_cbranch_vccnz .LBB144_332
; %bb.331:
	v_add_co_u32 v4, vcc_lo, v71, v2
	v_add_co_ci_u32_e64 v5, null, v72, v3, vcc_lo
	flat_load_dwordx2 v[4:5], v[4:5]
	s_waitcnt vmcnt(0) lgkmcnt(0)
	v_mul_f64 v[4:5], s[38:39], v[4:5]
	s_branch .LBB144_333
.LBB144_332:
	v_mov_b32_e32 v4, 0
	v_mov_b32_e32 v5, 0
.LBB144_333:
	s_waitcnt vmcnt(0)
	v_add_f64 v[0:1], v[0:1], v[4:5]
	v_add_co_u32 v2, vcc_lo, v68, v2
	v_add_co_ci_u32_e64 v3, null, v69, v3, vcc_lo
	flat_store_dwordx2 v[2:3], v[0:1]
	s_or_b32 exec_lo, exec_lo, s4
	s_and_b32 s5, s16, s26
	s_and_saveexec_b32 s4, s5
	s_cbranch_execz .LBB144_239
.LBB144_334:
	s_clause 0x1
	buffer_load_dword v0, off, s[0:3], 0 offset:424
	buffer_load_dword v1, off, s[0:3], 0 offset:428
	v_cmp_ne_u32_e32 vcc_lo, 1, v70
	v_lshlrev_b64 v[2:3], 3, v[42:43]
	s_cbranch_vccnz .LBB144_336
; %bb.335:
	v_add_co_u32 v4, vcc_lo, v71, v2
	v_add_co_ci_u32_e64 v5, null, v72, v3, vcc_lo
	flat_load_dwordx2 v[4:5], v[4:5]
	s_waitcnt vmcnt(0) lgkmcnt(0)
	v_mul_f64 v[4:5], s[38:39], v[4:5]
	s_branch .LBB144_337
.LBB144_336:
	v_mov_b32_e32 v4, 0
	v_mov_b32_e32 v5, 0
.LBB144_337:
	s_waitcnt vmcnt(0)
	v_add_f64 v[0:1], v[0:1], v[4:5]
	v_add_co_u32 v2, vcc_lo, v68, v2
	v_add_co_ci_u32_e64 v3, null, v69, v3, vcc_lo
	flat_store_dwordx2 v[2:3], v[0:1]
	s_or_b32 exec_lo, exec_lo, s4
	s_and_b32 s5, s16, s27
	s_and_saveexec_b32 s4, s5
	s_cbranch_execz .LBB144_240
.LBB144_338:
	s_clause 0x1
	buffer_load_dword v0, off, s[0:3], 0 offset:432
	buffer_load_dword v1, off, s[0:3], 0 offset:436
	v_cmp_ne_u32_e32 vcc_lo, 1, v70
	v_lshlrev_b64 v[2:3], 3, v[44:45]
	s_cbranch_vccnz .LBB144_340
; %bb.339:
	v_add_co_u32 v4, vcc_lo, v71, v2
	v_add_co_ci_u32_e64 v5, null, v72, v3, vcc_lo
	flat_load_dwordx2 v[4:5], v[4:5]
	s_waitcnt vmcnt(0) lgkmcnt(0)
	v_mul_f64 v[4:5], s[38:39], v[4:5]
	s_branch .LBB144_341
.LBB144_340:
	v_mov_b32_e32 v4, 0
	v_mov_b32_e32 v5, 0
.LBB144_341:
	s_waitcnt vmcnt(0)
	v_add_f64 v[0:1], v[0:1], v[4:5]
	v_add_co_u32 v2, vcc_lo, v68, v2
	v_add_co_ci_u32_e64 v3, null, v69, v3, vcc_lo
	flat_store_dwordx2 v[2:3], v[0:1]
	s_or_b32 exec_lo, exec_lo, s4
	s_and_b32 s5, s16, s28
	s_and_saveexec_b32 s4, s5
	s_cbranch_execz .LBB144_241
.LBB144_342:
	s_clause 0x1
	buffer_load_dword v0, off, s[0:3], 0 offset:440
	buffer_load_dword v1, off, s[0:3], 0 offset:444
	v_cmp_ne_u32_e32 vcc_lo, 1, v70
	v_lshlrev_b64 v[2:3], 3, v[46:47]
	s_cbranch_vccnz .LBB144_344
; %bb.343:
	v_add_co_u32 v4, vcc_lo, v71, v2
	v_add_co_ci_u32_e64 v5, null, v72, v3, vcc_lo
	flat_load_dwordx2 v[4:5], v[4:5]
	s_waitcnt vmcnt(0) lgkmcnt(0)
	v_mul_f64 v[4:5], s[38:39], v[4:5]
	s_branch .LBB144_345
.LBB144_344:
	v_mov_b32_e32 v4, 0
	v_mov_b32_e32 v5, 0
.LBB144_345:
	s_waitcnt vmcnt(0)
	v_add_f64 v[0:1], v[0:1], v[4:5]
	v_add_co_u32 v2, vcc_lo, v68, v2
	v_add_co_ci_u32_e64 v3, null, v69, v3, vcc_lo
	flat_store_dwordx2 v[2:3], v[0:1]
	s_or_b32 exec_lo, exec_lo, s4
	s_and_b32 s5, s16, s29
	s_and_saveexec_b32 s4, s5
	s_cbranch_execz .LBB144_242
.LBB144_346:
	s_clause 0x1
	buffer_load_dword v0, off, s[0:3], 0 offset:448
	buffer_load_dword v1, off, s[0:3], 0 offset:452
	v_cmp_ne_u32_e32 vcc_lo, 1, v70
	v_lshlrev_b64 v[2:3], 3, v[48:49]
	s_cbranch_vccnz .LBB144_348
; %bb.347:
	v_add_co_u32 v4, vcc_lo, v71, v2
	v_add_co_ci_u32_e64 v5, null, v72, v3, vcc_lo
	flat_load_dwordx2 v[4:5], v[4:5]
	s_waitcnt vmcnt(0) lgkmcnt(0)
	v_mul_f64 v[4:5], s[38:39], v[4:5]
	s_branch .LBB144_349
.LBB144_348:
	v_mov_b32_e32 v4, 0
	v_mov_b32_e32 v5, 0
.LBB144_349:
	s_waitcnt vmcnt(0)
	v_add_f64 v[0:1], v[0:1], v[4:5]
	v_add_co_u32 v2, vcc_lo, v68, v2
	v_add_co_ci_u32_e64 v3, null, v69, v3, vcc_lo
	flat_store_dwordx2 v[2:3], v[0:1]
	s_or_b32 exec_lo, exec_lo, s4
	s_and_b32 s5, s16, s30
	s_and_saveexec_b32 s4, s5
	s_cbranch_execz .LBB144_243
.LBB144_350:
	s_clause 0x1
	buffer_load_dword v0, off, s[0:3], 0 offset:456
	buffer_load_dword v1, off, s[0:3], 0 offset:460
	v_cmp_ne_u32_e32 vcc_lo, 1, v70
	v_lshlrev_b64 v[2:3], 3, v[50:51]
	s_cbranch_vccnz .LBB144_352
; %bb.351:
	v_add_co_u32 v4, vcc_lo, v71, v2
	v_add_co_ci_u32_e64 v5, null, v72, v3, vcc_lo
	flat_load_dwordx2 v[4:5], v[4:5]
	s_waitcnt vmcnt(0) lgkmcnt(0)
	v_mul_f64 v[4:5], s[38:39], v[4:5]
	s_branch .LBB144_353
.LBB144_352:
	v_mov_b32_e32 v4, 0
	v_mov_b32_e32 v5, 0
.LBB144_353:
	s_waitcnt vmcnt(0)
	v_add_f64 v[0:1], v[0:1], v[4:5]
	v_add_co_u32 v2, vcc_lo, v68, v2
	v_add_co_ci_u32_e64 v3, null, v69, v3, vcc_lo
	flat_store_dwordx2 v[2:3], v[0:1]
	s_or_b32 exec_lo, exec_lo, s4
	s_and_b32 s5, s16, s31
	s_and_saveexec_b32 s4, s5
	s_cbranch_execz .LBB144_244
.LBB144_354:
	s_clause 0x1
	buffer_load_dword v0, off, s[0:3], 0 offset:464
	buffer_load_dword v1, off, s[0:3], 0 offset:468
	v_cmp_ne_u32_e32 vcc_lo, 1, v70
	v_lshlrev_b64 v[2:3], 3, v[52:53]
	s_cbranch_vccnz .LBB144_356
; %bb.355:
	v_add_co_u32 v4, vcc_lo, v71, v2
	v_add_co_ci_u32_e64 v5, null, v72, v3, vcc_lo
	flat_load_dwordx2 v[4:5], v[4:5]
	s_waitcnt vmcnt(0) lgkmcnt(0)
	v_mul_f64 v[4:5], s[38:39], v[4:5]
	s_branch .LBB144_357
.LBB144_356:
	v_mov_b32_e32 v4, 0
	v_mov_b32_e32 v5, 0
.LBB144_357:
	s_waitcnt vmcnt(0)
	v_add_f64 v[0:1], v[0:1], v[4:5]
	v_add_co_u32 v2, vcc_lo, v68, v2
	v_add_co_ci_u32_e64 v3, null, v69, v3, vcc_lo
	flat_store_dwordx2 v[2:3], v[0:1]
	s_or_b32 exec_lo, exec_lo, s4
	s_and_b32 s5, s16, s33
	s_and_saveexec_b32 s4, s5
	s_cbranch_execz .LBB144_245
.LBB144_358:
	s_clause 0x1
	buffer_load_dword v0, off, s[0:3], 0 offset:472
	buffer_load_dword v1, off, s[0:3], 0 offset:476
	v_cmp_ne_u32_e32 vcc_lo, 1, v70
	v_lshlrev_b64 v[2:3], 3, v[54:55]
	s_cbranch_vccnz .LBB144_360
; %bb.359:
	v_add_co_u32 v4, vcc_lo, v71, v2
	v_add_co_ci_u32_e64 v5, null, v72, v3, vcc_lo
	flat_load_dwordx2 v[4:5], v[4:5]
	s_waitcnt vmcnt(0) lgkmcnt(0)
	v_mul_f64 v[4:5], s[38:39], v[4:5]
	s_branch .LBB144_361
.LBB144_360:
	v_mov_b32_e32 v4, 0
	v_mov_b32_e32 v5, 0
.LBB144_361:
	s_waitcnt vmcnt(0)
	v_add_f64 v[0:1], v[0:1], v[4:5]
	v_add_co_u32 v2, vcc_lo, v68, v2
	v_add_co_ci_u32_e64 v3, null, v69, v3, vcc_lo
	flat_store_dwordx2 v[2:3], v[0:1]
	s_or_b32 exec_lo, exec_lo, s4
	s_and_b32 s5, s16, s34
	s_and_saveexec_b32 s4, s5
	s_cbranch_execz .LBB144_246
.LBB144_362:
	s_clause 0x1
	buffer_load_dword v0, off, s[0:3], 0 offset:480
	buffer_load_dword v1, off, s[0:3], 0 offset:484
	v_cmp_ne_u32_e32 vcc_lo, 1, v70
	v_lshlrev_b64 v[2:3], 3, v[56:57]
	s_cbranch_vccnz .LBB144_364
; %bb.363:
	v_add_co_u32 v4, vcc_lo, v71, v2
	v_add_co_ci_u32_e64 v5, null, v72, v3, vcc_lo
	flat_load_dwordx2 v[4:5], v[4:5]
	s_waitcnt vmcnt(0) lgkmcnt(0)
	v_mul_f64 v[4:5], s[38:39], v[4:5]
	s_branch .LBB144_365
.LBB144_364:
	v_mov_b32_e32 v4, 0
	v_mov_b32_e32 v5, 0
.LBB144_365:
	s_waitcnt vmcnt(0)
	v_add_f64 v[0:1], v[0:1], v[4:5]
	v_add_co_u32 v2, vcc_lo, v68, v2
	v_add_co_ci_u32_e64 v3, null, v69, v3, vcc_lo
	flat_store_dwordx2 v[2:3], v[0:1]
	s_or_b32 exec_lo, exec_lo, s4
	s_and_b32 s5, s16, s35
	s_and_saveexec_b32 s4, s5
	s_cbranch_execz .LBB144_247
.LBB144_366:
	s_clause 0x1
	buffer_load_dword v0, off, s[0:3], 0 offset:488
	buffer_load_dword v1, off, s[0:3], 0 offset:492
	v_cmp_ne_u32_e32 vcc_lo, 1, v70
	v_lshlrev_b64 v[2:3], 3, v[58:59]
	s_cbranch_vccnz .LBB144_368
; %bb.367:
	v_add_co_u32 v4, vcc_lo, v71, v2
	v_add_co_ci_u32_e64 v5, null, v72, v3, vcc_lo
	flat_load_dwordx2 v[4:5], v[4:5]
	s_waitcnt vmcnt(0) lgkmcnt(0)
	v_mul_f64 v[4:5], s[38:39], v[4:5]
	s_branch .LBB144_369
.LBB144_368:
	v_mov_b32_e32 v4, 0
	v_mov_b32_e32 v5, 0
.LBB144_369:
	s_waitcnt vmcnt(0)
	v_add_f64 v[0:1], v[0:1], v[4:5]
	v_add_co_u32 v2, vcc_lo, v68, v2
	v_add_co_ci_u32_e64 v3, null, v69, v3, vcc_lo
	flat_store_dwordx2 v[2:3], v[0:1]
	s_or_b32 exec_lo, exec_lo, s4
	s_and_b32 s5, s16, s36
	s_and_saveexec_b32 s4, s5
	s_cbranch_execz .LBB144_248
.LBB144_370:
	s_clause 0x1
	buffer_load_dword v0, off, s[0:3], 0 offset:496
	buffer_load_dword v1, off, s[0:3], 0 offset:500
	v_cmp_ne_u32_e32 vcc_lo, 1, v70
	v_lshlrev_b64 v[2:3], 3, v[60:61]
	s_cbranch_vccnz .LBB144_372
; %bb.371:
	v_add_co_u32 v4, vcc_lo, v71, v2
	v_add_co_ci_u32_e64 v5, null, v72, v3, vcc_lo
	flat_load_dwordx2 v[4:5], v[4:5]
	s_waitcnt vmcnt(0) lgkmcnt(0)
	v_mul_f64 v[4:5], s[38:39], v[4:5]
	s_branch .LBB144_373
.LBB144_372:
	v_mov_b32_e32 v4, 0
	v_mov_b32_e32 v5, 0
.LBB144_373:
	s_waitcnt vmcnt(0)
	v_add_f64 v[0:1], v[0:1], v[4:5]
	v_add_co_u32 v2, vcc_lo, v68, v2
	v_add_co_ci_u32_e64 v3, null, v69, v3, vcc_lo
	flat_store_dwordx2 v[2:3], v[0:1]
	s_or_b32 exec_lo, exec_lo, s4
	s_and_b32 s4, s16, s37
	s_and_saveexec_b32 s5, s4
	s_cbranch_execz .LBB144_249
.LBB144_374:
	s_clause 0x1
	buffer_load_dword v0, off, s[0:3], 0 offset:504
	buffer_load_dword v1, off, s[0:3], 0 offset:508
	v_cmp_ne_u32_e32 vcc_lo, 1, v70
	v_lshlrev_b64 v[2:3], 3, v[62:63]
	s_cbranch_vccnz .LBB144_376
; %bb.375:
	v_add_co_u32 v4, vcc_lo, v71, v2
	v_add_co_ci_u32_e64 v5, null, v72, v3, vcc_lo
	flat_load_dwordx2 v[4:5], v[4:5]
	s_waitcnt vmcnt(0) lgkmcnt(0)
	v_mul_f64 v[4:5], s[38:39], v[4:5]
	s_branch .LBB144_377
.LBB144_376:
	v_mov_b32_e32 v4, 0
	v_mov_b32_e32 v5, 0
.LBB144_377:
	s_waitcnt vmcnt(0)
	v_add_f64 v[0:1], v[0:1], v[4:5]
	v_add_co_u32 v2, vcc_lo, v68, v2
	v_add_co_ci_u32_e64 v3, null, v69, v3, vcc_lo
	flat_store_dwordx2 v[2:3], v[0:1]
	s_endpgm
	.section	.rodata,"a",@progbits
	.p2align	6, 0x0
	.amdhsa_kernel _ZN12_GLOBAL__N_120geam_min_plus_kernelIdddLi4ELi64ELi128ELi128ELi4ELi64ELi4ELi64ELi4ELc78ELc84ELb0ELb1ELb0EPKdKS2_KPdEEviiiT16_PT17_ilS8_ilS6_S8_ilPT18_ili26rocblas_geam_ex_operation_
		.amdhsa_group_segment_fixed_size 16384
		.amdhsa_private_segment_fixed_size 528
		.amdhsa_kernarg_size 136
		.amdhsa_user_sgpr_count 6
		.amdhsa_user_sgpr_private_segment_buffer 1
		.amdhsa_user_sgpr_dispatch_ptr 0
		.amdhsa_user_sgpr_queue_ptr 0
		.amdhsa_user_sgpr_kernarg_segment_ptr 1
		.amdhsa_user_sgpr_dispatch_id 0
		.amdhsa_user_sgpr_flat_scratch_init 0
		.amdhsa_user_sgpr_private_segment_size 0
		.amdhsa_wavefront_size32 1
		.amdhsa_uses_dynamic_stack 0
		.amdhsa_system_sgpr_private_segment_wavefront_offset 1
		.amdhsa_system_sgpr_workgroup_id_x 1
		.amdhsa_system_sgpr_workgroup_id_y 0
		.amdhsa_system_sgpr_workgroup_id_z 1
		.amdhsa_system_sgpr_workgroup_info 0
		.amdhsa_system_vgpr_workitem_id 1
		.amdhsa_next_free_vgpr 222
		.amdhsa_next_free_sgpr 50
		.amdhsa_reserve_vcc 1
		.amdhsa_reserve_flat_scratch 0
		.amdhsa_float_round_mode_32 0
		.amdhsa_float_round_mode_16_64 0
		.amdhsa_float_denorm_mode_32 3
		.amdhsa_float_denorm_mode_16_64 3
		.amdhsa_dx10_clamp 1
		.amdhsa_ieee_mode 1
		.amdhsa_fp16_overflow 0
		.amdhsa_workgroup_processor_mode 1
		.amdhsa_memory_ordered 1
		.amdhsa_forward_progress 1
		.amdhsa_shared_vgpr_count 0
		.amdhsa_exception_fp_ieee_invalid_op 0
		.amdhsa_exception_fp_denorm_src 0
		.amdhsa_exception_fp_ieee_div_zero 0
		.amdhsa_exception_fp_ieee_overflow 0
		.amdhsa_exception_fp_ieee_underflow 0
		.amdhsa_exception_fp_ieee_inexact 0
		.amdhsa_exception_int_div_zero 0
	.end_amdhsa_kernel
	.section	.text._ZN12_GLOBAL__N_120geam_min_plus_kernelIdddLi4ELi64ELi128ELi128ELi4ELi64ELi4ELi64ELi4ELc78ELc84ELb0ELb1ELb0EPKdKS2_KPdEEviiiT16_PT17_ilS8_ilS6_S8_ilPT18_ili26rocblas_geam_ex_operation_,"axG",@progbits,_ZN12_GLOBAL__N_120geam_min_plus_kernelIdddLi4ELi64ELi128ELi128ELi4ELi64ELi4ELi64ELi4ELc78ELc84ELb0ELb1ELb0EPKdKS2_KPdEEviiiT16_PT17_ilS8_ilS6_S8_ilPT18_ili26rocblas_geam_ex_operation_,comdat
.Lfunc_end144:
	.size	_ZN12_GLOBAL__N_120geam_min_plus_kernelIdddLi4ELi64ELi128ELi128ELi4ELi64ELi4ELi64ELi4ELc78ELc84ELb0ELb1ELb0EPKdKS2_KPdEEviiiT16_PT17_ilS8_ilS6_S8_ilPT18_ili26rocblas_geam_ex_operation_, .Lfunc_end144-_ZN12_GLOBAL__N_120geam_min_plus_kernelIdddLi4ELi64ELi128ELi128ELi4ELi64ELi4ELi64ELi4ELc78ELc84ELb0ELb1ELb0EPKdKS2_KPdEEviiiT16_PT17_ilS8_ilS6_S8_ilPT18_ili26rocblas_geam_ex_operation_
                                        ; -- End function
	.set _ZN12_GLOBAL__N_120geam_min_plus_kernelIdddLi4ELi64ELi128ELi128ELi4ELi64ELi4ELi64ELi4ELc78ELc84ELb0ELb1ELb0EPKdKS2_KPdEEviiiT16_PT17_ilS8_ilS6_S8_ilPT18_ili26rocblas_geam_ex_operation_.num_vgpr, 222
	.set _ZN12_GLOBAL__N_120geam_min_plus_kernelIdddLi4ELi64ELi128ELi128ELi4ELi64ELi4ELi64ELi4ELc78ELc84ELb0ELb1ELb0EPKdKS2_KPdEEviiiT16_PT17_ilS8_ilS6_S8_ilPT18_ili26rocblas_geam_ex_operation_.num_agpr, 0
	.set _ZN12_GLOBAL__N_120geam_min_plus_kernelIdddLi4ELi64ELi128ELi128ELi4ELi64ELi4ELi64ELi4ELc78ELc84ELb0ELb1ELb0EPKdKS2_KPdEEviiiT16_PT17_ilS8_ilS6_S8_ilPT18_ili26rocblas_geam_ex_operation_.numbered_sgpr, 50
	.set _ZN12_GLOBAL__N_120geam_min_plus_kernelIdddLi4ELi64ELi128ELi128ELi4ELi64ELi4ELi64ELi4ELc78ELc84ELb0ELb1ELb0EPKdKS2_KPdEEviiiT16_PT17_ilS8_ilS6_S8_ilPT18_ili26rocblas_geam_ex_operation_.num_named_barrier, 0
	.set _ZN12_GLOBAL__N_120geam_min_plus_kernelIdddLi4ELi64ELi128ELi128ELi4ELi64ELi4ELi64ELi4ELc78ELc84ELb0ELb1ELb0EPKdKS2_KPdEEviiiT16_PT17_ilS8_ilS6_S8_ilPT18_ili26rocblas_geam_ex_operation_.private_seg_size, 528
	.set _ZN12_GLOBAL__N_120geam_min_plus_kernelIdddLi4ELi64ELi128ELi128ELi4ELi64ELi4ELi64ELi4ELc78ELc84ELb0ELb1ELb0EPKdKS2_KPdEEviiiT16_PT17_ilS8_ilS6_S8_ilPT18_ili26rocblas_geam_ex_operation_.uses_vcc, 1
	.set _ZN12_GLOBAL__N_120geam_min_plus_kernelIdddLi4ELi64ELi128ELi128ELi4ELi64ELi4ELi64ELi4ELc78ELc84ELb0ELb1ELb0EPKdKS2_KPdEEviiiT16_PT17_ilS8_ilS6_S8_ilPT18_ili26rocblas_geam_ex_operation_.uses_flat_scratch, 0
	.set _ZN12_GLOBAL__N_120geam_min_plus_kernelIdddLi4ELi64ELi128ELi128ELi4ELi64ELi4ELi64ELi4ELc78ELc84ELb0ELb1ELb0EPKdKS2_KPdEEviiiT16_PT17_ilS8_ilS6_S8_ilPT18_ili26rocblas_geam_ex_operation_.has_dyn_sized_stack, 0
	.set _ZN12_GLOBAL__N_120geam_min_plus_kernelIdddLi4ELi64ELi128ELi128ELi4ELi64ELi4ELi64ELi4ELc78ELc84ELb0ELb1ELb0EPKdKS2_KPdEEviiiT16_PT17_ilS8_ilS6_S8_ilPT18_ili26rocblas_geam_ex_operation_.has_recursion, 0
	.set _ZN12_GLOBAL__N_120geam_min_plus_kernelIdddLi4ELi64ELi128ELi128ELi4ELi64ELi4ELi64ELi4ELc78ELc84ELb0ELb1ELb0EPKdKS2_KPdEEviiiT16_PT17_ilS8_ilS6_S8_ilPT18_ili26rocblas_geam_ex_operation_.has_indirect_call, 0
	.section	.AMDGPU.csdata,"",@progbits
; Kernel info:
; codeLenInByte = 21940
; TotalNumSgprs: 52
; NumVgprs: 222
; ScratchSize: 528
; MemoryBound: 0
; FloatMode: 240
; IeeeMode: 1
; LDSByteSize: 16384 bytes/workgroup (compile time only)
; SGPRBlocks: 0
; VGPRBlocks: 27
; NumSGPRsForWavesPerEU: 52
; NumVGPRsForWavesPerEU: 222
; Occupancy: 4
; WaveLimiterHint : 1
; COMPUTE_PGM_RSRC2:SCRATCH_EN: 1
; COMPUTE_PGM_RSRC2:USER_SGPR: 6
; COMPUTE_PGM_RSRC2:TRAP_HANDLER: 0
; COMPUTE_PGM_RSRC2:TGID_X_EN: 1
; COMPUTE_PGM_RSRC2:TGID_Y_EN: 0
; COMPUTE_PGM_RSRC2:TGID_Z_EN: 1
; COMPUTE_PGM_RSRC2:TIDIG_COMP_CNT: 1
	.section	.text._ZN12_GLOBAL__N_120geam_min_plus_kernelIdddLi4ELi64ELi128ELi128ELi4ELi64ELi4ELi64ELi4ELc78ELc84ELb1ELb1ELb0EdKPKdKPdEEviiiT16_PT17_ilS8_ilS6_S8_ilPT18_ili26rocblas_geam_ex_operation_,"axG",@progbits,_ZN12_GLOBAL__N_120geam_min_plus_kernelIdddLi4ELi64ELi128ELi128ELi4ELi64ELi4ELi64ELi4ELc78ELc84ELb1ELb1ELb0EdKPKdKPdEEviiiT16_PT17_ilS8_ilS6_S8_ilPT18_ili26rocblas_geam_ex_operation_,comdat
	.globl	_ZN12_GLOBAL__N_120geam_min_plus_kernelIdddLi4ELi64ELi128ELi128ELi4ELi64ELi4ELi64ELi4ELc78ELc84ELb1ELb1ELb0EdKPKdKPdEEviiiT16_PT17_ilS8_ilS6_S8_ilPT18_ili26rocblas_geam_ex_operation_ ; -- Begin function _ZN12_GLOBAL__N_120geam_min_plus_kernelIdddLi4ELi64ELi128ELi128ELi4ELi64ELi4ELi64ELi4ELc78ELc84ELb1ELb1ELb0EdKPKdKPdEEviiiT16_PT17_ilS8_ilS6_S8_ilPT18_ili26rocblas_geam_ex_operation_
	.p2align	8
	.type	_ZN12_GLOBAL__N_120geam_min_plus_kernelIdddLi4ELi64ELi128ELi128ELi4ELi64ELi4ELi64ELi4ELc78ELc84ELb1ELb1ELb0EdKPKdKPdEEviiiT16_PT17_ilS8_ilS6_S8_ilPT18_ili26rocblas_geam_ex_operation_,@function
_ZN12_GLOBAL__N_120geam_min_plus_kernelIdddLi4ELi64ELi128ELi128ELi4ELi64ELi4ELi64ELi4ELc78ELc84ELb1ELb1ELb0EdKPKdKPdEEviiiT16_PT17_ilS8_ilS6_S8_ilPT18_ili26rocblas_geam_ex_operation_: ; @_ZN12_GLOBAL__N_120geam_min_plus_kernelIdddLi4ELi64ELi128ELi128ELi4ELi64ELi4ELi64ELi4ELc78ELc84ELb1ELb1ELb0EdKPKdKPdEEviiiT16_PT17_ilS8_ilS6_S8_ilPT18_ili26rocblas_geam_ex_operation_
; %bb.0:
	s_add_u32 s0, s0, s8
	s_clause 0x1
	s_load_dwordx4 s[12:15], s[4:5], 0x10
	s_load_dwordx4 s[8:11], s[4:5], 0x28
	s_mov_b32 s18, s7
	s_addc_u32 s1, s1, 0
	s_mov_b64 s[16:17], 0
	s_waitcnt lgkmcnt(0)
	v_cmp_eq_f64_e64 s7, s[12:13], 0
	s_and_b32 vcc_lo, exec_lo, s7
	s_cbranch_vccnz .LBB145_2
; %bb.1:
	s_mov_b32 s19, 0
	s_lshl_b64 s[12:13], s[18:19], 3
	s_add_u32 s12, s14, s12
	s_addc_u32 s13, s15, s13
	s_lshl_b64 s[8:9], s[8:9], 3
	s_load_dwordx2 s[12:13], s[12:13], 0x0
	s_waitcnt lgkmcnt(0)
	s_add_u32 s16, s12, s8
	s_addc_u32 s17, s13, s9
.LBB145_2:
	s_clause 0x1
	s_load_dwordx4 s[36:39], s[4:5], 0x40
	s_load_dwordx2 s[12:13], s[4:5], 0x50
	s_andn2_b32 vcc_lo, exec_lo, s7
	s_mov_b32 s19, 0
	s_cbranch_vccnz .LBB145_4
; %bb.3:
	s_mov_b32 s7, s19
	s_mov_b64 s[44:45], 0
	s_andn2_b32 vcc_lo, exec_lo, s7
	s_mov_b64 s[14:15], 0
	s_cbranch_vccz .LBB145_5
	s_branch .LBB145_6
.LBB145_4:
	s_mov_b64 s[44:45], 0
	s_mov_b64 s[14:15], 0
.LBB145_5:
	s_lshl_b64 s[8:9], s[18:19], 3
	s_add_u32 s8, s10, s8
	s_addc_u32 s9, s11, s9
	s_waitcnt lgkmcnt(0)
	s_lshl_b64 s[10:11], s[36:37], 3
	s_load_dwordx2 s[8:9], s[8:9], 0x0
	s_waitcnt lgkmcnt(0)
	s_add_u32 s14, s8, s10
	s_addc_u32 s15, s9, s11
.LBB145_6:
	s_waitcnt lgkmcnt(0)
	v_cmp_eq_f64_e64 s7, s[38:39], 0
	v_cmp_neq_f64_e64 s46, s[38:39], 0
	s_load_dwordx4 s[8:11], s[4:5], 0x60
	s_and_b32 vcc_lo, exec_lo, s7
	s_cbranch_vccnz .LBB145_8
; %bb.7:
	s_lshl_b64 s[20:21], s[18:19], 3
	s_add_u32 s12, s12, s20
	s_addc_u32 s13, s13, s21
	s_waitcnt lgkmcnt(0)
	s_lshl_b64 s[8:9], s[8:9], 3
	s_load_dwordx2 s[12:13], s[12:13], 0x0
	s_waitcnt lgkmcnt(0)
	s_add_u32 s44, s12, s8
	s_addc_u32 s45, s13, s9
.LBB145_8:
	s_load_dwordx4 s[40:43], s[4:5], 0x0
	s_waitcnt lgkmcnt(0)
	s_lshl_b64 s[8:9], s[18:19], 3
	v_lshl_add_u32 v2, v1, 2, v0
	s_add_u32 s8, s10, s8
	s_addc_u32 s9, s11, s9
	s_load_dword s20, s[4:5], 0x20
	s_load_dwordx2 s[12:13], s[8:9], 0x0
	v_mov_b32_e32 v4, 0
	v_and_b32_e32 v22, 63, v2
	v_lshrrev_b32_e32 v82, 6, v2
	v_mov_b32_e32 v10, 0
	v_mov_b32_e32 v5, 0
	buffer_store_dword v10, off, s[0:3], 0 offset:4
	buffer_store_dword v10, off, s[0:3], 0
	buffer_store_dword v10, off, s[0:3], 0 offset:12
	buffer_store_dword v10, off, s[0:3], 0 offset:8
	;; [unrolled: 1-line block ×13, first 2 shown]
	s_add_i32 s7, s40, -1
	v_cmp_le_i32_e32 vcc_lo, s42, v82
	s_ashr_i32 s8, s7, 31
	buffer_store_dword v10, off, s[0:3], 0 offset:56
	s_lshr_b32 s8, s8, 25
	buffer_store_dword v10, off, s[0:3], 0 offset:68
	buffer_store_dword v10, off, s[0:3], 0 offset:64
	buffer_store_dword v10, off, s[0:3], 0 offset:76
	buffer_store_dword v10, off, s[0:3], 0 offset:72
	s_add_i32 s7, s7, s8
	buffer_store_dword v10, off, s[0:3], 0 offset:84
	buffer_store_dword v10, off, s[0:3], 0 offset:80
	;; [unrolled: 1-line block ×9, first 2 shown]
	s_ashr_i32 s7, s7, 7
	buffer_store_dword v10, off, s[0:3], 0 offset:112
	buffer_store_dword v10, off, s[0:3], 0 offset:124
	buffer_store_dword v10, off, s[0:3], 0 offset:120
	buffer_store_dword v10, off, s[0:3], 0 offset:132
	s_add_i32 s8, s7, 1
	s_not_b32 s7, s7
	v_cvt_f32_u32_e32 v2, s8
	buffer_store_dword v10, off, s[0:3], 0 offset:128
	buffer_store_dword v10, off, s[0:3], 0 offset:140
	;; [unrolled: 1-line block ×8, first 2 shown]
	v_rcp_iflag_f32_e32 v2, v2
	buffer_store_dword v10, off, s[0:3], 0 offset:160
	buffer_store_dword v10, off, s[0:3], 0 offset:172
	buffer_store_dword v10, off, s[0:3], 0 offset:168
	buffer_store_dword v10, off, s[0:3], 0 offset:180
	buffer_store_dword v10, off, s[0:3], 0 offset:176
	buffer_store_dword v10, off, s[0:3], 0 offset:188
	buffer_store_dword v10, off, s[0:3], 0 offset:184
	buffer_store_dword v10, off, s[0:3], 0 offset:196
	buffer_store_dword v10, off, s[0:3], 0 offset:192
	v_mul_f32_e32 v2, 0x4f7ffffe, v2
	buffer_store_dword v10, off, s[0:3], 0 offset:204
	buffer_store_dword v10, off, s[0:3], 0 offset:200
	;; [unrolled: 1-line block ×77, first 2 shown]
	v_cvt_u32_f32_e32 v2, v2
	buffer_store_dword v10, off, s[0:3], 0 offset:504
	v_readfirstlane_b32 s9, v2
	s_waitcnt lgkmcnt(0)
	v_mad_i64_i32 v[2:3], null, s20, v82, 0
	s_mul_i32 s7, s7, s9
	s_mul_hi_u32 s7, s9, s7
	v_lshlrev_b64 v[2:3], 3, v[2:3]
	s_add_i32 s9, s9, s7
	s_mul_hi_u32 s7, s6, s9
	s_mul_i32 s9, s7, s8
	s_add_i32 s10, s7, 1
	s_sub_i32 s9, s6, s9
	s_sub_i32 s11, s9, s8
	s_cmp_ge_u32 s9, s8
	s_cselect_b32 s7, s10, s7
	s_cselect_b32 s9, s11, s9
	s_add_i32 s10, s7, 1
	s_cmp_ge_u32 s9, s8
	s_cselect_b32 s9, s10, s7
	s_mul_i32 s7, s9, s8
	s_sub_i32 s6, s6, s7
	s_lshl_b32 s11, s6, 7
	v_add_co_u32 v8, s6, s16, v2
	v_or_b32_e32 v6, s11, v22
	v_add_co_ci_u32_e64 v9, null, s17, v3, s6
	v_mov_b32_e32 v2, 0
	v_mov_b32_e32 v3, 0
	v_cmp_le_i32_e64 s6, s40, v6
	v_ashrrev_i32_e32 v7, 31, v6
	s_nor_b32 s7, s6, vcc_lo
	s_and_saveexec_b32 s8, s7
	s_cbranch_execz .LBB145_10
; %bb.9:
	v_lshlrev_b64 v[4:5], 3, v[6:7]
	v_add_co_u32 v4, s7, v8, v4
	v_add_co_ci_u32_e64 v5, null, v9, v5, s7
	flat_load_dwordx2 v[4:5], v[4:5]
.LBB145_10:
	s_or_b32 exec_lo, exec_lo, s8
	v_or_b32_e32 v10, 64, v6
	s_ashr_i32 s21, s20, 31
	v_cmp_le_i32_e64 s7, s40, v10
	s_nor_b32 s8, s7, vcc_lo
	s_and_saveexec_b32 s10, s8
	s_cbranch_execz .LBB145_12
; %bb.11:
	v_lshlrev_b64 v[2:3], 3, v[6:7]
	v_add_co_u32 v2, s8, v8, v2
	v_add_co_ci_u32_e64 v3, null, v9, v3, s8
	flat_load_dwordx2 v[2:3], v[2:3] offset:512
.LBB145_12:
	s_or_b32 exec_lo, exec_lo, s10
	s_load_dword s22, s[4:5], 0x38
	s_lshl_b32 s18, s9, 7
	v_mov_b32_e32 v18, 0
	v_mov_b32_e32 v20, 0
	;; [unrolled: 1-line block ×4, first 2 shown]
	s_waitcnt lgkmcnt(0)
	v_mad_u64_u32 v[9:10], null, s22, v82, 0
	s_ashr_i32 s23, s22, 31
	v_mov_b32_e32 v8, v10
	v_mad_u64_u32 v[10:11], null, s23, v82, v[8:9]
	v_or_b32_e32 v8, s18, v22
	v_cmp_le_i32_e64 s8, s41, v8
	v_lshlrev_b64 v[10:11], 3, v[9:10]
	v_ashrrev_i32_e32 v9, 31, v8
	v_add_co_u32 v10, s9, s14, v10
	v_add_co_ci_u32_e64 v11, null, s15, v11, s9
	s_nor_b32 s9, s8, vcc_lo
	s_and_saveexec_b32 s10, s9
	s_cbranch_execz .LBB145_14
; %bb.13:
	v_lshlrev_b64 v[12:13], 3, v[8:9]
	v_add_co_u32 v12, s9, v10, v12
	v_add_co_ci_u32_e64 v13, null, v11, v13, s9
	flat_load_dwordx2 v[20:21], v[12:13]
.LBB145_14:
	s_or_b32 exec_lo, exec_lo, s10
	v_or_b32_e32 v12, 64, v8
	v_cmp_le_i32_e64 s9, s41, v12
	s_nor_b32 s19, s9, vcc_lo
	s_and_saveexec_b32 s10, s19
	s_cbranch_execz .LBB145_16
; %bb.15:
	v_lshlrev_b64 v[12:13], 3, v[8:9]
	v_add_co_u32 v10, vcc_lo, v10, v12
	v_add_co_ci_u32_e64 v11, null, v11, v13, vcc_lo
	flat_load_dwordx2 v[18:19], v[10:11] offset:512
.LBB145_16:
	s_or_b32 exec_lo, exec_lo, s10
	v_add_nc_u32_e32 v14, 4, v82
	v_mad_u64_u32 v[10:11], null, s20, v14, 0
	v_cmp_le_i32_e32 vcc_lo, s42, v14
	v_mad_u64_u32 v[11:12], null, s21, v14, v[11:12]
	v_mov_b32_e32 v12, 0
	v_mov_b32_e32 v13, 0
	v_lshlrev_b64 v[15:16], 3, v[10:11]
	v_mov_b32_e32 v10, 0
	v_mov_b32_e32 v11, 0
	v_add_co_u32 v15, s10, s16, v15
	v_add_co_ci_u32_e64 v16, null, s17, v16, s10
	s_nor_b32 s10, s6, vcc_lo
	s_and_saveexec_b32 s19, s10
	s_cbranch_execz .LBB145_18
; %bb.17:
	v_lshlrev_b64 v[12:13], 3, v[6:7]
	v_add_co_u32 v12, s10, v15, v12
	v_add_co_ci_u32_e64 v13, null, v16, v13, s10
	flat_load_dwordx2 v[12:13], v[12:13]
.LBB145_18:
	s_or_b32 exec_lo, exec_lo, s19
	s_nor_b32 s10, s7, vcc_lo
	s_and_saveexec_b32 s19, s10
	s_cbranch_execz .LBB145_20
; %bb.19:
	v_lshlrev_b64 v[10:11], 3, v[6:7]
	v_add_co_u32 v10, s10, v15, v10
	v_add_co_ci_u32_e64 v11, null, v16, v11, s10
	flat_load_dwordx2 v[10:11], v[10:11] offset:512
.LBB145_20:
	s_or_b32 exec_lo, exec_lo, s19
	v_mad_u64_u32 v[15:16], null, s22, v14, 0
	v_mad_u64_u32 v[16:17], null, s23, v14, v[16:17]
	v_lshlrev_b64 v[23:24], 3, v[15:16]
	v_mov_b32_e32 v14, 0
	v_mov_b32_e32 v16, 0
	;; [unrolled: 1-line block ×4, first 2 shown]
	v_add_co_u32 v23, s10, s14, v23
	v_add_co_ci_u32_e64 v24, null, s15, v24, s10
	s_nor_b32 s10, s8, vcc_lo
	s_and_saveexec_b32 s19, s10
	s_cbranch_execz .LBB145_22
; %bb.21:
	v_lshlrev_b64 v[16:17], 3, v[8:9]
	v_add_co_u32 v16, s10, v23, v16
	v_add_co_ci_u32_e64 v17, null, v24, v17, s10
	flat_load_dwordx2 v[16:17], v[16:17]
.LBB145_22:
	s_or_b32 exec_lo, exec_lo, s19
	s_nor_b32 s19, s9, vcc_lo
	s_and_saveexec_b32 s10, s19
	s_cbranch_execz .LBB145_24
; %bb.23:
	v_lshlrev_b64 v[14:15], 3, v[8:9]
	v_add_co_u32 v14, vcc_lo, v23, v14
	v_add_co_ci_u32_e64 v15, null, v24, v15, vcc_lo
	flat_load_dwordx2 v[14:15], v[14:15] offset:512
.LBB145_24:
	s_or_b32 exec_lo, exec_lo, s10
	v_lshlrev_b32_e32 v22, 5, v22
	v_lshlrev_b32_e32 v84, 5, v0
	v_lshl_or_b32 v86, v1, 5, 0x2000
	s_mov_b32 s19, 0
	s_mov_b32 s10, 0
	v_lshl_add_u32 v83, v82, 3, v22
	s_addk_i32 s19, 0x100
	v_add_nc_u32_e32 v85, 0x2000, v83
	s_waitcnt vmcnt(0)
	ds_write2st64_b64 v83, v[4:5], v[2:3] offset1:4
	s_waitcnt lgkmcnt(1)
	ds_write2st64_b64 v83, v[20:21], v[18:19] offset0:16 offset1:20
	s_waitcnt lgkmcnt(0)
	s_waitcnt_vscnt null, 0x0
	s_barrier
	buffer_gl0_inv
.LBB145_25:                             ; =>This Loop Header: Depth=1
                                        ;     Child Loop BB145_26 Depth 2
	s_lshl_b32 s24, s10, 3
	s_mov_b32 s25, 0
	v_add_nc_u32_e32 v18, s24, v84
	v_add_nc_u32_e32 v87, s24, v86
	s_mov_b32 s24, -1
	ds_read2_b64 v[2:5], v18 offset1:16
	ds_read2_b64 v[22:25], v18 offset0:32 offset1:48
	ds_read2_b64 v[26:29], v18 offset0:64 offset1:80
	;; [unrolled: 1-line block ×4, first 2 shown]
	v_add_nc_u32_e32 v78, 0x800, v18
	ds_read2_b64 v[38:41], v18 offset0:160 offset1:176
	ds_read2_b64 v[42:45], v18 offset0:192 offset1:208
	ds_read2_b64 v[46:49], v18 offset0:224 offset1:240
	ds_read2_b64 v[50:53], v78 offset1:16
	ds_read2_b64 v[54:57], v78 offset0:32 offset1:48
	ds_read2_b64 v[58:61], v78 offset0:64 offset1:80
	;; [unrolled: 1-line block ×6, first 2 shown]
	s_waitcnt lgkmcnt(9)
	v_max_f64 v[38:39], v[38:39], v[38:39]
	v_max_f64 v[40:41], v[40:41], v[40:41]
	;; [unrolled: 1-line block ×4, first 2 shown]
	ds_read2_b64 v[2:5], v78 offset0:224 offset1:240
	v_max_f64 v[22:23], v[22:23], v[22:23]
	v_max_f64 v[24:25], v[24:25], v[24:25]
	;; [unrolled: 1-line block ×8, first 2 shown]
	s_waitcnt lgkmcnt(9)
	v_max_f64 v[42:43], v[42:43], v[42:43]
	v_max_f64 v[44:45], v[44:45], v[44:45]
	s_waitcnt lgkmcnt(8)
	v_max_f64 v[46:47], v[46:47], v[46:47]
	v_max_f64 v[48:49], v[48:49], v[48:49]
	;; [unrolled: 3-line block ×10, first 2 shown]
	ds_read2st64_b64 v[2:5], v87 offset1:4
.LBB145_26:                             ;   Parent Loop BB145_25 Depth=1
                                        ; =>  This Inner Loop Header: Depth=2
	v_mov_b32_e32 v215, s25
	s_waitcnt lgkmcnt(0)
	v_max_f64 v[151:152], v[2:3], v[2:3]
	v_mov_b32_e32 v2, v4
	v_mov_b32_e32 v3, v5
	s_and_b32 vcc_lo, exec_lo, s24
	s_clause 0x3e
	buffer_load_dword v87, v215, s[0:3], 0 offen
	buffer_load_dword v88, v215, s[0:3], 0 offen offset:4
	buffer_load_dword v89, v215, s[0:3], 0 offen offset:8
	;; [unrolled: 1-line block ×63, first 2 shown]
	s_mov_b32 s24, 0
	s_mov_b32 s25, s19
	v_min_f64 v[153:154], v[18:19], v[151:152]
	v_min_f64 v[155:156], v[20:21], v[151:152]
	;; [unrolled: 1-line block ×32, first 2 shown]
	s_waitcnt vmcnt(62)
	v_add_f64 v[87:88], v[153:154], v[87:88]
	s_waitcnt vmcnt(60)
	v_add_f64 v[89:90], v[155:156], v[89:90]
	;; [unrolled: 2-line block ×32, first 2 shown]
	buffer_store_dword v87, v215, s[0:3], 0 offen
	buffer_store_dword v88, v215, s[0:3], 0 offen offset:4
	buffer_store_dword v89, v215, s[0:3], 0 offen offset:8
	;; [unrolled: 1-line block ×63, first 2 shown]
	s_cbranch_vccnz .LBB145_26
; %bb.27:                               ;   in Loop: Header=BB145_25 Depth=1
	s_add_i32 s10, s10, 1
	s_cmp_eq_u32 s10, 4
	s_cbranch_scc0 .LBB145_25
; %bb.28:
	v_lshl_add_u32 v87, v0, 5, 0x1000
	v_lshl_add_u32 v88, v1, 5, 0x3000
	s_cmp_lt_i32 s42, 9
	ds_write2st64_b64 v83, v[12:13], v[10:11] offset0:8 offset1:12
	ds_write2st64_b64 v83, v[16:17], v[14:15] offset0:24 offset1:28
	s_waitcnt lgkmcnt(0)
	s_waitcnt_vscnt null, 0x0
	s_barrier
	buffer_gl0_inv
	s_cbranch_scc1 .LBB145_55
; %bb.29:
	v_lshlrev_b64 v[70:71], 3, v[6:7]
	v_lshlrev_b64 v[72:73], 3, v[8:9]
	v_add_nc_u32_e32 v89, 0x1000, v83
	v_add_nc_u32_e32 v90, 0x3000, v83
	s_add_i32 s24, s42, -8
	s_mov_b32 s25, 8
	s_mov_b32 s26, 0
.LBB145_30:                             ; =>This Loop Header: Depth=1
                                        ;     Child Loop BB145_39 Depth 2
                                        ;       Child Loop BB145_40 Depth 3
                                        ;     Child Loop BB145_51 Depth 2
                                        ;       Child Loop BB145_52 Depth 3
	v_add_nc_u32_e32 v2, s25, v82
	v_mov_b32_e32 v6, 0
	v_mov_b32_e32 v8, 0
	v_mov_b32_e32 v7, 0
	v_mov_b32_e32 v9, 0
	v_mad_u64_u32 v[3:4], null, v2, s20, 0
	v_cmp_le_i32_e32 vcc_lo, s42, v2
	v_mad_u64_u32 v[4:5], null, v2, s21, v[4:5]
	v_lshlrev_b64 v[3:4], 3, v[3:4]
	v_add_co_u32 v3, s10, s16, v3
	v_add_co_ci_u32_e64 v4, null, s17, v4, s10
	s_nor_b32 s10, s6, vcc_lo
	s_and_saveexec_b32 s27, s10
	s_cbranch_execz .LBB145_32
; %bb.31:                               ;   in Loop: Header=BB145_30 Depth=1
	v_add_co_u32 v8, s10, v3, v70
	v_add_co_ci_u32_e64 v9, null, v4, v71, s10
	flat_load_dwordx2 v[8:9], v[8:9]
.LBB145_32:                             ;   in Loop: Header=BB145_30 Depth=1
	s_or_b32 exec_lo, exec_lo, s27
	s_nor_b32 s10, s7, vcc_lo
	s_and_saveexec_b32 s27, s10
	s_cbranch_execz .LBB145_34
; %bb.33:                               ;   in Loop: Header=BB145_30 Depth=1
	v_add_co_u32 v3, s10, v3, v70
	v_add_co_ci_u32_e64 v4, null, v4, v71, s10
	flat_load_dwordx2 v[6:7], v[3:4] offset:512
.LBB145_34:                             ;   in Loop: Header=BB145_30 Depth=1
	s_or_b32 exec_lo, exec_lo, s27
	v_mad_u64_u32 v[3:4], null, v2, s22, 0
	v_mov_b32_e32 v10, 0
	v_mov_b32_e32 v12, 0
	;; [unrolled: 1-line block ×4, first 2 shown]
	v_mad_u64_u32 v[4:5], null, v2, s23, v[4:5]
	v_lshlrev_b64 v[2:3], 3, v[3:4]
	v_add_co_u32 v2, s10, s14, v2
	v_add_co_ci_u32_e64 v3, null, s15, v3, s10
	s_nor_b32 s10, s8, vcc_lo
	s_and_saveexec_b32 s27, s10
	s_cbranch_execz .LBB145_36
; %bb.35:                               ;   in Loop: Header=BB145_30 Depth=1
	v_add_co_u32 v4, s10, v2, v72
	v_add_co_ci_u32_e64 v5, null, v3, v73, s10
	flat_load_dwordx2 v[12:13], v[4:5]
.LBB145_36:                             ;   in Loop: Header=BB145_30 Depth=1
	s_or_b32 exec_lo, exec_lo, s27
	s_nor_b32 s27, s9, vcc_lo
	s_and_saveexec_b32 s10, s27
	s_cbranch_execz .LBB145_38
; %bb.37:                               ;   in Loop: Header=BB145_30 Depth=1
	v_add_co_u32 v2, vcc_lo, v2, v72
	v_add_co_ci_u32_e64 v3, null, v3, v73, vcc_lo
	flat_load_dwordx2 v[10:11], v[2:3] offset:512
.LBB145_38:                             ;   in Loop: Header=BB145_30 Depth=1
	s_or_b32 exec_lo, exec_lo, s10
	s_mov_b32 s10, 0
.LBB145_39:                             ;   Parent Loop BB145_30 Depth=1
                                        ; =>  This Loop Header: Depth=2
                                        ;       Child Loop BB145_40 Depth 3
	s_lshl_b32 s27, s10, 3
	s_mov_b32 s28, 0
	v_add_nc_u32_e32 v14, s27, v87
	v_add_nc_u32_e32 v91, s27, v88
	s_mov_b32 s27, -1
	ds_read2_b64 v[2:5], v14 offset1:16
	ds_read2_b64 v[18:21], v14 offset0:32 offset1:48
	ds_read2_b64 v[22:25], v14 offset0:64 offset1:80
	v_add_nc_u32_e32 v15, 0x800, v14
	ds_read2_b64 v[26:29], v14 offset0:96 offset1:112
	ds_read2_b64 v[30:33], v14 offset0:128 offset1:144
	;; [unrolled: 1-line block ×5, first 2 shown]
	ds_read2_b64 v[46:49], v15 offset1:16
	ds_read2_b64 v[50:53], v15 offset0:32 offset1:48
	ds_read2_b64 v[54:57], v15 offset0:64 offset1:80
	;; [unrolled: 1-line block ×7, first 2 shown]
	s_waitcnt lgkmcnt(11)
	v_max_f64 v[30:31], v[30:31], v[30:31]
	v_max_f64 v[32:33], v[32:33], v[32:33]
	s_waitcnt lgkmcnt(10)
	v_max_f64 v[34:35], v[34:35], v[34:35]
	v_max_f64 v[36:37], v[36:37], v[36:37]
	;; [unrolled: 3-line block ×3, first 2 shown]
	v_max_f64 v[14:15], v[2:3], v[2:3]
	v_max_f64 v[16:17], v[4:5], v[4:5]
	;; [unrolled: 1-line block ×8, first 2 shown]
	s_waitcnt lgkmcnt(8)
	v_max_f64 v[42:43], v[42:43], v[42:43]
	v_max_f64 v[44:45], v[44:45], v[44:45]
	s_waitcnt lgkmcnt(7)
	v_max_f64 v[46:47], v[46:47], v[46:47]
	v_max_f64 v[48:49], v[48:49], v[48:49]
	;; [unrolled: 3-line block ×9, first 2 shown]
	ds_read2st64_b64 v[2:5], v91 offset1:4
.LBB145_40:                             ;   Parent Loop BB145_30 Depth=1
                                        ;     Parent Loop BB145_39 Depth=2
                                        ; =>    This Inner Loop Header: Depth=3
	v_mov_b32_e32 v219, s28
	s_waitcnt lgkmcnt(0)
	v_max_f64 v[155:156], v[2:3], v[2:3]
	v_mov_b32_e32 v2, v4
	v_mov_b32_e32 v3, v5
	s_and_b32 vcc_lo, exec_lo, s27
	s_clause 0x3e
	buffer_load_dword v91, v219, s[0:3], 0 offen
	buffer_load_dword v92, v219, s[0:3], 0 offen offset:4
	buffer_load_dword v93, v219, s[0:3], 0 offen offset:8
	;; [unrolled: 1-line block ×63, first 2 shown]
	s_mov_b32 s27, 0
	s_mov_b32 s28, s19
	v_min_f64 v[157:158], v[14:15], v[155:156]
	v_min_f64 v[159:160], v[16:17], v[155:156]
	;; [unrolled: 1-line block ×32, first 2 shown]
	s_waitcnt vmcnt(62)
	v_add_f64 v[91:92], v[157:158], v[91:92]
	s_waitcnt vmcnt(60)
	v_add_f64 v[93:94], v[159:160], v[93:94]
	s_waitcnt vmcnt(58)
	v_add_f64 v[95:96], v[161:162], v[95:96]
	s_waitcnt vmcnt(56)
	v_add_f64 v[97:98], v[163:164], v[97:98]
	s_waitcnt vmcnt(54)
	v_add_f64 v[99:100], v[165:166], v[99:100]
	s_waitcnt vmcnt(52)
	v_add_f64 v[101:102], v[167:168], v[101:102]
	s_waitcnt vmcnt(50)
	v_add_f64 v[103:104], v[169:170], v[103:104]
	s_waitcnt vmcnt(48)
	v_add_f64 v[105:106], v[171:172], v[105:106]
	s_waitcnt vmcnt(45)
	v_add_f64 v[109:110], v[175:176], v[109:110]
	s_waitcnt vmcnt(43)
	v_add_f64 v[111:112], v[177:178], v[111:112]
	s_waitcnt vmcnt(41)
	v_add_f64 v[113:114], v[179:180], v[113:114]
	s_waitcnt vmcnt(40)
	v_add_f64 v[107:108], v[173:174], v[107:108]
	s_waitcnt vmcnt(38)
	v_add_f64 v[115:116], v[181:182], v[115:116]
	s_waitcnt vmcnt(36)
	v_add_f64 v[117:118], v[183:184], v[117:118]
	s_waitcnt vmcnt(34)
	v_add_f64 v[119:120], v[185:186], v[119:120]
	s_waitcnt vmcnt(32)
	v_add_f64 v[121:122], v[187:188], v[121:122]
	s_waitcnt vmcnt(30)
	v_add_f64 v[123:124], v[189:190], v[123:124]
	s_waitcnt vmcnt(28)
	v_add_f64 v[125:126], v[191:192], v[125:126]
	s_waitcnt vmcnt(26)
	v_add_f64 v[127:128], v[193:194], v[127:128]
	s_waitcnt vmcnt(24)
	v_add_f64 v[129:130], v[195:196], v[129:130]
	s_waitcnt vmcnt(22)
	v_add_f64 v[131:132], v[197:198], v[131:132]
	s_waitcnt vmcnt(20)
	v_add_f64 v[133:134], v[199:200], v[133:134]
	s_waitcnt vmcnt(18)
	v_add_f64 v[135:136], v[201:202], v[135:136]
	s_waitcnt vmcnt(16)
	v_add_f64 v[137:138], v[203:204], v[137:138]
	s_waitcnt vmcnt(14)
	v_add_f64 v[139:140], v[205:206], v[139:140]
	s_waitcnt vmcnt(12)
	v_add_f64 v[141:142], v[207:208], v[141:142]
	s_waitcnt vmcnt(10)
	v_add_f64 v[143:144], v[209:210], v[143:144]
	s_waitcnt vmcnt(8)
	v_add_f64 v[145:146], v[211:212], v[145:146]
	s_waitcnt vmcnt(6)
	v_add_f64 v[147:148], v[213:214], v[147:148]
	s_waitcnt vmcnt(4)
	v_add_f64 v[149:150], v[215:216], v[149:150]
	s_waitcnt vmcnt(2)
	v_add_f64 v[151:152], v[217:218], v[151:152]
	s_waitcnt vmcnt(0)
	v_add_f64 v[153:154], v[155:156], v[153:154]
	buffer_store_dword v91, v219, s[0:3], 0 offen
	buffer_store_dword v92, v219, s[0:3], 0 offen offset:4
	buffer_store_dword v93, v219, s[0:3], 0 offen offset:8
	;; [unrolled: 1-line block ×63, first 2 shown]
	s_cbranch_vccnz .LBB145_40
; %bb.41:                               ;   in Loop: Header=BB145_39 Depth=2
	s_add_i32 s10, s10, 1
	s_cmp_eq_u32 s10, 4
	s_cbranch_scc0 .LBB145_39
; %bb.42:                               ;   in Loop: Header=BB145_30 Depth=1
	v_add3_u32 v2, v82, s25, 4
	v_mov_b32_e32 v74, 0
	v_mov_b32_e32 v76, 0
	v_mov_b32_e32 v75, 0
	v_mov_b32_e32 v77, 0
	v_mad_u64_u32 v[3:4], null, v2, s20, 0
	v_cmp_le_i32_e32 vcc_lo, s42, v2
	ds_write2st64_b64 v83, v[8:9], v[6:7] offset1:4
	ds_write2st64_b64 v85, v[12:13], v[10:11] offset1:4
	s_waitcnt lgkmcnt(0)
	s_waitcnt_vscnt null, 0x0
	s_barrier
	buffer_gl0_inv
	v_mad_u64_u32 v[4:5], null, v2, s21, v[4:5]
	v_lshlrev_b64 v[3:4], 3, v[3:4]
	v_add_co_u32 v3, s10, s16, v3
	v_add_co_ci_u32_e64 v4, null, s17, v4, s10
	s_nor_b32 s10, s6, vcc_lo
	s_and_saveexec_b32 s27, s10
	s_cbranch_execz .LBB145_44
; %bb.43:                               ;   in Loop: Header=BB145_30 Depth=1
	v_add_co_u32 v5, s10, v3, v70
	v_add_co_ci_u32_e64 v6, null, v4, v71, s10
	flat_load_dwordx2 v[76:77], v[5:6]
.LBB145_44:                             ;   in Loop: Header=BB145_30 Depth=1
	s_or_b32 exec_lo, exec_lo, s27
	s_nor_b32 s10, s7, vcc_lo
	s_and_saveexec_b32 s27, s10
	s_cbranch_execz .LBB145_46
; %bb.45:                               ;   in Loop: Header=BB145_30 Depth=1
	v_add_co_u32 v3, s10, v3, v70
	v_add_co_ci_u32_e64 v4, null, v4, v71, s10
	flat_load_dwordx2 v[74:75], v[3:4] offset:512
.LBB145_46:                             ;   in Loop: Header=BB145_30 Depth=1
	s_or_b32 exec_lo, exec_lo, s27
	v_mad_u64_u32 v[3:4], null, v2, s22, 0
	v_mov_b32_e32 v78, 0
	v_mov_b32_e32 v80, 0
	;; [unrolled: 1-line block ×4, first 2 shown]
	v_mad_u64_u32 v[4:5], null, v2, s23, v[4:5]
	v_lshlrev_b64 v[2:3], 3, v[3:4]
	v_add_co_u32 v2, s10, s14, v2
	v_add_co_ci_u32_e64 v3, null, s15, v3, s10
	s_nor_b32 s10, s8, vcc_lo
	s_and_saveexec_b32 s27, s10
	s_cbranch_execz .LBB145_48
; %bb.47:                               ;   in Loop: Header=BB145_30 Depth=1
	v_add_co_u32 v4, s10, v2, v72
	v_add_co_ci_u32_e64 v5, null, v3, v73, s10
	flat_load_dwordx2 v[80:81], v[4:5]
.LBB145_48:                             ;   in Loop: Header=BB145_30 Depth=1
	s_or_b32 exec_lo, exec_lo, s27
	s_nor_b32 s27, s9, vcc_lo
	s_and_saveexec_b32 s10, s27
	s_cbranch_execz .LBB145_50
; %bb.49:                               ;   in Loop: Header=BB145_30 Depth=1
	v_add_co_u32 v2, vcc_lo, v2, v72
	v_add_co_ci_u32_e64 v3, null, v3, v73, vcc_lo
	flat_load_dwordx2 v[78:79], v[2:3] offset:512
.LBB145_50:                             ;   in Loop: Header=BB145_30 Depth=1
	s_or_b32 exec_lo, exec_lo, s10
	s_mov_b32 s10, 0
.LBB145_51:                             ;   Parent Loop BB145_30 Depth=1
                                        ; =>  This Loop Header: Depth=2
                                        ;       Child Loop BB145_52 Depth 3
	s_lshl_b32 s27, s10, 3
	s_mov_b32 s28, 0
	v_add_nc_u32_e32 v30, s27, v84
	v_add_nc_u32_e32 v66, s27, v86
	s_mov_b32 s27, -1
	ds_read2_b64 v[2:5], v30 offset1:16
	ds_read2_b64 v[6:9], v30 offset0:32 offset1:48
	ds_read2_b64 v[10:13], v30 offset0:64 offset1:80
	;; [unrolled: 1-line block ×3, first 2 shown]
	v_add_nc_u32_e32 v62, 0x800, v30
	ds_read2_b64 v[18:21], v30 offset0:128 offset1:144
	ds_read2_b64 v[22:25], v30 offset0:160 offset1:176
	;; [unrolled: 1-line block ×4, first 2 shown]
	ds_read2_b64 v[34:37], v62 offset1:16
	ds_read2_b64 v[38:41], v62 offset0:32 offset1:48
	ds_read2_b64 v[42:45], v62 offset0:64 offset1:80
	;; [unrolled: 1-line block ×7, first 2 shown]
	ds_read2st64_b64 v[66:69], v66 offset1:4
.LBB145_52:                             ;   Parent Loop BB145_30 Depth=1
                                        ;     Parent Loop BB145_51 Depth=2
                                        ; =>    This Inner Loop Header: Depth=3
	v_mov_b32_e32 v91, s28
	s_waitcnt lgkmcnt(16)
	v_max_f64 v[156:157], v[2:3], v[2:3]
	s_waitcnt lgkmcnt(0)
	v_max_f64 v[158:159], v[66:67], v[66:67]
	v_max_f64 v[160:161], v[4:5], v[4:5]
	;; [unrolled: 1-line block ×3, first 2 shown]
	s_clause 0x3e
	buffer_load_dword v92, v91, s[0:3], 0 offen
	buffer_load_dword v93, v91, s[0:3], 0 offen offset:4
	buffer_load_dword v94, v91, s[0:3], 0 offen offset:8
	;; [unrolled: 1-line block ×63, first 2 shown]
	v_max_f64 v[164:165], v[8:9], v[8:9]
	v_max_f64 v[166:167], v[10:11], v[10:11]
	;; [unrolled: 1-line block ×29, first 2 shown]
	v_min_f64 v[156:157], v[156:157], v[158:159]
	v_min_f64 v[160:161], v[160:161], v[158:159]
	;; [unrolled: 1-line block ×32, first 2 shown]
	v_mov_b32_e32 v66, v68
	v_mov_b32_e32 v67, v69
	s_and_b32 vcc_lo, exec_lo, s27
	s_mov_b32 s27, 0
	s_mov_b32 s28, s19
	s_waitcnt vmcnt(62)
	v_add_f64 v[92:93], v[156:157], v[92:93]
	s_waitcnt vmcnt(60)
	v_add_f64 v[94:95], v[160:161], v[94:95]
	;; [unrolled: 2-line block ×32, first 2 shown]
	buffer_store_dword v92, v91, s[0:3], 0 offen
	buffer_store_dword v93, v91, s[0:3], 0 offen offset:4
	buffer_store_dword v94, v91, s[0:3], 0 offen offset:8
	buffer_store_dword v95, v91, s[0:3], 0 offen offset:12
	buffer_store_dword v96, v91, s[0:3], 0 offen offset:16
	buffer_store_dword v97, v91, s[0:3], 0 offen offset:20
	buffer_store_dword v98, v91, s[0:3], 0 offen offset:24
	buffer_store_dword v99, v91, s[0:3], 0 offen offset:28
	buffer_store_dword v100, v91, s[0:3], 0 offen offset:32
	buffer_store_dword v101, v91, s[0:3], 0 offen offset:36
	buffer_store_dword v102, v91, s[0:3], 0 offen offset:40
	buffer_store_dword v103, v91, s[0:3], 0 offen offset:44
	buffer_store_dword v104, v91, s[0:3], 0 offen offset:48
	buffer_store_dword v105, v91, s[0:3], 0 offen offset:52
	buffer_store_dword v106, v91, s[0:3], 0 offen offset:56
	buffer_store_dword v107, v91, s[0:3], 0 offen offset:60
	buffer_store_dword v109, v91, s[0:3], 0 offen offset:68
	buffer_store_dword v108, v91, s[0:3], 0 offen offset:64
	buffer_store_dword v111, v91, s[0:3], 0 offen offset:76
	buffer_store_dword v110, v91, s[0:3], 0 offen offset:72
	buffer_store_dword v113, v91, s[0:3], 0 offen offset:84
	buffer_store_dword v112, v91, s[0:3], 0 offen offset:80
	buffer_store_dword v115, v91, s[0:3], 0 offen offset:92
	buffer_store_dword v114, v91, s[0:3], 0 offen offset:88
	buffer_store_dword v117, v91, s[0:3], 0 offen offset:100
	buffer_store_dword v116, v91, s[0:3], 0 offen offset:96
	buffer_store_dword v119, v91, s[0:3], 0 offen offset:108
	buffer_store_dword v118, v91, s[0:3], 0 offen offset:104
	buffer_store_dword v121, v91, s[0:3], 0 offen offset:116
	buffer_store_dword v120, v91, s[0:3], 0 offen offset:112
	buffer_store_dword v123, v91, s[0:3], 0 offen offset:124
	buffer_store_dword v122, v91, s[0:3], 0 offen offset:120
	buffer_store_dword v125, v91, s[0:3], 0 offen offset:132
	buffer_store_dword v124, v91, s[0:3], 0 offen offset:128
	buffer_store_dword v127, v91, s[0:3], 0 offen offset:140
	buffer_store_dword v126, v91, s[0:3], 0 offen offset:136
	buffer_store_dword v129, v91, s[0:3], 0 offen offset:148
	buffer_store_dword v128, v91, s[0:3], 0 offen offset:144
	buffer_store_dword v131, v91, s[0:3], 0 offen offset:156
	buffer_store_dword v130, v91, s[0:3], 0 offen offset:152
	buffer_store_dword v133, v91, s[0:3], 0 offen offset:164
	buffer_store_dword v132, v91, s[0:3], 0 offen offset:160
	buffer_store_dword v135, v91, s[0:3], 0 offen offset:172
	buffer_store_dword v134, v91, s[0:3], 0 offen offset:168
	buffer_store_dword v137, v91, s[0:3], 0 offen offset:180
	buffer_store_dword v136, v91, s[0:3], 0 offen offset:176
	buffer_store_dword v139, v91, s[0:3], 0 offen offset:188
	buffer_store_dword v138, v91, s[0:3], 0 offen offset:184
	buffer_store_dword v141, v91, s[0:3], 0 offen offset:196
	buffer_store_dword v140, v91, s[0:3], 0 offen offset:192
	buffer_store_dword v143, v91, s[0:3], 0 offen offset:204
	buffer_store_dword v142, v91, s[0:3], 0 offen offset:200
	buffer_store_dword v145, v91, s[0:3], 0 offen offset:212
	buffer_store_dword v144, v91, s[0:3], 0 offen offset:208
	buffer_store_dword v147, v91, s[0:3], 0 offen offset:220
	buffer_store_dword v146, v91, s[0:3], 0 offen offset:216
	buffer_store_dword v149, v91, s[0:3], 0 offen offset:228
	buffer_store_dword v148, v91, s[0:3], 0 offen offset:224
	buffer_store_dword v151, v91, s[0:3], 0 offen offset:236
	buffer_store_dword v150, v91, s[0:3], 0 offen offset:232
	buffer_store_dword v153, v91, s[0:3], 0 offen offset:244
	buffer_store_dword v152, v91, s[0:3], 0 offen offset:240
	buffer_store_dword v155, v91, s[0:3], 0 offen offset:252
	buffer_store_dword v154, v91, s[0:3], 0 offen offset:248
	s_cbranch_vccnz .LBB145_52
; %bb.53:                               ;   in Loop: Header=BB145_51 Depth=2
	s_add_i32 s10, s10, 1
	s_cmp_eq_u32 s10, 4
	s_cbranch_scc0 .LBB145_51
; %bb.54:                               ;   in Loop: Header=BB145_30 Depth=1
	s_add_i32 s26, s26, 8
	s_add_i32 s25, s25, 8
	s_cmp_ge_i32 s26, s24
	ds_write2st64_b64 v89, v[76:77], v[74:75] offset1:4
	ds_write2st64_b64 v90, v[80:81], v[78:79] offset1:4
	s_waitcnt lgkmcnt(0)
	s_waitcnt_vscnt null, 0x0
	s_barrier
	buffer_gl0_inv
	s_cbranch_scc0 .LBB145_30
.LBB145_55:
	s_mov_b32 s6, 0
.LBB145_56:                             ; =>This Loop Header: Depth=1
                                        ;     Child Loop BB145_57 Depth 2
	s_lshl_b32 s7, s6, 3
	s_mov_b32 s8, 0
	v_add_nc_u32_e32 v6, s7, v87
	v_add_nc_u32_e32 v70, s7, v88
	s_mov_b32 s7, -1
	ds_read2_b64 v[2:5], v6 offset1:16
	ds_read2_b64 v[10:13], v6 offset0:32 offset1:48
	ds_read2_b64 v[14:17], v6 offset0:64 offset1:80
	v_add_nc_u32_e32 v7, 0x800, v6
	ds_read2_b64 v[18:21], v6 offset0:96 offset1:112
	ds_read2_b64 v[22:25], v6 offset0:128 offset1:144
	;; [unrolled: 1-line block ×5, first 2 shown]
	ds_read2_b64 v[38:41], v7 offset1:16
	ds_read2_b64 v[42:45], v7 offset0:32 offset1:48
	ds_read2_b64 v[46:49], v7 offset0:64 offset1:80
	;; [unrolled: 1-line block ×7, first 2 shown]
	s_waitcnt lgkmcnt(11)
	v_max_f64 v[22:23], v[22:23], v[22:23]
	v_max_f64 v[24:25], v[24:25], v[24:25]
	s_waitcnt lgkmcnt(10)
	v_max_f64 v[26:27], v[26:27], v[26:27]
	v_max_f64 v[28:29], v[28:29], v[28:29]
	;; [unrolled: 3-line block ×3, first 2 shown]
	v_max_f64 v[6:7], v[2:3], v[2:3]
	v_max_f64 v[8:9], v[4:5], v[4:5]
	v_max_f64 v[10:11], v[10:11], v[10:11]
	v_max_f64 v[12:13], v[12:13], v[12:13]
	v_max_f64 v[14:15], v[14:15], v[14:15]
	v_max_f64 v[16:17], v[16:17], v[16:17]
	v_max_f64 v[18:19], v[18:19], v[18:19]
	v_max_f64 v[20:21], v[20:21], v[20:21]
	s_waitcnt lgkmcnt(8)
	v_max_f64 v[34:35], v[34:35], v[34:35]
	v_max_f64 v[36:37], v[36:37], v[36:37]
	s_waitcnt lgkmcnt(7)
	v_max_f64 v[38:39], v[38:39], v[38:39]
	v_max_f64 v[40:41], v[40:41], v[40:41]
	;; [unrolled: 3-line block ×9, first 2 shown]
	ds_read2st64_b64 v[2:5], v70 offset1:4
.LBB145_57:                             ;   Parent Loop BB145_56 Depth=1
                                        ; =>  This Inner Loop Header: Depth=2
	v_mov_b32_e32 v86, s8
	s_waitcnt lgkmcnt(0)
	v_max_f64 v[137:138], v[2:3], v[2:3]
	v_mov_b32_e32 v2, v4
	v_mov_b32_e32 v3, v5
	s_and_b32 vcc_lo, exec_lo, s7
	s_clause 0x3e
	buffer_load_dword v70, v86, s[0:3], 0 offen
	buffer_load_dword v71, v86, s[0:3], 0 offen offset:4
	buffer_load_dword v72, v86, s[0:3], 0 offen offset:8
	;; [unrolled: 1-line block ×63, first 2 shown]
	s_mov_b32 s7, 0
	s_mov_b32 s8, s19
	v_min_f64 v[139:140], v[6:7], v[137:138]
	v_min_f64 v[141:142], v[8:9], v[137:138]
	;; [unrolled: 1-line block ×32, first 2 shown]
	s_waitcnt vmcnt(62)
	v_add_f64 v[70:71], v[139:140], v[70:71]
	s_waitcnt vmcnt(60)
	v_add_f64 v[72:73], v[141:142], v[72:73]
	;; [unrolled: 2-line block ×32, first 2 shown]
	buffer_store_dword v70, v86, s[0:3], 0 offen
	buffer_store_dword v71, v86, s[0:3], 0 offen offset:4
	buffer_store_dword v72, v86, s[0:3], 0 offen offset:8
	buffer_store_dword v73, v86, s[0:3], 0 offen offset:12
	buffer_store_dword v74, v86, s[0:3], 0 offen offset:16
	buffer_store_dword v75, v86, s[0:3], 0 offen offset:20
	buffer_store_dword v76, v86, s[0:3], 0 offen offset:24
	buffer_store_dword v77, v86, s[0:3], 0 offen offset:28
	buffer_store_dword v78, v86, s[0:3], 0 offen offset:32
	buffer_store_dword v79, v86, s[0:3], 0 offen offset:36
	buffer_store_dword v80, v86, s[0:3], 0 offen offset:40
	buffer_store_dword v81, v86, s[0:3], 0 offen offset:44
	buffer_store_dword v82, v86, s[0:3], 0 offen offset:48
	buffer_store_dword v83, v86, s[0:3], 0 offen offset:52
	buffer_store_dword v84, v86, s[0:3], 0 offen offset:56
	buffer_store_dword v85, v86, s[0:3], 0 offen offset:60
	buffer_store_dword v90, v86, s[0:3], 0 offen offset:68
	buffer_store_dword v89, v86, s[0:3], 0 offen offset:64
	buffer_store_dword v92, v86, s[0:3], 0 offen offset:76
	buffer_store_dword v91, v86, s[0:3], 0 offen offset:72
	buffer_store_dword v94, v86, s[0:3], 0 offen offset:84
	buffer_store_dword v93, v86, s[0:3], 0 offen offset:80
	buffer_store_dword v96, v86, s[0:3], 0 offen offset:92
	buffer_store_dword v95, v86, s[0:3], 0 offen offset:88
	buffer_store_dword v98, v86, s[0:3], 0 offen offset:100
	buffer_store_dword v97, v86, s[0:3], 0 offen offset:96
	buffer_store_dword v100, v86, s[0:3], 0 offen offset:108
	buffer_store_dword v99, v86, s[0:3], 0 offen offset:104
	buffer_store_dword v102, v86, s[0:3], 0 offen offset:116
	buffer_store_dword v101, v86, s[0:3], 0 offen offset:112
	buffer_store_dword v104, v86, s[0:3], 0 offen offset:124
	buffer_store_dword v103, v86, s[0:3], 0 offen offset:120
	buffer_store_dword v106, v86, s[0:3], 0 offen offset:132
	buffer_store_dword v105, v86, s[0:3], 0 offen offset:128
	buffer_store_dword v108, v86, s[0:3], 0 offen offset:140
	buffer_store_dword v107, v86, s[0:3], 0 offen offset:136
	buffer_store_dword v110, v86, s[0:3], 0 offen offset:148
	buffer_store_dword v109, v86, s[0:3], 0 offen offset:144
	buffer_store_dword v112, v86, s[0:3], 0 offen offset:156
	buffer_store_dword v111, v86, s[0:3], 0 offen offset:152
	buffer_store_dword v114, v86, s[0:3], 0 offen offset:164
	buffer_store_dword v113, v86, s[0:3], 0 offen offset:160
	buffer_store_dword v116, v86, s[0:3], 0 offen offset:172
	buffer_store_dword v115, v86, s[0:3], 0 offen offset:168
	buffer_store_dword v118, v86, s[0:3], 0 offen offset:180
	buffer_store_dword v117, v86, s[0:3], 0 offen offset:176
	buffer_store_dword v120, v86, s[0:3], 0 offen offset:188
	buffer_store_dword v119, v86, s[0:3], 0 offen offset:184
	buffer_store_dword v122, v86, s[0:3], 0 offen offset:196
	buffer_store_dword v121, v86, s[0:3], 0 offen offset:192
	buffer_store_dword v124, v86, s[0:3], 0 offen offset:204
	buffer_store_dword v123, v86, s[0:3], 0 offen offset:200
	buffer_store_dword v126, v86, s[0:3], 0 offen offset:212
	buffer_store_dword v125, v86, s[0:3], 0 offen offset:208
	buffer_store_dword v128, v86, s[0:3], 0 offen offset:220
	buffer_store_dword v127, v86, s[0:3], 0 offen offset:216
	buffer_store_dword v130, v86, s[0:3], 0 offen offset:228
	buffer_store_dword v129, v86, s[0:3], 0 offen offset:224
	buffer_store_dword v132, v86, s[0:3], 0 offen offset:236
	buffer_store_dword v131, v86, s[0:3], 0 offen offset:232
	buffer_store_dword v134, v86, s[0:3], 0 offen offset:244
	buffer_store_dword v133, v86, s[0:3], 0 offen offset:240
	buffer_store_dword v136, v86, s[0:3], 0 offen offset:252
	buffer_store_dword v135, v86, s[0:3], 0 offen offset:248
	s_cbranch_vccnz .LBB145_57
; %bb.58:                               ;   in Loop: Header=BB145_56 Depth=1
	s_add_i32 s6, s6, 1
	s_cmp_eq_u32 s6, 4
	s_cbranch_scc0 .LBB145_56
; %bb.59:
	s_clause 0x2
	s_load_dword s43, s[4:5], 0x58
	s_load_dword s42, s[4:5], 0x70
	s_load_dwordx2 s[6:7], s[4:5], 0x78
	v_add_nc_u32_e32 v71, s18, v1
	v_add_nc_u32_e32 v0, s11, v0
	v_cndmask_b32_e64 v70, 0, 1, s46
	v_cmp_gt_i32_e64 s16, s41, v71
	v_cmp_gt_i32_e64 s4, s40, v0
	s_waitcnt lgkmcnt(0)
	v_mad_i64_i32 v[1:2], null, v71, s43, 0
	v_mad_i64_i32 v[3:4], null, v71, s42, 0
	s_lshl_b64 s[6:7], s[6:7], 3
	s_add_u32 s47, s12, s6
	s_addc_u32 s48, s13, s7
	v_lshlrev_b64 v[5:6], 3, v[1:2]
	v_ashrrev_i32_e32 v1, 31, v0
	v_lshlrev_b64 v[2:3], 3, v[3:4]
	s_and_b32 s6, s16, s4
	v_add_co_u32 v68, vcc_lo, s44, v5
	v_add_co_ci_u32_e64 v69, null, s45, v6, vcc_lo
	v_add_co_u32 v72, vcc_lo, s47, v2
	v_add_co_ci_u32_e64 v73, null, s48, v3, vcc_lo
	s_and_saveexec_b32 s5, s6
	s_cbranch_execz .LBB145_64
; %bb.60:
	s_clause 0x1
	buffer_load_dword v2, off, s[0:3], 0
	buffer_load_dword v3, off, s[0:3], 0 offset:4
	v_lshlrev_b64 v[4:5], 3, v[0:1]
	s_andn2_b32 vcc_lo, exec_lo, s46
	s_cbranch_vccnz .LBB145_62
; %bb.61:
	v_add_co_u32 v6, vcc_lo, v68, v4
	v_add_co_ci_u32_e64 v7, null, v69, v5, vcc_lo
	flat_load_dwordx2 v[6:7], v[6:7]
	s_waitcnt vmcnt(0) lgkmcnt(0)
	v_mul_f64 v[6:7], s[38:39], v[6:7]
	s_branch .LBB145_63
.LBB145_62:
	v_mov_b32_e32 v6, 0
	v_mov_b32_e32 v7, 0
.LBB145_63:
	s_waitcnt vmcnt(0)
	v_add_f64 v[2:3], v[2:3], v[6:7]
	v_add_co_u32 v4, vcc_lo, v72, v4
	v_add_co_ci_u32_e64 v5, null, v73, v5, vcc_lo
	flat_store_dwordx2 v[4:5], v[2:3]
.LBB145_64:
	s_or_b32 exec_lo, exec_lo, s5
	v_add_nc_u32_e32 v2, 4, v0
	v_cmp_gt_i32_e64 s5, s40, v2
	v_ashrrev_i32_e32 v3, 31, v2
	s_and_b32 s7, s16, s5
	s_and_saveexec_b32 s6, s7
	s_cbranch_execz .LBB145_69
; %bb.65:
	s_clause 0x1
	buffer_load_dword v4, off, s[0:3], 0 offset:8
	buffer_load_dword v5, off, s[0:3], 0 offset:12
	v_lshlrev_b64 v[6:7], 3, v[2:3]
	s_andn2_b32 vcc_lo, exec_lo, s46
	s_cbranch_vccnz .LBB145_67
; %bb.66:
	v_add_co_u32 v8, vcc_lo, v68, v6
	v_add_co_ci_u32_e64 v9, null, v69, v7, vcc_lo
	flat_load_dwordx2 v[8:9], v[8:9]
	s_waitcnt vmcnt(0) lgkmcnt(0)
	v_mul_f64 v[8:9], s[38:39], v[8:9]
	s_branch .LBB145_68
.LBB145_67:
	v_mov_b32_e32 v8, 0
	v_mov_b32_e32 v9, 0
.LBB145_68:
	s_waitcnt vmcnt(0)
	v_add_f64 v[4:5], v[4:5], v[8:9]
	v_add_co_u32 v6, vcc_lo, v72, v6
	v_add_co_ci_u32_e64 v7, null, v73, v7, vcc_lo
	flat_store_dwordx2 v[6:7], v[4:5]
.LBB145_69:
	s_or_b32 exec_lo, exec_lo, s6
	v_add_nc_u32_e32 v4, 8, v0
	v_cmp_gt_i32_e64 s6, s40, v4
	v_ashrrev_i32_e32 v5, 31, v4
	s_and_b32 s8, s16, s6
	s_and_saveexec_b32 s7, s8
	s_cbranch_execz .LBB145_74
; %bb.70:
	s_clause 0x1
	buffer_load_dword v6, off, s[0:3], 0 offset:16
	buffer_load_dword v7, off, s[0:3], 0 offset:20
	v_lshlrev_b64 v[8:9], 3, v[4:5]
	s_andn2_b32 vcc_lo, exec_lo, s46
	s_cbranch_vccnz .LBB145_72
; %bb.71:
	v_add_co_u32 v10, vcc_lo, v68, v8
	v_add_co_ci_u32_e64 v11, null, v69, v9, vcc_lo
	flat_load_dwordx2 v[10:11], v[10:11]
	s_waitcnt vmcnt(0) lgkmcnt(0)
	v_mul_f64 v[10:11], s[38:39], v[10:11]
	s_branch .LBB145_73
.LBB145_72:
	v_mov_b32_e32 v10, 0
	v_mov_b32_e32 v11, 0
.LBB145_73:
	s_waitcnt vmcnt(0)
	v_add_f64 v[6:7], v[6:7], v[10:11]
	v_add_co_u32 v8, vcc_lo, v72, v8
	v_add_co_ci_u32_e64 v9, null, v73, v9, vcc_lo
	flat_store_dwordx2 v[8:9], v[6:7]
.LBB145_74:
	;; [unrolled: 31-line block ×31, first 2 shown]
	s_or_b32 exec_lo, exec_lo, s16
	v_add_nc_u32_e32 v68, 64, v71
	v_mad_i64_i32 v[64:65], null, v68, s43, 0
	v_mad_i64_i32 v[66:67], null, v68, s42, 0
	v_cmp_gt_i32_e64 s16, s41, v68
	v_lshlrev_b64 v[64:65], 3, v[64:65]
	s_and_b32 s4, s16, s4
	v_lshlrev_b64 v[66:67], 3, v[66:67]
	v_add_co_u32 v71, vcc_lo, s44, v64
	v_add_co_ci_u32_e64 v72, null, s45, v65, vcc_lo
	v_add_co_u32 v68, vcc_lo, s47, v66
	v_add_co_ci_u32_e64 v69, null, s48, v67, vcc_lo
	s_and_saveexec_b32 s40, s4
	s_xor_b32 s4, exec_lo, s40
	s_cbranch_execnz .LBB145_252
; %bb.220:
	s_or_b32 exec_lo, exec_lo, s4
	s_and_b32 s5, s16, s5
	s_and_saveexec_b32 s4, s5
	s_cbranch_execnz .LBB145_256
.LBB145_221:
	s_or_b32 exec_lo, exec_lo, s4
	s_and_b32 s5, s16, s6
	s_and_saveexec_b32 s4, s5
	s_cbranch_execnz .LBB145_260
.LBB145_222:
	s_or_b32 exec_lo, exec_lo, s4
	s_and_b32 s5, s16, s7
	s_and_saveexec_b32 s4, s5
	s_cbranch_execnz .LBB145_264
.LBB145_223:
	s_or_b32 exec_lo, exec_lo, s4
	s_and_b32 s5, s16, s8
	s_and_saveexec_b32 s4, s5
	s_cbranch_execnz .LBB145_268
.LBB145_224:
	s_or_b32 exec_lo, exec_lo, s4
	s_and_b32 s5, s16, s9
	s_and_saveexec_b32 s4, s5
	s_cbranch_execnz .LBB145_272
.LBB145_225:
	s_or_b32 exec_lo, exec_lo, s4
	s_and_b32 s5, s16, s10
	s_and_saveexec_b32 s4, s5
	s_cbranch_execnz .LBB145_276
.LBB145_226:
	s_or_b32 exec_lo, exec_lo, s4
	s_and_b32 s5, s16, s11
	s_and_saveexec_b32 s4, s5
	s_cbranch_execnz .LBB145_280
.LBB145_227:
	s_or_b32 exec_lo, exec_lo, s4
	s_and_b32 s5, s16, s12
	s_and_saveexec_b32 s4, s5
	s_cbranch_execnz .LBB145_284
.LBB145_228:
	s_or_b32 exec_lo, exec_lo, s4
	s_and_b32 s5, s16, s13
	s_and_saveexec_b32 s4, s5
	s_cbranch_execnz .LBB145_288
.LBB145_229:
	s_or_b32 exec_lo, exec_lo, s4
	s_and_b32 s5, s16, s14
	s_and_saveexec_b32 s4, s5
	s_cbranch_execnz .LBB145_292
.LBB145_230:
	s_or_b32 exec_lo, exec_lo, s4
	s_and_b32 s5, s16, s15
	s_and_saveexec_b32 s4, s5
	s_cbranch_execnz .LBB145_296
.LBB145_231:
	s_or_b32 exec_lo, exec_lo, s4
	s_and_b32 s5, s16, s17
	s_and_saveexec_b32 s4, s5
	s_cbranch_execnz .LBB145_300
.LBB145_232:
	s_or_b32 exec_lo, exec_lo, s4
	s_and_b32 s5, s16, s18
	s_and_saveexec_b32 s4, s5
	s_cbranch_execnz .LBB145_304
.LBB145_233:
	s_or_b32 exec_lo, exec_lo, s4
	s_and_b32 s5, s16, s19
	s_and_saveexec_b32 s4, s5
	s_cbranch_execnz .LBB145_308
.LBB145_234:
	s_or_b32 exec_lo, exec_lo, s4
	s_and_b32 s5, s16, s20
	s_and_saveexec_b32 s4, s5
	s_cbranch_execnz .LBB145_312
.LBB145_235:
	s_or_b32 exec_lo, exec_lo, s4
	s_and_b32 s5, s16, s21
	s_and_saveexec_b32 s4, s5
	s_cbranch_execnz .LBB145_316
.LBB145_236:
	s_or_b32 exec_lo, exec_lo, s4
	s_and_b32 s5, s16, s22
	s_and_saveexec_b32 s4, s5
	s_cbranch_execnz .LBB145_320
.LBB145_237:
	s_or_b32 exec_lo, exec_lo, s4
	s_and_b32 s5, s16, s23
	s_and_saveexec_b32 s4, s5
	s_cbranch_execnz .LBB145_324
.LBB145_238:
	s_or_b32 exec_lo, exec_lo, s4
	s_and_b32 s5, s16, s24
	s_and_saveexec_b32 s4, s5
	s_cbranch_execnz .LBB145_328
.LBB145_239:
	s_or_b32 exec_lo, exec_lo, s4
	s_and_b32 s5, s16, s25
	s_and_saveexec_b32 s4, s5
	s_cbranch_execnz .LBB145_332
.LBB145_240:
	s_or_b32 exec_lo, exec_lo, s4
	s_and_b32 s5, s16, s26
	s_and_saveexec_b32 s4, s5
	s_cbranch_execnz .LBB145_336
.LBB145_241:
	s_or_b32 exec_lo, exec_lo, s4
	s_and_b32 s5, s16, s27
	s_and_saveexec_b32 s4, s5
	s_cbranch_execnz .LBB145_340
.LBB145_242:
	s_or_b32 exec_lo, exec_lo, s4
	s_and_b32 s5, s16, s28
	s_and_saveexec_b32 s4, s5
	s_cbranch_execnz .LBB145_344
.LBB145_243:
	s_or_b32 exec_lo, exec_lo, s4
	s_and_b32 s5, s16, s29
	s_and_saveexec_b32 s4, s5
	s_cbranch_execnz .LBB145_348
.LBB145_244:
	s_or_b32 exec_lo, exec_lo, s4
	s_and_b32 s5, s16, s30
	s_and_saveexec_b32 s4, s5
	s_cbranch_execnz .LBB145_352
.LBB145_245:
	s_or_b32 exec_lo, exec_lo, s4
	s_and_b32 s5, s16, s31
	s_and_saveexec_b32 s4, s5
	s_cbranch_execnz .LBB145_356
.LBB145_246:
	s_or_b32 exec_lo, exec_lo, s4
	s_and_b32 s5, s16, s33
	s_and_saveexec_b32 s4, s5
	s_cbranch_execnz .LBB145_360
.LBB145_247:
	s_or_b32 exec_lo, exec_lo, s4
	s_and_b32 s5, s16, s34
	s_and_saveexec_b32 s4, s5
	s_cbranch_execnz .LBB145_364
.LBB145_248:
	s_or_b32 exec_lo, exec_lo, s4
	s_and_b32 s5, s16, s35
	s_and_saveexec_b32 s4, s5
	s_cbranch_execnz .LBB145_368
.LBB145_249:
	s_or_b32 exec_lo, exec_lo, s4
	s_and_b32 s5, s16, s36
	s_and_saveexec_b32 s4, s5
	s_cbranch_execnz .LBB145_372
.LBB145_250:
	s_or_b32 exec_lo, exec_lo, s4
	s_and_b32 s4, s16, s37
	s_and_saveexec_b32 s5, s4
	s_cbranch_execnz .LBB145_376
.LBB145_251:
	s_endpgm
.LBB145_252:
	s_clause 0x1
	buffer_load_dword v64, off, s[0:3], 0 offset:256
	buffer_load_dword v65, off, s[0:3], 0 offset:260
	v_lshlrev_b64 v[0:1], 3, v[0:1]
	s_andn2_b32 vcc_lo, exec_lo, s46
	s_cbranch_vccnz .LBB145_254
; %bb.253:
	v_add_co_u32 v66, vcc_lo, v71, v0
	v_add_co_ci_u32_e64 v67, null, v72, v1, vcc_lo
	flat_load_dwordx2 v[66:67], v[66:67]
	s_waitcnt vmcnt(0) lgkmcnt(0)
	v_mul_f64 v[66:67], s[38:39], v[66:67]
	s_branch .LBB145_255
.LBB145_254:
	v_mov_b32_e32 v66, 0
	v_mov_b32_e32 v67, 0
.LBB145_255:
	s_waitcnt vmcnt(0)
	v_add_f64 v[64:65], v[64:65], v[66:67]
	v_add_co_u32 v0, vcc_lo, v68, v0
	v_add_co_ci_u32_e64 v1, null, v69, v1, vcc_lo
	flat_store_dwordx2 v[0:1], v[64:65]
	s_or_b32 exec_lo, exec_lo, s4
	s_and_b32 s5, s16, s5
	s_and_saveexec_b32 s4, s5
	s_cbranch_execz .LBB145_221
.LBB145_256:
	s_clause 0x1
	buffer_load_dword v0, off, s[0:3], 0 offset:264
	buffer_load_dword v1, off, s[0:3], 0 offset:268
	v_cmp_ne_u32_e32 vcc_lo, 1, v70
	v_lshlrev_b64 v[2:3], 3, v[2:3]
	s_cbranch_vccnz .LBB145_258
; %bb.257:
	v_add_co_u32 v64, vcc_lo, v71, v2
	v_add_co_ci_u32_e64 v65, null, v72, v3, vcc_lo
	flat_load_dwordx2 v[64:65], v[64:65]
	s_waitcnt vmcnt(0) lgkmcnt(0)
	v_mul_f64 v[64:65], s[38:39], v[64:65]
	s_branch .LBB145_259
.LBB145_258:
	v_mov_b32_e32 v64, 0
	v_mov_b32_e32 v65, 0
.LBB145_259:
	s_waitcnt vmcnt(0)
	v_add_f64 v[0:1], v[0:1], v[64:65]
	v_add_co_u32 v2, vcc_lo, v68, v2
	v_add_co_ci_u32_e64 v3, null, v69, v3, vcc_lo
	flat_store_dwordx2 v[2:3], v[0:1]
	s_or_b32 exec_lo, exec_lo, s4
	s_and_b32 s5, s16, s6
	s_and_saveexec_b32 s4, s5
	s_cbranch_execz .LBB145_222
.LBB145_260:
	s_clause 0x1
	buffer_load_dword v0, off, s[0:3], 0 offset:272
	buffer_load_dword v1, off, s[0:3], 0 offset:276
	v_cmp_ne_u32_e32 vcc_lo, 1, v70
	v_lshlrev_b64 v[2:3], 3, v[4:5]
	s_cbranch_vccnz .LBB145_262
; %bb.261:
	v_add_co_u32 v4, vcc_lo, v71, v2
	v_add_co_ci_u32_e64 v5, null, v72, v3, vcc_lo
	flat_load_dwordx2 v[4:5], v[4:5]
	s_waitcnt vmcnt(0) lgkmcnt(0)
	v_mul_f64 v[4:5], s[38:39], v[4:5]
	s_branch .LBB145_263
.LBB145_262:
	v_mov_b32_e32 v4, 0
	v_mov_b32_e32 v5, 0
.LBB145_263:
	s_waitcnt vmcnt(0)
	v_add_f64 v[0:1], v[0:1], v[4:5]
	v_add_co_u32 v2, vcc_lo, v68, v2
	v_add_co_ci_u32_e64 v3, null, v69, v3, vcc_lo
	flat_store_dwordx2 v[2:3], v[0:1]
	s_or_b32 exec_lo, exec_lo, s4
	s_and_b32 s5, s16, s7
	s_and_saveexec_b32 s4, s5
	s_cbranch_execz .LBB145_223
.LBB145_264:
	s_clause 0x1
	buffer_load_dword v0, off, s[0:3], 0 offset:280
	buffer_load_dword v1, off, s[0:3], 0 offset:284
	v_cmp_ne_u32_e32 vcc_lo, 1, v70
	v_lshlrev_b64 v[2:3], 3, v[6:7]
	s_cbranch_vccnz .LBB145_266
; %bb.265:
	v_add_co_u32 v4, vcc_lo, v71, v2
	v_add_co_ci_u32_e64 v5, null, v72, v3, vcc_lo
	flat_load_dwordx2 v[4:5], v[4:5]
	s_waitcnt vmcnt(0) lgkmcnt(0)
	v_mul_f64 v[4:5], s[38:39], v[4:5]
	s_branch .LBB145_267
.LBB145_266:
	v_mov_b32_e32 v4, 0
	v_mov_b32_e32 v5, 0
.LBB145_267:
	s_waitcnt vmcnt(0)
	v_add_f64 v[0:1], v[0:1], v[4:5]
	v_add_co_u32 v2, vcc_lo, v68, v2
	v_add_co_ci_u32_e64 v3, null, v69, v3, vcc_lo
	flat_store_dwordx2 v[2:3], v[0:1]
	s_or_b32 exec_lo, exec_lo, s4
	s_and_b32 s5, s16, s8
	s_and_saveexec_b32 s4, s5
	s_cbranch_execz .LBB145_224
.LBB145_268:
	s_clause 0x1
	buffer_load_dword v0, off, s[0:3], 0 offset:288
	buffer_load_dword v1, off, s[0:3], 0 offset:292
	v_cmp_ne_u32_e32 vcc_lo, 1, v70
	v_lshlrev_b64 v[2:3], 3, v[8:9]
	s_cbranch_vccnz .LBB145_270
; %bb.269:
	v_add_co_u32 v4, vcc_lo, v71, v2
	v_add_co_ci_u32_e64 v5, null, v72, v3, vcc_lo
	flat_load_dwordx2 v[4:5], v[4:5]
	s_waitcnt vmcnt(0) lgkmcnt(0)
	v_mul_f64 v[4:5], s[38:39], v[4:5]
	s_branch .LBB145_271
.LBB145_270:
	v_mov_b32_e32 v4, 0
	v_mov_b32_e32 v5, 0
.LBB145_271:
	s_waitcnt vmcnt(0)
	v_add_f64 v[0:1], v[0:1], v[4:5]
	v_add_co_u32 v2, vcc_lo, v68, v2
	v_add_co_ci_u32_e64 v3, null, v69, v3, vcc_lo
	flat_store_dwordx2 v[2:3], v[0:1]
	s_or_b32 exec_lo, exec_lo, s4
	s_and_b32 s5, s16, s9
	s_and_saveexec_b32 s4, s5
	s_cbranch_execz .LBB145_225
.LBB145_272:
	s_clause 0x1
	buffer_load_dword v0, off, s[0:3], 0 offset:296
	buffer_load_dword v1, off, s[0:3], 0 offset:300
	v_cmp_ne_u32_e32 vcc_lo, 1, v70
	v_lshlrev_b64 v[2:3], 3, v[10:11]
	s_cbranch_vccnz .LBB145_274
; %bb.273:
	v_add_co_u32 v4, vcc_lo, v71, v2
	v_add_co_ci_u32_e64 v5, null, v72, v3, vcc_lo
	flat_load_dwordx2 v[4:5], v[4:5]
	s_waitcnt vmcnt(0) lgkmcnt(0)
	v_mul_f64 v[4:5], s[38:39], v[4:5]
	s_branch .LBB145_275
.LBB145_274:
	v_mov_b32_e32 v4, 0
	v_mov_b32_e32 v5, 0
.LBB145_275:
	s_waitcnt vmcnt(0)
	v_add_f64 v[0:1], v[0:1], v[4:5]
	v_add_co_u32 v2, vcc_lo, v68, v2
	v_add_co_ci_u32_e64 v3, null, v69, v3, vcc_lo
	flat_store_dwordx2 v[2:3], v[0:1]
	s_or_b32 exec_lo, exec_lo, s4
	s_and_b32 s5, s16, s10
	s_and_saveexec_b32 s4, s5
	s_cbranch_execz .LBB145_226
.LBB145_276:
	s_clause 0x1
	buffer_load_dword v0, off, s[0:3], 0 offset:304
	buffer_load_dword v1, off, s[0:3], 0 offset:308
	v_cmp_ne_u32_e32 vcc_lo, 1, v70
	v_lshlrev_b64 v[2:3], 3, v[12:13]
	s_cbranch_vccnz .LBB145_278
; %bb.277:
	v_add_co_u32 v4, vcc_lo, v71, v2
	v_add_co_ci_u32_e64 v5, null, v72, v3, vcc_lo
	flat_load_dwordx2 v[4:5], v[4:5]
	s_waitcnt vmcnt(0) lgkmcnt(0)
	v_mul_f64 v[4:5], s[38:39], v[4:5]
	s_branch .LBB145_279
.LBB145_278:
	v_mov_b32_e32 v4, 0
	v_mov_b32_e32 v5, 0
.LBB145_279:
	s_waitcnt vmcnt(0)
	v_add_f64 v[0:1], v[0:1], v[4:5]
	v_add_co_u32 v2, vcc_lo, v68, v2
	v_add_co_ci_u32_e64 v3, null, v69, v3, vcc_lo
	flat_store_dwordx2 v[2:3], v[0:1]
	s_or_b32 exec_lo, exec_lo, s4
	s_and_b32 s5, s16, s11
	s_and_saveexec_b32 s4, s5
	s_cbranch_execz .LBB145_227
.LBB145_280:
	s_clause 0x1
	buffer_load_dword v0, off, s[0:3], 0 offset:312
	buffer_load_dword v1, off, s[0:3], 0 offset:316
	v_cmp_ne_u32_e32 vcc_lo, 1, v70
	v_lshlrev_b64 v[2:3], 3, v[14:15]
	s_cbranch_vccnz .LBB145_282
; %bb.281:
	v_add_co_u32 v4, vcc_lo, v71, v2
	v_add_co_ci_u32_e64 v5, null, v72, v3, vcc_lo
	flat_load_dwordx2 v[4:5], v[4:5]
	s_waitcnt vmcnt(0) lgkmcnt(0)
	v_mul_f64 v[4:5], s[38:39], v[4:5]
	s_branch .LBB145_283
.LBB145_282:
	v_mov_b32_e32 v4, 0
	v_mov_b32_e32 v5, 0
.LBB145_283:
	s_waitcnt vmcnt(0)
	v_add_f64 v[0:1], v[0:1], v[4:5]
	v_add_co_u32 v2, vcc_lo, v68, v2
	v_add_co_ci_u32_e64 v3, null, v69, v3, vcc_lo
	flat_store_dwordx2 v[2:3], v[0:1]
	s_or_b32 exec_lo, exec_lo, s4
	s_and_b32 s5, s16, s12
	s_and_saveexec_b32 s4, s5
	s_cbranch_execz .LBB145_228
.LBB145_284:
	s_clause 0x1
	buffer_load_dword v0, off, s[0:3], 0 offset:320
	buffer_load_dword v1, off, s[0:3], 0 offset:324
	v_cmp_ne_u32_e32 vcc_lo, 1, v70
	v_lshlrev_b64 v[2:3], 3, v[16:17]
	s_cbranch_vccnz .LBB145_286
; %bb.285:
	v_add_co_u32 v4, vcc_lo, v71, v2
	v_add_co_ci_u32_e64 v5, null, v72, v3, vcc_lo
	flat_load_dwordx2 v[4:5], v[4:5]
	s_waitcnt vmcnt(0) lgkmcnt(0)
	v_mul_f64 v[4:5], s[38:39], v[4:5]
	s_branch .LBB145_287
.LBB145_286:
	v_mov_b32_e32 v4, 0
	v_mov_b32_e32 v5, 0
.LBB145_287:
	s_waitcnt vmcnt(0)
	v_add_f64 v[0:1], v[0:1], v[4:5]
	v_add_co_u32 v2, vcc_lo, v68, v2
	v_add_co_ci_u32_e64 v3, null, v69, v3, vcc_lo
	flat_store_dwordx2 v[2:3], v[0:1]
	s_or_b32 exec_lo, exec_lo, s4
	s_and_b32 s5, s16, s13
	s_and_saveexec_b32 s4, s5
	s_cbranch_execz .LBB145_229
.LBB145_288:
	s_clause 0x1
	buffer_load_dword v0, off, s[0:3], 0 offset:328
	buffer_load_dword v1, off, s[0:3], 0 offset:332
	v_cmp_ne_u32_e32 vcc_lo, 1, v70
	v_lshlrev_b64 v[2:3], 3, v[18:19]
	s_cbranch_vccnz .LBB145_290
; %bb.289:
	v_add_co_u32 v4, vcc_lo, v71, v2
	v_add_co_ci_u32_e64 v5, null, v72, v3, vcc_lo
	flat_load_dwordx2 v[4:5], v[4:5]
	s_waitcnt vmcnt(0) lgkmcnt(0)
	v_mul_f64 v[4:5], s[38:39], v[4:5]
	s_branch .LBB145_291
.LBB145_290:
	v_mov_b32_e32 v4, 0
	v_mov_b32_e32 v5, 0
.LBB145_291:
	s_waitcnt vmcnt(0)
	v_add_f64 v[0:1], v[0:1], v[4:5]
	v_add_co_u32 v2, vcc_lo, v68, v2
	v_add_co_ci_u32_e64 v3, null, v69, v3, vcc_lo
	flat_store_dwordx2 v[2:3], v[0:1]
	s_or_b32 exec_lo, exec_lo, s4
	s_and_b32 s5, s16, s14
	s_and_saveexec_b32 s4, s5
	s_cbranch_execz .LBB145_230
.LBB145_292:
	s_clause 0x1
	buffer_load_dword v0, off, s[0:3], 0 offset:336
	buffer_load_dword v1, off, s[0:3], 0 offset:340
	v_cmp_ne_u32_e32 vcc_lo, 1, v70
	v_lshlrev_b64 v[2:3], 3, v[20:21]
	s_cbranch_vccnz .LBB145_294
; %bb.293:
	v_add_co_u32 v4, vcc_lo, v71, v2
	v_add_co_ci_u32_e64 v5, null, v72, v3, vcc_lo
	flat_load_dwordx2 v[4:5], v[4:5]
	s_waitcnt vmcnt(0) lgkmcnt(0)
	v_mul_f64 v[4:5], s[38:39], v[4:5]
	s_branch .LBB145_295
.LBB145_294:
	v_mov_b32_e32 v4, 0
	v_mov_b32_e32 v5, 0
.LBB145_295:
	s_waitcnt vmcnt(0)
	v_add_f64 v[0:1], v[0:1], v[4:5]
	v_add_co_u32 v2, vcc_lo, v68, v2
	v_add_co_ci_u32_e64 v3, null, v69, v3, vcc_lo
	flat_store_dwordx2 v[2:3], v[0:1]
	s_or_b32 exec_lo, exec_lo, s4
	s_and_b32 s5, s16, s15
	s_and_saveexec_b32 s4, s5
	s_cbranch_execz .LBB145_231
.LBB145_296:
	s_clause 0x1
	buffer_load_dword v0, off, s[0:3], 0 offset:344
	buffer_load_dword v1, off, s[0:3], 0 offset:348
	v_cmp_ne_u32_e32 vcc_lo, 1, v70
	v_lshlrev_b64 v[2:3], 3, v[22:23]
	s_cbranch_vccnz .LBB145_298
; %bb.297:
	v_add_co_u32 v4, vcc_lo, v71, v2
	v_add_co_ci_u32_e64 v5, null, v72, v3, vcc_lo
	flat_load_dwordx2 v[4:5], v[4:5]
	s_waitcnt vmcnt(0) lgkmcnt(0)
	v_mul_f64 v[4:5], s[38:39], v[4:5]
	s_branch .LBB145_299
.LBB145_298:
	v_mov_b32_e32 v4, 0
	v_mov_b32_e32 v5, 0
.LBB145_299:
	s_waitcnt vmcnt(0)
	v_add_f64 v[0:1], v[0:1], v[4:5]
	v_add_co_u32 v2, vcc_lo, v68, v2
	v_add_co_ci_u32_e64 v3, null, v69, v3, vcc_lo
	flat_store_dwordx2 v[2:3], v[0:1]
	s_or_b32 exec_lo, exec_lo, s4
	s_and_b32 s5, s16, s17
	s_and_saveexec_b32 s4, s5
	s_cbranch_execz .LBB145_232
.LBB145_300:
	s_clause 0x1
	buffer_load_dword v0, off, s[0:3], 0 offset:352
	buffer_load_dword v1, off, s[0:3], 0 offset:356
	v_cmp_ne_u32_e32 vcc_lo, 1, v70
	v_lshlrev_b64 v[2:3], 3, v[24:25]
	s_cbranch_vccnz .LBB145_302
; %bb.301:
	v_add_co_u32 v4, vcc_lo, v71, v2
	v_add_co_ci_u32_e64 v5, null, v72, v3, vcc_lo
	flat_load_dwordx2 v[4:5], v[4:5]
	s_waitcnt vmcnt(0) lgkmcnt(0)
	v_mul_f64 v[4:5], s[38:39], v[4:5]
	s_branch .LBB145_303
.LBB145_302:
	v_mov_b32_e32 v4, 0
	v_mov_b32_e32 v5, 0
.LBB145_303:
	s_waitcnt vmcnt(0)
	v_add_f64 v[0:1], v[0:1], v[4:5]
	v_add_co_u32 v2, vcc_lo, v68, v2
	v_add_co_ci_u32_e64 v3, null, v69, v3, vcc_lo
	flat_store_dwordx2 v[2:3], v[0:1]
	s_or_b32 exec_lo, exec_lo, s4
	s_and_b32 s5, s16, s18
	s_and_saveexec_b32 s4, s5
	s_cbranch_execz .LBB145_233
.LBB145_304:
	s_clause 0x1
	buffer_load_dword v0, off, s[0:3], 0 offset:360
	buffer_load_dword v1, off, s[0:3], 0 offset:364
	v_cmp_ne_u32_e32 vcc_lo, 1, v70
	v_lshlrev_b64 v[2:3], 3, v[26:27]
	s_cbranch_vccnz .LBB145_306
; %bb.305:
	v_add_co_u32 v4, vcc_lo, v71, v2
	v_add_co_ci_u32_e64 v5, null, v72, v3, vcc_lo
	flat_load_dwordx2 v[4:5], v[4:5]
	s_waitcnt vmcnt(0) lgkmcnt(0)
	v_mul_f64 v[4:5], s[38:39], v[4:5]
	s_branch .LBB145_307
.LBB145_306:
	v_mov_b32_e32 v4, 0
	v_mov_b32_e32 v5, 0
.LBB145_307:
	s_waitcnt vmcnt(0)
	v_add_f64 v[0:1], v[0:1], v[4:5]
	v_add_co_u32 v2, vcc_lo, v68, v2
	v_add_co_ci_u32_e64 v3, null, v69, v3, vcc_lo
	flat_store_dwordx2 v[2:3], v[0:1]
	s_or_b32 exec_lo, exec_lo, s4
	s_and_b32 s5, s16, s19
	s_and_saveexec_b32 s4, s5
	s_cbranch_execz .LBB145_234
.LBB145_308:
	s_clause 0x1
	buffer_load_dword v0, off, s[0:3], 0 offset:368
	buffer_load_dword v1, off, s[0:3], 0 offset:372
	v_cmp_ne_u32_e32 vcc_lo, 1, v70
	v_lshlrev_b64 v[2:3], 3, v[28:29]
	s_cbranch_vccnz .LBB145_310
; %bb.309:
	v_add_co_u32 v4, vcc_lo, v71, v2
	v_add_co_ci_u32_e64 v5, null, v72, v3, vcc_lo
	flat_load_dwordx2 v[4:5], v[4:5]
	s_waitcnt vmcnt(0) lgkmcnt(0)
	v_mul_f64 v[4:5], s[38:39], v[4:5]
	s_branch .LBB145_311
.LBB145_310:
	v_mov_b32_e32 v4, 0
	v_mov_b32_e32 v5, 0
.LBB145_311:
	s_waitcnt vmcnt(0)
	v_add_f64 v[0:1], v[0:1], v[4:5]
	v_add_co_u32 v2, vcc_lo, v68, v2
	v_add_co_ci_u32_e64 v3, null, v69, v3, vcc_lo
	flat_store_dwordx2 v[2:3], v[0:1]
	s_or_b32 exec_lo, exec_lo, s4
	s_and_b32 s5, s16, s20
	s_and_saveexec_b32 s4, s5
	s_cbranch_execz .LBB145_235
.LBB145_312:
	s_clause 0x1
	buffer_load_dword v0, off, s[0:3], 0 offset:376
	buffer_load_dword v1, off, s[0:3], 0 offset:380
	v_cmp_ne_u32_e32 vcc_lo, 1, v70
	v_lshlrev_b64 v[2:3], 3, v[30:31]
	s_cbranch_vccnz .LBB145_314
; %bb.313:
	v_add_co_u32 v4, vcc_lo, v71, v2
	v_add_co_ci_u32_e64 v5, null, v72, v3, vcc_lo
	flat_load_dwordx2 v[4:5], v[4:5]
	s_waitcnt vmcnt(0) lgkmcnt(0)
	v_mul_f64 v[4:5], s[38:39], v[4:5]
	s_branch .LBB145_315
.LBB145_314:
	v_mov_b32_e32 v4, 0
	v_mov_b32_e32 v5, 0
.LBB145_315:
	s_waitcnt vmcnt(0)
	v_add_f64 v[0:1], v[0:1], v[4:5]
	v_add_co_u32 v2, vcc_lo, v68, v2
	v_add_co_ci_u32_e64 v3, null, v69, v3, vcc_lo
	flat_store_dwordx2 v[2:3], v[0:1]
	s_or_b32 exec_lo, exec_lo, s4
	s_and_b32 s5, s16, s21
	s_and_saveexec_b32 s4, s5
	s_cbranch_execz .LBB145_236
.LBB145_316:
	s_clause 0x1
	buffer_load_dword v0, off, s[0:3], 0 offset:384
	buffer_load_dword v1, off, s[0:3], 0 offset:388
	v_cmp_ne_u32_e32 vcc_lo, 1, v70
	v_lshlrev_b64 v[2:3], 3, v[32:33]
	s_cbranch_vccnz .LBB145_318
; %bb.317:
	v_add_co_u32 v4, vcc_lo, v71, v2
	v_add_co_ci_u32_e64 v5, null, v72, v3, vcc_lo
	flat_load_dwordx2 v[4:5], v[4:5]
	s_waitcnt vmcnt(0) lgkmcnt(0)
	v_mul_f64 v[4:5], s[38:39], v[4:5]
	s_branch .LBB145_319
.LBB145_318:
	v_mov_b32_e32 v4, 0
	v_mov_b32_e32 v5, 0
.LBB145_319:
	s_waitcnt vmcnt(0)
	v_add_f64 v[0:1], v[0:1], v[4:5]
	v_add_co_u32 v2, vcc_lo, v68, v2
	v_add_co_ci_u32_e64 v3, null, v69, v3, vcc_lo
	flat_store_dwordx2 v[2:3], v[0:1]
	s_or_b32 exec_lo, exec_lo, s4
	s_and_b32 s5, s16, s22
	s_and_saveexec_b32 s4, s5
	s_cbranch_execz .LBB145_237
.LBB145_320:
	s_clause 0x1
	buffer_load_dword v0, off, s[0:3], 0 offset:392
	buffer_load_dword v1, off, s[0:3], 0 offset:396
	v_cmp_ne_u32_e32 vcc_lo, 1, v70
	v_lshlrev_b64 v[2:3], 3, v[34:35]
	s_cbranch_vccnz .LBB145_322
; %bb.321:
	v_add_co_u32 v4, vcc_lo, v71, v2
	v_add_co_ci_u32_e64 v5, null, v72, v3, vcc_lo
	flat_load_dwordx2 v[4:5], v[4:5]
	s_waitcnt vmcnt(0) lgkmcnt(0)
	v_mul_f64 v[4:5], s[38:39], v[4:5]
	s_branch .LBB145_323
.LBB145_322:
	v_mov_b32_e32 v4, 0
	v_mov_b32_e32 v5, 0
.LBB145_323:
	s_waitcnt vmcnt(0)
	v_add_f64 v[0:1], v[0:1], v[4:5]
	v_add_co_u32 v2, vcc_lo, v68, v2
	v_add_co_ci_u32_e64 v3, null, v69, v3, vcc_lo
	flat_store_dwordx2 v[2:3], v[0:1]
	s_or_b32 exec_lo, exec_lo, s4
	s_and_b32 s5, s16, s23
	s_and_saveexec_b32 s4, s5
	s_cbranch_execz .LBB145_238
.LBB145_324:
	s_clause 0x1
	buffer_load_dword v0, off, s[0:3], 0 offset:400
	buffer_load_dword v1, off, s[0:3], 0 offset:404
	v_cmp_ne_u32_e32 vcc_lo, 1, v70
	v_lshlrev_b64 v[2:3], 3, v[36:37]
	s_cbranch_vccnz .LBB145_326
; %bb.325:
	v_add_co_u32 v4, vcc_lo, v71, v2
	v_add_co_ci_u32_e64 v5, null, v72, v3, vcc_lo
	flat_load_dwordx2 v[4:5], v[4:5]
	s_waitcnt vmcnt(0) lgkmcnt(0)
	v_mul_f64 v[4:5], s[38:39], v[4:5]
	s_branch .LBB145_327
.LBB145_326:
	v_mov_b32_e32 v4, 0
	v_mov_b32_e32 v5, 0
.LBB145_327:
	s_waitcnt vmcnt(0)
	v_add_f64 v[0:1], v[0:1], v[4:5]
	v_add_co_u32 v2, vcc_lo, v68, v2
	v_add_co_ci_u32_e64 v3, null, v69, v3, vcc_lo
	flat_store_dwordx2 v[2:3], v[0:1]
	s_or_b32 exec_lo, exec_lo, s4
	s_and_b32 s5, s16, s24
	s_and_saveexec_b32 s4, s5
	s_cbranch_execz .LBB145_239
.LBB145_328:
	s_clause 0x1
	buffer_load_dword v0, off, s[0:3], 0 offset:408
	buffer_load_dword v1, off, s[0:3], 0 offset:412
	v_cmp_ne_u32_e32 vcc_lo, 1, v70
	v_lshlrev_b64 v[2:3], 3, v[38:39]
	s_cbranch_vccnz .LBB145_330
; %bb.329:
	v_add_co_u32 v4, vcc_lo, v71, v2
	v_add_co_ci_u32_e64 v5, null, v72, v3, vcc_lo
	flat_load_dwordx2 v[4:5], v[4:5]
	s_waitcnt vmcnt(0) lgkmcnt(0)
	v_mul_f64 v[4:5], s[38:39], v[4:5]
	s_branch .LBB145_331
.LBB145_330:
	v_mov_b32_e32 v4, 0
	v_mov_b32_e32 v5, 0
.LBB145_331:
	s_waitcnt vmcnt(0)
	v_add_f64 v[0:1], v[0:1], v[4:5]
	v_add_co_u32 v2, vcc_lo, v68, v2
	v_add_co_ci_u32_e64 v3, null, v69, v3, vcc_lo
	flat_store_dwordx2 v[2:3], v[0:1]
	s_or_b32 exec_lo, exec_lo, s4
	s_and_b32 s5, s16, s25
	s_and_saveexec_b32 s4, s5
	s_cbranch_execz .LBB145_240
.LBB145_332:
	s_clause 0x1
	buffer_load_dword v0, off, s[0:3], 0 offset:416
	buffer_load_dword v1, off, s[0:3], 0 offset:420
	v_cmp_ne_u32_e32 vcc_lo, 1, v70
	v_lshlrev_b64 v[2:3], 3, v[40:41]
	s_cbranch_vccnz .LBB145_334
; %bb.333:
	v_add_co_u32 v4, vcc_lo, v71, v2
	v_add_co_ci_u32_e64 v5, null, v72, v3, vcc_lo
	flat_load_dwordx2 v[4:5], v[4:5]
	s_waitcnt vmcnt(0) lgkmcnt(0)
	v_mul_f64 v[4:5], s[38:39], v[4:5]
	s_branch .LBB145_335
.LBB145_334:
	v_mov_b32_e32 v4, 0
	v_mov_b32_e32 v5, 0
.LBB145_335:
	s_waitcnt vmcnt(0)
	v_add_f64 v[0:1], v[0:1], v[4:5]
	v_add_co_u32 v2, vcc_lo, v68, v2
	v_add_co_ci_u32_e64 v3, null, v69, v3, vcc_lo
	flat_store_dwordx2 v[2:3], v[0:1]
	s_or_b32 exec_lo, exec_lo, s4
	s_and_b32 s5, s16, s26
	s_and_saveexec_b32 s4, s5
	s_cbranch_execz .LBB145_241
.LBB145_336:
	s_clause 0x1
	buffer_load_dword v0, off, s[0:3], 0 offset:424
	buffer_load_dword v1, off, s[0:3], 0 offset:428
	v_cmp_ne_u32_e32 vcc_lo, 1, v70
	v_lshlrev_b64 v[2:3], 3, v[42:43]
	s_cbranch_vccnz .LBB145_338
; %bb.337:
	v_add_co_u32 v4, vcc_lo, v71, v2
	v_add_co_ci_u32_e64 v5, null, v72, v3, vcc_lo
	flat_load_dwordx2 v[4:5], v[4:5]
	s_waitcnt vmcnt(0) lgkmcnt(0)
	v_mul_f64 v[4:5], s[38:39], v[4:5]
	s_branch .LBB145_339
.LBB145_338:
	v_mov_b32_e32 v4, 0
	v_mov_b32_e32 v5, 0
.LBB145_339:
	s_waitcnt vmcnt(0)
	v_add_f64 v[0:1], v[0:1], v[4:5]
	v_add_co_u32 v2, vcc_lo, v68, v2
	v_add_co_ci_u32_e64 v3, null, v69, v3, vcc_lo
	flat_store_dwordx2 v[2:3], v[0:1]
	s_or_b32 exec_lo, exec_lo, s4
	s_and_b32 s5, s16, s27
	s_and_saveexec_b32 s4, s5
	s_cbranch_execz .LBB145_242
.LBB145_340:
	s_clause 0x1
	buffer_load_dword v0, off, s[0:3], 0 offset:432
	buffer_load_dword v1, off, s[0:3], 0 offset:436
	v_cmp_ne_u32_e32 vcc_lo, 1, v70
	v_lshlrev_b64 v[2:3], 3, v[44:45]
	s_cbranch_vccnz .LBB145_342
; %bb.341:
	v_add_co_u32 v4, vcc_lo, v71, v2
	v_add_co_ci_u32_e64 v5, null, v72, v3, vcc_lo
	flat_load_dwordx2 v[4:5], v[4:5]
	s_waitcnt vmcnt(0) lgkmcnt(0)
	v_mul_f64 v[4:5], s[38:39], v[4:5]
	s_branch .LBB145_343
.LBB145_342:
	v_mov_b32_e32 v4, 0
	v_mov_b32_e32 v5, 0
.LBB145_343:
	s_waitcnt vmcnt(0)
	v_add_f64 v[0:1], v[0:1], v[4:5]
	v_add_co_u32 v2, vcc_lo, v68, v2
	v_add_co_ci_u32_e64 v3, null, v69, v3, vcc_lo
	flat_store_dwordx2 v[2:3], v[0:1]
	s_or_b32 exec_lo, exec_lo, s4
	s_and_b32 s5, s16, s28
	s_and_saveexec_b32 s4, s5
	s_cbranch_execz .LBB145_243
.LBB145_344:
	s_clause 0x1
	buffer_load_dword v0, off, s[0:3], 0 offset:440
	buffer_load_dword v1, off, s[0:3], 0 offset:444
	v_cmp_ne_u32_e32 vcc_lo, 1, v70
	v_lshlrev_b64 v[2:3], 3, v[46:47]
	s_cbranch_vccnz .LBB145_346
; %bb.345:
	v_add_co_u32 v4, vcc_lo, v71, v2
	v_add_co_ci_u32_e64 v5, null, v72, v3, vcc_lo
	flat_load_dwordx2 v[4:5], v[4:5]
	s_waitcnt vmcnt(0) lgkmcnt(0)
	v_mul_f64 v[4:5], s[38:39], v[4:5]
	s_branch .LBB145_347
.LBB145_346:
	v_mov_b32_e32 v4, 0
	v_mov_b32_e32 v5, 0
.LBB145_347:
	s_waitcnt vmcnt(0)
	v_add_f64 v[0:1], v[0:1], v[4:5]
	v_add_co_u32 v2, vcc_lo, v68, v2
	v_add_co_ci_u32_e64 v3, null, v69, v3, vcc_lo
	flat_store_dwordx2 v[2:3], v[0:1]
	s_or_b32 exec_lo, exec_lo, s4
	s_and_b32 s5, s16, s29
	s_and_saveexec_b32 s4, s5
	s_cbranch_execz .LBB145_244
.LBB145_348:
	s_clause 0x1
	buffer_load_dword v0, off, s[0:3], 0 offset:448
	buffer_load_dword v1, off, s[0:3], 0 offset:452
	v_cmp_ne_u32_e32 vcc_lo, 1, v70
	v_lshlrev_b64 v[2:3], 3, v[48:49]
	s_cbranch_vccnz .LBB145_350
; %bb.349:
	v_add_co_u32 v4, vcc_lo, v71, v2
	v_add_co_ci_u32_e64 v5, null, v72, v3, vcc_lo
	flat_load_dwordx2 v[4:5], v[4:5]
	s_waitcnt vmcnt(0) lgkmcnt(0)
	v_mul_f64 v[4:5], s[38:39], v[4:5]
	s_branch .LBB145_351
.LBB145_350:
	v_mov_b32_e32 v4, 0
	v_mov_b32_e32 v5, 0
.LBB145_351:
	s_waitcnt vmcnt(0)
	v_add_f64 v[0:1], v[0:1], v[4:5]
	v_add_co_u32 v2, vcc_lo, v68, v2
	v_add_co_ci_u32_e64 v3, null, v69, v3, vcc_lo
	flat_store_dwordx2 v[2:3], v[0:1]
	s_or_b32 exec_lo, exec_lo, s4
	s_and_b32 s5, s16, s30
	s_and_saveexec_b32 s4, s5
	s_cbranch_execz .LBB145_245
.LBB145_352:
	s_clause 0x1
	buffer_load_dword v0, off, s[0:3], 0 offset:456
	buffer_load_dword v1, off, s[0:3], 0 offset:460
	v_cmp_ne_u32_e32 vcc_lo, 1, v70
	v_lshlrev_b64 v[2:3], 3, v[50:51]
	s_cbranch_vccnz .LBB145_354
; %bb.353:
	v_add_co_u32 v4, vcc_lo, v71, v2
	v_add_co_ci_u32_e64 v5, null, v72, v3, vcc_lo
	flat_load_dwordx2 v[4:5], v[4:5]
	s_waitcnt vmcnt(0) lgkmcnt(0)
	v_mul_f64 v[4:5], s[38:39], v[4:5]
	s_branch .LBB145_355
.LBB145_354:
	v_mov_b32_e32 v4, 0
	v_mov_b32_e32 v5, 0
.LBB145_355:
	s_waitcnt vmcnt(0)
	v_add_f64 v[0:1], v[0:1], v[4:5]
	v_add_co_u32 v2, vcc_lo, v68, v2
	v_add_co_ci_u32_e64 v3, null, v69, v3, vcc_lo
	flat_store_dwordx2 v[2:3], v[0:1]
	s_or_b32 exec_lo, exec_lo, s4
	s_and_b32 s5, s16, s31
	s_and_saveexec_b32 s4, s5
	s_cbranch_execz .LBB145_246
.LBB145_356:
	s_clause 0x1
	buffer_load_dword v0, off, s[0:3], 0 offset:464
	buffer_load_dword v1, off, s[0:3], 0 offset:468
	v_cmp_ne_u32_e32 vcc_lo, 1, v70
	v_lshlrev_b64 v[2:3], 3, v[52:53]
	s_cbranch_vccnz .LBB145_358
; %bb.357:
	v_add_co_u32 v4, vcc_lo, v71, v2
	v_add_co_ci_u32_e64 v5, null, v72, v3, vcc_lo
	flat_load_dwordx2 v[4:5], v[4:5]
	s_waitcnt vmcnt(0) lgkmcnt(0)
	v_mul_f64 v[4:5], s[38:39], v[4:5]
	s_branch .LBB145_359
.LBB145_358:
	v_mov_b32_e32 v4, 0
	v_mov_b32_e32 v5, 0
.LBB145_359:
	s_waitcnt vmcnt(0)
	v_add_f64 v[0:1], v[0:1], v[4:5]
	v_add_co_u32 v2, vcc_lo, v68, v2
	v_add_co_ci_u32_e64 v3, null, v69, v3, vcc_lo
	flat_store_dwordx2 v[2:3], v[0:1]
	s_or_b32 exec_lo, exec_lo, s4
	s_and_b32 s5, s16, s33
	s_and_saveexec_b32 s4, s5
	s_cbranch_execz .LBB145_247
.LBB145_360:
	s_clause 0x1
	buffer_load_dword v0, off, s[0:3], 0 offset:472
	buffer_load_dword v1, off, s[0:3], 0 offset:476
	v_cmp_ne_u32_e32 vcc_lo, 1, v70
	v_lshlrev_b64 v[2:3], 3, v[54:55]
	s_cbranch_vccnz .LBB145_362
; %bb.361:
	v_add_co_u32 v4, vcc_lo, v71, v2
	v_add_co_ci_u32_e64 v5, null, v72, v3, vcc_lo
	flat_load_dwordx2 v[4:5], v[4:5]
	s_waitcnt vmcnt(0) lgkmcnt(0)
	v_mul_f64 v[4:5], s[38:39], v[4:5]
	s_branch .LBB145_363
.LBB145_362:
	v_mov_b32_e32 v4, 0
	v_mov_b32_e32 v5, 0
.LBB145_363:
	s_waitcnt vmcnt(0)
	v_add_f64 v[0:1], v[0:1], v[4:5]
	v_add_co_u32 v2, vcc_lo, v68, v2
	v_add_co_ci_u32_e64 v3, null, v69, v3, vcc_lo
	flat_store_dwordx2 v[2:3], v[0:1]
	s_or_b32 exec_lo, exec_lo, s4
	s_and_b32 s5, s16, s34
	s_and_saveexec_b32 s4, s5
	s_cbranch_execz .LBB145_248
.LBB145_364:
	s_clause 0x1
	buffer_load_dword v0, off, s[0:3], 0 offset:480
	buffer_load_dword v1, off, s[0:3], 0 offset:484
	v_cmp_ne_u32_e32 vcc_lo, 1, v70
	v_lshlrev_b64 v[2:3], 3, v[56:57]
	s_cbranch_vccnz .LBB145_366
; %bb.365:
	v_add_co_u32 v4, vcc_lo, v71, v2
	v_add_co_ci_u32_e64 v5, null, v72, v3, vcc_lo
	flat_load_dwordx2 v[4:5], v[4:5]
	s_waitcnt vmcnt(0) lgkmcnt(0)
	v_mul_f64 v[4:5], s[38:39], v[4:5]
	s_branch .LBB145_367
.LBB145_366:
	v_mov_b32_e32 v4, 0
	v_mov_b32_e32 v5, 0
.LBB145_367:
	s_waitcnt vmcnt(0)
	v_add_f64 v[0:1], v[0:1], v[4:5]
	v_add_co_u32 v2, vcc_lo, v68, v2
	v_add_co_ci_u32_e64 v3, null, v69, v3, vcc_lo
	flat_store_dwordx2 v[2:3], v[0:1]
	s_or_b32 exec_lo, exec_lo, s4
	s_and_b32 s5, s16, s35
	s_and_saveexec_b32 s4, s5
	s_cbranch_execz .LBB145_249
.LBB145_368:
	s_clause 0x1
	buffer_load_dword v0, off, s[0:3], 0 offset:488
	buffer_load_dword v1, off, s[0:3], 0 offset:492
	v_cmp_ne_u32_e32 vcc_lo, 1, v70
	v_lshlrev_b64 v[2:3], 3, v[58:59]
	s_cbranch_vccnz .LBB145_370
; %bb.369:
	v_add_co_u32 v4, vcc_lo, v71, v2
	v_add_co_ci_u32_e64 v5, null, v72, v3, vcc_lo
	flat_load_dwordx2 v[4:5], v[4:5]
	s_waitcnt vmcnt(0) lgkmcnt(0)
	v_mul_f64 v[4:5], s[38:39], v[4:5]
	s_branch .LBB145_371
.LBB145_370:
	v_mov_b32_e32 v4, 0
	v_mov_b32_e32 v5, 0
.LBB145_371:
	s_waitcnt vmcnt(0)
	v_add_f64 v[0:1], v[0:1], v[4:5]
	v_add_co_u32 v2, vcc_lo, v68, v2
	v_add_co_ci_u32_e64 v3, null, v69, v3, vcc_lo
	flat_store_dwordx2 v[2:3], v[0:1]
	s_or_b32 exec_lo, exec_lo, s4
	s_and_b32 s5, s16, s36
	s_and_saveexec_b32 s4, s5
	s_cbranch_execz .LBB145_250
.LBB145_372:
	s_clause 0x1
	buffer_load_dword v0, off, s[0:3], 0 offset:496
	buffer_load_dword v1, off, s[0:3], 0 offset:500
	v_cmp_ne_u32_e32 vcc_lo, 1, v70
	v_lshlrev_b64 v[2:3], 3, v[60:61]
	s_cbranch_vccnz .LBB145_374
; %bb.373:
	v_add_co_u32 v4, vcc_lo, v71, v2
	v_add_co_ci_u32_e64 v5, null, v72, v3, vcc_lo
	flat_load_dwordx2 v[4:5], v[4:5]
	s_waitcnt vmcnt(0) lgkmcnt(0)
	v_mul_f64 v[4:5], s[38:39], v[4:5]
	s_branch .LBB145_375
.LBB145_374:
	v_mov_b32_e32 v4, 0
	v_mov_b32_e32 v5, 0
.LBB145_375:
	s_waitcnt vmcnt(0)
	v_add_f64 v[0:1], v[0:1], v[4:5]
	v_add_co_u32 v2, vcc_lo, v68, v2
	v_add_co_ci_u32_e64 v3, null, v69, v3, vcc_lo
	flat_store_dwordx2 v[2:3], v[0:1]
	s_or_b32 exec_lo, exec_lo, s4
	s_and_b32 s4, s16, s37
	s_and_saveexec_b32 s5, s4
	s_cbranch_execz .LBB145_251
.LBB145_376:
	s_clause 0x1
	buffer_load_dword v0, off, s[0:3], 0 offset:504
	buffer_load_dword v1, off, s[0:3], 0 offset:508
	v_cmp_ne_u32_e32 vcc_lo, 1, v70
	v_lshlrev_b64 v[2:3], 3, v[62:63]
	s_cbranch_vccnz .LBB145_378
; %bb.377:
	v_add_co_u32 v4, vcc_lo, v71, v2
	v_add_co_ci_u32_e64 v5, null, v72, v3, vcc_lo
	flat_load_dwordx2 v[4:5], v[4:5]
	s_waitcnt vmcnt(0) lgkmcnt(0)
	v_mul_f64 v[4:5], s[38:39], v[4:5]
	s_branch .LBB145_379
.LBB145_378:
	v_mov_b32_e32 v4, 0
	v_mov_b32_e32 v5, 0
.LBB145_379:
	s_waitcnt vmcnt(0)
	v_add_f64 v[0:1], v[0:1], v[4:5]
	v_add_co_u32 v2, vcc_lo, v68, v2
	v_add_co_ci_u32_e64 v3, null, v69, v3, vcc_lo
	flat_store_dwordx2 v[2:3], v[0:1]
	s_endpgm
	.section	.rodata,"a",@progbits
	.p2align	6, 0x0
	.amdhsa_kernel _ZN12_GLOBAL__N_120geam_min_plus_kernelIdddLi4ELi64ELi128ELi128ELi4ELi64ELi4ELi64ELi4ELc78ELc84ELb1ELb1ELb0EdKPKdKPdEEviiiT16_PT17_ilS8_ilS6_S8_ilPT18_ili26rocblas_geam_ex_operation_
		.amdhsa_group_segment_fixed_size 16384
		.amdhsa_private_segment_fixed_size 528
		.amdhsa_kernarg_size 136
		.amdhsa_user_sgpr_count 6
		.amdhsa_user_sgpr_private_segment_buffer 1
		.amdhsa_user_sgpr_dispatch_ptr 0
		.amdhsa_user_sgpr_queue_ptr 0
		.amdhsa_user_sgpr_kernarg_segment_ptr 1
		.amdhsa_user_sgpr_dispatch_id 0
		.amdhsa_user_sgpr_flat_scratch_init 0
		.amdhsa_user_sgpr_private_segment_size 0
		.amdhsa_wavefront_size32 1
		.amdhsa_uses_dynamic_stack 0
		.amdhsa_system_sgpr_private_segment_wavefront_offset 1
		.amdhsa_system_sgpr_workgroup_id_x 1
		.amdhsa_system_sgpr_workgroup_id_y 0
		.amdhsa_system_sgpr_workgroup_id_z 1
		.amdhsa_system_sgpr_workgroup_info 0
		.amdhsa_system_vgpr_workitem_id 1
		.amdhsa_next_free_vgpr 222
		.amdhsa_next_free_sgpr 50
		.amdhsa_reserve_vcc 1
		.amdhsa_reserve_flat_scratch 0
		.amdhsa_float_round_mode_32 0
		.amdhsa_float_round_mode_16_64 0
		.amdhsa_float_denorm_mode_32 3
		.amdhsa_float_denorm_mode_16_64 3
		.amdhsa_dx10_clamp 1
		.amdhsa_ieee_mode 1
		.amdhsa_fp16_overflow 0
		.amdhsa_workgroup_processor_mode 1
		.amdhsa_memory_ordered 1
		.amdhsa_forward_progress 1
		.amdhsa_shared_vgpr_count 0
		.amdhsa_exception_fp_ieee_invalid_op 0
		.amdhsa_exception_fp_denorm_src 0
		.amdhsa_exception_fp_ieee_div_zero 0
		.amdhsa_exception_fp_ieee_overflow 0
		.amdhsa_exception_fp_ieee_underflow 0
		.amdhsa_exception_fp_ieee_inexact 0
		.amdhsa_exception_int_div_zero 0
	.end_amdhsa_kernel
	.section	.text._ZN12_GLOBAL__N_120geam_min_plus_kernelIdddLi4ELi64ELi128ELi128ELi4ELi64ELi4ELi64ELi4ELc78ELc84ELb1ELb1ELb0EdKPKdKPdEEviiiT16_PT17_ilS8_ilS6_S8_ilPT18_ili26rocblas_geam_ex_operation_,"axG",@progbits,_ZN12_GLOBAL__N_120geam_min_plus_kernelIdddLi4ELi64ELi128ELi128ELi4ELi64ELi4ELi64ELi4ELc78ELc84ELb1ELb1ELb0EdKPKdKPdEEviiiT16_PT17_ilS8_ilS6_S8_ilPT18_ili26rocblas_geam_ex_operation_,comdat
.Lfunc_end145:
	.size	_ZN12_GLOBAL__N_120geam_min_plus_kernelIdddLi4ELi64ELi128ELi128ELi4ELi64ELi4ELi64ELi4ELc78ELc84ELb1ELb1ELb0EdKPKdKPdEEviiiT16_PT17_ilS8_ilS6_S8_ilPT18_ili26rocblas_geam_ex_operation_, .Lfunc_end145-_ZN12_GLOBAL__N_120geam_min_plus_kernelIdddLi4ELi64ELi128ELi128ELi4ELi64ELi4ELi64ELi4ELc78ELc84ELb1ELb1ELb0EdKPKdKPdEEviiiT16_PT17_ilS8_ilS6_S8_ilPT18_ili26rocblas_geam_ex_operation_
                                        ; -- End function
	.set _ZN12_GLOBAL__N_120geam_min_plus_kernelIdddLi4ELi64ELi128ELi128ELi4ELi64ELi4ELi64ELi4ELc78ELc84ELb1ELb1ELb0EdKPKdKPdEEviiiT16_PT17_ilS8_ilS6_S8_ilPT18_ili26rocblas_geam_ex_operation_.num_vgpr, 222
	.set _ZN12_GLOBAL__N_120geam_min_plus_kernelIdddLi4ELi64ELi128ELi128ELi4ELi64ELi4ELi64ELi4ELc78ELc84ELb1ELb1ELb0EdKPKdKPdEEviiiT16_PT17_ilS8_ilS6_S8_ilPT18_ili26rocblas_geam_ex_operation_.num_agpr, 0
	.set _ZN12_GLOBAL__N_120geam_min_plus_kernelIdddLi4ELi64ELi128ELi128ELi4ELi64ELi4ELi64ELi4ELc78ELc84ELb1ELb1ELb0EdKPKdKPdEEviiiT16_PT17_ilS8_ilS6_S8_ilPT18_ili26rocblas_geam_ex_operation_.numbered_sgpr, 50
	.set _ZN12_GLOBAL__N_120geam_min_plus_kernelIdddLi4ELi64ELi128ELi128ELi4ELi64ELi4ELi64ELi4ELc78ELc84ELb1ELb1ELb0EdKPKdKPdEEviiiT16_PT17_ilS8_ilS6_S8_ilPT18_ili26rocblas_geam_ex_operation_.num_named_barrier, 0
	.set _ZN12_GLOBAL__N_120geam_min_plus_kernelIdddLi4ELi64ELi128ELi128ELi4ELi64ELi4ELi64ELi4ELc78ELc84ELb1ELb1ELb0EdKPKdKPdEEviiiT16_PT17_ilS8_ilS6_S8_ilPT18_ili26rocblas_geam_ex_operation_.private_seg_size, 528
	.set _ZN12_GLOBAL__N_120geam_min_plus_kernelIdddLi4ELi64ELi128ELi128ELi4ELi64ELi4ELi64ELi4ELc78ELc84ELb1ELb1ELb0EdKPKdKPdEEviiiT16_PT17_ilS8_ilS6_S8_ilPT18_ili26rocblas_geam_ex_operation_.uses_vcc, 1
	.set _ZN12_GLOBAL__N_120geam_min_plus_kernelIdddLi4ELi64ELi128ELi128ELi4ELi64ELi4ELi64ELi4ELc78ELc84ELb1ELb1ELb0EdKPKdKPdEEviiiT16_PT17_ilS8_ilS6_S8_ilPT18_ili26rocblas_geam_ex_operation_.uses_flat_scratch, 0
	.set _ZN12_GLOBAL__N_120geam_min_plus_kernelIdddLi4ELi64ELi128ELi128ELi4ELi64ELi4ELi64ELi4ELc78ELc84ELb1ELb1ELb0EdKPKdKPdEEviiiT16_PT17_ilS8_ilS6_S8_ilPT18_ili26rocblas_geam_ex_operation_.has_dyn_sized_stack, 0
	.set _ZN12_GLOBAL__N_120geam_min_plus_kernelIdddLi4ELi64ELi128ELi128ELi4ELi64ELi4ELi64ELi4ELc78ELc84ELb1ELb1ELb0EdKPKdKPdEEviiiT16_PT17_ilS8_ilS6_S8_ilPT18_ili26rocblas_geam_ex_operation_.has_recursion, 0
	.set _ZN12_GLOBAL__N_120geam_min_plus_kernelIdddLi4ELi64ELi128ELi128ELi4ELi64ELi4ELi64ELi4ELc78ELc84ELb1ELb1ELb0EdKPKdKPdEEviiiT16_PT17_ilS8_ilS6_S8_ilPT18_ili26rocblas_geam_ex_operation_.has_indirect_call, 0
	.section	.AMDGPU.csdata,"",@progbits
; Kernel info:
; codeLenInByte = 21736
; TotalNumSgprs: 52
; NumVgprs: 222
; ScratchSize: 528
; MemoryBound: 0
; FloatMode: 240
; IeeeMode: 1
; LDSByteSize: 16384 bytes/workgroup (compile time only)
; SGPRBlocks: 0
; VGPRBlocks: 27
; NumSGPRsForWavesPerEU: 52
; NumVGPRsForWavesPerEU: 222
; Occupancy: 4
; WaveLimiterHint : 1
; COMPUTE_PGM_RSRC2:SCRATCH_EN: 1
; COMPUTE_PGM_RSRC2:USER_SGPR: 6
; COMPUTE_PGM_RSRC2:TRAP_HANDLER: 0
; COMPUTE_PGM_RSRC2:TGID_X_EN: 1
; COMPUTE_PGM_RSRC2:TGID_Y_EN: 0
; COMPUTE_PGM_RSRC2:TGID_Z_EN: 1
; COMPUTE_PGM_RSRC2:TIDIG_COMP_CNT: 1
	.section	.text._ZN12_GLOBAL__N_120geam_min_plus_kernelIdddLi4ELi64ELi128ELi128ELi4ELi64ELi4ELi64ELi4ELc78ELc84ELb0ELb1ELb0EdKPKdKPdEEviiiT16_PT17_ilS8_ilS6_S8_ilPT18_ili26rocblas_geam_ex_operation_,"axG",@progbits,_ZN12_GLOBAL__N_120geam_min_plus_kernelIdddLi4ELi64ELi128ELi128ELi4ELi64ELi4ELi64ELi4ELc78ELc84ELb0ELb1ELb0EdKPKdKPdEEviiiT16_PT17_ilS8_ilS6_S8_ilPT18_ili26rocblas_geam_ex_operation_,comdat
	.globl	_ZN12_GLOBAL__N_120geam_min_plus_kernelIdddLi4ELi64ELi128ELi128ELi4ELi64ELi4ELi64ELi4ELc78ELc84ELb0ELb1ELb0EdKPKdKPdEEviiiT16_PT17_ilS8_ilS6_S8_ilPT18_ili26rocblas_geam_ex_operation_ ; -- Begin function _ZN12_GLOBAL__N_120geam_min_plus_kernelIdddLi4ELi64ELi128ELi128ELi4ELi64ELi4ELi64ELi4ELc78ELc84ELb0ELb1ELb0EdKPKdKPdEEviiiT16_PT17_ilS8_ilS6_S8_ilPT18_ili26rocblas_geam_ex_operation_
	.p2align	8
	.type	_ZN12_GLOBAL__N_120geam_min_plus_kernelIdddLi4ELi64ELi128ELi128ELi4ELi64ELi4ELi64ELi4ELc78ELc84ELb0ELb1ELb0EdKPKdKPdEEviiiT16_PT17_ilS8_ilS6_S8_ilPT18_ili26rocblas_geam_ex_operation_,@function
_ZN12_GLOBAL__N_120geam_min_plus_kernelIdddLi4ELi64ELi128ELi128ELi4ELi64ELi4ELi64ELi4ELc78ELc84ELb0ELb1ELb0EdKPKdKPdEEviiiT16_PT17_ilS8_ilS6_S8_ilPT18_ili26rocblas_geam_ex_operation_: ; @_ZN12_GLOBAL__N_120geam_min_plus_kernelIdddLi4ELi64ELi128ELi128ELi4ELi64ELi4ELi64ELi4ELc78ELc84ELb0ELb1ELb0EdKPKdKPdEEviiiT16_PT17_ilS8_ilS6_S8_ilPT18_ili26rocblas_geam_ex_operation_
; %bb.0:
	s_add_u32 s0, s0, s8
	s_clause 0x1
	s_load_dwordx4 s[12:15], s[4:5], 0x10
	s_load_dwordx4 s[8:11], s[4:5], 0x28
	s_mov_b32 s20, s7
	s_addc_u32 s1, s1, 0
	s_mov_b64 s[16:17], 0
	s_waitcnt lgkmcnt(0)
	v_cmp_eq_f64_e64 s7, s[12:13], 0
	s_and_b32 vcc_lo, exec_lo, s7
	s_cbranch_vccnz .LBB146_2
; %bb.1:
	s_mov_b32 s21, 0
	s_lshl_b64 s[16:17], s[20:21], 3
	s_add_u32 s14, s14, s16
	s_addc_u32 s15, s15, s17
	s_lshl_b64 s[8:9], s[8:9], 3
	s_load_dwordx2 s[14:15], s[14:15], 0x0
	s_waitcnt lgkmcnt(0)
	s_add_u32 s16, s14, s8
	s_addc_u32 s17, s15, s9
.LBB146_2:
	s_clause 0x1
	s_load_dwordx4 s[36:39], s[4:5], 0x40
	s_load_dwordx2 s[14:15], s[4:5], 0x50
	s_andn2_b32 vcc_lo, exec_lo, s7
	s_mov_b32 s21, 0
	s_cbranch_vccnz .LBB146_4
; %bb.3:
	s_mov_b32 s7, s21
	s_mov_b64 s[44:45], 0
	s_andn2_b32 vcc_lo, exec_lo, s7
	s_mov_b64 s[18:19], 0
	s_cbranch_vccz .LBB146_5
	s_branch .LBB146_6
.LBB146_4:
	s_mov_b64 s[44:45], 0
	s_mov_b64 s[18:19], 0
.LBB146_5:
	s_lshl_b64 s[8:9], s[20:21], 3
	s_add_u32 s8, s10, s8
	s_addc_u32 s9, s11, s9
	s_waitcnt lgkmcnt(0)
	s_lshl_b64 s[10:11], s[36:37], 3
	s_load_dwordx2 s[8:9], s[8:9], 0x0
	s_waitcnt lgkmcnt(0)
	s_add_u32 s18, s8, s10
	s_addc_u32 s19, s9, s11
.LBB146_6:
	s_waitcnt lgkmcnt(0)
	v_cmp_eq_f64_e64 s7, s[38:39], 0
	v_cmp_neq_f64_e64 s46, s[38:39], 0
	s_load_dwordx4 s[8:11], s[4:5], 0x60
	s_and_b32 vcc_lo, exec_lo, s7
	s_cbranch_vccnz .LBB146_8
; %bb.7:
	s_lshl_b64 s[22:23], s[20:21], 3
	s_add_u32 s14, s14, s22
	s_addc_u32 s15, s15, s23
	s_waitcnt lgkmcnt(0)
	s_lshl_b64 s[8:9], s[8:9], 3
	s_load_dwordx2 s[14:15], s[14:15], 0x0
	s_waitcnt lgkmcnt(0)
	s_add_u32 s44, s14, s8
	s_addc_u32 s45, s15, s9
.LBB146_8:
	s_load_dwordx4 s[40:43], s[4:5], 0x0
	s_waitcnt lgkmcnt(0)
	s_lshl_b64 s[8:9], s[20:21], 3
	v_lshl_add_u32 v2, v1, 2, v0
	s_add_u32 s8, s10, s8
	s_addc_u32 s9, s11, s9
	s_load_dword s22, s[4:5], 0x20
	s_load_dwordx2 s[14:15], s[8:9], 0x0
	v_cmp_eq_f64_e64 s24, s[12:13], 0
	v_and_b32_e32 v22, 63, v2
	v_lshrrev_b32_e32 v82, 6, v2
	v_mov_b32_e32 v11, 0
	buffer_store_dword v11, off, s[0:3], 0 offset:4
	buffer_store_dword v11, off, s[0:3], 0
	buffer_store_dword v11, off, s[0:3], 0 offset:12
	buffer_store_dword v11, off, s[0:3], 0 offset:8
	;; [unrolled: 1-line block ×13, first 2 shown]
	s_add_i32 s7, s40, -1
	v_cmp_le_i32_e32 vcc_lo, s42, v82
	s_ashr_i32 s8, s7, 31
	buffer_store_dword v11, off, s[0:3], 0 offset:56
	s_lshr_b32 s8, s8, 25
	buffer_store_dword v11, off, s[0:3], 0 offset:68
	buffer_store_dword v11, off, s[0:3], 0 offset:64
	;; [unrolled: 1-line block ×4, first 2 shown]
	s_add_i32 s7, s7, s8
	buffer_store_dword v11, off, s[0:3], 0 offset:84
	buffer_store_dword v11, off, s[0:3], 0 offset:80
	;; [unrolled: 1-line block ×9, first 2 shown]
	s_ashr_i32 s7, s7, 7
	buffer_store_dword v11, off, s[0:3], 0 offset:112
	buffer_store_dword v11, off, s[0:3], 0 offset:124
	;; [unrolled: 1-line block ×4, first 2 shown]
	s_add_i32 s8, s7, 1
	s_not_b32 s7, s7
	v_cvt_f32_u32_e32 v2, s8
	buffer_store_dword v11, off, s[0:3], 0 offset:128
	buffer_store_dword v11, off, s[0:3], 0 offset:140
	;; [unrolled: 1-line block ×8, first 2 shown]
	v_rcp_iflag_f32_e32 v2, v2
	buffer_store_dword v11, off, s[0:3], 0 offset:160
	buffer_store_dword v11, off, s[0:3], 0 offset:172
	;; [unrolled: 1-line block ×9, first 2 shown]
	v_mul_f32_e32 v2, 0x4f7ffffe, v2
	buffer_store_dword v11, off, s[0:3], 0 offset:204
	buffer_store_dword v11, off, s[0:3], 0 offset:200
	;; [unrolled: 1-line block ×75, first 2 shown]
	v_cvt_u32_f32_e32 v2, v2
	buffer_store_dword v11, off, s[0:3], 0 offset:496
	buffer_store_dword v11, off, s[0:3], 0 offset:508
	;; [unrolled: 1-line block ×3, first 2 shown]
	v_readfirstlane_b32 s9, v2
	s_mul_i32 s7, s7, s9
	s_mul_hi_u32 s7, s9, s7
	s_add_i32 s9, s9, s7
	s_mul_hi_u32 s7, s6, s9
	s_mul_i32 s9, s7, s8
	s_add_i32 s10, s7, 1
	s_sub_i32 s9, s6, s9
	s_sub_i32 s11, s9, s8
	s_cmp_ge_u32 s9, s8
	s_cselect_b32 s7, s10, s7
	s_cselect_b32 s9, s11, s9
	s_add_i32 s10, s7, 1
	s_cmp_ge_u32 s9, s8
	s_cselect_b32 s9, s10, s7
	s_add_i32 s23, s42, -1
	s_mul_i32 s7, s9, s8
	v_min_i32_e32 v8, s23, v82
	s_sub_i32 s6, s6, s7
	s_lshl_b32 s11, s6, 7
	s_waitcnt lgkmcnt(0)
	v_mad_i64_i32 v[2:3], null, s22, v8, 0
	v_or_b32_e32 v6, s11, v22
	v_cmp_le_i32_e64 s6, s40, v6
	v_lshlrev_b64 v[4:5], 3, v[2:3]
	v_mov_b32_e32 v2, 0
	v_mov_b32_e32 v3, 0
	v_ashrrev_i32_e32 v7, 31, v6
	v_add_co_u32 v9, s7, s16, v4
	v_add_co_ci_u32_e64 v10, null, s17, v5, s7
	v_mov_b32_e32 v4, 0
	v_mov_b32_e32 v5, 0
	s_or_b32 s7, s6, vcc_lo
	s_nor_b32 s7, s24, s7
	s_and_saveexec_b32 s8, s7
	s_cbranch_execz .LBB146_10
; %bb.9:
	v_lshlrev_b64 v[4:5], 3, v[6:7]
	v_add_co_u32 v4, s7, v9, v4
	v_add_co_ci_u32_e64 v5, null, v10, v5, s7
	flat_load_dwordx2 v[4:5], v[4:5]
	s_waitcnt vmcnt(0) lgkmcnt(0)
	v_mul_f64 v[4:5], s[12:13], v[4:5]
.LBB146_10:
	s_or_b32 exec_lo, exec_lo, s8
	v_or_b32_e32 v11, 64, v6
	v_cmp_le_i32_e64 s7, s40, v11
	s_or_b32 s8, s7, vcc_lo
	s_nor_b32 s8, s24, s8
	s_and_saveexec_b32 s10, s8
	s_cbranch_execz .LBB146_12
; %bb.11:
	v_lshlrev_b64 v[2:3], 3, v[6:7]
	v_add_co_u32 v2, s8, v9, v2
	v_add_co_ci_u32_e64 v3, null, v10, v3, s8
	flat_load_dwordx2 v[2:3], v[2:3] offset:512
	s_waitcnt vmcnt(0) lgkmcnt(0)
	v_mul_f64 v[2:3], s[12:13], v[2:3]
.LBB146_12:
	s_or_b32 exec_lo, exec_lo, s10
	s_load_dword s25, s[4:5], 0x38
	s_lshl_b32 s20, s9, 7
	v_mov_b32_e32 v18, 0
	v_mov_b32_e32 v20, 0
	v_mov_b32_e32 v19, 0
	v_mov_b32_e32 v21, 0
	s_waitcnt lgkmcnt(0)
	v_mad_i64_i32 v[9:10], null, s25, v8, 0
	v_or_b32_e32 v8, s20, v22
	v_cmp_le_i32_e64 s8, s41, v8
	v_lshlrev_b64 v[10:11], 3, v[9:10]
	v_ashrrev_i32_e32 v9, 31, v8
	v_add_co_u32 v10, s9, s18, v10
	v_add_co_ci_u32_e64 v11, null, s19, v11, s9
	s_or_b32 s9, s8, vcc_lo
	s_nor_b32 s9, s24, s9
	s_and_saveexec_b32 s10, s9
	s_cbranch_execz .LBB146_14
; %bb.13:
	v_lshlrev_b64 v[12:13], 3, v[8:9]
	v_add_co_u32 v12, s9, v10, v12
	v_add_co_ci_u32_e64 v13, null, v11, v13, s9
	flat_load_dwordx2 v[12:13], v[12:13]
	s_waitcnt vmcnt(0) lgkmcnt(0)
	v_mul_f64 v[20:21], s[12:13], v[12:13]
.LBB146_14:
	s_or_b32 exec_lo, exec_lo, s10
	v_or_b32_e32 v12, 64, v8
	v_cmp_le_i32_e64 s9, s41, v12
	s_or_b32 s10, s9, vcc_lo
	s_nor_b32 s21, s24, s10
	s_and_saveexec_b32 s10, s21
	s_cbranch_execz .LBB146_16
; %bb.15:
	v_lshlrev_b64 v[12:13], 3, v[8:9]
	v_add_co_u32 v10, vcc_lo, v10, v12
	v_add_co_ci_u32_e64 v11, null, v11, v13, vcc_lo
	flat_load_dwordx2 v[10:11], v[10:11] offset:512
	s_waitcnt vmcnt(0) lgkmcnt(0)
	v_mul_f64 v[18:19], s[12:13], v[10:11]
.LBB146_16:
	s_or_b32 exec_lo, exec_lo, s10
	v_add_nc_u32_e32 v17, 4, v82
	v_mov_b32_e32 v12, 0
	v_mov_b32_e32 v13, 0
	v_min_i32_e32 v14, s23, v17
	v_cmp_le_i32_e32 vcc_lo, s42, v17
	v_mad_i64_i32 v[10:11], null, s22, v14, 0
	v_lshlrev_b64 v[15:16], 3, v[10:11]
	v_mov_b32_e32 v10, 0
	v_mov_b32_e32 v11, 0
	v_add_co_u32 v15, s10, s16, v15
	v_add_co_ci_u32_e64 v16, null, s17, v16, s10
	s_or_b32 s10, s6, vcc_lo
	s_nor_b32 s10, s24, s10
	s_and_saveexec_b32 s21, s10
	s_cbranch_execz .LBB146_18
; %bb.17:
	v_lshlrev_b64 v[12:13], 3, v[6:7]
	v_add_co_u32 v12, s10, v15, v12
	v_add_co_ci_u32_e64 v13, null, v16, v13, s10
	flat_load_dwordx2 v[12:13], v[12:13]
	s_waitcnt vmcnt(0) lgkmcnt(0)
	v_mul_f64 v[12:13], s[12:13], v[12:13]
.LBB146_18:
	s_or_b32 exec_lo, exec_lo, s21
	s_or_b32 s10, s7, vcc_lo
	s_nor_b32 s10, s24, s10
	s_and_saveexec_b32 s21, s10
	s_cbranch_execz .LBB146_20
; %bb.19:
	v_lshlrev_b64 v[10:11], 3, v[6:7]
	v_add_co_u32 v10, s10, v15, v10
	v_add_co_ci_u32_e64 v11, null, v16, v11, s10
	flat_load_dwordx2 v[10:11], v[10:11] offset:512
	s_waitcnt vmcnt(0) lgkmcnt(0)
	v_mul_f64 v[10:11], s[12:13], v[10:11]
.LBB146_20:
	s_or_b32 exec_lo, exec_lo, s21
	v_mad_i64_i32 v[14:15], null, s25, v14, 0
	v_mov_b32_e32 v16, 0
	v_mov_b32_e32 v17, 0
	v_lshlrev_b64 v[23:24], 3, v[14:15]
	v_mov_b32_e32 v14, 0
	v_mov_b32_e32 v15, 0
	v_add_co_u32 v23, s10, s18, v23
	v_add_co_ci_u32_e64 v24, null, s19, v24, s10
	s_or_b32 s10, s8, vcc_lo
	s_nor_b32 s10, s24, s10
	s_and_saveexec_b32 s21, s10
	s_cbranch_execz .LBB146_22
; %bb.21:
	v_lshlrev_b64 v[16:17], 3, v[8:9]
	v_add_co_u32 v16, s10, v23, v16
	v_add_co_ci_u32_e64 v17, null, v24, v17, s10
	flat_load_dwordx2 v[16:17], v[16:17]
	s_waitcnt vmcnt(0) lgkmcnt(0)
	v_mul_f64 v[16:17], s[12:13], v[16:17]
.LBB146_22:
	s_or_b32 exec_lo, exec_lo, s21
	s_or_b32 s10, s9, vcc_lo
	s_nor_b32 s21, s24, s10
	s_and_saveexec_b32 s10, s21
	s_cbranch_execz .LBB146_24
; %bb.23:
	v_lshlrev_b64 v[14:15], 3, v[8:9]
	v_add_co_u32 v14, vcc_lo, v23, v14
	v_add_co_ci_u32_e64 v15, null, v24, v15, vcc_lo
	flat_load_dwordx2 v[14:15], v[14:15] offset:512
	s_waitcnt vmcnt(0) lgkmcnt(0)
	v_mul_f64 v[14:15], s[12:13], v[14:15]
.LBB146_24:
	s_or_b32 exec_lo, exec_lo, s10
	v_lshlrev_b32_e32 v22, 5, v22
	v_lshlrev_b32_e32 v84, 5, v0
	v_lshl_or_b32 v86, v1, 5, 0x2000
	s_mov_b32 s21, 0
	s_mov_b32 s10, 0
	v_lshl_add_u32 v83, v82, 3, v22
	s_addk_i32 s21, 0x100
	v_add_nc_u32_e32 v85, 0x2000, v83
	ds_write2st64_b64 v83, v[4:5], v[2:3] offset1:4
	ds_write2st64_b64 v83, v[20:21], v[18:19] offset0:16 offset1:20
	s_waitcnt lgkmcnt(0)
	s_waitcnt_vscnt null, 0x0
	s_barrier
	buffer_gl0_inv
.LBB146_25:                             ; =>This Loop Header: Depth=1
                                        ;     Child Loop BB146_26 Depth 2
	s_lshl_b32 s26, s10, 3
	s_mov_b32 s27, 0
	v_add_nc_u32_e32 v18, s26, v84
	v_add_nc_u32_e32 v87, s26, v86
	s_mov_b32 s26, -1
	ds_read2_b64 v[2:5], v18 offset1:16
	ds_read2_b64 v[22:25], v18 offset0:32 offset1:48
	ds_read2_b64 v[26:29], v18 offset0:64 offset1:80
	;; [unrolled: 1-line block ×4, first 2 shown]
	v_add_nc_u32_e32 v78, 0x800, v18
	ds_read2_b64 v[38:41], v18 offset0:160 offset1:176
	ds_read2_b64 v[42:45], v18 offset0:192 offset1:208
	ds_read2_b64 v[46:49], v18 offset0:224 offset1:240
	ds_read2_b64 v[50:53], v78 offset1:16
	ds_read2_b64 v[54:57], v78 offset0:32 offset1:48
	ds_read2_b64 v[58:61], v78 offset0:64 offset1:80
	;; [unrolled: 1-line block ×6, first 2 shown]
	s_waitcnt lgkmcnt(9)
	v_max_f64 v[38:39], v[38:39], v[38:39]
	v_max_f64 v[40:41], v[40:41], v[40:41]
	;; [unrolled: 1-line block ×4, first 2 shown]
	ds_read2_b64 v[2:5], v78 offset0:224 offset1:240
	v_max_f64 v[22:23], v[22:23], v[22:23]
	v_max_f64 v[24:25], v[24:25], v[24:25]
	;; [unrolled: 1-line block ×8, first 2 shown]
	s_waitcnt lgkmcnt(9)
	v_max_f64 v[42:43], v[42:43], v[42:43]
	v_max_f64 v[44:45], v[44:45], v[44:45]
	s_waitcnt lgkmcnt(8)
	v_max_f64 v[46:47], v[46:47], v[46:47]
	v_max_f64 v[48:49], v[48:49], v[48:49]
	;; [unrolled: 3-line block ×10, first 2 shown]
	ds_read2st64_b64 v[2:5], v87 offset1:4
.LBB146_26:                             ;   Parent Loop BB146_25 Depth=1
                                        ; =>  This Inner Loop Header: Depth=2
	v_mov_b32_e32 v215, s27
	s_waitcnt lgkmcnt(0)
	v_max_f64 v[151:152], v[2:3], v[2:3]
	v_mov_b32_e32 v2, v4
	v_mov_b32_e32 v3, v5
	s_and_b32 vcc_lo, exec_lo, s26
	s_clause 0x3e
	buffer_load_dword v87, v215, s[0:3], 0 offen
	buffer_load_dword v88, v215, s[0:3], 0 offen offset:4
	buffer_load_dword v89, v215, s[0:3], 0 offen offset:8
	;; [unrolled: 1-line block ×63, first 2 shown]
	s_mov_b32 s26, 0
	s_mov_b32 s27, s21
	v_min_f64 v[153:154], v[18:19], v[151:152]
	v_min_f64 v[155:156], v[20:21], v[151:152]
	v_min_f64 v[157:158], v[22:23], v[151:152]
	v_min_f64 v[159:160], v[24:25], v[151:152]
	v_min_f64 v[161:162], v[26:27], v[151:152]
	v_min_f64 v[163:164], v[28:29], v[151:152]
	v_min_f64 v[165:166], v[30:31], v[151:152]
	v_min_f64 v[167:168], v[32:33], v[151:152]
	v_min_f64 v[169:170], v[34:35], v[151:152]
	v_min_f64 v[171:172], v[36:37], v[151:152]
	v_min_f64 v[173:174], v[38:39], v[151:152]
	v_min_f64 v[175:176], v[40:41], v[151:152]
	v_min_f64 v[177:178], v[42:43], v[151:152]
	v_min_f64 v[179:180], v[44:45], v[151:152]
	v_min_f64 v[181:182], v[46:47], v[151:152]
	v_min_f64 v[183:184], v[48:49], v[151:152]
	v_min_f64 v[185:186], v[50:51], v[151:152]
	v_min_f64 v[187:188], v[52:53], v[151:152]
	v_min_f64 v[189:190], v[54:55], v[151:152]
	v_min_f64 v[191:192], v[56:57], v[151:152]
	v_min_f64 v[193:194], v[58:59], v[151:152]
	v_min_f64 v[195:196], v[60:61], v[151:152]
	v_min_f64 v[197:198], v[62:63], v[151:152]
	v_min_f64 v[199:200], v[64:65], v[151:152]
	v_min_f64 v[201:202], v[66:67], v[151:152]
	v_min_f64 v[203:204], v[68:69], v[151:152]
	v_min_f64 v[205:206], v[70:71], v[151:152]
	v_min_f64 v[207:208], v[72:73], v[151:152]
	v_min_f64 v[209:210], v[74:75], v[151:152]
	v_min_f64 v[211:212], v[76:77], v[151:152]
	v_min_f64 v[213:214], v[78:79], v[151:152]
	v_min_f64 v[151:152], v[80:81], v[151:152]
	s_waitcnt vmcnt(62)
	v_add_f64 v[87:88], v[153:154], v[87:88]
	s_waitcnt vmcnt(60)
	v_add_f64 v[89:90], v[155:156], v[89:90]
	;; [unrolled: 2-line block ×32, first 2 shown]
	buffer_store_dword v87, v215, s[0:3], 0 offen
	buffer_store_dword v88, v215, s[0:3], 0 offen offset:4
	buffer_store_dword v89, v215, s[0:3], 0 offen offset:8
	;; [unrolled: 1-line block ×63, first 2 shown]
	s_cbranch_vccnz .LBB146_26
; %bb.27:                               ;   in Loop: Header=BB146_25 Depth=1
	s_add_i32 s10, s10, 1
	s_cmp_eq_u32 s10, 4
	s_cbranch_scc0 .LBB146_25
; %bb.28:
	v_lshl_add_u32 v87, v0, 5, 0x1000
	v_lshl_add_u32 v88, v1, 5, 0x3000
	s_cmp_lt_i32 s42, 9
	ds_write2st64_b64 v83, v[12:13], v[10:11] offset0:8 offset1:12
	ds_write2st64_b64 v83, v[16:17], v[14:15] offset0:24 offset1:28
	s_waitcnt lgkmcnt(0)
	s_waitcnt_vscnt null, 0x0
	s_barrier
	buffer_gl0_inv
	s_cbranch_scc1 .LBB146_55
; %bb.29:
	v_lshlrev_b64 v[70:71], 3, v[6:7]
	v_lshlrev_b64 v[72:73], 3, v[8:9]
	v_add_nc_u32_e32 v89, 0x1000, v83
	v_add_nc_u32_e32 v90, 0x3000, v83
	s_add_i32 s26, s42, -8
	s_mov_b32 s27, 8
	s_mov_b32 s28, 0
.LBB146_30:                             ; =>This Loop Header: Depth=1
                                        ;     Child Loop BB146_39 Depth 2
                                        ;       Child Loop BB146_40 Depth 3
                                        ;     Child Loop BB146_51 Depth 2
                                        ;       Child Loop BB146_52 Depth 3
	v_add_nc_u32_e32 v5, s27, v82
	v_mov_b32_e32 v6, 0
	v_mov_b32_e32 v8, 0
	;; [unrolled: 1-line block ×4, first 2 shown]
	v_min_i32_e32 v2, s23, v5
	v_cmp_le_i32_e32 vcc_lo, s42, v5
	v_mad_i64_i32 v[3:4], null, v2, s22, 0
	v_lshlrev_b64 v[3:4], 3, v[3:4]
	v_add_co_u32 v3, s10, s16, v3
	v_add_co_ci_u32_e64 v4, null, s17, v4, s10
	s_or_b32 s10, s6, vcc_lo
	s_nor_b32 s10, s24, s10
	s_and_saveexec_b32 s29, s10
	s_cbranch_execz .LBB146_32
; %bb.31:                               ;   in Loop: Header=BB146_30 Depth=1
	v_add_co_u32 v8, s10, v3, v70
	v_add_co_ci_u32_e64 v9, null, v4, v71, s10
	flat_load_dwordx2 v[8:9], v[8:9]
	s_waitcnt vmcnt(0) lgkmcnt(0)
	v_mul_f64 v[8:9], s[12:13], v[8:9]
.LBB146_32:                             ;   in Loop: Header=BB146_30 Depth=1
	s_or_b32 exec_lo, exec_lo, s29
	s_or_b32 s10, s7, vcc_lo
	s_nor_b32 s10, s24, s10
	s_and_saveexec_b32 s29, s10
	s_cbranch_execz .LBB146_34
; %bb.33:                               ;   in Loop: Header=BB146_30 Depth=1
	v_add_co_u32 v3, s10, v3, v70
	v_add_co_ci_u32_e64 v4, null, v4, v71, s10
	flat_load_dwordx2 v[3:4], v[3:4] offset:512
	s_waitcnt vmcnt(0) lgkmcnt(0)
	v_mul_f64 v[6:7], s[12:13], v[3:4]
.LBB146_34:                             ;   in Loop: Header=BB146_30 Depth=1
	s_or_b32 exec_lo, exec_lo, s29
	v_mad_i64_i32 v[2:3], null, v2, s25, 0
	v_mov_b32_e32 v10, 0
	v_mov_b32_e32 v12, 0
	;; [unrolled: 1-line block ×4, first 2 shown]
	v_lshlrev_b64 v[2:3], 3, v[2:3]
	v_add_co_u32 v2, s10, s18, v2
	v_add_co_ci_u32_e64 v3, null, s19, v3, s10
	s_or_b32 s10, s8, vcc_lo
	s_nor_b32 s10, s24, s10
	s_and_saveexec_b32 s29, s10
	s_cbranch_execz .LBB146_36
; %bb.35:                               ;   in Loop: Header=BB146_30 Depth=1
	v_add_co_u32 v4, s10, v2, v72
	v_add_co_ci_u32_e64 v5, null, v3, v73, s10
	flat_load_dwordx2 v[4:5], v[4:5]
	s_waitcnt vmcnt(0) lgkmcnt(0)
	v_mul_f64 v[12:13], s[12:13], v[4:5]
.LBB146_36:                             ;   in Loop: Header=BB146_30 Depth=1
	s_or_b32 exec_lo, exec_lo, s29
	s_or_b32 s10, s9, vcc_lo
	s_nor_b32 s29, s24, s10
	s_and_saveexec_b32 s10, s29
	s_cbranch_execz .LBB146_38
; %bb.37:                               ;   in Loop: Header=BB146_30 Depth=1
	v_add_co_u32 v2, vcc_lo, v2, v72
	v_add_co_ci_u32_e64 v3, null, v3, v73, vcc_lo
	flat_load_dwordx2 v[2:3], v[2:3] offset:512
	s_waitcnt vmcnt(0) lgkmcnt(0)
	v_mul_f64 v[10:11], s[12:13], v[2:3]
.LBB146_38:                             ;   in Loop: Header=BB146_30 Depth=1
	s_or_b32 exec_lo, exec_lo, s10
	s_mov_b32 s10, 0
.LBB146_39:                             ;   Parent Loop BB146_30 Depth=1
                                        ; =>  This Loop Header: Depth=2
                                        ;       Child Loop BB146_40 Depth 3
	s_lshl_b32 s29, s10, 3
	s_mov_b32 s30, 0
	v_add_nc_u32_e32 v14, s29, v87
	v_add_nc_u32_e32 v91, s29, v88
	s_mov_b32 s29, -1
	ds_read2_b64 v[2:5], v14 offset1:16
	ds_read2_b64 v[18:21], v14 offset0:32 offset1:48
	ds_read2_b64 v[22:25], v14 offset0:64 offset1:80
	v_add_nc_u32_e32 v15, 0x800, v14
	ds_read2_b64 v[26:29], v14 offset0:96 offset1:112
	ds_read2_b64 v[30:33], v14 offset0:128 offset1:144
	;; [unrolled: 1-line block ×5, first 2 shown]
	ds_read2_b64 v[46:49], v15 offset1:16
	ds_read2_b64 v[50:53], v15 offset0:32 offset1:48
	ds_read2_b64 v[54:57], v15 offset0:64 offset1:80
	;; [unrolled: 1-line block ×7, first 2 shown]
	s_waitcnt lgkmcnt(11)
	v_max_f64 v[30:31], v[30:31], v[30:31]
	v_max_f64 v[32:33], v[32:33], v[32:33]
	s_waitcnt lgkmcnt(10)
	v_max_f64 v[34:35], v[34:35], v[34:35]
	v_max_f64 v[36:37], v[36:37], v[36:37]
	;; [unrolled: 3-line block ×3, first 2 shown]
	v_max_f64 v[14:15], v[2:3], v[2:3]
	v_max_f64 v[16:17], v[4:5], v[4:5]
	;; [unrolled: 1-line block ×8, first 2 shown]
	s_waitcnt lgkmcnt(8)
	v_max_f64 v[42:43], v[42:43], v[42:43]
	v_max_f64 v[44:45], v[44:45], v[44:45]
	s_waitcnt lgkmcnt(7)
	v_max_f64 v[46:47], v[46:47], v[46:47]
	v_max_f64 v[48:49], v[48:49], v[48:49]
	s_waitcnt lgkmcnt(6)
	v_max_f64 v[50:51], v[50:51], v[50:51]
	v_max_f64 v[52:53], v[52:53], v[52:53]
	s_waitcnt lgkmcnt(5)
	v_max_f64 v[54:55], v[54:55], v[54:55]
	v_max_f64 v[56:57], v[56:57], v[56:57]
	s_waitcnt lgkmcnt(4)
	v_max_f64 v[58:59], v[58:59], v[58:59]
	v_max_f64 v[60:61], v[60:61], v[60:61]
	s_waitcnt lgkmcnt(3)
	v_max_f64 v[62:63], v[62:63], v[62:63]
	v_max_f64 v[64:65], v[64:65], v[64:65]
	s_waitcnt lgkmcnt(2)
	v_max_f64 v[66:67], v[66:67], v[66:67]
	v_max_f64 v[68:69], v[68:69], v[68:69]
	s_waitcnt lgkmcnt(1)
	v_max_f64 v[74:75], v[74:75], v[74:75]
	v_max_f64 v[76:77], v[76:77], v[76:77]
	s_waitcnt lgkmcnt(0)
	v_max_f64 v[78:79], v[78:79], v[78:79]
	v_max_f64 v[80:81], v[80:81], v[80:81]
	ds_read2st64_b64 v[2:5], v91 offset1:4
.LBB146_40:                             ;   Parent Loop BB146_30 Depth=1
                                        ;     Parent Loop BB146_39 Depth=2
                                        ; =>    This Inner Loop Header: Depth=3
	v_mov_b32_e32 v219, s30
	s_waitcnt lgkmcnt(0)
	v_max_f64 v[155:156], v[2:3], v[2:3]
	v_mov_b32_e32 v2, v4
	v_mov_b32_e32 v3, v5
	s_and_b32 vcc_lo, exec_lo, s29
	s_clause 0x3e
	buffer_load_dword v91, v219, s[0:3], 0 offen
	buffer_load_dword v92, v219, s[0:3], 0 offen offset:4
	buffer_load_dword v93, v219, s[0:3], 0 offen offset:8
	;; [unrolled: 1-line block ×63, first 2 shown]
	s_mov_b32 s29, 0
	s_mov_b32 s30, s21
	v_min_f64 v[157:158], v[14:15], v[155:156]
	v_min_f64 v[159:160], v[16:17], v[155:156]
	;; [unrolled: 1-line block ×32, first 2 shown]
	s_waitcnt vmcnt(62)
	v_add_f64 v[91:92], v[157:158], v[91:92]
	s_waitcnt vmcnt(60)
	v_add_f64 v[93:94], v[159:160], v[93:94]
	;; [unrolled: 2-line block ×32, first 2 shown]
	buffer_store_dword v91, v219, s[0:3], 0 offen
	buffer_store_dword v92, v219, s[0:3], 0 offen offset:4
	buffer_store_dword v93, v219, s[0:3], 0 offen offset:8
	;; [unrolled: 1-line block ×63, first 2 shown]
	s_cbranch_vccnz .LBB146_40
; %bb.41:                               ;   in Loop: Header=BB146_39 Depth=2
	s_add_i32 s10, s10, 1
	s_cmp_eq_u32 s10, 4
	s_cbranch_scc0 .LBB146_39
; %bb.42:                               ;   in Loop: Header=BB146_30 Depth=1
	v_add3_u32 v5, v82, s27, 4
	v_mov_b32_e32 v74, 0
	v_mov_b32_e32 v76, 0
	;; [unrolled: 1-line block ×4, first 2 shown]
	v_min_i32_e32 v2, s23, v5
	v_cmp_le_i32_e32 vcc_lo, s42, v5
	ds_write2st64_b64 v83, v[8:9], v[6:7] offset1:4
	ds_write2st64_b64 v85, v[12:13], v[10:11] offset1:4
	s_waitcnt lgkmcnt(0)
	s_waitcnt_vscnt null, 0x0
	s_barrier
	v_mad_i64_i32 v[3:4], null, v2, s22, 0
	buffer_gl0_inv
	v_lshlrev_b64 v[3:4], 3, v[3:4]
	v_add_co_u32 v3, s10, s16, v3
	v_add_co_ci_u32_e64 v4, null, s17, v4, s10
	s_or_b32 s10, s6, vcc_lo
	s_nor_b32 s10, s24, s10
	s_and_saveexec_b32 s29, s10
	s_cbranch_execz .LBB146_44
; %bb.43:                               ;   in Loop: Header=BB146_30 Depth=1
	v_add_co_u32 v5, s10, v3, v70
	v_add_co_ci_u32_e64 v6, null, v4, v71, s10
	flat_load_dwordx2 v[5:6], v[5:6]
	s_waitcnt vmcnt(0) lgkmcnt(0)
	v_mul_f64 v[76:77], s[12:13], v[5:6]
.LBB146_44:                             ;   in Loop: Header=BB146_30 Depth=1
	s_or_b32 exec_lo, exec_lo, s29
	s_or_b32 s10, s7, vcc_lo
	s_nor_b32 s10, s24, s10
	s_and_saveexec_b32 s29, s10
	s_cbranch_execz .LBB146_46
; %bb.45:                               ;   in Loop: Header=BB146_30 Depth=1
	v_add_co_u32 v3, s10, v3, v70
	v_add_co_ci_u32_e64 v4, null, v4, v71, s10
	flat_load_dwordx2 v[3:4], v[3:4] offset:512
	s_waitcnt vmcnt(0) lgkmcnt(0)
	v_mul_f64 v[74:75], s[12:13], v[3:4]
.LBB146_46:                             ;   in Loop: Header=BB146_30 Depth=1
	s_or_b32 exec_lo, exec_lo, s29
	v_mad_i64_i32 v[2:3], null, v2, s25, 0
	v_mov_b32_e32 v78, 0
	v_mov_b32_e32 v80, 0
	;; [unrolled: 1-line block ×4, first 2 shown]
	v_lshlrev_b64 v[2:3], 3, v[2:3]
	v_add_co_u32 v2, s10, s18, v2
	v_add_co_ci_u32_e64 v3, null, s19, v3, s10
	s_or_b32 s10, s8, vcc_lo
	s_nor_b32 s10, s24, s10
	s_and_saveexec_b32 s29, s10
	s_cbranch_execz .LBB146_48
; %bb.47:                               ;   in Loop: Header=BB146_30 Depth=1
	v_add_co_u32 v4, s10, v2, v72
	v_add_co_ci_u32_e64 v5, null, v3, v73, s10
	flat_load_dwordx2 v[4:5], v[4:5]
	s_waitcnt vmcnt(0) lgkmcnt(0)
	v_mul_f64 v[80:81], s[12:13], v[4:5]
.LBB146_48:                             ;   in Loop: Header=BB146_30 Depth=1
	s_or_b32 exec_lo, exec_lo, s29
	s_or_b32 s10, s9, vcc_lo
	s_nor_b32 s29, s24, s10
	s_and_saveexec_b32 s10, s29
	s_cbranch_execz .LBB146_50
; %bb.49:                               ;   in Loop: Header=BB146_30 Depth=1
	v_add_co_u32 v2, vcc_lo, v2, v72
	v_add_co_ci_u32_e64 v3, null, v3, v73, vcc_lo
	flat_load_dwordx2 v[2:3], v[2:3] offset:512
	s_waitcnt vmcnt(0) lgkmcnt(0)
	v_mul_f64 v[78:79], s[12:13], v[2:3]
.LBB146_50:                             ;   in Loop: Header=BB146_30 Depth=1
	s_or_b32 exec_lo, exec_lo, s10
	s_mov_b32 s10, 0
.LBB146_51:                             ;   Parent Loop BB146_30 Depth=1
                                        ; =>  This Loop Header: Depth=2
                                        ;       Child Loop BB146_52 Depth 3
	s_lshl_b32 s29, s10, 3
	s_mov_b32 s30, 0
	v_add_nc_u32_e32 v30, s29, v84
	v_add_nc_u32_e32 v66, s29, v86
	s_mov_b32 s29, -1
	ds_read2_b64 v[2:5], v30 offset1:16
	ds_read2_b64 v[6:9], v30 offset0:32 offset1:48
	ds_read2_b64 v[10:13], v30 offset0:64 offset1:80
	;; [unrolled: 1-line block ×3, first 2 shown]
	v_add_nc_u32_e32 v62, 0x800, v30
	ds_read2_b64 v[18:21], v30 offset0:128 offset1:144
	ds_read2_b64 v[22:25], v30 offset0:160 offset1:176
	;; [unrolled: 1-line block ×4, first 2 shown]
	ds_read2_b64 v[34:37], v62 offset1:16
	ds_read2_b64 v[38:41], v62 offset0:32 offset1:48
	ds_read2_b64 v[42:45], v62 offset0:64 offset1:80
	;; [unrolled: 1-line block ×7, first 2 shown]
	ds_read2st64_b64 v[66:69], v66 offset1:4
.LBB146_52:                             ;   Parent Loop BB146_30 Depth=1
                                        ;     Parent Loop BB146_51 Depth=2
                                        ; =>    This Inner Loop Header: Depth=3
	v_mov_b32_e32 v91, s30
	s_waitcnt lgkmcnt(16)
	v_max_f64 v[156:157], v[2:3], v[2:3]
	s_waitcnt lgkmcnt(0)
	v_max_f64 v[158:159], v[66:67], v[66:67]
	v_max_f64 v[160:161], v[4:5], v[4:5]
	;; [unrolled: 1-line block ×3, first 2 shown]
	s_clause 0x3e
	buffer_load_dword v92, v91, s[0:3], 0 offen
	buffer_load_dword v93, v91, s[0:3], 0 offen offset:4
	buffer_load_dword v94, v91, s[0:3], 0 offen offset:8
	;; [unrolled: 1-line block ×63, first 2 shown]
	v_max_f64 v[164:165], v[8:9], v[8:9]
	v_max_f64 v[166:167], v[10:11], v[10:11]
	;; [unrolled: 1-line block ×29, first 2 shown]
	v_min_f64 v[156:157], v[156:157], v[158:159]
	v_min_f64 v[160:161], v[160:161], v[158:159]
	;; [unrolled: 1-line block ×32, first 2 shown]
	v_mov_b32_e32 v66, v68
	v_mov_b32_e32 v67, v69
	s_and_b32 vcc_lo, exec_lo, s29
	s_mov_b32 s29, 0
	s_mov_b32 s30, s21
	s_waitcnt vmcnt(62)
	v_add_f64 v[92:93], v[156:157], v[92:93]
	s_waitcnt vmcnt(60)
	v_add_f64 v[94:95], v[160:161], v[94:95]
	;; [unrolled: 2-line block ×32, first 2 shown]
	buffer_store_dword v92, v91, s[0:3], 0 offen
	buffer_store_dword v93, v91, s[0:3], 0 offen offset:4
	buffer_store_dword v94, v91, s[0:3], 0 offen offset:8
	;; [unrolled: 1-line block ×63, first 2 shown]
	s_cbranch_vccnz .LBB146_52
; %bb.53:                               ;   in Loop: Header=BB146_51 Depth=2
	s_add_i32 s10, s10, 1
	s_cmp_eq_u32 s10, 4
	s_cbranch_scc0 .LBB146_51
; %bb.54:                               ;   in Loop: Header=BB146_30 Depth=1
	s_add_i32 s28, s28, 8
	s_add_i32 s27, s27, 8
	s_cmp_ge_i32 s28, s26
	ds_write2st64_b64 v89, v[76:77], v[74:75] offset1:4
	ds_write2st64_b64 v90, v[80:81], v[78:79] offset1:4
	s_waitcnt lgkmcnt(0)
	s_waitcnt_vscnt null, 0x0
	s_barrier
	buffer_gl0_inv
	s_cbranch_scc0 .LBB146_30
.LBB146_55:
	s_mov_b32 s6, 0
.LBB146_56:                             ; =>This Loop Header: Depth=1
                                        ;     Child Loop BB146_57 Depth 2
	s_lshl_b32 s7, s6, 3
	s_mov_b32 s8, 0
	v_add_nc_u32_e32 v6, s7, v87
	v_add_nc_u32_e32 v70, s7, v88
	s_mov_b32 s7, -1
	ds_read2_b64 v[2:5], v6 offset1:16
	ds_read2_b64 v[10:13], v6 offset0:32 offset1:48
	ds_read2_b64 v[14:17], v6 offset0:64 offset1:80
	v_add_nc_u32_e32 v7, 0x800, v6
	ds_read2_b64 v[18:21], v6 offset0:96 offset1:112
	ds_read2_b64 v[22:25], v6 offset0:128 offset1:144
	;; [unrolled: 1-line block ×5, first 2 shown]
	ds_read2_b64 v[38:41], v7 offset1:16
	ds_read2_b64 v[42:45], v7 offset0:32 offset1:48
	ds_read2_b64 v[46:49], v7 offset0:64 offset1:80
	;; [unrolled: 1-line block ×7, first 2 shown]
	s_waitcnt lgkmcnt(11)
	v_max_f64 v[22:23], v[22:23], v[22:23]
	v_max_f64 v[24:25], v[24:25], v[24:25]
	s_waitcnt lgkmcnt(10)
	v_max_f64 v[26:27], v[26:27], v[26:27]
	v_max_f64 v[28:29], v[28:29], v[28:29]
	;; [unrolled: 3-line block ×3, first 2 shown]
	v_max_f64 v[6:7], v[2:3], v[2:3]
	v_max_f64 v[8:9], v[4:5], v[4:5]
	;; [unrolled: 1-line block ×8, first 2 shown]
	s_waitcnt lgkmcnt(8)
	v_max_f64 v[34:35], v[34:35], v[34:35]
	v_max_f64 v[36:37], v[36:37], v[36:37]
	s_waitcnt lgkmcnt(7)
	v_max_f64 v[38:39], v[38:39], v[38:39]
	v_max_f64 v[40:41], v[40:41], v[40:41]
	;; [unrolled: 3-line block ×9, first 2 shown]
	ds_read2st64_b64 v[2:5], v70 offset1:4
.LBB146_57:                             ;   Parent Loop BB146_56 Depth=1
                                        ; =>  This Inner Loop Header: Depth=2
	v_mov_b32_e32 v86, s8
	s_waitcnt lgkmcnt(0)
	v_max_f64 v[137:138], v[2:3], v[2:3]
	v_mov_b32_e32 v2, v4
	v_mov_b32_e32 v3, v5
	s_and_b32 vcc_lo, exec_lo, s7
	s_clause 0x3e
	buffer_load_dword v70, v86, s[0:3], 0 offen
	buffer_load_dword v71, v86, s[0:3], 0 offen offset:4
	buffer_load_dword v72, v86, s[0:3], 0 offen offset:8
	;; [unrolled: 1-line block ×63, first 2 shown]
	s_mov_b32 s7, 0
	s_mov_b32 s8, s21
	v_min_f64 v[139:140], v[6:7], v[137:138]
	v_min_f64 v[141:142], v[8:9], v[137:138]
	;; [unrolled: 1-line block ×32, first 2 shown]
	s_waitcnt vmcnt(62)
	v_add_f64 v[70:71], v[139:140], v[70:71]
	s_waitcnt vmcnt(60)
	v_add_f64 v[72:73], v[141:142], v[72:73]
	;; [unrolled: 2-line block ×32, first 2 shown]
	buffer_store_dword v70, v86, s[0:3], 0 offen
	buffer_store_dword v71, v86, s[0:3], 0 offen offset:4
	buffer_store_dword v72, v86, s[0:3], 0 offen offset:8
	;; [unrolled: 1-line block ×63, first 2 shown]
	s_cbranch_vccnz .LBB146_57
; %bb.58:                               ;   in Loop: Header=BB146_56 Depth=1
	s_add_i32 s6, s6, 1
	s_cmp_eq_u32 s6, 4
	s_cbranch_scc0 .LBB146_56
; %bb.59:
	s_clause 0x2
	s_load_dword s43, s[4:5], 0x58
	s_load_dword s42, s[4:5], 0x70
	s_load_dwordx2 s[6:7], s[4:5], 0x78
	v_add_nc_u32_e32 v71, s20, v1
	v_add_nc_u32_e32 v0, s11, v0
	v_cndmask_b32_e64 v70, 0, 1, s46
	v_cmp_gt_i32_e64 s16, s41, v71
	v_cmp_gt_i32_e64 s4, s40, v0
	s_waitcnt lgkmcnt(0)
	v_mad_i64_i32 v[1:2], null, v71, s43, 0
	v_mad_i64_i32 v[3:4], null, v71, s42, 0
	s_lshl_b64 s[6:7], s[6:7], 3
	s_add_u32 s47, s14, s6
	s_addc_u32 s48, s15, s7
	v_lshlrev_b64 v[5:6], 3, v[1:2]
	v_ashrrev_i32_e32 v1, 31, v0
	v_lshlrev_b64 v[2:3], 3, v[3:4]
	s_and_b32 s6, s16, s4
	v_add_co_u32 v68, vcc_lo, s44, v5
	v_add_co_ci_u32_e64 v69, null, s45, v6, vcc_lo
	v_add_co_u32 v72, vcc_lo, s47, v2
	v_add_co_ci_u32_e64 v73, null, s48, v3, vcc_lo
	s_and_saveexec_b32 s5, s6
	s_cbranch_execz .LBB146_64
; %bb.60:
	s_clause 0x1
	buffer_load_dword v2, off, s[0:3], 0
	buffer_load_dword v3, off, s[0:3], 0 offset:4
	v_lshlrev_b64 v[4:5], 3, v[0:1]
	s_andn2_b32 vcc_lo, exec_lo, s46
	s_cbranch_vccnz .LBB146_62
; %bb.61:
	v_add_co_u32 v6, vcc_lo, v68, v4
	v_add_co_ci_u32_e64 v7, null, v69, v5, vcc_lo
	flat_load_dwordx2 v[6:7], v[6:7]
	s_waitcnt vmcnt(0) lgkmcnt(0)
	v_mul_f64 v[6:7], s[38:39], v[6:7]
	s_branch .LBB146_63
.LBB146_62:
	v_mov_b32_e32 v6, 0
	v_mov_b32_e32 v7, 0
.LBB146_63:
	s_waitcnt vmcnt(0)
	v_add_f64 v[2:3], v[2:3], v[6:7]
	v_add_co_u32 v4, vcc_lo, v72, v4
	v_add_co_ci_u32_e64 v5, null, v73, v5, vcc_lo
	flat_store_dwordx2 v[4:5], v[2:3]
.LBB146_64:
	s_or_b32 exec_lo, exec_lo, s5
	v_add_nc_u32_e32 v2, 4, v0
	v_cmp_gt_i32_e64 s5, s40, v2
	v_ashrrev_i32_e32 v3, 31, v2
	s_and_b32 s7, s16, s5
	s_and_saveexec_b32 s6, s7
	s_cbranch_execz .LBB146_69
; %bb.65:
	s_clause 0x1
	buffer_load_dword v4, off, s[0:3], 0 offset:8
	buffer_load_dword v5, off, s[0:3], 0 offset:12
	v_lshlrev_b64 v[6:7], 3, v[2:3]
	s_andn2_b32 vcc_lo, exec_lo, s46
	s_cbranch_vccnz .LBB146_67
; %bb.66:
	v_add_co_u32 v8, vcc_lo, v68, v6
	v_add_co_ci_u32_e64 v9, null, v69, v7, vcc_lo
	flat_load_dwordx2 v[8:9], v[8:9]
	s_waitcnt vmcnt(0) lgkmcnt(0)
	v_mul_f64 v[8:9], s[38:39], v[8:9]
	s_branch .LBB146_68
.LBB146_67:
	v_mov_b32_e32 v8, 0
	v_mov_b32_e32 v9, 0
.LBB146_68:
	s_waitcnt vmcnt(0)
	v_add_f64 v[4:5], v[4:5], v[8:9]
	v_add_co_u32 v6, vcc_lo, v72, v6
	v_add_co_ci_u32_e64 v7, null, v73, v7, vcc_lo
	flat_store_dwordx2 v[6:7], v[4:5]
.LBB146_69:
	s_or_b32 exec_lo, exec_lo, s6
	v_add_nc_u32_e32 v4, 8, v0
	v_cmp_gt_i32_e64 s6, s40, v4
	v_ashrrev_i32_e32 v5, 31, v4
	s_and_b32 s8, s16, s6
	s_and_saveexec_b32 s7, s8
	s_cbranch_execz .LBB146_74
; %bb.70:
	s_clause 0x1
	buffer_load_dword v6, off, s[0:3], 0 offset:16
	buffer_load_dword v7, off, s[0:3], 0 offset:20
	v_lshlrev_b64 v[8:9], 3, v[4:5]
	s_andn2_b32 vcc_lo, exec_lo, s46
	s_cbranch_vccnz .LBB146_72
; %bb.71:
	v_add_co_u32 v10, vcc_lo, v68, v8
	v_add_co_ci_u32_e64 v11, null, v69, v9, vcc_lo
	flat_load_dwordx2 v[10:11], v[10:11]
	s_waitcnt vmcnt(0) lgkmcnt(0)
	v_mul_f64 v[10:11], s[38:39], v[10:11]
	s_branch .LBB146_73
.LBB146_72:
	v_mov_b32_e32 v10, 0
	v_mov_b32_e32 v11, 0
.LBB146_73:
	s_waitcnt vmcnt(0)
	v_add_f64 v[6:7], v[6:7], v[10:11]
	v_add_co_u32 v8, vcc_lo, v72, v8
	v_add_co_ci_u32_e64 v9, null, v73, v9, vcc_lo
	flat_store_dwordx2 v[8:9], v[6:7]
.LBB146_74:
	;; [unrolled: 31-line block ×31, first 2 shown]
	s_or_b32 exec_lo, exec_lo, s16
	v_add_nc_u32_e32 v68, 64, v71
	v_mad_i64_i32 v[64:65], null, v68, s43, 0
	v_mad_i64_i32 v[66:67], null, v68, s42, 0
	v_cmp_gt_i32_e64 s16, s41, v68
	v_lshlrev_b64 v[64:65], 3, v[64:65]
	s_and_b32 s4, s16, s4
	v_lshlrev_b64 v[66:67], 3, v[66:67]
	v_add_co_u32 v71, vcc_lo, s44, v64
	v_add_co_ci_u32_e64 v72, null, s45, v65, vcc_lo
	v_add_co_u32 v68, vcc_lo, s47, v66
	v_add_co_ci_u32_e64 v69, null, s48, v67, vcc_lo
	s_and_saveexec_b32 s40, s4
	s_xor_b32 s4, exec_lo, s40
	s_cbranch_execnz .LBB146_252
; %bb.220:
	s_or_b32 exec_lo, exec_lo, s4
	s_and_b32 s5, s16, s5
	s_and_saveexec_b32 s4, s5
	s_cbranch_execnz .LBB146_256
.LBB146_221:
	s_or_b32 exec_lo, exec_lo, s4
	s_and_b32 s5, s16, s6
	s_and_saveexec_b32 s4, s5
	s_cbranch_execnz .LBB146_260
.LBB146_222:
	s_or_b32 exec_lo, exec_lo, s4
	s_and_b32 s5, s16, s7
	s_and_saveexec_b32 s4, s5
	s_cbranch_execnz .LBB146_264
.LBB146_223:
	s_or_b32 exec_lo, exec_lo, s4
	s_and_b32 s5, s16, s8
	s_and_saveexec_b32 s4, s5
	s_cbranch_execnz .LBB146_268
.LBB146_224:
	s_or_b32 exec_lo, exec_lo, s4
	s_and_b32 s5, s16, s9
	s_and_saveexec_b32 s4, s5
	s_cbranch_execnz .LBB146_272
.LBB146_225:
	s_or_b32 exec_lo, exec_lo, s4
	s_and_b32 s5, s16, s10
	s_and_saveexec_b32 s4, s5
	s_cbranch_execnz .LBB146_276
.LBB146_226:
	s_or_b32 exec_lo, exec_lo, s4
	s_and_b32 s5, s16, s11
	s_and_saveexec_b32 s4, s5
	s_cbranch_execnz .LBB146_280
.LBB146_227:
	s_or_b32 exec_lo, exec_lo, s4
	s_and_b32 s5, s16, s12
	s_and_saveexec_b32 s4, s5
	s_cbranch_execnz .LBB146_284
.LBB146_228:
	s_or_b32 exec_lo, exec_lo, s4
	s_and_b32 s5, s16, s13
	s_and_saveexec_b32 s4, s5
	s_cbranch_execnz .LBB146_288
.LBB146_229:
	s_or_b32 exec_lo, exec_lo, s4
	s_and_b32 s5, s16, s14
	s_and_saveexec_b32 s4, s5
	s_cbranch_execnz .LBB146_292
.LBB146_230:
	s_or_b32 exec_lo, exec_lo, s4
	s_and_b32 s5, s16, s15
	s_and_saveexec_b32 s4, s5
	s_cbranch_execnz .LBB146_296
.LBB146_231:
	s_or_b32 exec_lo, exec_lo, s4
	s_and_b32 s5, s16, s17
	s_and_saveexec_b32 s4, s5
	s_cbranch_execnz .LBB146_300
.LBB146_232:
	s_or_b32 exec_lo, exec_lo, s4
	s_and_b32 s5, s16, s18
	s_and_saveexec_b32 s4, s5
	s_cbranch_execnz .LBB146_304
.LBB146_233:
	s_or_b32 exec_lo, exec_lo, s4
	s_and_b32 s5, s16, s19
	s_and_saveexec_b32 s4, s5
	s_cbranch_execnz .LBB146_308
.LBB146_234:
	s_or_b32 exec_lo, exec_lo, s4
	s_and_b32 s5, s16, s20
	s_and_saveexec_b32 s4, s5
	s_cbranch_execnz .LBB146_312
.LBB146_235:
	s_or_b32 exec_lo, exec_lo, s4
	s_and_b32 s5, s16, s21
	s_and_saveexec_b32 s4, s5
	s_cbranch_execnz .LBB146_316
.LBB146_236:
	s_or_b32 exec_lo, exec_lo, s4
	s_and_b32 s5, s16, s22
	s_and_saveexec_b32 s4, s5
	s_cbranch_execnz .LBB146_320
.LBB146_237:
	s_or_b32 exec_lo, exec_lo, s4
	s_and_b32 s5, s16, s23
	s_and_saveexec_b32 s4, s5
	s_cbranch_execnz .LBB146_324
.LBB146_238:
	s_or_b32 exec_lo, exec_lo, s4
	s_and_b32 s5, s16, s24
	s_and_saveexec_b32 s4, s5
	s_cbranch_execnz .LBB146_328
.LBB146_239:
	s_or_b32 exec_lo, exec_lo, s4
	s_and_b32 s5, s16, s25
	s_and_saveexec_b32 s4, s5
	s_cbranch_execnz .LBB146_332
.LBB146_240:
	s_or_b32 exec_lo, exec_lo, s4
	s_and_b32 s5, s16, s26
	s_and_saveexec_b32 s4, s5
	s_cbranch_execnz .LBB146_336
.LBB146_241:
	s_or_b32 exec_lo, exec_lo, s4
	s_and_b32 s5, s16, s27
	s_and_saveexec_b32 s4, s5
	s_cbranch_execnz .LBB146_340
.LBB146_242:
	s_or_b32 exec_lo, exec_lo, s4
	s_and_b32 s5, s16, s28
	s_and_saveexec_b32 s4, s5
	s_cbranch_execnz .LBB146_344
.LBB146_243:
	s_or_b32 exec_lo, exec_lo, s4
	s_and_b32 s5, s16, s29
	s_and_saveexec_b32 s4, s5
	s_cbranch_execnz .LBB146_348
.LBB146_244:
	s_or_b32 exec_lo, exec_lo, s4
	s_and_b32 s5, s16, s30
	s_and_saveexec_b32 s4, s5
	s_cbranch_execnz .LBB146_352
.LBB146_245:
	s_or_b32 exec_lo, exec_lo, s4
	s_and_b32 s5, s16, s31
	s_and_saveexec_b32 s4, s5
	s_cbranch_execnz .LBB146_356
.LBB146_246:
	s_or_b32 exec_lo, exec_lo, s4
	s_and_b32 s5, s16, s33
	s_and_saveexec_b32 s4, s5
	s_cbranch_execnz .LBB146_360
.LBB146_247:
	s_or_b32 exec_lo, exec_lo, s4
	s_and_b32 s5, s16, s34
	s_and_saveexec_b32 s4, s5
	s_cbranch_execnz .LBB146_364
.LBB146_248:
	s_or_b32 exec_lo, exec_lo, s4
	s_and_b32 s5, s16, s35
	s_and_saveexec_b32 s4, s5
	s_cbranch_execnz .LBB146_368
.LBB146_249:
	s_or_b32 exec_lo, exec_lo, s4
	s_and_b32 s5, s16, s36
	s_and_saveexec_b32 s4, s5
	s_cbranch_execnz .LBB146_372
.LBB146_250:
	s_or_b32 exec_lo, exec_lo, s4
	s_and_b32 s4, s16, s37
	s_and_saveexec_b32 s5, s4
	s_cbranch_execnz .LBB146_376
.LBB146_251:
	s_endpgm
.LBB146_252:
	s_clause 0x1
	buffer_load_dword v64, off, s[0:3], 0 offset:256
	buffer_load_dword v65, off, s[0:3], 0 offset:260
	v_lshlrev_b64 v[0:1], 3, v[0:1]
	s_andn2_b32 vcc_lo, exec_lo, s46
	s_cbranch_vccnz .LBB146_254
; %bb.253:
	v_add_co_u32 v66, vcc_lo, v71, v0
	v_add_co_ci_u32_e64 v67, null, v72, v1, vcc_lo
	flat_load_dwordx2 v[66:67], v[66:67]
	s_waitcnt vmcnt(0) lgkmcnt(0)
	v_mul_f64 v[66:67], s[38:39], v[66:67]
	s_branch .LBB146_255
.LBB146_254:
	v_mov_b32_e32 v66, 0
	v_mov_b32_e32 v67, 0
.LBB146_255:
	s_waitcnt vmcnt(0)
	v_add_f64 v[64:65], v[64:65], v[66:67]
	v_add_co_u32 v0, vcc_lo, v68, v0
	v_add_co_ci_u32_e64 v1, null, v69, v1, vcc_lo
	flat_store_dwordx2 v[0:1], v[64:65]
	s_or_b32 exec_lo, exec_lo, s4
	s_and_b32 s5, s16, s5
	s_and_saveexec_b32 s4, s5
	s_cbranch_execz .LBB146_221
.LBB146_256:
	s_clause 0x1
	buffer_load_dword v0, off, s[0:3], 0 offset:264
	buffer_load_dword v1, off, s[0:3], 0 offset:268
	v_cmp_ne_u32_e32 vcc_lo, 1, v70
	v_lshlrev_b64 v[2:3], 3, v[2:3]
	s_cbranch_vccnz .LBB146_258
; %bb.257:
	v_add_co_u32 v64, vcc_lo, v71, v2
	v_add_co_ci_u32_e64 v65, null, v72, v3, vcc_lo
	flat_load_dwordx2 v[64:65], v[64:65]
	s_waitcnt vmcnt(0) lgkmcnt(0)
	v_mul_f64 v[64:65], s[38:39], v[64:65]
	s_branch .LBB146_259
.LBB146_258:
	v_mov_b32_e32 v64, 0
	v_mov_b32_e32 v65, 0
.LBB146_259:
	s_waitcnt vmcnt(0)
	v_add_f64 v[0:1], v[0:1], v[64:65]
	v_add_co_u32 v2, vcc_lo, v68, v2
	v_add_co_ci_u32_e64 v3, null, v69, v3, vcc_lo
	flat_store_dwordx2 v[2:3], v[0:1]
	s_or_b32 exec_lo, exec_lo, s4
	s_and_b32 s5, s16, s6
	s_and_saveexec_b32 s4, s5
	s_cbranch_execz .LBB146_222
.LBB146_260:
	s_clause 0x1
	buffer_load_dword v0, off, s[0:3], 0 offset:272
	buffer_load_dword v1, off, s[0:3], 0 offset:276
	v_cmp_ne_u32_e32 vcc_lo, 1, v70
	v_lshlrev_b64 v[2:3], 3, v[4:5]
	s_cbranch_vccnz .LBB146_262
; %bb.261:
	v_add_co_u32 v4, vcc_lo, v71, v2
	v_add_co_ci_u32_e64 v5, null, v72, v3, vcc_lo
	flat_load_dwordx2 v[4:5], v[4:5]
	s_waitcnt vmcnt(0) lgkmcnt(0)
	v_mul_f64 v[4:5], s[38:39], v[4:5]
	s_branch .LBB146_263
.LBB146_262:
	v_mov_b32_e32 v4, 0
	v_mov_b32_e32 v5, 0
.LBB146_263:
	s_waitcnt vmcnt(0)
	v_add_f64 v[0:1], v[0:1], v[4:5]
	v_add_co_u32 v2, vcc_lo, v68, v2
	v_add_co_ci_u32_e64 v3, null, v69, v3, vcc_lo
	flat_store_dwordx2 v[2:3], v[0:1]
	s_or_b32 exec_lo, exec_lo, s4
	s_and_b32 s5, s16, s7
	s_and_saveexec_b32 s4, s5
	s_cbranch_execz .LBB146_223
.LBB146_264:
	s_clause 0x1
	buffer_load_dword v0, off, s[0:3], 0 offset:280
	buffer_load_dword v1, off, s[0:3], 0 offset:284
	v_cmp_ne_u32_e32 vcc_lo, 1, v70
	v_lshlrev_b64 v[2:3], 3, v[6:7]
	s_cbranch_vccnz .LBB146_266
; %bb.265:
	v_add_co_u32 v4, vcc_lo, v71, v2
	v_add_co_ci_u32_e64 v5, null, v72, v3, vcc_lo
	flat_load_dwordx2 v[4:5], v[4:5]
	s_waitcnt vmcnt(0) lgkmcnt(0)
	v_mul_f64 v[4:5], s[38:39], v[4:5]
	s_branch .LBB146_267
.LBB146_266:
	v_mov_b32_e32 v4, 0
	v_mov_b32_e32 v5, 0
.LBB146_267:
	s_waitcnt vmcnt(0)
	v_add_f64 v[0:1], v[0:1], v[4:5]
	v_add_co_u32 v2, vcc_lo, v68, v2
	v_add_co_ci_u32_e64 v3, null, v69, v3, vcc_lo
	flat_store_dwordx2 v[2:3], v[0:1]
	s_or_b32 exec_lo, exec_lo, s4
	s_and_b32 s5, s16, s8
	s_and_saveexec_b32 s4, s5
	s_cbranch_execz .LBB146_224
.LBB146_268:
	s_clause 0x1
	buffer_load_dword v0, off, s[0:3], 0 offset:288
	buffer_load_dword v1, off, s[0:3], 0 offset:292
	v_cmp_ne_u32_e32 vcc_lo, 1, v70
	v_lshlrev_b64 v[2:3], 3, v[8:9]
	s_cbranch_vccnz .LBB146_270
; %bb.269:
	v_add_co_u32 v4, vcc_lo, v71, v2
	v_add_co_ci_u32_e64 v5, null, v72, v3, vcc_lo
	flat_load_dwordx2 v[4:5], v[4:5]
	s_waitcnt vmcnt(0) lgkmcnt(0)
	v_mul_f64 v[4:5], s[38:39], v[4:5]
	s_branch .LBB146_271
.LBB146_270:
	v_mov_b32_e32 v4, 0
	v_mov_b32_e32 v5, 0
.LBB146_271:
	s_waitcnt vmcnt(0)
	v_add_f64 v[0:1], v[0:1], v[4:5]
	v_add_co_u32 v2, vcc_lo, v68, v2
	v_add_co_ci_u32_e64 v3, null, v69, v3, vcc_lo
	flat_store_dwordx2 v[2:3], v[0:1]
	s_or_b32 exec_lo, exec_lo, s4
	s_and_b32 s5, s16, s9
	s_and_saveexec_b32 s4, s5
	s_cbranch_execz .LBB146_225
.LBB146_272:
	s_clause 0x1
	buffer_load_dword v0, off, s[0:3], 0 offset:296
	buffer_load_dword v1, off, s[0:3], 0 offset:300
	v_cmp_ne_u32_e32 vcc_lo, 1, v70
	v_lshlrev_b64 v[2:3], 3, v[10:11]
	s_cbranch_vccnz .LBB146_274
; %bb.273:
	v_add_co_u32 v4, vcc_lo, v71, v2
	v_add_co_ci_u32_e64 v5, null, v72, v3, vcc_lo
	flat_load_dwordx2 v[4:5], v[4:5]
	s_waitcnt vmcnt(0) lgkmcnt(0)
	v_mul_f64 v[4:5], s[38:39], v[4:5]
	s_branch .LBB146_275
.LBB146_274:
	v_mov_b32_e32 v4, 0
	v_mov_b32_e32 v5, 0
.LBB146_275:
	s_waitcnt vmcnt(0)
	v_add_f64 v[0:1], v[0:1], v[4:5]
	v_add_co_u32 v2, vcc_lo, v68, v2
	v_add_co_ci_u32_e64 v3, null, v69, v3, vcc_lo
	flat_store_dwordx2 v[2:3], v[0:1]
	s_or_b32 exec_lo, exec_lo, s4
	s_and_b32 s5, s16, s10
	s_and_saveexec_b32 s4, s5
	s_cbranch_execz .LBB146_226
.LBB146_276:
	s_clause 0x1
	buffer_load_dword v0, off, s[0:3], 0 offset:304
	buffer_load_dword v1, off, s[0:3], 0 offset:308
	v_cmp_ne_u32_e32 vcc_lo, 1, v70
	v_lshlrev_b64 v[2:3], 3, v[12:13]
	s_cbranch_vccnz .LBB146_278
; %bb.277:
	v_add_co_u32 v4, vcc_lo, v71, v2
	v_add_co_ci_u32_e64 v5, null, v72, v3, vcc_lo
	flat_load_dwordx2 v[4:5], v[4:5]
	s_waitcnt vmcnt(0) lgkmcnt(0)
	v_mul_f64 v[4:5], s[38:39], v[4:5]
	s_branch .LBB146_279
.LBB146_278:
	v_mov_b32_e32 v4, 0
	v_mov_b32_e32 v5, 0
.LBB146_279:
	s_waitcnt vmcnt(0)
	v_add_f64 v[0:1], v[0:1], v[4:5]
	v_add_co_u32 v2, vcc_lo, v68, v2
	v_add_co_ci_u32_e64 v3, null, v69, v3, vcc_lo
	flat_store_dwordx2 v[2:3], v[0:1]
	s_or_b32 exec_lo, exec_lo, s4
	s_and_b32 s5, s16, s11
	s_and_saveexec_b32 s4, s5
	s_cbranch_execz .LBB146_227
.LBB146_280:
	s_clause 0x1
	buffer_load_dword v0, off, s[0:3], 0 offset:312
	buffer_load_dword v1, off, s[0:3], 0 offset:316
	v_cmp_ne_u32_e32 vcc_lo, 1, v70
	v_lshlrev_b64 v[2:3], 3, v[14:15]
	s_cbranch_vccnz .LBB146_282
; %bb.281:
	v_add_co_u32 v4, vcc_lo, v71, v2
	v_add_co_ci_u32_e64 v5, null, v72, v3, vcc_lo
	flat_load_dwordx2 v[4:5], v[4:5]
	s_waitcnt vmcnt(0) lgkmcnt(0)
	v_mul_f64 v[4:5], s[38:39], v[4:5]
	s_branch .LBB146_283
.LBB146_282:
	v_mov_b32_e32 v4, 0
	v_mov_b32_e32 v5, 0
.LBB146_283:
	s_waitcnt vmcnt(0)
	v_add_f64 v[0:1], v[0:1], v[4:5]
	v_add_co_u32 v2, vcc_lo, v68, v2
	v_add_co_ci_u32_e64 v3, null, v69, v3, vcc_lo
	flat_store_dwordx2 v[2:3], v[0:1]
	s_or_b32 exec_lo, exec_lo, s4
	s_and_b32 s5, s16, s12
	s_and_saveexec_b32 s4, s5
	s_cbranch_execz .LBB146_228
.LBB146_284:
	s_clause 0x1
	buffer_load_dword v0, off, s[0:3], 0 offset:320
	buffer_load_dword v1, off, s[0:3], 0 offset:324
	v_cmp_ne_u32_e32 vcc_lo, 1, v70
	v_lshlrev_b64 v[2:3], 3, v[16:17]
	s_cbranch_vccnz .LBB146_286
; %bb.285:
	v_add_co_u32 v4, vcc_lo, v71, v2
	v_add_co_ci_u32_e64 v5, null, v72, v3, vcc_lo
	flat_load_dwordx2 v[4:5], v[4:5]
	s_waitcnt vmcnt(0) lgkmcnt(0)
	v_mul_f64 v[4:5], s[38:39], v[4:5]
	s_branch .LBB146_287
.LBB146_286:
	v_mov_b32_e32 v4, 0
	v_mov_b32_e32 v5, 0
.LBB146_287:
	s_waitcnt vmcnt(0)
	v_add_f64 v[0:1], v[0:1], v[4:5]
	v_add_co_u32 v2, vcc_lo, v68, v2
	v_add_co_ci_u32_e64 v3, null, v69, v3, vcc_lo
	flat_store_dwordx2 v[2:3], v[0:1]
	s_or_b32 exec_lo, exec_lo, s4
	s_and_b32 s5, s16, s13
	s_and_saveexec_b32 s4, s5
	s_cbranch_execz .LBB146_229
.LBB146_288:
	s_clause 0x1
	buffer_load_dword v0, off, s[0:3], 0 offset:328
	buffer_load_dword v1, off, s[0:3], 0 offset:332
	v_cmp_ne_u32_e32 vcc_lo, 1, v70
	v_lshlrev_b64 v[2:3], 3, v[18:19]
	s_cbranch_vccnz .LBB146_290
; %bb.289:
	v_add_co_u32 v4, vcc_lo, v71, v2
	v_add_co_ci_u32_e64 v5, null, v72, v3, vcc_lo
	flat_load_dwordx2 v[4:5], v[4:5]
	s_waitcnt vmcnt(0) lgkmcnt(0)
	v_mul_f64 v[4:5], s[38:39], v[4:5]
	s_branch .LBB146_291
.LBB146_290:
	v_mov_b32_e32 v4, 0
	v_mov_b32_e32 v5, 0
.LBB146_291:
	s_waitcnt vmcnt(0)
	v_add_f64 v[0:1], v[0:1], v[4:5]
	v_add_co_u32 v2, vcc_lo, v68, v2
	v_add_co_ci_u32_e64 v3, null, v69, v3, vcc_lo
	flat_store_dwordx2 v[2:3], v[0:1]
	s_or_b32 exec_lo, exec_lo, s4
	s_and_b32 s5, s16, s14
	s_and_saveexec_b32 s4, s5
	s_cbranch_execz .LBB146_230
.LBB146_292:
	s_clause 0x1
	buffer_load_dword v0, off, s[0:3], 0 offset:336
	buffer_load_dword v1, off, s[0:3], 0 offset:340
	v_cmp_ne_u32_e32 vcc_lo, 1, v70
	v_lshlrev_b64 v[2:3], 3, v[20:21]
	s_cbranch_vccnz .LBB146_294
; %bb.293:
	v_add_co_u32 v4, vcc_lo, v71, v2
	v_add_co_ci_u32_e64 v5, null, v72, v3, vcc_lo
	flat_load_dwordx2 v[4:5], v[4:5]
	s_waitcnt vmcnt(0) lgkmcnt(0)
	v_mul_f64 v[4:5], s[38:39], v[4:5]
	s_branch .LBB146_295
.LBB146_294:
	v_mov_b32_e32 v4, 0
	v_mov_b32_e32 v5, 0
.LBB146_295:
	s_waitcnt vmcnt(0)
	v_add_f64 v[0:1], v[0:1], v[4:5]
	v_add_co_u32 v2, vcc_lo, v68, v2
	v_add_co_ci_u32_e64 v3, null, v69, v3, vcc_lo
	flat_store_dwordx2 v[2:3], v[0:1]
	s_or_b32 exec_lo, exec_lo, s4
	s_and_b32 s5, s16, s15
	s_and_saveexec_b32 s4, s5
	s_cbranch_execz .LBB146_231
.LBB146_296:
	s_clause 0x1
	buffer_load_dword v0, off, s[0:3], 0 offset:344
	buffer_load_dword v1, off, s[0:3], 0 offset:348
	v_cmp_ne_u32_e32 vcc_lo, 1, v70
	v_lshlrev_b64 v[2:3], 3, v[22:23]
	s_cbranch_vccnz .LBB146_298
; %bb.297:
	v_add_co_u32 v4, vcc_lo, v71, v2
	v_add_co_ci_u32_e64 v5, null, v72, v3, vcc_lo
	flat_load_dwordx2 v[4:5], v[4:5]
	s_waitcnt vmcnt(0) lgkmcnt(0)
	v_mul_f64 v[4:5], s[38:39], v[4:5]
	s_branch .LBB146_299
.LBB146_298:
	v_mov_b32_e32 v4, 0
	v_mov_b32_e32 v5, 0
.LBB146_299:
	s_waitcnt vmcnt(0)
	v_add_f64 v[0:1], v[0:1], v[4:5]
	v_add_co_u32 v2, vcc_lo, v68, v2
	v_add_co_ci_u32_e64 v3, null, v69, v3, vcc_lo
	flat_store_dwordx2 v[2:3], v[0:1]
	s_or_b32 exec_lo, exec_lo, s4
	s_and_b32 s5, s16, s17
	s_and_saveexec_b32 s4, s5
	s_cbranch_execz .LBB146_232
.LBB146_300:
	s_clause 0x1
	buffer_load_dword v0, off, s[0:3], 0 offset:352
	buffer_load_dword v1, off, s[0:3], 0 offset:356
	v_cmp_ne_u32_e32 vcc_lo, 1, v70
	v_lshlrev_b64 v[2:3], 3, v[24:25]
	s_cbranch_vccnz .LBB146_302
; %bb.301:
	v_add_co_u32 v4, vcc_lo, v71, v2
	v_add_co_ci_u32_e64 v5, null, v72, v3, vcc_lo
	flat_load_dwordx2 v[4:5], v[4:5]
	s_waitcnt vmcnt(0) lgkmcnt(0)
	v_mul_f64 v[4:5], s[38:39], v[4:5]
	s_branch .LBB146_303
.LBB146_302:
	v_mov_b32_e32 v4, 0
	v_mov_b32_e32 v5, 0
.LBB146_303:
	s_waitcnt vmcnt(0)
	v_add_f64 v[0:1], v[0:1], v[4:5]
	v_add_co_u32 v2, vcc_lo, v68, v2
	v_add_co_ci_u32_e64 v3, null, v69, v3, vcc_lo
	flat_store_dwordx2 v[2:3], v[0:1]
	s_or_b32 exec_lo, exec_lo, s4
	s_and_b32 s5, s16, s18
	s_and_saveexec_b32 s4, s5
	s_cbranch_execz .LBB146_233
.LBB146_304:
	s_clause 0x1
	buffer_load_dword v0, off, s[0:3], 0 offset:360
	buffer_load_dword v1, off, s[0:3], 0 offset:364
	v_cmp_ne_u32_e32 vcc_lo, 1, v70
	v_lshlrev_b64 v[2:3], 3, v[26:27]
	s_cbranch_vccnz .LBB146_306
; %bb.305:
	v_add_co_u32 v4, vcc_lo, v71, v2
	v_add_co_ci_u32_e64 v5, null, v72, v3, vcc_lo
	flat_load_dwordx2 v[4:5], v[4:5]
	s_waitcnt vmcnt(0) lgkmcnt(0)
	v_mul_f64 v[4:5], s[38:39], v[4:5]
	s_branch .LBB146_307
.LBB146_306:
	v_mov_b32_e32 v4, 0
	v_mov_b32_e32 v5, 0
.LBB146_307:
	s_waitcnt vmcnt(0)
	v_add_f64 v[0:1], v[0:1], v[4:5]
	v_add_co_u32 v2, vcc_lo, v68, v2
	v_add_co_ci_u32_e64 v3, null, v69, v3, vcc_lo
	flat_store_dwordx2 v[2:3], v[0:1]
	s_or_b32 exec_lo, exec_lo, s4
	s_and_b32 s5, s16, s19
	s_and_saveexec_b32 s4, s5
	s_cbranch_execz .LBB146_234
.LBB146_308:
	s_clause 0x1
	buffer_load_dword v0, off, s[0:3], 0 offset:368
	buffer_load_dword v1, off, s[0:3], 0 offset:372
	v_cmp_ne_u32_e32 vcc_lo, 1, v70
	v_lshlrev_b64 v[2:3], 3, v[28:29]
	s_cbranch_vccnz .LBB146_310
; %bb.309:
	v_add_co_u32 v4, vcc_lo, v71, v2
	v_add_co_ci_u32_e64 v5, null, v72, v3, vcc_lo
	flat_load_dwordx2 v[4:5], v[4:5]
	s_waitcnt vmcnt(0) lgkmcnt(0)
	v_mul_f64 v[4:5], s[38:39], v[4:5]
	s_branch .LBB146_311
.LBB146_310:
	v_mov_b32_e32 v4, 0
	v_mov_b32_e32 v5, 0
.LBB146_311:
	s_waitcnt vmcnt(0)
	v_add_f64 v[0:1], v[0:1], v[4:5]
	v_add_co_u32 v2, vcc_lo, v68, v2
	v_add_co_ci_u32_e64 v3, null, v69, v3, vcc_lo
	flat_store_dwordx2 v[2:3], v[0:1]
	s_or_b32 exec_lo, exec_lo, s4
	s_and_b32 s5, s16, s20
	s_and_saveexec_b32 s4, s5
	s_cbranch_execz .LBB146_235
.LBB146_312:
	s_clause 0x1
	buffer_load_dword v0, off, s[0:3], 0 offset:376
	buffer_load_dword v1, off, s[0:3], 0 offset:380
	v_cmp_ne_u32_e32 vcc_lo, 1, v70
	v_lshlrev_b64 v[2:3], 3, v[30:31]
	s_cbranch_vccnz .LBB146_314
; %bb.313:
	v_add_co_u32 v4, vcc_lo, v71, v2
	v_add_co_ci_u32_e64 v5, null, v72, v3, vcc_lo
	flat_load_dwordx2 v[4:5], v[4:5]
	s_waitcnt vmcnt(0) lgkmcnt(0)
	v_mul_f64 v[4:5], s[38:39], v[4:5]
	s_branch .LBB146_315
.LBB146_314:
	v_mov_b32_e32 v4, 0
	v_mov_b32_e32 v5, 0
.LBB146_315:
	s_waitcnt vmcnt(0)
	v_add_f64 v[0:1], v[0:1], v[4:5]
	v_add_co_u32 v2, vcc_lo, v68, v2
	v_add_co_ci_u32_e64 v3, null, v69, v3, vcc_lo
	flat_store_dwordx2 v[2:3], v[0:1]
	s_or_b32 exec_lo, exec_lo, s4
	s_and_b32 s5, s16, s21
	s_and_saveexec_b32 s4, s5
	s_cbranch_execz .LBB146_236
.LBB146_316:
	s_clause 0x1
	buffer_load_dword v0, off, s[0:3], 0 offset:384
	buffer_load_dword v1, off, s[0:3], 0 offset:388
	v_cmp_ne_u32_e32 vcc_lo, 1, v70
	v_lshlrev_b64 v[2:3], 3, v[32:33]
	s_cbranch_vccnz .LBB146_318
; %bb.317:
	v_add_co_u32 v4, vcc_lo, v71, v2
	v_add_co_ci_u32_e64 v5, null, v72, v3, vcc_lo
	flat_load_dwordx2 v[4:5], v[4:5]
	s_waitcnt vmcnt(0) lgkmcnt(0)
	v_mul_f64 v[4:5], s[38:39], v[4:5]
	s_branch .LBB146_319
.LBB146_318:
	v_mov_b32_e32 v4, 0
	v_mov_b32_e32 v5, 0
.LBB146_319:
	s_waitcnt vmcnt(0)
	v_add_f64 v[0:1], v[0:1], v[4:5]
	v_add_co_u32 v2, vcc_lo, v68, v2
	v_add_co_ci_u32_e64 v3, null, v69, v3, vcc_lo
	flat_store_dwordx2 v[2:3], v[0:1]
	s_or_b32 exec_lo, exec_lo, s4
	s_and_b32 s5, s16, s22
	s_and_saveexec_b32 s4, s5
	s_cbranch_execz .LBB146_237
.LBB146_320:
	s_clause 0x1
	buffer_load_dword v0, off, s[0:3], 0 offset:392
	buffer_load_dword v1, off, s[0:3], 0 offset:396
	v_cmp_ne_u32_e32 vcc_lo, 1, v70
	v_lshlrev_b64 v[2:3], 3, v[34:35]
	s_cbranch_vccnz .LBB146_322
; %bb.321:
	v_add_co_u32 v4, vcc_lo, v71, v2
	v_add_co_ci_u32_e64 v5, null, v72, v3, vcc_lo
	flat_load_dwordx2 v[4:5], v[4:5]
	s_waitcnt vmcnt(0) lgkmcnt(0)
	v_mul_f64 v[4:5], s[38:39], v[4:5]
	s_branch .LBB146_323
.LBB146_322:
	v_mov_b32_e32 v4, 0
	v_mov_b32_e32 v5, 0
.LBB146_323:
	s_waitcnt vmcnt(0)
	v_add_f64 v[0:1], v[0:1], v[4:5]
	v_add_co_u32 v2, vcc_lo, v68, v2
	v_add_co_ci_u32_e64 v3, null, v69, v3, vcc_lo
	flat_store_dwordx2 v[2:3], v[0:1]
	s_or_b32 exec_lo, exec_lo, s4
	s_and_b32 s5, s16, s23
	s_and_saveexec_b32 s4, s5
	s_cbranch_execz .LBB146_238
.LBB146_324:
	s_clause 0x1
	buffer_load_dword v0, off, s[0:3], 0 offset:400
	buffer_load_dword v1, off, s[0:3], 0 offset:404
	v_cmp_ne_u32_e32 vcc_lo, 1, v70
	v_lshlrev_b64 v[2:3], 3, v[36:37]
	s_cbranch_vccnz .LBB146_326
; %bb.325:
	v_add_co_u32 v4, vcc_lo, v71, v2
	v_add_co_ci_u32_e64 v5, null, v72, v3, vcc_lo
	flat_load_dwordx2 v[4:5], v[4:5]
	s_waitcnt vmcnt(0) lgkmcnt(0)
	v_mul_f64 v[4:5], s[38:39], v[4:5]
	s_branch .LBB146_327
.LBB146_326:
	v_mov_b32_e32 v4, 0
	v_mov_b32_e32 v5, 0
.LBB146_327:
	s_waitcnt vmcnt(0)
	v_add_f64 v[0:1], v[0:1], v[4:5]
	v_add_co_u32 v2, vcc_lo, v68, v2
	v_add_co_ci_u32_e64 v3, null, v69, v3, vcc_lo
	flat_store_dwordx2 v[2:3], v[0:1]
	s_or_b32 exec_lo, exec_lo, s4
	s_and_b32 s5, s16, s24
	s_and_saveexec_b32 s4, s5
	s_cbranch_execz .LBB146_239
.LBB146_328:
	s_clause 0x1
	buffer_load_dword v0, off, s[0:3], 0 offset:408
	buffer_load_dword v1, off, s[0:3], 0 offset:412
	v_cmp_ne_u32_e32 vcc_lo, 1, v70
	v_lshlrev_b64 v[2:3], 3, v[38:39]
	s_cbranch_vccnz .LBB146_330
; %bb.329:
	v_add_co_u32 v4, vcc_lo, v71, v2
	v_add_co_ci_u32_e64 v5, null, v72, v3, vcc_lo
	flat_load_dwordx2 v[4:5], v[4:5]
	s_waitcnt vmcnt(0) lgkmcnt(0)
	v_mul_f64 v[4:5], s[38:39], v[4:5]
	s_branch .LBB146_331
.LBB146_330:
	v_mov_b32_e32 v4, 0
	v_mov_b32_e32 v5, 0
.LBB146_331:
	s_waitcnt vmcnt(0)
	v_add_f64 v[0:1], v[0:1], v[4:5]
	v_add_co_u32 v2, vcc_lo, v68, v2
	v_add_co_ci_u32_e64 v3, null, v69, v3, vcc_lo
	flat_store_dwordx2 v[2:3], v[0:1]
	s_or_b32 exec_lo, exec_lo, s4
	s_and_b32 s5, s16, s25
	s_and_saveexec_b32 s4, s5
	s_cbranch_execz .LBB146_240
.LBB146_332:
	s_clause 0x1
	buffer_load_dword v0, off, s[0:3], 0 offset:416
	buffer_load_dword v1, off, s[0:3], 0 offset:420
	v_cmp_ne_u32_e32 vcc_lo, 1, v70
	v_lshlrev_b64 v[2:3], 3, v[40:41]
	s_cbranch_vccnz .LBB146_334
; %bb.333:
	v_add_co_u32 v4, vcc_lo, v71, v2
	v_add_co_ci_u32_e64 v5, null, v72, v3, vcc_lo
	flat_load_dwordx2 v[4:5], v[4:5]
	s_waitcnt vmcnt(0) lgkmcnt(0)
	v_mul_f64 v[4:5], s[38:39], v[4:5]
	s_branch .LBB146_335
.LBB146_334:
	v_mov_b32_e32 v4, 0
	v_mov_b32_e32 v5, 0
.LBB146_335:
	s_waitcnt vmcnt(0)
	v_add_f64 v[0:1], v[0:1], v[4:5]
	v_add_co_u32 v2, vcc_lo, v68, v2
	v_add_co_ci_u32_e64 v3, null, v69, v3, vcc_lo
	flat_store_dwordx2 v[2:3], v[0:1]
	s_or_b32 exec_lo, exec_lo, s4
	s_and_b32 s5, s16, s26
	s_and_saveexec_b32 s4, s5
	s_cbranch_execz .LBB146_241
.LBB146_336:
	s_clause 0x1
	buffer_load_dword v0, off, s[0:3], 0 offset:424
	buffer_load_dword v1, off, s[0:3], 0 offset:428
	v_cmp_ne_u32_e32 vcc_lo, 1, v70
	v_lshlrev_b64 v[2:3], 3, v[42:43]
	s_cbranch_vccnz .LBB146_338
; %bb.337:
	v_add_co_u32 v4, vcc_lo, v71, v2
	v_add_co_ci_u32_e64 v5, null, v72, v3, vcc_lo
	flat_load_dwordx2 v[4:5], v[4:5]
	s_waitcnt vmcnt(0) lgkmcnt(0)
	v_mul_f64 v[4:5], s[38:39], v[4:5]
	s_branch .LBB146_339
.LBB146_338:
	v_mov_b32_e32 v4, 0
	v_mov_b32_e32 v5, 0
.LBB146_339:
	s_waitcnt vmcnt(0)
	v_add_f64 v[0:1], v[0:1], v[4:5]
	v_add_co_u32 v2, vcc_lo, v68, v2
	v_add_co_ci_u32_e64 v3, null, v69, v3, vcc_lo
	flat_store_dwordx2 v[2:3], v[0:1]
	s_or_b32 exec_lo, exec_lo, s4
	s_and_b32 s5, s16, s27
	s_and_saveexec_b32 s4, s5
	s_cbranch_execz .LBB146_242
.LBB146_340:
	s_clause 0x1
	buffer_load_dword v0, off, s[0:3], 0 offset:432
	buffer_load_dword v1, off, s[0:3], 0 offset:436
	v_cmp_ne_u32_e32 vcc_lo, 1, v70
	v_lshlrev_b64 v[2:3], 3, v[44:45]
	s_cbranch_vccnz .LBB146_342
; %bb.341:
	v_add_co_u32 v4, vcc_lo, v71, v2
	v_add_co_ci_u32_e64 v5, null, v72, v3, vcc_lo
	flat_load_dwordx2 v[4:5], v[4:5]
	s_waitcnt vmcnt(0) lgkmcnt(0)
	v_mul_f64 v[4:5], s[38:39], v[4:5]
	s_branch .LBB146_343
.LBB146_342:
	v_mov_b32_e32 v4, 0
	v_mov_b32_e32 v5, 0
.LBB146_343:
	s_waitcnt vmcnt(0)
	v_add_f64 v[0:1], v[0:1], v[4:5]
	v_add_co_u32 v2, vcc_lo, v68, v2
	v_add_co_ci_u32_e64 v3, null, v69, v3, vcc_lo
	flat_store_dwordx2 v[2:3], v[0:1]
	s_or_b32 exec_lo, exec_lo, s4
	s_and_b32 s5, s16, s28
	s_and_saveexec_b32 s4, s5
	s_cbranch_execz .LBB146_243
.LBB146_344:
	s_clause 0x1
	buffer_load_dword v0, off, s[0:3], 0 offset:440
	buffer_load_dword v1, off, s[0:3], 0 offset:444
	v_cmp_ne_u32_e32 vcc_lo, 1, v70
	v_lshlrev_b64 v[2:3], 3, v[46:47]
	s_cbranch_vccnz .LBB146_346
; %bb.345:
	v_add_co_u32 v4, vcc_lo, v71, v2
	v_add_co_ci_u32_e64 v5, null, v72, v3, vcc_lo
	flat_load_dwordx2 v[4:5], v[4:5]
	s_waitcnt vmcnt(0) lgkmcnt(0)
	v_mul_f64 v[4:5], s[38:39], v[4:5]
	s_branch .LBB146_347
.LBB146_346:
	v_mov_b32_e32 v4, 0
	v_mov_b32_e32 v5, 0
.LBB146_347:
	s_waitcnt vmcnt(0)
	v_add_f64 v[0:1], v[0:1], v[4:5]
	v_add_co_u32 v2, vcc_lo, v68, v2
	v_add_co_ci_u32_e64 v3, null, v69, v3, vcc_lo
	flat_store_dwordx2 v[2:3], v[0:1]
	s_or_b32 exec_lo, exec_lo, s4
	s_and_b32 s5, s16, s29
	s_and_saveexec_b32 s4, s5
	s_cbranch_execz .LBB146_244
.LBB146_348:
	s_clause 0x1
	buffer_load_dword v0, off, s[0:3], 0 offset:448
	buffer_load_dword v1, off, s[0:3], 0 offset:452
	v_cmp_ne_u32_e32 vcc_lo, 1, v70
	v_lshlrev_b64 v[2:3], 3, v[48:49]
	s_cbranch_vccnz .LBB146_350
; %bb.349:
	v_add_co_u32 v4, vcc_lo, v71, v2
	v_add_co_ci_u32_e64 v5, null, v72, v3, vcc_lo
	flat_load_dwordx2 v[4:5], v[4:5]
	s_waitcnt vmcnt(0) lgkmcnt(0)
	v_mul_f64 v[4:5], s[38:39], v[4:5]
	s_branch .LBB146_351
.LBB146_350:
	v_mov_b32_e32 v4, 0
	v_mov_b32_e32 v5, 0
.LBB146_351:
	s_waitcnt vmcnt(0)
	v_add_f64 v[0:1], v[0:1], v[4:5]
	v_add_co_u32 v2, vcc_lo, v68, v2
	v_add_co_ci_u32_e64 v3, null, v69, v3, vcc_lo
	flat_store_dwordx2 v[2:3], v[0:1]
	s_or_b32 exec_lo, exec_lo, s4
	s_and_b32 s5, s16, s30
	s_and_saveexec_b32 s4, s5
	s_cbranch_execz .LBB146_245
.LBB146_352:
	s_clause 0x1
	buffer_load_dword v0, off, s[0:3], 0 offset:456
	buffer_load_dword v1, off, s[0:3], 0 offset:460
	v_cmp_ne_u32_e32 vcc_lo, 1, v70
	v_lshlrev_b64 v[2:3], 3, v[50:51]
	s_cbranch_vccnz .LBB146_354
; %bb.353:
	v_add_co_u32 v4, vcc_lo, v71, v2
	v_add_co_ci_u32_e64 v5, null, v72, v3, vcc_lo
	flat_load_dwordx2 v[4:5], v[4:5]
	s_waitcnt vmcnt(0) lgkmcnt(0)
	v_mul_f64 v[4:5], s[38:39], v[4:5]
	s_branch .LBB146_355
.LBB146_354:
	v_mov_b32_e32 v4, 0
	v_mov_b32_e32 v5, 0
.LBB146_355:
	s_waitcnt vmcnt(0)
	v_add_f64 v[0:1], v[0:1], v[4:5]
	v_add_co_u32 v2, vcc_lo, v68, v2
	v_add_co_ci_u32_e64 v3, null, v69, v3, vcc_lo
	flat_store_dwordx2 v[2:3], v[0:1]
	s_or_b32 exec_lo, exec_lo, s4
	s_and_b32 s5, s16, s31
	s_and_saveexec_b32 s4, s5
	s_cbranch_execz .LBB146_246
.LBB146_356:
	s_clause 0x1
	buffer_load_dword v0, off, s[0:3], 0 offset:464
	buffer_load_dword v1, off, s[0:3], 0 offset:468
	v_cmp_ne_u32_e32 vcc_lo, 1, v70
	v_lshlrev_b64 v[2:3], 3, v[52:53]
	s_cbranch_vccnz .LBB146_358
; %bb.357:
	v_add_co_u32 v4, vcc_lo, v71, v2
	v_add_co_ci_u32_e64 v5, null, v72, v3, vcc_lo
	flat_load_dwordx2 v[4:5], v[4:5]
	s_waitcnt vmcnt(0) lgkmcnt(0)
	v_mul_f64 v[4:5], s[38:39], v[4:5]
	s_branch .LBB146_359
.LBB146_358:
	v_mov_b32_e32 v4, 0
	v_mov_b32_e32 v5, 0
.LBB146_359:
	s_waitcnt vmcnt(0)
	v_add_f64 v[0:1], v[0:1], v[4:5]
	v_add_co_u32 v2, vcc_lo, v68, v2
	v_add_co_ci_u32_e64 v3, null, v69, v3, vcc_lo
	flat_store_dwordx2 v[2:3], v[0:1]
	s_or_b32 exec_lo, exec_lo, s4
	s_and_b32 s5, s16, s33
	s_and_saveexec_b32 s4, s5
	s_cbranch_execz .LBB146_247
.LBB146_360:
	s_clause 0x1
	buffer_load_dword v0, off, s[0:3], 0 offset:472
	buffer_load_dword v1, off, s[0:3], 0 offset:476
	v_cmp_ne_u32_e32 vcc_lo, 1, v70
	v_lshlrev_b64 v[2:3], 3, v[54:55]
	s_cbranch_vccnz .LBB146_362
; %bb.361:
	v_add_co_u32 v4, vcc_lo, v71, v2
	v_add_co_ci_u32_e64 v5, null, v72, v3, vcc_lo
	flat_load_dwordx2 v[4:5], v[4:5]
	s_waitcnt vmcnt(0) lgkmcnt(0)
	v_mul_f64 v[4:5], s[38:39], v[4:5]
	s_branch .LBB146_363
.LBB146_362:
	v_mov_b32_e32 v4, 0
	v_mov_b32_e32 v5, 0
.LBB146_363:
	s_waitcnt vmcnt(0)
	v_add_f64 v[0:1], v[0:1], v[4:5]
	v_add_co_u32 v2, vcc_lo, v68, v2
	v_add_co_ci_u32_e64 v3, null, v69, v3, vcc_lo
	flat_store_dwordx2 v[2:3], v[0:1]
	s_or_b32 exec_lo, exec_lo, s4
	s_and_b32 s5, s16, s34
	s_and_saveexec_b32 s4, s5
	s_cbranch_execz .LBB146_248
.LBB146_364:
	s_clause 0x1
	buffer_load_dword v0, off, s[0:3], 0 offset:480
	buffer_load_dword v1, off, s[0:3], 0 offset:484
	v_cmp_ne_u32_e32 vcc_lo, 1, v70
	v_lshlrev_b64 v[2:3], 3, v[56:57]
	s_cbranch_vccnz .LBB146_366
; %bb.365:
	v_add_co_u32 v4, vcc_lo, v71, v2
	v_add_co_ci_u32_e64 v5, null, v72, v3, vcc_lo
	flat_load_dwordx2 v[4:5], v[4:5]
	s_waitcnt vmcnt(0) lgkmcnt(0)
	v_mul_f64 v[4:5], s[38:39], v[4:5]
	s_branch .LBB146_367
.LBB146_366:
	v_mov_b32_e32 v4, 0
	v_mov_b32_e32 v5, 0
.LBB146_367:
	s_waitcnt vmcnt(0)
	v_add_f64 v[0:1], v[0:1], v[4:5]
	v_add_co_u32 v2, vcc_lo, v68, v2
	v_add_co_ci_u32_e64 v3, null, v69, v3, vcc_lo
	flat_store_dwordx2 v[2:3], v[0:1]
	s_or_b32 exec_lo, exec_lo, s4
	s_and_b32 s5, s16, s35
	s_and_saveexec_b32 s4, s5
	s_cbranch_execz .LBB146_249
.LBB146_368:
	s_clause 0x1
	buffer_load_dword v0, off, s[0:3], 0 offset:488
	buffer_load_dword v1, off, s[0:3], 0 offset:492
	v_cmp_ne_u32_e32 vcc_lo, 1, v70
	v_lshlrev_b64 v[2:3], 3, v[58:59]
	s_cbranch_vccnz .LBB146_370
; %bb.369:
	v_add_co_u32 v4, vcc_lo, v71, v2
	v_add_co_ci_u32_e64 v5, null, v72, v3, vcc_lo
	flat_load_dwordx2 v[4:5], v[4:5]
	s_waitcnt vmcnt(0) lgkmcnt(0)
	v_mul_f64 v[4:5], s[38:39], v[4:5]
	s_branch .LBB146_371
.LBB146_370:
	v_mov_b32_e32 v4, 0
	v_mov_b32_e32 v5, 0
.LBB146_371:
	s_waitcnt vmcnt(0)
	v_add_f64 v[0:1], v[0:1], v[4:5]
	v_add_co_u32 v2, vcc_lo, v68, v2
	v_add_co_ci_u32_e64 v3, null, v69, v3, vcc_lo
	flat_store_dwordx2 v[2:3], v[0:1]
	s_or_b32 exec_lo, exec_lo, s4
	s_and_b32 s5, s16, s36
	s_and_saveexec_b32 s4, s5
	s_cbranch_execz .LBB146_250
.LBB146_372:
	s_clause 0x1
	buffer_load_dword v0, off, s[0:3], 0 offset:496
	buffer_load_dword v1, off, s[0:3], 0 offset:500
	v_cmp_ne_u32_e32 vcc_lo, 1, v70
	v_lshlrev_b64 v[2:3], 3, v[60:61]
	s_cbranch_vccnz .LBB146_374
; %bb.373:
	v_add_co_u32 v4, vcc_lo, v71, v2
	v_add_co_ci_u32_e64 v5, null, v72, v3, vcc_lo
	flat_load_dwordx2 v[4:5], v[4:5]
	s_waitcnt vmcnt(0) lgkmcnt(0)
	v_mul_f64 v[4:5], s[38:39], v[4:5]
	s_branch .LBB146_375
.LBB146_374:
	v_mov_b32_e32 v4, 0
	v_mov_b32_e32 v5, 0
.LBB146_375:
	s_waitcnt vmcnt(0)
	v_add_f64 v[0:1], v[0:1], v[4:5]
	v_add_co_u32 v2, vcc_lo, v68, v2
	v_add_co_ci_u32_e64 v3, null, v69, v3, vcc_lo
	flat_store_dwordx2 v[2:3], v[0:1]
	s_or_b32 exec_lo, exec_lo, s4
	s_and_b32 s4, s16, s37
	s_and_saveexec_b32 s5, s4
	s_cbranch_execz .LBB146_251
.LBB146_376:
	s_clause 0x1
	buffer_load_dword v0, off, s[0:3], 0 offset:504
	buffer_load_dword v1, off, s[0:3], 0 offset:508
	v_cmp_ne_u32_e32 vcc_lo, 1, v70
	v_lshlrev_b64 v[2:3], 3, v[62:63]
	s_cbranch_vccnz .LBB146_378
; %bb.377:
	v_add_co_u32 v4, vcc_lo, v71, v2
	v_add_co_ci_u32_e64 v5, null, v72, v3, vcc_lo
	flat_load_dwordx2 v[4:5], v[4:5]
	s_waitcnt vmcnt(0) lgkmcnt(0)
	v_mul_f64 v[4:5], s[38:39], v[4:5]
	s_branch .LBB146_379
.LBB146_378:
	v_mov_b32_e32 v4, 0
	v_mov_b32_e32 v5, 0
.LBB146_379:
	s_waitcnt vmcnt(0)
	v_add_f64 v[0:1], v[0:1], v[4:5]
	v_add_co_u32 v2, vcc_lo, v68, v2
	v_add_co_ci_u32_e64 v3, null, v69, v3, vcc_lo
	flat_store_dwordx2 v[2:3], v[0:1]
	s_endpgm
	.section	.rodata,"a",@progbits
	.p2align	6, 0x0
	.amdhsa_kernel _ZN12_GLOBAL__N_120geam_min_plus_kernelIdddLi4ELi64ELi128ELi128ELi4ELi64ELi4ELi64ELi4ELc78ELc84ELb0ELb1ELb0EdKPKdKPdEEviiiT16_PT17_ilS8_ilS6_S8_ilPT18_ili26rocblas_geam_ex_operation_
		.amdhsa_group_segment_fixed_size 16384
		.amdhsa_private_segment_fixed_size 528
		.amdhsa_kernarg_size 136
		.amdhsa_user_sgpr_count 6
		.amdhsa_user_sgpr_private_segment_buffer 1
		.amdhsa_user_sgpr_dispatch_ptr 0
		.amdhsa_user_sgpr_queue_ptr 0
		.amdhsa_user_sgpr_kernarg_segment_ptr 1
		.amdhsa_user_sgpr_dispatch_id 0
		.amdhsa_user_sgpr_flat_scratch_init 0
		.amdhsa_user_sgpr_private_segment_size 0
		.amdhsa_wavefront_size32 1
		.amdhsa_uses_dynamic_stack 0
		.amdhsa_system_sgpr_private_segment_wavefront_offset 1
		.amdhsa_system_sgpr_workgroup_id_x 1
		.amdhsa_system_sgpr_workgroup_id_y 0
		.amdhsa_system_sgpr_workgroup_id_z 1
		.amdhsa_system_sgpr_workgroup_info 0
		.amdhsa_system_vgpr_workitem_id 1
		.amdhsa_next_free_vgpr 222
		.amdhsa_next_free_sgpr 50
		.amdhsa_reserve_vcc 1
		.amdhsa_reserve_flat_scratch 0
		.amdhsa_float_round_mode_32 0
		.amdhsa_float_round_mode_16_64 0
		.amdhsa_float_denorm_mode_32 3
		.amdhsa_float_denorm_mode_16_64 3
		.amdhsa_dx10_clamp 1
		.amdhsa_ieee_mode 1
		.amdhsa_fp16_overflow 0
		.amdhsa_workgroup_processor_mode 1
		.amdhsa_memory_ordered 1
		.amdhsa_forward_progress 1
		.amdhsa_shared_vgpr_count 0
		.amdhsa_exception_fp_ieee_invalid_op 0
		.amdhsa_exception_fp_denorm_src 0
		.amdhsa_exception_fp_ieee_div_zero 0
		.amdhsa_exception_fp_ieee_overflow 0
		.amdhsa_exception_fp_ieee_underflow 0
		.amdhsa_exception_fp_ieee_inexact 0
		.amdhsa_exception_int_div_zero 0
	.end_amdhsa_kernel
	.section	.text._ZN12_GLOBAL__N_120geam_min_plus_kernelIdddLi4ELi64ELi128ELi128ELi4ELi64ELi4ELi64ELi4ELc78ELc84ELb0ELb1ELb0EdKPKdKPdEEviiiT16_PT17_ilS8_ilS6_S8_ilPT18_ili26rocblas_geam_ex_operation_,"axG",@progbits,_ZN12_GLOBAL__N_120geam_min_plus_kernelIdddLi4ELi64ELi128ELi128ELi4ELi64ELi4ELi64ELi4ELc78ELc84ELb0ELb1ELb0EdKPKdKPdEEviiiT16_PT17_ilS8_ilS6_S8_ilPT18_ili26rocblas_geam_ex_operation_,comdat
.Lfunc_end146:
	.size	_ZN12_GLOBAL__N_120geam_min_plus_kernelIdddLi4ELi64ELi128ELi128ELi4ELi64ELi4ELi64ELi4ELc78ELc84ELb0ELb1ELb0EdKPKdKPdEEviiiT16_PT17_ilS8_ilS6_S8_ilPT18_ili26rocblas_geam_ex_operation_, .Lfunc_end146-_ZN12_GLOBAL__N_120geam_min_plus_kernelIdddLi4ELi64ELi128ELi128ELi4ELi64ELi4ELi64ELi4ELc78ELc84ELb0ELb1ELb0EdKPKdKPdEEviiiT16_PT17_ilS8_ilS6_S8_ilPT18_ili26rocblas_geam_ex_operation_
                                        ; -- End function
	.set _ZN12_GLOBAL__N_120geam_min_plus_kernelIdddLi4ELi64ELi128ELi128ELi4ELi64ELi4ELi64ELi4ELc78ELc84ELb0ELb1ELb0EdKPKdKPdEEviiiT16_PT17_ilS8_ilS6_S8_ilPT18_ili26rocblas_geam_ex_operation_.num_vgpr, 222
	.set _ZN12_GLOBAL__N_120geam_min_plus_kernelIdddLi4ELi64ELi128ELi128ELi4ELi64ELi4ELi64ELi4ELc78ELc84ELb0ELb1ELb0EdKPKdKPdEEviiiT16_PT17_ilS8_ilS6_S8_ilPT18_ili26rocblas_geam_ex_operation_.num_agpr, 0
	.set _ZN12_GLOBAL__N_120geam_min_plus_kernelIdddLi4ELi64ELi128ELi128ELi4ELi64ELi4ELi64ELi4ELc78ELc84ELb0ELb1ELb0EdKPKdKPdEEviiiT16_PT17_ilS8_ilS6_S8_ilPT18_ili26rocblas_geam_ex_operation_.numbered_sgpr, 50
	.set _ZN12_GLOBAL__N_120geam_min_plus_kernelIdddLi4ELi64ELi128ELi128ELi4ELi64ELi4ELi64ELi4ELc78ELc84ELb0ELb1ELb0EdKPKdKPdEEviiiT16_PT17_ilS8_ilS6_S8_ilPT18_ili26rocblas_geam_ex_operation_.num_named_barrier, 0
	.set _ZN12_GLOBAL__N_120geam_min_plus_kernelIdddLi4ELi64ELi128ELi128ELi4ELi64ELi4ELi64ELi4ELc78ELc84ELb0ELb1ELb0EdKPKdKPdEEviiiT16_PT17_ilS8_ilS6_S8_ilPT18_ili26rocblas_geam_ex_operation_.private_seg_size, 528
	.set _ZN12_GLOBAL__N_120geam_min_plus_kernelIdddLi4ELi64ELi128ELi128ELi4ELi64ELi4ELi64ELi4ELc78ELc84ELb0ELb1ELb0EdKPKdKPdEEviiiT16_PT17_ilS8_ilS6_S8_ilPT18_ili26rocblas_geam_ex_operation_.uses_vcc, 1
	.set _ZN12_GLOBAL__N_120geam_min_plus_kernelIdddLi4ELi64ELi128ELi128ELi4ELi64ELi4ELi64ELi4ELc78ELc84ELb0ELb1ELb0EdKPKdKPdEEviiiT16_PT17_ilS8_ilS6_S8_ilPT18_ili26rocblas_geam_ex_operation_.uses_flat_scratch, 0
	.set _ZN12_GLOBAL__N_120geam_min_plus_kernelIdddLi4ELi64ELi128ELi128ELi4ELi64ELi4ELi64ELi4ELc78ELc84ELb0ELb1ELb0EdKPKdKPdEEviiiT16_PT17_ilS8_ilS6_S8_ilPT18_ili26rocblas_geam_ex_operation_.has_dyn_sized_stack, 0
	.set _ZN12_GLOBAL__N_120geam_min_plus_kernelIdddLi4ELi64ELi128ELi128ELi4ELi64ELi4ELi64ELi4ELc78ELc84ELb0ELb1ELb0EdKPKdKPdEEviiiT16_PT17_ilS8_ilS6_S8_ilPT18_ili26rocblas_geam_ex_operation_.has_recursion, 0
	.set _ZN12_GLOBAL__N_120geam_min_plus_kernelIdddLi4ELi64ELi128ELi128ELi4ELi64ELi4ELi64ELi4ELc78ELc84ELb0ELb1ELb0EdKPKdKPdEEviiiT16_PT17_ilS8_ilS6_S8_ilPT18_ili26rocblas_geam_ex_operation_.has_indirect_call, 0
	.section	.AMDGPU.csdata,"",@progbits
; Kernel info:
; codeLenInByte = 21944
; TotalNumSgprs: 52
; NumVgprs: 222
; ScratchSize: 528
; MemoryBound: 0
; FloatMode: 240
; IeeeMode: 1
; LDSByteSize: 16384 bytes/workgroup (compile time only)
; SGPRBlocks: 0
; VGPRBlocks: 27
; NumSGPRsForWavesPerEU: 52
; NumVGPRsForWavesPerEU: 222
; Occupancy: 4
; WaveLimiterHint : 1
; COMPUTE_PGM_RSRC2:SCRATCH_EN: 1
; COMPUTE_PGM_RSRC2:USER_SGPR: 6
; COMPUTE_PGM_RSRC2:TRAP_HANDLER: 0
; COMPUTE_PGM_RSRC2:TGID_X_EN: 1
; COMPUTE_PGM_RSRC2:TGID_Y_EN: 0
; COMPUTE_PGM_RSRC2:TGID_Z_EN: 1
; COMPUTE_PGM_RSRC2:TIDIG_COMP_CNT: 1
	.section	.text._ZN12_GLOBAL__N_120geam_min_plus_kernelIdddLi4ELi64ELi128ELi128ELi4ELi4ELi64ELi64ELi4ELc84ELc84ELb0ELb0ELb0EPKdKS2_KPdEEviiiT16_PT17_ilS8_ilS6_S8_ilPT18_ili26rocblas_geam_ex_operation_,"axG",@progbits,_ZN12_GLOBAL__N_120geam_min_plus_kernelIdddLi4ELi64ELi128ELi128ELi4ELi4ELi64ELi64ELi4ELc84ELc84ELb0ELb0ELb0EPKdKS2_KPdEEviiiT16_PT17_ilS8_ilS6_S8_ilPT18_ili26rocblas_geam_ex_operation_,comdat
	.globl	_ZN12_GLOBAL__N_120geam_min_plus_kernelIdddLi4ELi64ELi128ELi128ELi4ELi4ELi64ELi64ELi4ELc84ELc84ELb0ELb0ELb0EPKdKS2_KPdEEviiiT16_PT17_ilS8_ilS6_S8_ilPT18_ili26rocblas_geam_ex_operation_ ; -- Begin function _ZN12_GLOBAL__N_120geam_min_plus_kernelIdddLi4ELi64ELi128ELi128ELi4ELi4ELi64ELi64ELi4ELc84ELc84ELb0ELb0ELb0EPKdKS2_KPdEEviiiT16_PT17_ilS8_ilS6_S8_ilPT18_ili26rocblas_geam_ex_operation_
	.p2align	8
	.type	_ZN12_GLOBAL__N_120geam_min_plus_kernelIdddLi4ELi64ELi128ELi128ELi4ELi4ELi64ELi64ELi4ELc84ELc84ELb0ELb0ELb0EPKdKS2_KPdEEviiiT16_PT17_ilS8_ilS6_S8_ilPT18_ili26rocblas_geam_ex_operation_,@function
_ZN12_GLOBAL__N_120geam_min_plus_kernelIdddLi4ELi64ELi128ELi128ELi4ELi4ELi64ELi64ELi4ELc84ELc84ELb0ELb0ELb0EPKdKS2_KPdEEviiiT16_PT17_ilS8_ilS6_S8_ilPT18_ili26rocblas_geam_ex_operation_: ; @_ZN12_GLOBAL__N_120geam_min_plus_kernelIdddLi4ELi64ELi128ELi128ELi4ELi4ELi64ELi64ELi4ELc84ELc84ELb0ELb0ELb0EPKdKS2_KPdEEviiiT16_PT17_ilS8_ilS6_S8_ilPT18_ili26rocblas_geam_ex_operation_
; %bb.0:
	s_load_dwordx4 s[16:19], s[4:5], 0x10
	s_add_u32 s0, s0, s8
	s_mov_b32 s8, s7
	s_mov_b32 s9, 0
	s_addc_u32 s1, s1, 0
	s_lshl_b64 s[24:25], s[8:9], 3
	s_clause 0x1
	s_load_dwordx4 s[8:11], s[4:5], 0x28
	s_load_dwordx2 s[26:27], s[4:5], 0x50
	s_mov_b64 s[22:23], 0
	s_mov_b64 s[20:21], 0
	s_waitcnt lgkmcnt(0)
	s_add_u32 s12, s16, s24
	s_addc_u32 s13, s17, s25
	s_load_dwordx2 s[16:17], s[12:13], 0x0
	s_load_dwordx4 s[12:15], s[4:5], 0x40
	s_waitcnt lgkmcnt(0)
	v_cmp_eq_f64_e64 s7, s[16:17], 0
	v_cmp_neq_f64_e64 s28, s[16:17], 0
	s_add_u32 s14, s14, s24
	s_addc_u32 s15, s15, s25
	s_and_b32 vcc_lo, exec_lo, s7
	s_cbranch_vccnz .LBB147_2
; %bb.1:
	s_add_u32 s18, s18, s24
	s_addc_u32 s19, s19, s25
	s_lshl_b64 s[8:9], s[8:9], 3
	s_load_dwordx2 s[18:19], s[18:19], 0x0
	s_waitcnt lgkmcnt(0)
	s_add_u32 s20, s18, s8
	s_addc_u32 s21, s19, s9
.LBB147_2:
	s_load_dwordx2 s[14:15], s[14:15], 0x0
	v_cndmask_b32_e64 v2, 0, 1, s28
	s_andn2_b32 vcc_lo, exec_lo, s28
	v_cmp_ne_u32_e64 s7, 1, v2
	s_cbranch_vccnz .LBB147_4
; %bb.3:
	s_add_u32 s8, s10, s24
	s_addc_u32 s9, s11, s25
	s_lshl_b64 s[10:11], s[12:13], 3
	s_load_dwordx2 s[8:9], s[8:9], 0x0
	s_waitcnt lgkmcnt(0)
	s_add_u32 s22, s8, s10
	s_addc_u32 s23, s9, s11
.LBB147_4:
	s_waitcnt lgkmcnt(0)
	v_cmp_eq_f64_e64 s12, s[14:15], 0
	s_load_dwordx4 s[8:11], s[4:5], 0x60
	s_and_b32 vcc_lo, exec_lo, s12
	s_mov_b64 s[12:13], 0
	s_cbranch_vccnz .LBB147_6
; %bb.5:
	s_add_u32 s12, s26, s24
	s_addc_u32 s13, s27, s25
	s_waitcnt lgkmcnt(0)
	s_lshl_b64 s[8:9], s[8:9], 3
	s_load_dwordx2 s[12:13], s[12:13], 0x0
	s_waitcnt lgkmcnt(0)
	s_add_u32 s12, s12, s8
	s_addc_u32 s13, s13, s9
.LBB147_6:
	s_clause 0x1
	s_load_dword s18, s[4:5], 0x0
	s_load_dword s26, s[4:5], 0x20
	s_waitcnt lgkmcnt(0)
	s_add_u32 s8, s10, s24
	s_addc_u32 s9, s11, s25
	v_and_b32_e32 v84, 3, v0
	s_load_dwordx2 s[8:9], s[8:9], 0x0
	v_lshl_add_u32 v7, v1, 2, v0
	v_mov_b32_e32 v4, 0
	v_mov_b32_e32 v6, 0
	v_lshlrev_b32_e32 v82, 3, v84
	v_mov_b32_e32 v5, 0
	v_lshrrev_b32_e32 v80, 2, v7
	buffer_store_dword v6, off, s[0:3], 0 offset:4
	buffer_store_dword v6, off, s[0:3], 0
	buffer_store_dword v6, off, s[0:3], 0 offset:12
	buffer_store_dword v6, off, s[0:3], 0 offset:8
	;; [unrolled: 1-line block ×15, first 2 shown]
	s_add_i32 s10, s18, -1
	buffer_store_dword v6, off, s[0:3], 0 offset:64
	buffer_store_dword v6, off, s[0:3], 0 offset:76
	;; [unrolled: 1-line block ×4, first 2 shown]
	s_ashr_i32 s11, s10, 31
	buffer_store_dword v6, off, s[0:3], 0 offset:80
	buffer_store_dword v6, off, s[0:3], 0 offset:92
	buffer_store_dword v6, off, s[0:3], 0 offset:88
	buffer_store_dword v6, off, s[0:3], 0 offset:100
	buffer_store_dword v6, off, s[0:3], 0 offset:96
	buffer_store_dword v6, off, s[0:3], 0 offset:108
	buffer_store_dword v6, off, s[0:3], 0 offset:104
	buffer_store_dword v6, off, s[0:3], 0 offset:116
	buffer_store_dword v6, off, s[0:3], 0 offset:112
	s_lshr_b32 s11, s11, 25
	buffer_store_dword v6, off, s[0:3], 0 offset:124
	buffer_store_dword v6, off, s[0:3], 0 offset:120
	;; [unrolled: 1-line block ×4, first 2 shown]
	s_add_i32 s10, s10, s11
	buffer_store_dword v6, off, s[0:3], 0 offset:140
	buffer_store_dword v6, off, s[0:3], 0 offset:136
	;; [unrolled: 1-line block ×4, first 2 shown]
	s_ashr_i32 s10, s10, 7
	buffer_store_dword v6, off, s[0:3], 0 offset:156
	buffer_store_dword v6, off, s[0:3], 0 offset:152
	s_add_i32 s11, s10, 1
	s_not_b32 s10, s10
	v_cvt_f32_u32_e32 v2, s11
	buffer_store_dword v6, off, s[0:3], 0 offset:164
	buffer_store_dword v6, off, s[0:3], 0 offset:160
	;; [unrolled: 1-line block ×4, first 2 shown]
	v_rcp_iflag_f32_e32 v2, v2
	buffer_store_dword v6, off, s[0:3], 0 offset:180
	buffer_store_dword v6, off, s[0:3], 0 offset:176
	buffer_store_dword v6, off, s[0:3], 0 offset:188
	buffer_store_dword v6, off, s[0:3], 0 offset:184
	buffer_store_dword v6, off, s[0:3], 0 offset:196
	buffer_store_dword v6, off, s[0:3], 0 offset:192
	buffer_store_dword v6, off, s[0:3], 0 offset:204
	buffer_store_dword v6, off, s[0:3], 0 offset:200
	buffer_store_dword v6, off, s[0:3], 0 offset:212
	buffer_store_dword v6, off, s[0:3], 0 offset:208
	buffer_store_dword v6, off, s[0:3], 0 offset:220
	buffer_store_dword v6, off, s[0:3], 0 offset:216
	buffer_store_dword v6, off, s[0:3], 0 offset:228
	buffer_store_dword v6, off, s[0:3], 0 offset:224
	buffer_store_dword v6, off, s[0:3], 0 offset:236
	buffer_store_dword v6, off, s[0:3], 0 offset:232
	buffer_store_dword v6, off, s[0:3], 0 offset:244
	buffer_store_dword v6, off, s[0:3], 0 offset:240
	buffer_store_dword v6, off, s[0:3], 0 offset:252
	buffer_store_dword v6, off, s[0:3], 0 offset:248
	buffer_store_dword v6, off, s[0:3], 0 offset:260
	buffer_store_dword v6, off, s[0:3], 0 offset:256
	buffer_store_dword v6, off, s[0:3], 0 offset:268
	buffer_store_dword v6, off, s[0:3], 0 offset:264
	buffer_store_dword v6, off, s[0:3], 0 offset:276
	buffer_store_dword v6, off, s[0:3], 0 offset:272
	buffer_store_dword v6, off, s[0:3], 0 offset:284
	buffer_store_dword v6, off, s[0:3], 0 offset:280
	buffer_store_dword v6, off, s[0:3], 0 offset:292
	buffer_store_dword v6, off, s[0:3], 0 offset:288
	buffer_store_dword v6, off, s[0:3], 0 offset:300
	buffer_store_dword v6, off, s[0:3], 0 offset:296
	buffer_store_dword v6, off, s[0:3], 0 offset:308
	buffer_store_dword v6, off, s[0:3], 0 offset:304
	buffer_store_dword v6, off, s[0:3], 0 offset:316
	buffer_store_dword v6, off, s[0:3], 0 offset:312
	buffer_store_dword v6, off, s[0:3], 0 offset:324
	buffer_store_dword v6, off, s[0:3], 0 offset:320
	buffer_store_dword v6, off, s[0:3], 0 offset:332
	buffer_store_dword v6, off, s[0:3], 0 offset:328
	buffer_store_dword v6, off, s[0:3], 0 offset:340
	buffer_store_dword v6, off, s[0:3], 0 offset:336
	buffer_store_dword v6, off, s[0:3], 0 offset:348
	buffer_store_dword v6, off, s[0:3], 0 offset:344
	buffer_store_dword v6, off, s[0:3], 0 offset:356
	buffer_store_dword v6, off, s[0:3], 0 offset:352
	buffer_store_dword v6, off, s[0:3], 0 offset:364
	buffer_store_dword v6, off, s[0:3], 0 offset:360
	buffer_store_dword v6, off, s[0:3], 0 offset:372
	buffer_store_dword v6, off, s[0:3], 0 offset:368
	buffer_store_dword v6, off, s[0:3], 0 offset:380
	buffer_store_dword v6, off, s[0:3], 0 offset:376
	buffer_store_dword v6, off, s[0:3], 0 offset:388
	buffer_store_dword v6, off, s[0:3], 0 offset:384
	buffer_store_dword v6, off, s[0:3], 0 offset:396
	buffer_store_dword v6, off, s[0:3], 0 offset:392
	buffer_store_dword v6, off, s[0:3], 0 offset:404
	buffer_store_dword v6, off, s[0:3], 0 offset:400
	buffer_store_dword v6, off, s[0:3], 0 offset:412
	buffer_store_dword v6, off, s[0:3], 0 offset:408
	buffer_store_dword v6, off, s[0:3], 0 offset:420
	buffer_store_dword v6, off, s[0:3], 0 offset:416
	buffer_store_dword v6, off, s[0:3], 0 offset:428
	buffer_store_dword v6, off, s[0:3], 0 offset:424
	buffer_store_dword v6, off, s[0:3], 0 offset:436
	buffer_store_dword v6, off, s[0:3], 0 offset:432
	buffer_store_dword v6, off, s[0:3], 0 offset:444
	buffer_store_dword v6, off, s[0:3], 0 offset:440
	buffer_store_dword v6, off, s[0:3], 0 offset:452
	buffer_store_dword v6, off, s[0:3], 0 offset:448
	buffer_store_dword v6, off, s[0:3], 0 offset:460
	buffer_store_dword v6, off, s[0:3], 0 offset:456
	buffer_store_dword v6, off, s[0:3], 0 offset:468
	buffer_store_dword v6, off, s[0:3], 0 offset:464
	buffer_store_dword v6, off, s[0:3], 0 offset:476
	buffer_store_dword v6, off, s[0:3], 0 offset:472
	buffer_store_dword v6, off, s[0:3], 0 offset:484
	buffer_store_dword v6, off, s[0:3], 0 offset:480
	buffer_store_dword v6, off, s[0:3], 0 offset:492
	buffer_store_dword v6, off, s[0:3], 0 offset:488
	buffer_store_dword v6, off, s[0:3], 0 offset:500
	buffer_store_dword v6, off, s[0:3], 0 offset:496
	v_mul_f32_e32 v2, 0x4f7ffffe, v2
	buffer_store_dword v6, off, s[0:3], 0 offset:508
	buffer_store_dword v6, off, s[0:3], 0 offset:504
	v_cvt_u32_f32_e32 v2, v2
	v_readfirstlane_b32 s18, v2
	v_mov_b32_e32 v2, 0
	v_mov_b32_e32 v3, 0
	s_mul_i32 s10, s10, s18
	s_mul_hi_u32 s10, s18, s10
	s_add_i32 s18, s18, s10
	s_mul_hi_u32 s10, s6, s18
	s_mul_i32 s18, s10, s11
	s_add_i32 s19, s10, 1
	s_sub_i32 s18, s6, s18
	s_sub_i32 s24, s18, s11
	s_cmp_ge_u32 s18, s11
	s_cselect_b32 s10, s19, s10
	s_cselect_b32 s18, s24, s18
	s_add_i32 s19, s10, 1
	s_cmp_ge_u32 s18, s11
	s_cselect_b32 s10, s19, s10
	s_and_b32 vcc_lo, exec_lo, s7
	s_mul_i32 s11, s10, s11
	s_sub_i32 s6, s6, s11
	v_add_co_u32 v21, s11, s20, v82
	s_lshl_b32 s6, s6, 7
	v_add_co_ci_u32_e64 v22, null, s21, 0, s11
	v_add_nc_u32_e32 v81, s6, v80
	s_cbranch_vccnz .LBB147_8
; %bb.7:
	v_mad_i64_i32 v[2:3], null, v81, s26, 0
	v_lshlrev_b64 v[2:3], 3, v[2:3]
	v_add_co_u32 v2, vcc_lo, v21, v2
	v_add_co_ci_u32_e64 v3, null, v22, v3, vcc_lo
	flat_load_dwordx2 v[2:3], v[2:3]
	s_waitcnt vmcnt(0) lgkmcnt(0)
	v_mul_f64 v[2:3], s[16:17], v[2:3]
.LBB147_8:
	s_load_dword s19, s[4:5], 0x38
	v_and_b32_e32 v20, 63, v7
	s_lshl_b32 s10, s10, 7
	v_mov_b32_e32 v16, 0
	v_mov_b32_e32 v18, 0
	v_lshrrev_b32_e32 v85, 6, v7
	v_or_b32_e32 v6, s10, v20
	v_add_nc_u32_e32 v83, 64, v81
	v_mov_b32_e32 v17, 0
	v_mov_b32_e32 v19, 0
	s_and_b32 vcc_lo, exec_lo, s7
	v_ashrrev_i32_e32 v7, 31, v6
	s_waitcnt lgkmcnt(0)
	s_ashr_i32 s24, s19, 31
	s_cbranch_vccnz .LBB147_10
; %bb.9:
	v_mad_i64_i32 v[4:5], null, s19, v85, 0
	v_mad_i64_i32 v[8:9], null, v83, s26, 0
	v_lshlrev_b64 v[10:11], 3, v[6:7]
	v_lshlrev_b64 v[4:5], 3, v[4:5]
	;; [unrolled: 1-line block ×3, first 2 shown]
	v_add_co_u32 v12, vcc_lo, s22, v4
	v_add_co_ci_u32_e64 v13, null, s23, v5, vcc_lo
	v_add_co_u32 v4, vcc_lo, v21, v8
	v_add_co_ci_u32_e64 v5, null, v22, v9, vcc_lo
	;; [unrolled: 2-line block ×3, first 2 shown]
	flat_load_dwordx2 v[4:5], v[4:5]
	s_clause 0x1
	flat_load_dwordx2 v[10:11], v[8:9]
	flat_load_dwordx2 v[8:9], v[8:9] offset:512
	s_waitcnt vmcnt(2) lgkmcnt(2)
	v_mul_f64 v[4:5], s[16:17], v[4:5]
	s_waitcnt vmcnt(1) lgkmcnt(1)
	v_mul_f64 v[16:17], s[16:17], v[10:11]
	;; [unrolled: 2-line block ×3, first 2 shown]
.LBB147_10:
	v_mov_b32_e32 v10, 0
	v_mov_b32_e32 v8, 0
	;; [unrolled: 1-line block ×4, first 2 shown]
	s_and_b32 vcc_lo, exec_lo, s7
	s_cbranch_vccnz .LBB147_12
; %bb.11:
	v_mad_i64_i32 v[8:9], null, v81, s26, 0
	v_lshlrev_b64 v[8:9], 3, v[8:9]
	v_add_co_u32 v8, vcc_lo, v21, v8
	v_add_co_ci_u32_e64 v9, null, v22, v9, vcc_lo
	flat_load_dwordx2 v[8:9], v[8:9] offset:32
	s_waitcnt vmcnt(0) lgkmcnt(0)
	v_mul_f64 v[8:9], s[16:17], v[8:9]
.LBB147_12:
	v_mov_b32_e32 v12, 0
	v_mov_b32_e32 v14, 0
	;; [unrolled: 1-line block ×4, first 2 shown]
	v_add_nc_u32_e32 v86, 4, v85
	s_and_b32 vcc_lo, exec_lo, s7
	s_cbranch_vccnz .LBB147_14
; %bb.13:
	v_mad_i64_i32 v[10:11], null, s19, v86, 0
	v_mad_i64_i32 v[12:13], null, v83, s26, 0
	v_lshlrev_b64 v[14:15], 3, v[6:7]
	v_lshlrev_b64 v[10:11], 3, v[10:11]
	;; [unrolled: 1-line block ×3, first 2 shown]
	v_add_co_u32 v23, vcc_lo, s22, v10
	v_add_co_ci_u32_e64 v24, null, s23, v11, vcc_lo
	v_add_co_u32 v10, vcc_lo, v21, v12
	v_add_co_ci_u32_e64 v11, null, v22, v13, vcc_lo
	;; [unrolled: 2-line block ×3, first 2 shown]
	flat_load_dwordx2 v[10:11], v[10:11] offset:32
	s_clause 0x1
	flat_load_dwordx2 v[14:15], v[12:13]
	flat_load_dwordx2 v[21:22], v[12:13] offset:512
	s_waitcnt vmcnt(2) lgkmcnt(2)
	v_mul_f64 v[10:11], s[16:17], v[10:11]
	s_waitcnt vmcnt(1) lgkmcnt(1)
	v_mul_f64 v[12:13], s[16:17], v[14:15]
	;; [unrolled: 2-line block ×3, first 2 shown]
.LBB147_14:
	v_cmp_neq_f64_e64 s11, s[14:15], 0
	v_lshlrev_b32_e32 v22, 3, v85
	v_lshlrev_b32_e32 v21, 5, v80
	v_lshlrev_b32_e32 v89, 5, v0
	v_lshl_or_b32 v90, v1, 5, 0x2000
	s_mov_b32 s18, 0
	v_lshl_add_u32 v94, v20, 5, v22
	v_lshl_or_b32 v87, v84, 3, v21
	s_addk_i32 s18, 0x100
	s_mov_b32 s25, 0
	v_or_b32_e32 v88, 0x2000, v94
	ds_write2st64_b64 v87, v[2:3], v[4:5] offset1:4
	ds_write2st64_b64 v94, v[16:17], v[18:19] offset0:16 offset1:20
	s_waitcnt lgkmcnt(0)
	s_waitcnt_vscnt null, 0x0
	s_barrier
	buffer_gl0_inv
.LBB147_15:                             ; =>This Loop Header: Depth=1
                                        ;     Child Loop BB147_16 Depth 2
	s_lshl_b32 s27, s25, 3
	s_mov_b32 s28, 0
	v_add_nc_u32_e32 v16, s27, v89
	v_add_nc_u32_e32 v91, s27, v90
	s_mov_b32 s27, -1
	ds_read2_b64 v[2:5], v16 offset1:16
	ds_read2_b64 v[20:23], v16 offset0:32 offset1:48
	ds_read2_b64 v[24:27], v16 offset0:64 offset1:80
	;; [unrolled: 1-line block ×4, first 2 shown]
	v_add_nc_u32_e32 v76, 0x800, v16
	ds_read2_b64 v[36:39], v16 offset0:160 offset1:176
	ds_read2_b64 v[40:43], v16 offset0:192 offset1:208
	;; [unrolled: 1-line block ×3, first 2 shown]
	ds_read2_b64 v[48:51], v76 offset1:16
	ds_read2_b64 v[52:55], v76 offset0:32 offset1:48
	ds_read2_b64 v[56:59], v76 offset0:64 offset1:80
	;; [unrolled: 1-line block ×6, first 2 shown]
	s_waitcnt lgkmcnt(9)
	v_max_f64 v[36:37], v[36:37], v[36:37]
	v_max_f64 v[38:39], v[38:39], v[38:39]
	;; [unrolled: 1-line block ×4, first 2 shown]
	ds_read2_b64 v[2:5], v76 offset0:224 offset1:240
	v_max_f64 v[20:21], v[20:21], v[20:21]
	v_max_f64 v[22:23], v[22:23], v[22:23]
	;; [unrolled: 1-line block ×8, first 2 shown]
	s_waitcnt lgkmcnt(9)
	v_max_f64 v[40:41], v[40:41], v[40:41]
	v_max_f64 v[42:43], v[42:43], v[42:43]
	s_waitcnt lgkmcnt(8)
	v_max_f64 v[44:45], v[44:45], v[44:45]
	v_max_f64 v[46:47], v[46:47], v[46:47]
	;; [unrolled: 3-line block ×10, first 2 shown]
	ds_read2st64_b64 v[2:5], v91 offset1:4
.LBB147_16:                             ;   Parent Loop BB147_15 Depth=1
                                        ; =>  This Inner Loop Header: Depth=2
	v_mov_b32_e32 v93, s28
	s_waitcnt lgkmcnt(0)
	v_max_f64 v[157:158], v[2:3], v[2:3]
	v_mov_b32_e32 v2, v4
	v_mov_b32_e32 v3, v5
	s_and_b32 vcc_lo, exec_lo, s27
	s_clause 0x3e
	buffer_load_dword v91, v93, s[0:3], 0 offen
	buffer_load_dword v92, v93, s[0:3], 0 offen offset:4
	buffer_load_dword v95, v93, s[0:3], 0 offen offset:8
	;; [unrolled: 1-line block ×63, first 2 shown]
	s_mov_b32 s27, 0
	s_mov_b32 s28, s18
	v_min_f64 v[159:160], v[16:17], v[157:158]
	v_min_f64 v[161:162], v[18:19], v[157:158]
	;; [unrolled: 1-line block ×32, first 2 shown]
	s_waitcnt vmcnt(62)
	v_add_f64 v[91:92], v[159:160], v[91:92]
	s_waitcnt vmcnt(60)
	v_add_f64 v[95:96], v[161:162], v[95:96]
	;; [unrolled: 2-line block ×32, first 2 shown]
	buffer_store_dword v91, v93, s[0:3], 0 offen
	buffer_store_dword v92, v93, s[0:3], 0 offen offset:4
	buffer_store_dword v95, v93, s[0:3], 0 offen offset:8
	;; [unrolled: 1-line block ×63, first 2 shown]
	s_cbranch_vccnz .LBB147_16
; %bb.17:                               ;   in Loop: Header=BB147_15 Depth=1
	s_add_i32 s25, s25, 1
	s_cmp_eq_u32 s25, 4
	s_cbranch_scc0 .LBB147_15
; %bb.18:
	s_load_dword s25, s[4:5], 0x8
	v_lshl_or_b32 v2, v80, 5, v82
	v_lshl_add_u32 v91, v0, 5, 0x1000
	v_lshl_add_u32 v92, v1, 5, 0x3000
	ds_write2st64_b64 v2, v[8:9], v[10:11] offset0:8 offset1:12
	ds_write2st64_b64 v94, v[12:13], v[14:15] offset0:24 offset1:28
	s_waitcnt lgkmcnt(0)
	s_waitcnt_vscnt null, 0x0
	s_barrier
	buffer_gl0_inv
	s_cmp_lt_i32 s25, 9
	s_cbranch_scc1 .LBB147_37
; %bb.19:
	v_mad_i64_i32 v[3:4], null, v81, s26, 0
	v_lshlrev_b64 v[5:6], 3, v[6:7]
	v_mad_i64_i32 v[7:8], null, v83, s26, 0
	v_add_nc_u32_e32 v93, 0x1000, v2
	v_or_b32_e32 v94, 0x3000, v94
	v_mov_b32_e32 v75, 0
	v_add_co_u32 v95, vcc_lo, s22, v5
	v_lshlrev_b64 v[70:71], 3, v[3:4]
	v_lshlrev_b64 v[72:73], 3, v[7:8]
	v_add_co_ci_u32_e64 v96, null, s23, v6, vcc_lo
	s_add_i32 s22, s25, -8
	s_mov_b32 s23, 8
	s_mov_b32 s25, 0
.LBB147_20:                             ; =>This Loop Header: Depth=1
                                        ;     Child Loop BB147_25 Depth 2
                                        ;       Child Loop BB147_26 Depth 3
                                        ;     Child Loop BB147_33 Depth 2
                                        ;       Child Loop BB147_34 Depth 3
	v_or_b32_e32 v74, s23, v84
	v_mov_b32_e32 v8, 0
	v_mov_b32_e32 v6, 0
	;; [unrolled: 1-line block ×4, first 2 shown]
	v_lshlrev_b64 v[2:3], 3, v[74:75]
	v_add_co_u32 v74, vcc_lo, s20, v2
	v_add_co_ci_u32_e64 v97, null, s21, v3, vcc_lo
	s_and_b32 vcc_lo, exec_lo, s7
	s_cbranch_vccnz .LBB147_22
; %bb.21:                               ;   in Loop: Header=BB147_20 Depth=1
	v_add_co_u32 v2, vcc_lo, v74, v70
	v_add_co_ci_u32_e64 v3, null, v97, v71, vcc_lo
	flat_load_dwordx2 v[2:3], v[2:3]
	s_waitcnt vmcnt(0) lgkmcnt(0)
	v_mul_f64 v[6:7], s[16:17], v[2:3]
.LBB147_22:                             ;   in Loop: Header=BB147_20 Depth=1
	v_mov_b32_e32 v10, 0
	v_mov_b32_e32 v12, 0
	;; [unrolled: 1-line block ×4, first 2 shown]
	s_and_b32 vcc_lo, exec_lo, s7
	s_cbranch_vccnz .LBB147_24
; %bb.23:                               ;   in Loop: Header=BB147_20 Depth=1
	v_add_nc_u32_e32 v4, s23, v85
	v_mad_u64_u32 v[2:3], null, v4, s19, 0
	v_mad_u64_u32 v[3:4], null, v4, s24, v[3:4]
	v_add_co_u32 v4, vcc_lo, v74, v72
	v_add_co_ci_u32_e64 v5, null, v97, v73, vcc_lo
	v_lshlrev_b64 v[2:3], 3, v[2:3]
	v_add_co_u32 v2, vcc_lo, v95, v2
	v_add_co_ci_u32_e64 v3, null, v96, v3, vcc_lo
	flat_load_dwordx2 v[4:5], v[4:5]
	s_clause 0x1
	flat_load_dwordx2 v[10:11], v[2:3]
	flat_load_dwordx2 v[2:3], v[2:3] offset:512
	s_waitcnt vmcnt(2) lgkmcnt(2)
	v_mul_f64 v[8:9], s[16:17], v[4:5]
	s_waitcnt vmcnt(1) lgkmcnt(1)
	v_mul_f64 v[10:11], s[16:17], v[10:11]
	;; [unrolled: 2-line block ×3, first 2 shown]
.LBB147_24:                             ;   in Loop: Header=BB147_20 Depth=1
	s_mov_b32 s26, 0
.LBB147_25:                             ;   Parent Loop BB147_20 Depth=1
                                        ; =>  This Loop Header: Depth=2
                                        ;       Child Loop BB147_26 Depth 3
	s_lshl_b32 s27, s26, 3
	s_mov_b32 s28, 0
	v_add_nc_u32_e32 v14, s27, v91
	v_add_nc_u32_e32 v98, s27, v92
	s_mov_b32 s27, -1
	ds_read2_b64 v[2:5], v14 offset1:16
	ds_read2_b64 v[18:21], v14 offset0:32 offset1:48
	ds_read2_b64 v[22:25], v14 offset0:64 offset1:80
	v_add_nc_u32_e32 v15, 0x800, v14
	ds_read2_b64 v[26:29], v14 offset0:96 offset1:112
	ds_read2_b64 v[30:33], v14 offset0:128 offset1:144
	;; [unrolled: 1-line block ×5, first 2 shown]
	ds_read2_b64 v[46:49], v15 offset1:16
	ds_read2_b64 v[50:53], v15 offset0:32 offset1:48
	ds_read2_b64 v[54:57], v15 offset0:64 offset1:80
	;; [unrolled: 1-line block ×7, first 2 shown]
	s_waitcnt lgkmcnt(11)
	v_max_f64 v[30:31], v[30:31], v[30:31]
	v_max_f64 v[32:33], v[32:33], v[32:33]
	s_waitcnt lgkmcnt(10)
	v_max_f64 v[34:35], v[34:35], v[34:35]
	v_max_f64 v[36:37], v[36:37], v[36:37]
	;; [unrolled: 3-line block ×3, first 2 shown]
	v_max_f64 v[14:15], v[2:3], v[2:3]
	v_max_f64 v[16:17], v[4:5], v[4:5]
	;; [unrolled: 1-line block ×8, first 2 shown]
	s_waitcnt lgkmcnt(8)
	v_max_f64 v[42:43], v[42:43], v[42:43]
	v_max_f64 v[44:45], v[44:45], v[44:45]
	s_waitcnt lgkmcnt(7)
	v_max_f64 v[46:47], v[46:47], v[46:47]
	v_max_f64 v[48:49], v[48:49], v[48:49]
	;; [unrolled: 3-line block ×9, first 2 shown]
	ds_read2st64_b64 v[2:5], v98 offset1:4
.LBB147_26:                             ;   Parent Loop BB147_20 Depth=1
                                        ;     Parent Loop BB147_25 Depth=2
                                        ; =>    This Inner Loop Header: Depth=3
	v_mov_b32_e32 v226, s28
	s_waitcnt lgkmcnt(0)
	v_max_f64 v[162:163], v[2:3], v[2:3]
	v_mov_b32_e32 v2, v4
	v_mov_b32_e32 v3, v5
	s_and_b32 vcc_lo, exec_lo, s27
	s_clause 0x3e
	buffer_load_dword v98, v226, s[0:3], 0 offen
	buffer_load_dword v99, v226, s[0:3], 0 offen offset:4
	buffer_load_dword v100, v226, s[0:3], 0 offen offset:8
	;; [unrolled: 1-line block ×63, first 2 shown]
	s_mov_b32 s27, 0
	s_mov_b32 s28, s18
	v_min_f64 v[164:165], v[14:15], v[162:163]
	v_min_f64 v[166:167], v[16:17], v[162:163]
	;; [unrolled: 1-line block ×32, first 2 shown]
	s_waitcnt vmcnt(62)
	v_add_f64 v[98:99], v[164:165], v[98:99]
	s_waitcnt vmcnt(60)
	v_add_f64 v[100:101], v[166:167], v[100:101]
	;; [unrolled: 2-line block ×32, first 2 shown]
	buffer_store_dword v98, v226, s[0:3], 0 offen
	buffer_store_dword v99, v226, s[0:3], 0 offen offset:4
	buffer_store_dword v100, v226, s[0:3], 0 offen offset:8
	buffer_store_dword v101, v226, s[0:3], 0 offen offset:12
	buffer_store_dword v102, v226, s[0:3], 0 offen offset:16
	buffer_store_dword v103, v226, s[0:3], 0 offen offset:20
	buffer_store_dword v104, v226, s[0:3], 0 offen offset:24
	buffer_store_dword v105, v226, s[0:3], 0 offen offset:28
	buffer_store_dword v106, v226, s[0:3], 0 offen offset:32
	buffer_store_dword v107, v226, s[0:3], 0 offen offset:36
	buffer_store_dword v108, v226, s[0:3], 0 offen offset:40
	buffer_store_dword v109, v226, s[0:3], 0 offen offset:44
	buffer_store_dword v110, v226, s[0:3], 0 offen offset:48
	buffer_store_dword v111, v226, s[0:3], 0 offen offset:52
	buffer_store_dword v112, v226, s[0:3], 0 offen offset:56
	buffer_store_dword v113, v226, s[0:3], 0 offen offset:60
	buffer_store_dword v115, v226, s[0:3], 0 offen offset:68
	buffer_store_dword v114, v226, s[0:3], 0 offen offset:64
	buffer_store_dword v117, v226, s[0:3], 0 offen offset:76
	buffer_store_dword v116, v226, s[0:3], 0 offen offset:72
	buffer_store_dword v119, v226, s[0:3], 0 offen offset:84
	buffer_store_dword v118, v226, s[0:3], 0 offen offset:80
	buffer_store_dword v121, v226, s[0:3], 0 offen offset:92
	buffer_store_dword v120, v226, s[0:3], 0 offen offset:88
	buffer_store_dword v123, v226, s[0:3], 0 offen offset:100
	buffer_store_dword v122, v226, s[0:3], 0 offen offset:96
	buffer_store_dword v125, v226, s[0:3], 0 offen offset:108
	buffer_store_dword v124, v226, s[0:3], 0 offen offset:104
	buffer_store_dword v127, v226, s[0:3], 0 offen offset:116
	buffer_store_dword v126, v226, s[0:3], 0 offen offset:112
	buffer_store_dword v129, v226, s[0:3], 0 offen offset:124
	buffer_store_dword v128, v226, s[0:3], 0 offen offset:120
	buffer_store_dword v131, v226, s[0:3], 0 offen offset:132
	buffer_store_dword v130, v226, s[0:3], 0 offen offset:128
	buffer_store_dword v133, v226, s[0:3], 0 offen offset:140
	buffer_store_dword v132, v226, s[0:3], 0 offen offset:136
	buffer_store_dword v135, v226, s[0:3], 0 offen offset:148
	buffer_store_dword v134, v226, s[0:3], 0 offen offset:144
	buffer_store_dword v137, v226, s[0:3], 0 offen offset:156
	buffer_store_dword v136, v226, s[0:3], 0 offen offset:152
	buffer_store_dword v139, v226, s[0:3], 0 offen offset:164
	buffer_store_dword v138, v226, s[0:3], 0 offen offset:160
	buffer_store_dword v141, v226, s[0:3], 0 offen offset:172
	buffer_store_dword v140, v226, s[0:3], 0 offen offset:168
	buffer_store_dword v143, v226, s[0:3], 0 offen offset:180
	buffer_store_dword v142, v226, s[0:3], 0 offen offset:176
	buffer_store_dword v145, v226, s[0:3], 0 offen offset:188
	buffer_store_dword v144, v226, s[0:3], 0 offen offset:184
	buffer_store_dword v147, v226, s[0:3], 0 offen offset:196
	buffer_store_dword v146, v226, s[0:3], 0 offen offset:192
	buffer_store_dword v149, v226, s[0:3], 0 offen offset:204
	buffer_store_dword v148, v226, s[0:3], 0 offen offset:200
	buffer_store_dword v151, v226, s[0:3], 0 offen offset:212
	buffer_store_dword v150, v226, s[0:3], 0 offen offset:208
	buffer_store_dword v153, v226, s[0:3], 0 offen offset:220
	buffer_store_dword v152, v226, s[0:3], 0 offen offset:216
	buffer_store_dword v155, v226, s[0:3], 0 offen offset:228
	buffer_store_dword v154, v226, s[0:3], 0 offen offset:224
	buffer_store_dword v157, v226, s[0:3], 0 offen offset:236
	buffer_store_dword v156, v226, s[0:3], 0 offen offset:232
	buffer_store_dword v159, v226, s[0:3], 0 offen offset:244
	buffer_store_dword v158, v226, s[0:3], 0 offen offset:240
	buffer_store_dword v161, v226, s[0:3], 0 offen offset:252
	buffer_store_dword v160, v226, s[0:3], 0 offen offset:248
	s_cbranch_vccnz .LBB147_26
; %bb.27:                               ;   in Loop: Header=BB147_25 Depth=2
	s_add_i32 s26, s26, 1
	s_cmp_eq_u32 s26, 4
	s_cbranch_scc0 .LBB147_25
; %bb.28:                               ;   in Loop: Header=BB147_20 Depth=1
	v_mov_b32_e32 v78, 0
	v_mov_b32_e32 v76, 0
	;; [unrolled: 1-line block ×4, first 2 shown]
	s_and_b32 vcc_lo, exec_lo, s7
	ds_write2st64_b64 v87, v[6:7], v[8:9] offset1:4
	ds_write2st64_b64 v88, v[10:11], v[12:13] offset1:4
	s_waitcnt lgkmcnt(0)
	s_waitcnt_vscnt null, 0x0
	s_barrier
	buffer_gl0_inv
	s_cbranch_vccnz .LBB147_30
; %bb.29:                               ;   in Loop: Header=BB147_20 Depth=1
	v_add_co_u32 v2, vcc_lo, v74, v70
	v_add_co_ci_u32_e64 v3, null, v97, v71, vcc_lo
	flat_load_dwordx2 v[2:3], v[2:3] offset:32
	s_waitcnt vmcnt(0) lgkmcnt(0)
	v_mul_f64 v[76:77], s[16:17], v[2:3]
.LBB147_30:                             ;   in Loop: Header=BB147_20 Depth=1
	v_mov_b32_e32 v80, 0
	v_mov_b32_e32 v82, 0
	;; [unrolled: 1-line block ×4, first 2 shown]
	s_and_b32 vcc_lo, exec_lo, s7
	s_cbranch_vccnz .LBB147_32
; %bb.31:                               ;   in Loop: Header=BB147_20 Depth=1
	v_add_nc_u32_e32 v4, s23, v86
	v_mad_u64_u32 v[2:3], null, v4, s19, 0
	v_mad_u64_u32 v[3:4], null, v4, s24, v[3:4]
	v_add_co_u32 v4, vcc_lo, v74, v72
	v_add_co_ci_u32_e64 v5, null, v97, v73, vcc_lo
	v_lshlrev_b64 v[2:3], 3, v[2:3]
	v_add_co_u32 v2, vcc_lo, v95, v2
	v_add_co_ci_u32_e64 v3, null, v96, v3, vcc_lo
	flat_load_dwordx2 v[4:5], v[4:5] offset:32
	s_clause 0x1
	flat_load_dwordx2 v[6:7], v[2:3]
	flat_load_dwordx2 v[2:3], v[2:3] offset:512
	s_waitcnt vmcnt(2) lgkmcnt(2)
	v_mul_f64 v[78:79], s[16:17], v[4:5]
	s_waitcnt vmcnt(1) lgkmcnt(1)
	v_mul_f64 v[80:81], s[16:17], v[6:7]
	s_waitcnt vmcnt(0) lgkmcnt(0)
	v_mul_f64 v[82:83], s[16:17], v[2:3]
.LBB147_32:                             ;   in Loop: Header=BB147_20 Depth=1
	s_mov_b32 s26, 0
.LBB147_33:                             ;   Parent Loop BB147_20 Depth=1
                                        ; =>  This Loop Header: Depth=2
                                        ;       Child Loop BB147_34 Depth 3
	s_lshl_b32 s27, s26, 3
	s_mov_b32 s28, 0
	v_add_nc_u32_e32 v30, s27, v89
	v_add_nc_u32_e32 v66, s27, v90
	s_mov_b32 s27, -1
	ds_read2_b64 v[2:5], v30 offset1:16
	ds_read2_b64 v[6:9], v30 offset0:32 offset1:48
	ds_read2_b64 v[10:13], v30 offset0:64 offset1:80
	;; [unrolled: 1-line block ×3, first 2 shown]
	v_add_nc_u32_e32 v62, 0x800, v30
	ds_read2_b64 v[18:21], v30 offset0:128 offset1:144
	ds_read2_b64 v[22:25], v30 offset0:160 offset1:176
	;; [unrolled: 1-line block ×4, first 2 shown]
	ds_read2_b64 v[34:37], v62 offset1:16
	ds_read2_b64 v[38:41], v62 offset0:32 offset1:48
	ds_read2_b64 v[42:45], v62 offset0:64 offset1:80
	;; [unrolled: 1-line block ×7, first 2 shown]
	ds_read2st64_b64 v[66:69], v66 offset1:4
.LBB147_34:                             ;   Parent Loop BB147_20 Depth=1
                                        ;     Parent Loop BB147_33 Depth=2
                                        ; =>    This Inner Loop Header: Depth=3
	v_mov_b32_e32 v74, s28
	s_waitcnt lgkmcnt(16)
	v_max_f64 v[161:162], v[2:3], v[2:3]
	s_waitcnt lgkmcnt(0)
	v_max_f64 v[163:164], v[66:67], v[66:67]
	v_max_f64 v[165:166], v[4:5], v[4:5]
	;; [unrolled: 1-line block ×3, first 2 shown]
	s_clause 0x3e
	buffer_load_dword v97, v74, s[0:3], 0 offen
	buffer_load_dword v98, v74, s[0:3], 0 offen offset:4
	buffer_load_dword v99, v74, s[0:3], 0 offen offset:8
	;; [unrolled: 1-line block ×63, first 2 shown]
	v_max_f64 v[169:170], v[8:9], v[8:9]
	v_max_f64 v[171:172], v[10:11], v[10:11]
	;; [unrolled: 1-line block ×29, first 2 shown]
	v_min_f64 v[161:162], v[161:162], v[163:164]
	v_min_f64 v[165:166], v[165:166], v[163:164]
	;; [unrolled: 1-line block ×32, first 2 shown]
	v_mov_b32_e32 v66, v68
	v_mov_b32_e32 v67, v69
	s_and_b32 vcc_lo, exec_lo, s27
	s_mov_b32 s27, 0
	s_mov_b32 s28, s18
	s_waitcnt vmcnt(62)
	v_add_f64 v[97:98], v[161:162], v[97:98]
	s_waitcnt vmcnt(60)
	v_add_f64 v[99:100], v[165:166], v[99:100]
	s_waitcnt vmcnt(58)
	v_add_f64 v[101:102], v[167:168], v[101:102]
	s_waitcnt vmcnt(56)
	v_add_f64 v[103:104], v[169:170], v[103:104]
	s_waitcnt vmcnt(54)
	v_add_f64 v[105:106], v[171:172], v[105:106]
	s_waitcnt vmcnt(52)
	v_add_f64 v[107:108], v[173:174], v[107:108]
	s_waitcnt vmcnt(50)
	v_add_f64 v[109:110], v[175:176], v[109:110]
	s_waitcnt vmcnt(48)
	v_add_f64 v[111:112], v[177:178], v[111:112]
	s_waitcnt vmcnt(45)
	v_add_f64 v[115:116], v[181:182], v[115:116]
	s_waitcnt vmcnt(43)
	v_add_f64 v[117:118], v[183:184], v[117:118]
	s_waitcnt vmcnt(41)
	v_add_f64 v[119:120], v[185:186], v[119:120]
	s_waitcnt vmcnt(40)
	v_add_f64 v[113:114], v[179:180], v[113:114]
	s_waitcnt vmcnt(38)
	v_add_f64 v[121:122], v[187:188], v[121:122]
	s_waitcnt vmcnt(36)
	v_add_f64 v[123:124], v[189:190], v[123:124]
	s_waitcnt vmcnt(34)
	v_add_f64 v[125:126], v[191:192], v[125:126]
	s_waitcnt vmcnt(32)
	v_add_f64 v[127:128], v[193:194], v[127:128]
	s_waitcnt vmcnt(30)
	v_add_f64 v[129:130], v[195:196], v[129:130]
	s_waitcnt vmcnt(28)
	v_add_f64 v[131:132], v[197:198], v[131:132]
	s_waitcnt vmcnt(26)
	v_add_f64 v[133:134], v[199:200], v[133:134]
	s_waitcnt vmcnt(24)
	v_add_f64 v[135:136], v[201:202], v[135:136]
	s_waitcnt vmcnt(22)
	v_add_f64 v[137:138], v[203:204], v[137:138]
	s_waitcnt vmcnt(20)
	v_add_f64 v[139:140], v[205:206], v[139:140]
	s_waitcnt vmcnt(18)
	v_add_f64 v[141:142], v[207:208], v[141:142]
	s_waitcnt vmcnt(16)
	v_add_f64 v[143:144], v[209:210], v[143:144]
	s_waitcnt vmcnt(14)
	v_add_f64 v[145:146], v[211:212], v[145:146]
	s_waitcnt vmcnt(12)
	v_add_f64 v[147:148], v[213:214], v[147:148]
	s_waitcnt vmcnt(10)
	v_add_f64 v[149:150], v[215:216], v[149:150]
	s_waitcnt vmcnt(8)
	v_add_f64 v[151:152], v[217:218], v[151:152]
	s_waitcnt vmcnt(6)
	v_add_f64 v[153:154], v[219:220], v[153:154]
	s_waitcnt vmcnt(4)
	v_add_f64 v[155:156], v[221:222], v[155:156]
	s_waitcnt vmcnt(2)
	v_add_f64 v[157:158], v[223:224], v[157:158]
	s_waitcnt vmcnt(0)
	v_add_f64 v[159:160], v[163:164], v[159:160]
	buffer_store_dword v97, v74, s[0:3], 0 offen
	buffer_store_dword v98, v74, s[0:3], 0 offen offset:4
	buffer_store_dword v99, v74, s[0:3], 0 offen offset:8
	buffer_store_dword v100, v74, s[0:3], 0 offen offset:12
	buffer_store_dword v101, v74, s[0:3], 0 offen offset:16
	buffer_store_dword v102, v74, s[0:3], 0 offen offset:20
	buffer_store_dword v103, v74, s[0:3], 0 offen offset:24
	buffer_store_dword v104, v74, s[0:3], 0 offen offset:28
	buffer_store_dword v105, v74, s[0:3], 0 offen offset:32
	buffer_store_dword v106, v74, s[0:3], 0 offen offset:36
	buffer_store_dword v107, v74, s[0:3], 0 offen offset:40
	buffer_store_dword v108, v74, s[0:3], 0 offen offset:44
	buffer_store_dword v109, v74, s[0:3], 0 offen offset:48
	buffer_store_dword v110, v74, s[0:3], 0 offen offset:52
	buffer_store_dword v111, v74, s[0:3], 0 offen offset:56
	buffer_store_dword v112, v74, s[0:3], 0 offen offset:60
	buffer_store_dword v114, v74, s[0:3], 0 offen offset:68
	buffer_store_dword v113, v74, s[0:3], 0 offen offset:64
	buffer_store_dword v116, v74, s[0:3], 0 offen offset:76
	buffer_store_dword v115, v74, s[0:3], 0 offen offset:72
	buffer_store_dword v118, v74, s[0:3], 0 offen offset:84
	buffer_store_dword v117, v74, s[0:3], 0 offen offset:80
	buffer_store_dword v120, v74, s[0:3], 0 offen offset:92
	buffer_store_dword v119, v74, s[0:3], 0 offen offset:88
	buffer_store_dword v122, v74, s[0:3], 0 offen offset:100
	buffer_store_dword v121, v74, s[0:3], 0 offen offset:96
	buffer_store_dword v124, v74, s[0:3], 0 offen offset:108
	buffer_store_dword v123, v74, s[0:3], 0 offen offset:104
	buffer_store_dword v126, v74, s[0:3], 0 offen offset:116
	buffer_store_dword v125, v74, s[0:3], 0 offen offset:112
	buffer_store_dword v128, v74, s[0:3], 0 offen offset:124
	buffer_store_dword v127, v74, s[0:3], 0 offen offset:120
	buffer_store_dword v130, v74, s[0:3], 0 offen offset:132
	buffer_store_dword v129, v74, s[0:3], 0 offen offset:128
	buffer_store_dword v132, v74, s[0:3], 0 offen offset:140
	buffer_store_dword v131, v74, s[0:3], 0 offen offset:136
	buffer_store_dword v134, v74, s[0:3], 0 offen offset:148
	buffer_store_dword v133, v74, s[0:3], 0 offen offset:144
	buffer_store_dword v136, v74, s[0:3], 0 offen offset:156
	buffer_store_dword v135, v74, s[0:3], 0 offen offset:152
	buffer_store_dword v138, v74, s[0:3], 0 offen offset:164
	buffer_store_dword v137, v74, s[0:3], 0 offen offset:160
	buffer_store_dword v140, v74, s[0:3], 0 offen offset:172
	buffer_store_dword v139, v74, s[0:3], 0 offen offset:168
	buffer_store_dword v142, v74, s[0:3], 0 offen offset:180
	buffer_store_dword v141, v74, s[0:3], 0 offen offset:176
	buffer_store_dword v144, v74, s[0:3], 0 offen offset:188
	buffer_store_dword v143, v74, s[0:3], 0 offen offset:184
	buffer_store_dword v146, v74, s[0:3], 0 offen offset:196
	buffer_store_dword v145, v74, s[0:3], 0 offen offset:192
	buffer_store_dword v148, v74, s[0:3], 0 offen offset:204
	buffer_store_dword v147, v74, s[0:3], 0 offen offset:200
	buffer_store_dword v150, v74, s[0:3], 0 offen offset:212
	buffer_store_dword v149, v74, s[0:3], 0 offen offset:208
	buffer_store_dword v152, v74, s[0:3], 0 offen offset:220
	buffer_store_dword v151, v74, s[0:3], 0 offen offset:216
	buffer_store_dword v154, v74, s[0:3], 0 offen offset:228
	buffer_store_dword v153, v74, s[0:3], 0 offen offset:224
	buffer_store_dword v156, v74, s[0:3], 0 offen offset:236
	buffer_store_dword v155, v74, s[0:3], 0 offen offset:232
	buffer_store_dword v158, v74, s[0:3], 0 offen offset:244
	buffer_store_dword v157, v74, s[0:3], 0 offen offset:240
	buffer_store_dword v160, v74, s[0:3], 0 offen offset:252
	buffer_store_dword v159, v74, s[0:3], 0 offen offset:248
	s_cbranch_vccnz .LBB147_34
; %bb.35:                               ;   in Loop: Header=BB147_33 Depth=2
	s_add_i32 s26, s26, 1
	s_cmp_eq_u32 s26, 4
	s_cbranch_scc0 .LBB147_33
; %bb.36:                               ;   in Loop: Header=BB147_20 Depth=1
	s_add_i32 s25, s25, 8
	s_add_i32 s23, s23, 8
	s_cmp_ge_i32 s25, s22
	ds_write2st64_b64 v93, v[76:77], v[78:79] offset1:4
	ds_write2st64_b64 v94, v[80:81], v[82:83] offset1:4
	s_waitcnt lgkmcnt(0)
	s_waitcnt_vscnt null, 0x0
	s_barrier
	buffer_gl0_inv
	s_cbranch_scc0 .LBB147_20
.LBB147_37:
	s_mov_b32 s7, 0
.LBB147_38:                             ; =>This Loop Header: Depth=1
                                        ;     Child Loop BB147_39 Depth 2
	s_lshl_b32 s16, s7, 3
	s_mov_b32 s17, 0
	v_add_nc_u32_e32 v6, s16, v91
	v_add_nc_u32_e32 v70, s16, v92
	s_mov_b32 s16, -1
	ds_read2_b64 v[2:5], v6 offset1:16
	ds_read2_b64 v[10:13], v6 offset0:32 offset1:48
	ds_read2_b64 v[14:17], v6 offset0:64 offset1:80
	v_add_nc_u32_e32 v7, 0x800, v6
	ds_read2_b64 v[18:21], v6 offset0:96 offset1:112
	ds_read2_b64 v[22:25], v6 offset0:128 offset1:144
	;; [unrolled: 1-line block ×5, first 2 shown]
	ds_read2_b64 v[38:41], v7 offset1:16
	ds_read2_b64 v[42:45], v7 offset0:32 offset1:48
	ds_read2_b64 v[46:49], v7 offset0:64 offset1:80
	;; [unrolled: 1-line block ×7, first 2 shown]
	s_waitcnt lgkmcnt(11)
	v_max_f64 v[22:23], v[22:23], v[22:23]
	v_max_f64 v[24:25], v[24:25], v[24:25]
	s_waitcnt lgkmcnt(10)
	v_max_f64 v[26:27], v[26:27], v[26:27]
	v_max_f64 v[28:29], v[28:29], v[28:29]
	;; [unrolled: 3-line block ×3, first 2 shown]
	v_max_f64 v[6:7], v[2:3], v[2:3]
	v_max_f64 v[8:9], v[4:5], v[4:5]
	;; [unrolled: 1-line block ×8, first 2 shown]
	s_waitcnt lgkmcnt(8)
	v_max_f64 v[34:35], v[34:35], v[34:35]
	v_max_f64 v[36:37], v[36:37], v[36:37]
	s_waitcnt lgkmcnt(7)
	v_max_f64 v[38:39], v[38:39], v[38:39]
	v_max_f64 v[40:41], v[40:41], v[40:41]
	;; [unrolled: 3-line block ×9, first 2 shown]
	ds_read2st64_b64 v[2:5], v70 offset1:4
.LBB147_39:                             ;   Parent Loop BB147_38 Depth=1
                                        ; =>  This Inner Loop Header: Depth=2
	v_mov_b32_e32 v90, s17
	s_waitcnt lgkmcnt(0)
	v_max_f64 v[137:138], v[2:3], v[2:3]
	v_mov_b32_e32 v2, v4
	v_mov_b32_e32 v3, v5
	s_and_b32 vcc_lo, exec_lo, s16
	s_clause 0x3e
	buffer_load_dword v70, v90, s[0:3], 0 offen
	buffer_load_dword v71, v90, s[0:3], 0 offen offset:4
	buffer_load_dword v72, v90, s[0:3], 0 offen offset:8
	;; [unrolled: 1-line block ×63, first 2 shown]
	s_mov_b32 s16, 0
	s_mov_b32 s17, s18
	v_min_f64 v[139:140], v[6:7], v[137:138]
	v_min_f64 v[141:142], v[8:9], v[137:138]
	;; [unrolled: 1-line block ×32, first 2 shown]
	s_waitcnt vmcnt(62)
	v_add_f64 v[70:71], v[139:140], v[70:71]
	s_waitcnt vmcnt(60)
	v_add_f64 v[72:73], v[141:142], v[72:73]
	;; [unrolled: 2-line block ×32, first 2 shown]
	buffer_store_dword v70, v90, s[0:3], 0 offen
	buffer_store_dword v71, v90, s[0:3], 0 offen offset:4
	buffer_store_dword v72, v90, s[0:3], 0 offen offset:8
	buffer_store_dword v73, v90, s[0:3], 0 offen offset:12
	buffer_store_dword v74, v90, s[0:3], 0 offen offset:16
	buffer_store_dword v75, v90, s[0:3], 0 offen offset:20
	buffer_store_dword v76, v90, s[0:3], 0 offen offset:24
	buffer_store_dword v77, v90, s[0:3], 0 offen offset:28
	buffer_store_dword v78, v90, s[0:3], 0 offen offset:32
	buffer_store_dword v79, v90, s[0:3], 0 offen offset:36
	buffer_store_dword v80, v90, s[0:3], 0 offen offset:40
	buffer_store_dword v81, v90, s[0:3], 0 offen offset:44
	buffer_store_dword v82, v90, s[0:3], 0 offen offset:48
	buffer_store_dword v83, v90, s[0:3], 0 offen offset:52
	buffer_store_dword v84, v90, s[0:3], 0 offen offset:56
	buffer_store_dword v85, v90, s[0:3], 0 offen offset:60
	buffer_store_dword v87, v90, s[0:3], 0 offen offset:68
	buffer_store_dword v86, v90, s[0:3], 0 offen offset:64
	buffer_store_dword v89, v90, s[0:3], 0 offen offset:76
	buffer_store_dword v88, v90, s[0:3], 0 offen offset:72
	buffer_store_dword v94, v90, s[0:3], 0 offen offset:84
	buffer_store_dword v93, v90, s[0:3], 0 offen offset:80
	buffer_store_dword v96, v90, s[0:3], 0 offen offset:92
	buffer_store_dword v95, v90, s[0:3], 0 offen offset:88
	buffer_store_dword v98, v90, s[0:3], 0 offen offset:100
	buffer_store_dword v97, v90, s[0:3], 0 offen offset:96
	buffer_store_dword v100, v90, s[0:3], 0 offen offset:108
	buffer_store_dword v99, v90, s[0:3], 0 offen offset:104
	buffer_store_dword v102, v90, s[0:3], 0 offen offset:116
	buffer_store_dword v101, v90, s[0:3], 0 offen offset:112
	buffer_store_dword v104, v90, s[0:3], 0 offen offset:124
	buffer_store_dword v103, v90, s[0:3], 0 offen offset:120
	buffer_store_dword v106, v90, s[0:3], 0 offen offset:132
	buffer_store_dword v105, v90, s[0:3], 0 offen offset:128
	buffer_store_dword v108, v90, s[0:3], 0 offen offset:140
	buffer_store_dword v107, v90, s[0:3], 0 offen offset:136
	buffer_store_dword v110, v90, s[0:3], 0 offen offset:148
	buffer_store_dword v109, v90, s[0:3], 0 offen offset:144
	buffer_store_dword v112, v90, s[0:3], 0 offen offset:156
	buffer_store_dword v111, v90, s[0:3], 0 offen offset:152
	buffer_store_dword v114, v90, s[0:3], 0 offen offset:164
	buffer_store_dword v113, v90, s[0:3], 0 offen offset:160
	buffer_store_dword v116, v90, s[0:3], 0 offen offset:172
	buffer_store_dword v115, v90, s[0:3], 0 offen offset:168
	buffer_store_dword v118, v90, s[0:3], 0 offen offset:180
	buffer_store_dword v117, v90, s[0:3], 0 offen offset:176
	buffer_store_dword v120, v90, s[0:3], 0 offen offset:188
	buffer_store_dword v119, v90, s[0:3], 0 offen offset:184
	buffer_store_dword v122, v90, s[0:3], 0 offen offset:196
	buffer_store_dword v121, v90, s[0:3], 0 offen offset:192
	buffer_store_dword v124, v90, s[0:3], 0 offen offset:204
	buffer_store_dword v123, v90, s[0:3], 0 offen offset:200
	buffer_store_dword v126, v90, s[0:3], 0 offen offset:212
	buffer_store_dword v125, v90, s[0:3], 0 offen offset:208
	buffer_store_dword v128, v90, s[0:3], 0 offen offset:220
	buffer_store_dword v127, v90, s[0:3], 0 offen offset:216
	buffer_store_dword v130, v90, s[0:3], 0 offen offset:228
	buffer_store_dword v129, v90, s[0:3], 0 offen offset:224
	buffer_store_dword v132, v90, s[0:3], 0 offen offset:236
	buffer_store_dword v131, v90, s[0:3], 0 offen offset:232
	buffer_store_dword v134, v90, s[0:3], 0 offen offset:244
	buffer_store_dword v133, v90, s[0:3], 0 offen offset:240
	buffer_store_dword v136, v90, s[0:3], 0 offen offset:252
	buffer_store_dword v135, v90, s[0:3], 0 offen offset:248
	s_cbranch_vccnz .LBB147_39
; %bb.40:                               ;   in Loop: Header=BB147_38 Depth=1
	s_add_i32 s7, s7, 1
	s_cmp_eq_u32 s7, 4
	s_cbranch_scc0 .LBB147_38
; %bb.41:
	s_clause 0x1
	buffer_load_dword v2, off, s[0:3], 0
	buffer_load_dword v3, off, s[0:3], 0 offset:4
	s_load_dword s7, s[4:5], 0x58
	v_add_nc_u32_e32 v69, s10, v1
	v_add_nc_u32_e32 v12, s6, v0
	v_cndmask_b32_e64 v0, 0, 1, s11
	v_mov_b32_e32 v6, 0
	v_mov_b32_e32 v7, 0
	v_ashrrev_i32_e32 v13, 31, v12
	v_cmp_ne_u32_e64 s6, 1, v0
	v_lshlrev_b64 v[0:1], 3, v[12:13]
	s_waitcnt lgkmcnt(0)
	v_mad_i64_i32 v[4:5], null, v69, s7, 0
	v_lshlrev_b64 v[8:9], 3, v[4:5]
	v_mov_b32_e32 v4, 0
	v_mov_b32_e32 v5, 0
	v_add_co_u32 v70, vcc_lo, s12, v8
	v_add_co_ci_u32_e64 v71, null, s13, v9, vcc_lo
	s_andn2_b32 vcc_lo, exec_lo, s11
	s_cbranch_vccnz .LBB147_43
; %bb.42:
	v_add_co_u32 v6, vcc_lo, v70, v0
	v_add_co_ci_u32_e64 v7, null, v71, v1, vcc_lo
	flat_load_dwordx2 v[6:7], v[6:7]
	s_waitcnt vmcnt(0) lgkmcnt(0)
	v_mul_f64 v[6:7], s[14:15], v[6:7]
.LBB147_43:
	s_clause 0x1
	s_load_dword s10, s[4:5], 0x70
	s_load_dwordx2 s[4:5], s[4:5], 0x78
	s_waitcnt vmcnt(0)
	v_add_f64 v[2:3], v[2:3], v[6:7]
	s_waitcnt lgkmcnt(0)
	v_mad_i64_i32 v[8:9], null, v69, s10, 0
	s_lshl_b64 s[4:5], s[4:5], 3
	s_add_u32 s4, s8, s4
	s_addc_u32 s5, s9, s5
	v_lshlrev_b64 v[6:7], 3, v[8:9]
	v_add_co_u32 v72, vcc_lo, s4, v6
	v_add_co_ci_u32_e64 v73, null, s5, v7, vcc_lo
	v_add_co_u32 v6, vcc_lo, v72, v0
	v_add_co_ci_u32_e64 v7, null, v73, v1, vcc_lo
	s_and_b32 vcc_lo, exec_lo, s6
	flat_store_dwordx2 v[6:7], v[2:3]
	s_clause 0x1
	buffer_load_dword v6, off, s[0:3], 0 offset:8
	buffer_load_dword v7, off, s[0:3], 0 offset:12
	v_add_nc_u32_e32 v2, 4, v12
	v_ashrrev_i32_e32 v3, 31, v2
	v_lshlrev_b64 v[2:3], 3, v[2:3]
	s_cbranch_vccnz .LBB147_45
; %bb.44:
	v_add_co_u32 v4, vcc_lo, v70, v2
	v_add_co_ci_u32_e64 v5, null, v71, v3, vcc_lo
	flat_load_dwordx2 v[4:5], v[4:5]
	s_waitcnt vmcnt(0) lgkmcnt(0)
	v_mul_f64 v[4:5], s[14:15], v[4:5]
.LBB147_45:
	s_waitcnt vmcnt(0)
	v_add_f64 v[4:5], v[6:7], v[4:5]
	v_add_co_u32 v6, vcc_lo, v72, v2
	v_add_co_ci_u32_e64 v7, null, v73, v3, vcc_lo
	v_mov_b32_e32 v8, 0
	v_mov_b32_e32 v10, 0
	v_mov_b32_e32 v9, 0
	v_mov_b32_e32 v11, 0
	s_and_b32 vcc_lo, exec_lo, s6
	flat_store_dwordx2 v[6:7], v[4:5]
	s_clause 0x1
	buffer_load_dword v6, off, s[0:3], 0 offset:16
	buffer_load_dword v7, off, s[0:3], 0 offset:20
	v_add_nc_u32_e32 v4, 8, v12
	v_ashrrev_i32_e32 v5, 31, v4
	v_lshlrev_b64 v[4:5], 3, v[4:5]
	s_cbranch_vccnz .LBB147_47
; %bb.46:
	v_add_co_u32 v10, vcc_lo, v70, v4
	v_add_co_ci_u32_e64 v11, null, v71, v5, vcc_lo
	flat_load_dwordx2 v[10:11], v[10:11]
	s_waitcnt vmcnt(0) lgkmcnt(0)
	v_mul_f64 v[10:11], s[14:15], v[10:11]
.LBB147_47:
	s_waitcnt vmcnt(0)
	v_add_f64 v[6:7], v[6:7], v[10:11]
	v_add_co_u32 v10, vcc_lo, v72, v4
	v_add_co_ci_u32_e64 v11, null, v73, v5, vcc_lo
	s_and_b32 vcc_lo, exec_lo, s6
	flat_store_dwordx2 v[10:11], v[6:7]
	s_clause 0x1
	buffer_load_dword v10, off, s[0:3], 0 offset:24
	buffer_load_dword v11, off, s[0:3], 0 offset:28
	v_add_nc_u32_e32 v6, 12, v12
	v_ashrrev_i32_e32 v7, 31, v6
	v_lshlrev_b64 v[6:7], 3, v[6:7]
	s_cbranch_vccnz .LBB147_49
; %bb.48:
	v_add_co_u32 v8, vcc_lo, v70, v6
	v_add_co_ci_u32_e64 v9, null, v71, v7, vcc_lo
	flat_load_dwordx2 v[8:9], v[8:9]
	s_waitcnt vmcnt(0) lgkmcnt(0)
	v_mul_f64 v[8:9], s[14:15], v[8:9]
.LBB147_49:
	s_waitcnt vmcnt(0)
	v_add_f64 v[8:9], v[10:11], v[8:9]
	v_add_co_u32 v10, vcc_lo, v72, v6
	v_add_co_ci_u32_e64 v11, null, v73, v7, vcc_lo
	v_mov_b32_e32 v13, 0
	v_mov_b32_e32 v15, 0
	v_mov_b32_e32 v14, 0
	v_mov_b32_e32 v16, 0
	s_and_b32 vcc_lo, exec_lo, s6
	flat_store_dwordx2 v[10:11], v[8:9]
	s_clause 0x1
	buffer_load_dword v10, off, s[0:3], 0 offset:32
	buffer_load_dword v11, off, s[0:3], 0 offset:36
	v_add_nc_u32_e32 v8, 16, v12
	v_ashrrev_i32_e32 v9, 31, v8
	v_lshlrev_b64 v[8:9], 3, v[8:9]
	s_cbranch_vccnz .LBB147_51
; %bb.50:
	v_add_co_u32 v15, vcc_lo, v70, v8
	v_add_co_ci_u32_e64 v16, null, v71, v9, vcc_lo
	flat_load_dwordx2 v[15:16], v[15:16]
	s_waitcnt vmcnt(0) lgkmcnt(0)
	v_mul_f64 v[15:16], s[14:15], v[15:16]
.LBB147_51:
	s_waitcnt vmcnt(0)
	v_add_f64 v[10:11], v[10:11], v[15:16]
	;; [unrolled: 44-line block ×15, first 2 shown]
	v_add_co_u32 v67, vcc_lo, v72, v61
	v_add_co_ci_u32_e64 v68, null, v73, v62, vcc_lo
	s_and_b32 vcc_lo, exec_lo, s6
	flat_store_dwordx2 v[67:68], v[63:64]
	s_clause 0x1
	buffer_load_dword v67, off, s[0:3], 0 offset:248
	buffer_load_dword v68, off, s[0:3], 0 offset:252
	v_add_nc_u32_e32 v63, 0x7c, v12
	v_ashrrev_i32_e32 v64, 31, v63
	v_lshlrev_b64 v[63:64], 3, v[63:64]
	s_cbranch_vccnz .LBB147_105
; %bb.104:
	v_add_co_u32 v65, vcc_lo, v70, v63
	v_add_co_ci_u32_e64 v66, null, v71, v64, vcc_lo
	flat_load_dwordx2 v[65:66], v[65:66]
	s_waitcnt vmcnt(0) lgkmcnt(0)
	v_mul_f64 v[65:66], s[14:15], v[65:66]
.LBB147_105:
	s_waitcnt vmcnt(0)
	v_add_f64 v[65:66], v[67:68], v[65:66]
	v_add_co_u32 v67, vcc_lo, v72, v63
	v_add_co_ci_u32_e64 v68, null, v73, v64, vcc_lo
	v_add_nc_u32_e32 v72, 64, v69
	v_mov_b32_e32 v69, 0
	v_mov_b32_e32 v70, 0
	flat_store_dwordx2 v[67:68], v[65:66]
	s_clause 0x1
	buffer_load_dword v67, off, s[0:3], 0 offset:256
	buffer_load_dword v68, off, s[0:3], 0 offset:260
	v_mad_i64_i32 v[65:66], null, v72, s7, 0
	v_lshlrev_b64 v[73:74], 3, v[65:66]
	v_mov_b32_e32 v65, 0
	v_mov_b32_e32 v66, 0
	v_add_co_u32 v12, vcc_lo, s12, v73
	v_add_co_ci_u32_e64 v71, null, s13, v74, vcc_lo
	s_and_b32 vcc_lo, exec_lo, s6
	s_cbranch_vccnz .LBB147_107
; %bb.106:
	v_add_co_u32 v69, vcc_lo, v12, v0
	v_add_co_ci_u32_e64 v70, null, v71, v1, vcc_lo
	flat_load_dwordx2 v[69:70], v[69:70]
	s_waitcnt vmcnt(0) lgkmcnt(0)
	v_mul_f64 v[69:70], s[14:15], v[69:70]
.LBB147_107:
	v_mad_i64_i32 v[72:73], null, v72, s10, 0
	s_waitcnt vmcnt(0)
	v_add_f64 v[69:70], v[67:68], v[69:70]
	v_lshlrev_b64 v[67:68], 3, v[72:73]
	v_add_co_u32 v67, vcc_lo, s4, v67
	v_add_co_ci_u32_e64 v68, null, s5, v68, vcc_lo
	v_add_co_u32 v0, vcc_lo, v67, v0
	v_add_co_ci_u32_e64 v1, null, v68, v1, vcc_lo
	s_and_b32 vcc_lo, exec_lo, s6
	flat_store_dwordx2 v[0:1], v[69:70]
	s_clause 0x1
	buffer_load_dword v0, off, s[0:3], 0 offset:264
	buffer_load_dword v1, off, s[0:3], 0 offset:268
	s_cbranch_vccnz .LBB147_109
; %bb.108:
	v_add_co_u32 v65, vcc_lo, v12, v2
	v_add_co_ci_u32_e64 v66, null, v71, v3, vcc_lo
	flat_load_dwordx2 v[65:66], v[65:66]
	s_waitcnt vmcnt(0) lgkmcnt(0)
	v_mul_f64 v[65:66], s[14:15], v[65:66]
.LBB147_109:
	s_waitcnt vmcnt(0)
	v_add_f64 v[0:1], v[0:1], v[65:66]
	v_add_co_u32 v2, vcc_lo, v67, v2
	v_add_co_ci_u32_e64 v3, null, v68, v3, vcc_lo
	v_mov_b32_e32 v65, 0
	v_mov_b32_e32 v66, 0
	s_and_b32 vcc_lo, exec_lo, s6
	flat_store_dwordx2 v[2:3], v[0:1]
	s_clause 0x1
	buffer_load_dword v2, off, s[0:3], 0 offset:272
	buffer_load_dword v3, off, s[0:3], 0 offset:276
	v_mov_b32_e32 v0, 0
	v_mov_b32_e32 v1, 0
	s_cbranch_vccnz .LBB147_111
; %bb.110:
	v_add_co_u32 v65, vcc_lo, v12, v4
	v_add_co_ci_u32_e64 v66, null, v71, v5, vcc_lo
	flat_load_dwordx2 v[65:66], v[65:66]
	s_waitcnt vmcnt(0) lgkmcnt(0)
	v_mul_f64 v[65:66], s[14:15], v[65:66]
.LBB147_111:
	s_waitcnt vmcnt(0)
	v_add_f64 v[2:3], v[2:3], v[65:66]
	v_add_co_u32 v4, vcc_lo, v67, v4
	v_add_co_ci_u32_e64 v5, null, v68, v5, vcc_lo
	s_and_b32 vcc_lo, exec_lo, s6
	flat_store_dwordx2 v[4:5], v[2:3]
	s_clause 0x1
	buffer_load_dword v2, off, s[0:3], 0 offset:280
	buffer_load_dword v3, off, s[0:3], 0 offset:284
	s_cbranch_vccnz .LBB147_113
; %bb.112:
	v_add_co_u32 v0, vcc_lo, v12, v6
	v_add_co_ci_u32_e64 v1, null, v71, v7, vcc_lo
	flat_load_dwordx2 v[0:1], v[0:1]
	s_waitcnt vmcnt(0) lgkmcnt(0)
	v_mul_f64 v[0:1], s[14:15], v[0:1]
.LBB147_113:
	s_waitcnt vmcnt(0)
	v_add_f64 v[0:1], v[2:3], v[0:1]
	v_add_co_u32 v2, vcc_lo, v67, v6
	v_add_co_ci_u32_e64 v3, null, v68, v7, vcc_lo
	v_mov_b32_e32 v4, 0
	v_mov_b32_e32 v5, 0
	s_and_b32 vcc_lo, exec_lo, s6
	flat_store_dwordx2 v[2:3], v[0:1]
	s_clause 0x1
	buffer_load_dword v2, off, s[0:3], 0 offset:288
	buffer_load_dword v3, off, s[0:3], 0 offset:292
	v_mov_b32_e32 v0, 0
	v_mov_b32_e32 v1, 0
	s_cbranch_vccnz .LBB147_115
; %bb.114:
	v_add_co_u32 v4, vcc_lo, v12, v8
	v_add_co_ci_u32_e64 v5, null, v71, v9, vcc_lo
	flat_load_dwordx2 v[4:5], v[4:5]
	s_waitcnt vmcnt(0) lgkmcnt(0)
	v_mul_f64 v[4:5], s[14:15], v[4:5]
.LBB147_115:
	s_waitcnt vmcnt(0)
	v_add_f64 v[2:3], v[2:3], v[4:5]
	;; [unrolled: 38-line block ×15, first 2 shown]
	v_add_co_u32 v4, vcc_lo, v67, v61
	v_add_co_ci_u32_e64 v5, null, v68, v62, vcc_lo
	s_and_b32 vcc_lo, exec_lo, s6
	flat_store_dwordx2 v[4:5], v[2:3]
	s_clause 0x1
	buffer_load_dword v2, off, s[0:3], 0 offset:504
	buffer_load_dword v3, off, s[0:3], 0 offset:508
	s_cbranch_vccnz .LBB147_169
; %bb.168:
	v_add_co_u32 v0, vcc_lo, v12, v63
	v_add_co_ci_u32_e64 v1, null, v71, v64, vcc_lo
	flat_load_dwordx2 v[0:1], v[0:1]
	s_waitcnt vmcnt(0) lgkmcnt(0)
	v_mul_f64 v[0:1], s[14:15], v[0:1]
.LBB147_169:
	s_waitcnt vmcnt(0)
	v_add_f64 v[0:1], v[2:3], v[0:1]
	v_add_co_u32 v2, vcc_lo, v67, v63
	v_add_co_ci_u32_e64 v3, null, v68, v64, vcc_lo
	flat_store_dwordx2 v[2:3], v[0:1]
	s_endpgm
	.section	.rodata,"a",@progbits
	.p2align	6, 0x0
	.amdhsa_kernel _ZN12_GLOBAL__N_120geam_min_plus_kernelIdddLi4ELi64ELi128ELi128ELi4ELi4ELi64ELi64ELi4ELc84ELc84ELb0ELb0ELb0EPKdKS2_KPdEEviiiT16_PT17_ilS8_ilS6_S8_ilPT18_ili26rocblas_geam_ex_operation_
		.amdhsa_group_segment_fixed_size 16384
		.amdhsa_private_segment_fixed_size 528
		.amdhsa_kernarg_size 136
		.amdhsa_user_sgpr_count 6
		.amdhsa_user_sgpr_private_segment_buffer 1
		.amdhsa_user_sgpr_dispatch_ptr 0
		.amdhsa_user_sgpr_queue_ptr 0
		.amdhsa_user_sgpr_kernarg_segment_ptr 1
		.amdhsa_user_sgpr_dispatch_id 0
		.amdhsa_user_sgpr_flat_scratch_init 0
		.amdhsa_user_sgpr_private_segment_size 0
		.amdhsa_wavefront_size32 1
		.amdhsa_uses_dynamic_stack 0
		.amdhsa_system_sgpr_private_segment_wavefront_offset 1
		.amdhsa_system_sgpr_workgroup_id_x 1
		.amdhsa_system_sgpr_workgroup_id_y 0
		.amdhsa_system_sgpr_workgroup_id_z 1
		.amdhsa_system_sgpr_workgroup_info 0
		.amdhsa_system_vgpr_workitem_id 1
		.amdhsa_next_free_vgpr 227
		.amdhsa_next_free_sgpr 29
		.amdhsa_reserve_vcc 1
		.amdhsa_reserve_flat_scratch 1
		.amdhsa_float_round_mode_32 0
		.amdhsa_float_round_mode_16_64 0
		.amdhsa_float_denorm_mode_32 3
		.amdhsa_float_denorm_mode_16_64 3
		.amdhsa_dx10_clamp 1
		.amdhsa_ieee_mode 1
		.amdhsa_fp16_overflow 0
		.amdhsa_workgroup_processor_mode 1
		.amdhsa_memory_ordered 1
		.amdhsa_forward_progress 1
		.amdhsa_shared_vgpr_count 0
		.amdhsa_exception_fp_ieee_invalid_op 0
		.amdhsa_exception_fp_denorm_src 0
		.amdhsa_exception_fp_ieee_div_zero 0
		.amdhsa_exception_fp_ieee_overflow 0
		.amdhsa_exception_fp_ieee_underflow 0
		.amdhsa_exception_fp_ieee_inexact 0
		.amdhsa_exception_int_div_zero 0
	.end_amdhsa_kernel
	.section	.text._ZN12_GLOBAL__N_120geam_min_plus_kernelIdddLi4ELi64ELi128ELi128ELi4ELi4ELi64ELi64ELi4ELc84ELc84ELb0ELb0ELb0EPKdKS2_KPdEEviiiT16_PT17_ilS8_ilS6_S8_ilPT18_ili26rocblas_geam_ex_operation_,"axG",@progbits,_ZN12_GLOBAL__N_120geam_min_plus_kernelIdddLi4ELi64ELi128ELi128ELi4ELi4ELi64ELi64ELi4ELc84ELc84ELb0ELb0ELb0EPKdKS2_KPdEEviiiT16_PT17_ilS8_ilS6_S8_ilPT18_ili26rocblas_geam_ex_operation_,comdat
.Lfunc_end147:
	.size	_ZN12_GLOBAL__N_120geam_min_plus_kernelIdddLi4ELi64ELi128ELi128ELi4ELi4ELi64ELi64ELi4ELc84ELc84ELb0ELb0ELb0EPKdKS2_KPdEEviiiT16_PT17_ilS8_ilS6_S8_ilPT18_ili26rocblas_geam_ex_operation_, .Lfunc_end147-_ZN12_GLOBAL__N_120geam_min_plus_kernelIdddLi4ELi64ELi128ELi128ELi4ELi4ELi64ELi64ELi4ELc84ELc84ELb0ELb0ELb0EPKdKS2_KPdEEviiiT16_PT17_ilS8_ilS6_S8_ilPT18_ili26rocblas_geam_ex_operation_
                                        ; -- End function
	.set _ZN12_GLOBAL__N_120geam_min_plus_kernelIdddLi4ELi64ELi128ELi128ELi4ELi4ELi64ELi64ELi4ELc84ELc84ELb0ELb0ELb0EPKdKS2_KPdEEviiiT16_PT17_ilS8_ilS6_S8_ilPT18_ili26rocblas_geam_ex_operation_.num_vgpr, 227
	.set _ZN12_GLOBAL__N_120geam_min_plus_kernelIdddLi4ELi64ELi128ELi128ELi4ELi4ELi64ELi64ELi4ELc84ELc84ELb0ELb0ELb0EPKdKS2_KPdEEviiiT16_PT17_ilS8_ilS6_S8_ilPT18_ili26rocblas_geam_ex_operation_.num_agpr, 0
	.set _ZN12_GLOBAL__N_120geam_min_plus_kernelIdddLi4ELi64ELi128ELi128ELi4ELi4ELi64ELi64ELi4ELc84ELc84ELb0ELb0ELb0EPKdKS2_KPdEEviiiT16_PT17_ilS8_ilS6_S8_ilPT18_ili26rocblas_geam_ex_operation_.numbered_sgpr, 29
	.set _ZN12_GLOBAL__N_120geam_min_plus_kernelIdddLi4ELi64ELi128ELi128ELi4ELi4ELi64ELi64ELi4ELc84ELc84ELb0ELb0ELb0EPKdKS2_KPdEEviiiT16_PT17_ilS8_ilS6_S8_ilPT18_ili26rocblas_geam_ex_operation_.num_named_barrier, 0
	.set _ZN12_GLOBAL__N_120geam_min_plus_kernelIdddLi4ELi64ELi128ELi128ELi4ELi4ELi64ELi64ELi4ELc84ELc84ELb0ELb0ELb0EPKdKS2_KPdEEviiiT16_PT17_ilS8_ilS6_S8_ilPT18_ili26rocblas_geam_ex_operation_.private_seg_size, 528
	.set _ZN12_GLOBAL__N_120geam_min_plus_kernelIdddLi4ELi64ELi128ELi128ELi4ELi4ELi64ELi64ELi4ELc84ELc84ELb0ELb0ELb0EPKdKS2_KPdEEviiiT16_PT17_ilS8_ilS6_S8_ilPT18_ili26rocblas_geam_ex_operation_.uses_vcc, 1
	.set _ZN12_GLOBAL__N_120geam_min_plus_kernelIdddLi4ELi64ELi128ELi128ELi4ELi4ELi64ELi64ELi4ELc84ELc84ELb0ELb0ELb0EPKdKS2_KPdEEviiiT16_PT17_ilS8_ilS6_S8_ilPT18_ili26rocblas_geam_ex_operation_.uses_flat_scratch, 1
	.set _ZN12_GLOBAL__N_120geam_min_plus_kernelIdddLi4ELi64ELi128ELi128ELi4ELi4ELi64ELi64ELi4ELc84ELc84ELb0ELb0ELb0EPKdKS2_KPdEEviiiT16_PT17_ilS8_ilS6_S8_ilPT18_ili26rocblas_geam_ex_operation_.has_dyn_sized_stack, 0
	.set _ZN12_GLOBAL__N_120geam_min_plus_kernelIdddLi4ELi64ELi128ELi128ELi4ELi4ELi64ELi64ELi4ELc84ELc84ELb0ELb0ELb0EPKdKS2_KPdEEviiiT16_PT17_ilS8_ilS6_S8_ilPT18_ili26rocblas_geam_ex_operation_.has_recursion, 0
	.set _ZN12_GLOBAL__N_120geam_min_plus_kernelIdddLi4ELi64ELi128ELi128ELi4ELi4ELi64ELi64ELi4ELc84ELc84ELb0ELb0ELb0EPKdKS2_KPdEEviiiT16_PT17_ilS8_ilS6_S8_ilPT18_ili26rocblas_geam_ex_operation_.has_indirect_call, 0
	.section	.AMDGPU.csdata,"",@progbits
; Kernel info:
; codeLenInByte = 19272
; TotalNumSgprs: 31
; NumVgprs: 227
; ScratchSize: 528
; MemoryBound: 1
; FloatMode: 240
; IeeeMode: 1
; LDSByteSize: 16384 bytes/workgroup (compile time only)
; SGPRBlocks: 0
; VGPRBlocks: 28
; NumSGPRsForWavesPerEU: 31
; NumVGPRsForWavesPerEU: 227
; Occupancy: 4
; WaveLimiterHint : 1
; COMPUTE_PGM_RSRC2:SCRATCH_EN: 1
; COMPUTE_PGM_RSRC2:USER_SGPR: 6
; COMPUTE_PGM_RSRC2:TRAP_HANDLER: 0
; COMPUTE_PGM_RSRC2:TGID_X_EN: 1
; COMPUTE_PGM_RSRC2:TGID_Y_EN: 0
; COMPUTE_PGM_RSRC2:TGID_Z_EN: 1
; COMPUTE_PGM_RSRC2:TIDIG_COMP_CNT: 1
	.section	.text._ZN12_GLOBAL__N_120geam_min_plus_kernelIdddLi4ELi64ELi128ELi128ELi4ELi4ELi64ELi64ELi4ELc84ELc84ELb1ELb0ELb0EdKPKdKPdEEviiiT16_PT17_ilS8_ilS6_S8_ilPT18_ili26rocblas_geam_ex_operation_,"axG",@progbits,_ZN12_GLOBAL__N_120geam_min_plus_kernelIdddLi4ELi64ELi128ELi128ELi4ELi4ELi64ELi64ELi4ELc84ELc84ELb1ELb0ELb0EdKPKdKPdEEviiiT16_PT17_ilS8_ilS6_S8_ilPT18_ili26rocblas_geam_ex_operation_,comdat
	.globl	_ZN12_GLOBAL__N_120geam_min_plus_kernelIdddLi4ELi64ELi128ELi128ELi4ELi4ELi64ELi64ELi4ELc84ELc84ELb1ELb0ELb0EdKPKdKPdEEviiiT16_PT17_ilS8_ilS6_S8_ilPT18_ili26rocblas_geam_ex_operation_ ; -- Begin function _ZN12_GLOBAL__N_120geam_min_plus_kernelIdddLi4ELi64ELi128ELi128ELi4ELi4ELi64ELi64ELi4ELc84ELc84ELb1ELb0ELb0EdKPKdKPdEEviiiT16_PT17_ilS8_ilS6_S8_ilPT18_ili26rocblas_geam_ex_operation_
	.p2align	8
	.type	_ZN12_GLOBAL__N_120geam_min_plus_kernelIdddLi4ELi64ELi128ELi128ELi4ELi4ELi64ELi64ELi4ELc84ELc84ELb1ELb0ELb0EdKPKdKPdEEviiiT16_PT17_ilS8_ilS6_S8_ilPT18_ili26rocblas_geam_ex_operation_,@function
_ZN12_GLOBAL__N_120geam_min_plus_kernelIdddLi4ELi64ELi128ELi128ELi4ELi4ELi64ELi64ELi4ELc84ELc84ELb1ELb0ELb0EdKPKdKPdEEviiiT16_PT17_ilS8_ilS6_S8_ilPT18_ili26rocblas_geam_ex_operation_: ; @_ZN12_GLOBAL__N_120geam_min_plus_kernelIdddLi4ELi64ELi128ELi128ELi4ELi4ELi64ELi64ELi4ELc84ELc84ELb1ELb0ELb0EdKPKdKPdEEviiiT16_PT17_ilS8_ilS6_S8_ilPT18_ili26rocblas_geam_ex_operation_
; %bb.0:
	s_add_u32 s0, s0, s8
	s_clause 0x1
	s_load_dwordx4 s[8:11], s[4:5], 0x10
	s_load_dwordx4 s[12:15], s[4:5], 0x28
	s_mov_b32 s22, s7
	s_addc_u32 s1, s1, 0
	s_mov_b64 s[18:19], 0
	s_waitcnt lgkmcnt(0)
	v_cmp_eq_f64_e64 s7, s[8:9], 0
	s_and_b32 vcc_lo, exec_lo, s7
	s_cbranch_vccnz .LBB148_2
; %bb.1:
	s_mov_b32 s23, 0
	s_lshl_b64 s[8:9], s[22:23], 3
	s_add_u32 s8, s10, s8
	s_addc_u32 s9, s11, s9
	s_lshl_b64 s[10:11], s[12:13], 3
	s_load_dwordx2 s[8:9], s[8:9], 0x0
	s_waitcnt lgkmcnt(0)
	s_add_u32 s18, s8, s10
	s_addc_u32 s19, s9, s11
.LBB148_2:
	s_clause 0x1
	s_load_dwordx4 s[8:11], s[4:5], 0x40
	s_load_dwordx2 s[24:25], s[4:5], 0x50
	s_andn2_b32 vcc_lo, exec_lo, s7
	s_mov_b32 s23, 0
	s_cbranch_vccnz .LBB148_4
; %bb.3:
	s_mov_b32 s7, s23
	s_mov_b64 s[16:17], 0
	s_andn2_b32 vcc_lo, exec_lo, s7
	s_mov_b64 s[20:21], 0
	s_cbranch_vccz .LBB148_5
	s_branch .LBB148_6
.LBB148_4:
	s_mov_b64 s[16:17], 0
	s_mov_b64 s[20:21], 0
.LBB148_5:
	s_lshl_b64 s[12:13], s[22:23], 3
	s_add_u32 s12, s14, s12
	s_addc_u32 s13, s15, s13
	s_waitcnt lgkmcnt(0)
	s_lshl_b64 s[8:9], s[8:9], 3
	s_load_dwordx2 s[12:13], s[12:13], 0x0
	s_waitcnt lgkmcnt(0)
	s_add_u32 s20, s12, s8
	s_addc_u32 s21, s13, s9
.LBB148_6:
	s_waitcnt lgkmcnt(0)
	v_cmp_eq_f64_e64 s7, s[10:11], 0
	s_load_dwordx4 s[12:15], s[4:5], 0x60
	s_and_b32 vcc_lo, exec_lo, s7
	s_cbranch_vccnz .LBB148_8
; %bb.7:
	s_lshl_b64 s[8:9], s[22:23], 3
	s_add_u32 s8, s24, s8
	s_addc_u32 s9, s25, s9
	s_waitcnt lgkmcnt(0)
	s_lshl_b64 s[12:13], s[12:13], 3
	s_load_dwordx2 s[8:9], s[8:9], 0x0
	s_waitcnt lgkmcnt(0)
	s_add_u32 s16, s8, s12
	s_addc_u32 s17, s9, s13
.LBB148_8:
	s_load_dword s24, s[4:5], 0x38
	s_waitcnt lgkmcnt(0)
	s_clause 0x1
	s_load_dword s12, s[4:5], 0x0
	s_load_dword s13, s[4:5], 0x20
	s_mov_b32 s7, 0
	s_lshl_b64 s[8:9], s[22:23], 3
	s_addk_i32 s7, 0x100
	v_lshl_add_u32 v2, v1, 2, v0
	v_mov_b32_e32 v4, 0
	buffer_store_dword v4, off, s[0:3], 0 offset:4
	buffer_store_dword v4, off, s[0:3], 0
	buffer_store_dword v4, off, s[0:3], 0 offset:12
	buffer_store_dword v4, off, s[0:3], 0 offset:8
	;; [unrolled: 1-line block ×5, first 2 shown]
	v_lshrrev_b32_e32 v22, 2, v2
	v_and_b32_e32 v23, 63, v2
	v_lshrrev_b32_e32 v89, 6, v2
	buffer_store_dword v4, off, s[0:3], 0 offset:24
	buffer_store_dword v4, off, s[0:3], 0 offset:36
	;; [unrolled: 1-line block ×4, first 2 shown]
	s_ashr_i32 s22, s24, 31
	s_add_u32 s8, s14, s8
	s_addc_u32 s9, s15, s9
	s_waitcnt lgkmcnt(0)
	s_add_i32 s12, s12, -1
	buffer_store_dword v4, off, s[0:3], 0 offset:40
	s_ashr_i32 s14, s12, 31
	buffer_store_dword v4, off, s[0:3], 0 offset:52
	s_lshr_b32 s14, s14, 25
	buffer_store_dword v4, off, s[0:3], 0 offset:48
	buffer_store_dword v4, off, s[0:3], 0 offset:60
	;; [unrolled: 1-line block ×4, first 2 shown]
	s_add_i32 s12, s12, s14
	buffer_store_dword v4, off, s[0:3], 0 offset:64
	buffer_store_dword v4, off, s[0:3], 0 offset:76
	;; [unrolled: 1-line block ×9, first 2 shown]
	s_ashr_i32 s12, s12, 7
	buffer_store_dword v4, off, s[0:3], 0 offset:108
	buffer_store_dword v4, off, s[0:3], 0 offset:104
	;; [unrolled: 1-line block ×4, first 2 shown]
	s_add_i32 s14, s12, 1
	s_not_b32 s12, s12
	v_cvt_f32_u32_e32 v2, s14
	buffer_store_dword v4, off, s[0:3], 0 offset:124
	buffer_store_dword v4, off, s[0:3], 0 offset:120
	;; [unrolled: 1-line block ×8, first 2 shown]
	v_rcp_iflag_f32_e32 v2, v2
	buffer_store_dword v4, off, s[0:3], 0 offset:156
	buffer_store_dword v4, off, s[0:3], 0 offset:152
	;; [unrolled: 1-line block ×86, first 2 shown]
	v_mul_f32_e32 v2, 0x4f7ffffe, v2
	buffer_store_dword v4, off, s[0:3], 0 offset:500
	buffer_store_dword v4, off, s[0:3], 0 offset:496
	buffer_store_dword v4, off, s[0:3], 0 offset:508
	buffer_store_dword v4, off, s[0:3], 0 offset:504
	v_and_b32_e32 v88, 3, v0
	v_add_nc_u32_e32 v90, 4, v89
	v_cvt_u32_f32_e32 v2, v2
	v_lshlrev_b32_e32 v91, 5, v0
	v_lshl_or_b32 v93, v1, 5, 0x2000
	v_lshlrev_b32_e32 v24, 3, v88
	v_readfirstlane_b32 s15, v2
	v_lshl_or_b32 v92, v22, 5, v24
	s_mul_i32 s12, s12, s15
	s_mul_hi_u32 s12, s15, s12
	s_add_i32 s15, s15, s12
	s_mul_hi_u32 s12, s6, s15
	s_mul_i32 s15, s12, s14
	s_add_i32 s23, s12, 1
	s_sub_i32 s15, s6, s15
	s_sub_i32 s25, s15, s14
	s_cmp_ge_u32 s15, s14
	s_cselect_b32 s12, s23, s12
	s_cselect_b32 s15, s25, s15
	s_add_i32 s23, s12, 1
	s_cmp_ge_u32 s15, s14
	s_cselect_b32 s12, s23, s12
	s_mul_i32 s14, s12, s14
	s_lshl_b32 s12, s12, 7
	s_sub_i32 s6, s6, s14
	v_add_co_u32 v7, s14, s18, v24
	s_lshl_b32 s6, s6, 7
	v_add_co_ci_u32_e64 v8, null, s19, 0, s14
	v_add_nc_u32_e32 v5, s6, v22
	v_or_b32_e32 v6, s12, v23
	s_mov_b32 s14, 0
	v_mad_i64_i32 v[2:3], null, v5, s13, 0
	v_add_nc_u32_e32 v4, 64, v5
	v_lshlrev_b64 v[70:71], 3, v[2:3]
	v_mad_i64_i32 v[2:3], null, v4, s13, 0
	v_mad_i64_i32 v[4:5], null, s24, v89, 0
	v_cmp_neq_f64_e64 s13, s[10:11], 0
	v_add_co_u32 v14, vcc_lo, v7, v70
	v_add_co_ci_u32_e64 v15, null, v8, v71, vcc_lo
	v_lshlrev_b64 v[72:73], 3, v[2:3]
	v_mad_i64_i32 v[2:3], null, s24, v90, 0
	v_lshlrev_b64 v[4:5], 3, v[4:5]
	v_add_co_u32 v12, vcc_lo, v7, v72
	v_ashrrev_i32_e32 v7, 31, v6
	v_lshlrev_b64 v[2:3], 3, v[2:3]
	v_add_co_ci_u32_e64 v13, null, v8, v73, vcc_lo
	v_add_co_u32 v4, vcc_lo, s20, v4
	v_lshlrev_b64 v[6:7], 3, v[6:7]
	v_add_co_ci_u32_e64 v5, null, s21, v5, vcc_lo
	v_add_co_u32 v8, vcc_lo, s20, v2
	v_add_co_ci_u32_e64 v9, null, s21, v3, vcc_lo
	v_add_co_u32 v2, vcc_lo, v4, v6
	;; [unrolled: 2-line block ×3, first 2 shown]
	v_add_co_ci_u32_e64 v5, null, v9, v7, vcc_lo
	s_clause 0x1
	flat_load_dwordx2 v[16:17], v[2:3]
	flat_load_dwordx2 v[2:3], v[2:3] offset:512
	s_clause 0x1
	flat_load_dwordx2 v[18:19], v[14:15]
	flat_load_dwordx2 v[20:21], v[12:13]
	s_clause 0x1
	flat_load_dwordx2 v[8:9], v[4:5]
	flat_load_dwordx2 v[10:11], v[4:5] offset:512
	s_clause 0x1
	flat_load_dwordx2 v[12:13], v[12:13] offset:32
	flat_load_dwordx2 v[14:15], v[14:15] offset:32
	s_load_dwordx2 s[8:9], s[8:9], 0x0
	v_lshlrev_b32_e32 v4, 3, v89
	v_lshl_add_u32 v84, v23, 5, v4
	s_waitcnt vmcnt(6) lgkmcnt(0)
	ds_write2st64_b64 v84, v[16:17], v[2:3] offset0:16 offset1:20
	s_waitcnt vmcnt(4)
	ds_write2st64_b64 v92, v[18:19], v[20:21] offset1:4
	v_or_b32_e32 v94, 0x2000, v84
	s_waitcnt vmcnt(0) lgkmcnt(0)
	s_waitcnt_vscnt null, 0x0
	s_barrier
	buffer_gl0_inv
.LBB148_9:                              ; =>This Loop Header: Depth=1
                                        ;     Child Loop BB148_10 Depth 2
	s_lshl_b32 s15, s14, 3
	s_mov_b32 s23, 0
	v_add_nc_u32_e32 v16, s15, v91
	v_add_nc_u32_e32 v85, s15, v93
	s_mov_b32 s15, -1
	ds_read2_b64 v[2:5], v16 offset1:16
	ds_read2_b64 v[20:23], v16 offset0:32 offset1:48
	ds_read2_b64 v[24:27], v16 offset0:64 offset1:80
	;; [unrolled: 1-line block ×4, first 2 shown]
	v_add_nc_u32_e32 v68, 0x800, v16
	ds_read2_b64 v[36:39], v16 offset0:160 offset1:176
	ds_read2_b64 v[40:43], v16 offset0:192 offset1:208
	;; [unrolled: 1-line block ×3, first 2 shown]
	ds_read2_b64 v[48:51], v68 offset1:16
	ds_read2_b64 v[52:55], v68 offset0:32 offset1:48
	ds_read2_b64 v[56:59], v68 offset0:64 offset1:80
	ds_read2_b64 v[60:63], v68 offset0:96 offset1:112
	ds_read2_b64 v[64:67], v68 offset0:128 offset1:144
	ds_read2_b64 v[74:77], v68 offset0:160 offset1:176
	ds_read2_b64 v[78:81], v68 offset0:192 offset1:208
	s_waitcnt lgkmcnt(9)
	v_max_f64 v[36:37], v[36:37], v[36:37]
	v_max_f64 v[38:39], v[38:39], v[38:39]
	;; [unrolled: 1-line block ×4, first 2 shown]
	ds_read2_b64 v[2:5], v68 offset0:224 offset1:240
	v_max_f64 v[20:21], v[20:21], v[20:21]
	v_max_f64 v[22:23], v[22:23], v[22:23]
	;; [unrolled: 1-line block ×8, first 2 shown]
	s_waitcnt lgkmcnt(9)
	v_max_f64 v[40:41], v[40:41], v[40:41]
	v_max_f64 v[42:43], v[42:43], v[42:43]
	s_waitcnt lgkmcnt(8)
	v_max_f64 v[44:45], v[44:45], v[44:45]
	v_max_f64 v[46:47], v[46:47], v[46:47]
	;; [unrolled: 3-line block ×10, first 2 shown]
	ds_read2st64_b64 v[2:5], v85 offset1:4
.LBB148_10:                             ;   Parent Loop BB148_9 Depth=1
                                        ; =>  This Inner Loop Header: Depth=2
	v_mov_b32_e32 v87, s23
	s_waitcnt lgkmcnt(0)
	v_max_f64 v[157:158], v[2:3], v[2:3]
	v_mov_b32_e32 v2, v4
	v_mov_b32_e32 v3, v5
	s_and_b32 vcc_lo, exec_lo, s15
	s_clause 0x3e
	buffer_load_dword v85, v87, s[0:3], 0 offen
	buffer_load_dword v86, v87, s[0:3], 0 offen offset:4
	buffer_load_dword v95, v87, s[0:3], 0 offen offset:8
	;; [unrolled: 1-line block ×63, first 2 shown]
	s_mov_b32 s15, 0
	s_mov_b32 s23, s7
	v_min_f64 v[159:160], v[16:17], v[157:158]
	v_min_f64 v[161:162], v[18:19], v[157:158]
	;; [unrolled: 1-line block ×32, first 2 shown]
	s_waitcnt vmcnt(62)
	v_add_f64 v[85:86], v[159:160], v[85:86]
	s_waitcnt vmcnt(60)
	v_add_f64 v[95:96], v[161:162], v[95:96]
	;; [unrolled: 2-line block ×32, first 2 shown]
	buffer_store_dword v85, v87, s[0:3], 0 offen
	buffer_store_dword v86, v87, s[0:3], 0 offen offset:4
	buffer_store_dword v95, v87, s[0:3], 0 offen offset:8
	;; [unrolled: 1-line block ×63, first 2 shown]
	s_cbranch_vccnz .LBB148_10
; %bb.11:                               ;   in Loop: Header=BB148_9 Depth=1
	s_add_i32 s14, s14, 1
	s_cmp_eq_u32 s14, 4
	s_cbranch_scc0 .LBB148_9
; %bb.12:
	s_load_dword s14, s[4:5], 0x8
	v_lshl_add_u32 v95, v0, 5, 0x1000
	v_lshl_add_u32 v96, v1, 5, 0x3000
	ds_write2st64_b64 v92, v[14:15], v[12:13] offset0:8 offset1:12
	ds_write2st64_b64 v84, v[8:9], v[10:11] offset0:24 offset1:28
	s_waitcnt lgkmcnt(0)
	s_waitcnt_vscnt null, 0x0
	s_barrier
	buffer_gl0_inv
	s_cmp_lt_i32 s14, 9
	s_cbranch_scc1 .LBB148_23
; %bb.13:
	v_add_co_u32 v99, vcc_lo, s20, v6
	v_add_nc_u32_e32 v97, 0x1000, v92
	v_or_b32_e32 v98, 0x3000, v84
	v_add_co_ci_u32_e64 v100, null, s21, v7, vcc_lo
	v_mov_b32_e32 v75, 0
	s_add_i32 s14, s14, -8
	s_mov_b32 s15, 8
	s_mov_b32 s20, 0
.LBB148_14:                             ; =>This Loop Header: Depth=1
                                        ;     Child Loop BB148_15 Depth 2
                                        ;       Child Loop BB148_16 Depth 3
                                        ;     Child Loop BB148_19 Depth 2
                                        ;       Child Loop BB148_20 Depth 3
	v_add_nc_u32_e32 v6, s15, v89
	v_or_b32_e32 v74, s15, v88
	s_mov_b32 s21, 0
	v_mad_u64_u32 v[2:3], null, v6, s24, 0
	v_lshlrev_b64 v[4:5], 3, v[74:75]
	v_mad_u64_u32 v[6:7], null, v6, s22, v[3:4]
	v_add_co_u32 v4, vcc_lo, s18, v4
	v_add_co_ci_u32_e64 v5, null, s19, v5, vcc_lo
	v_mov_b32_e32 v3, v6
	v_add_co_u32 v6, vcc_lo, v4, v70
	v_add_co_ci_u32_e64 v7, null, v5, v71, vcc_lo
	v_lshlrev_b64 v[2:3], 3, v[2:3]
	v_add_co_u32 v8, vcc_lo, v4, v72
	v_add_co_ci_u32_e64 v9, null, v5, v73, vcc_lo
	v_add_co_u32 v2, vcc_lo, v99, v2
	v_add_co_ci_u32_e64 v3, null, v100, v3, vcc_lo
	s_clause 0x1
	flat_load_dwordx2 v[10:11], v[6:7]
	flat_load_dwordx2 v[12:13], v[8:9]
	s_clause 0x1
	flat_load_dwordx2 v[14:15], v[2:3]
	flat_load_dwordx2 v[16:17], v[2:3] offset:512
.LBB148_15:                             ;   Parent Loop BB148_14 Depth=1
                                        ; =>  This Loop Header: Depth=2
                                        ;       Child Loop BB148_16 Depth 3
	s_lshl_b32 s23, s21, 3
	s_mov_b32 s25, 0
	v_add_nc_u32_e32 v18, s23, v95
	v_add_nc_u32_e32 v74, s23, v96
	s_mov_b32 s23, -1
	ds_read2_b64 v[2:5], v18 offset1:16
	ds_read2_b64 v[22:25], v18 offset0:32 offset1:48
	ds_read2_b64 v[26:29], v18 offset0:64 offset1:80
	v_add_nc_u32_e32 v19, 0x800, v18
	ds_read2_b64 v[30:33], v18 offset0:96 offset1:112
	ds_read2_b64 v[34:37], v18 offset0:128 offset1:144
	ds_read2_b64 v[38:41], v18 offset0:160 offset1:176
	ds_read2_b64 v[42:45], v18 offset0:192 offset1:208
	ds_read2_b64 v[46:49], v18 offset0:224 offset1:240
	ds_read2_b64 v[50:53], v19 offset1:16
	ds_read2_b64 v[54:57], v19 offset0:32 offset1:48
	ds_read2_b64 v[58:61], v19 offset0:64 offset1:80
	;; [unrolled: 1-line block ×7, first 2 shown]
	s_waitcnt lgkmcnt(11)
	v_max_f64 v[34:35], v[34:35], v[34:35]
	v_max_f64 v[36:37], v[36:37], v[36:37]
	s_waitcnt lgkmcnt(10)
	v_max_f64 v[38:39], v[38:39], v[38:39]
	v_max_f64 v[40:41], v[40:41], v[40:41]
	;; [unrolled: 3-line block ×3, first 2 shown]
	v_max_f64 v[18:19], v[2:3], v[2:3]
	v_max_f64 v[20:21], v[4:5], v[4:5]
	;; [unrolled: 1-line block ×8, first 2 shown]
	s_waitcnt lgkmcnt(8)
	v_max_f64 v[46:47], v[46:47], v[46:47]
	v_max_f64 v[48:49], v[48:49], v[48:49]
	s_waitcnt lgkmcnt(7)
	v_max_f64 v[50:51], v[50:51], v[50:51]
	v_max_f64 v[52:53], v[52:53], v[52:53]
	;; [unrolled: 3-line block ×9, first 2 shown]
	ds_read2st64_b64 v[2:5], v74 offset1:4
.LBB148_16:                             ;   Parent Loop BB148_14 Depth=1
                                        ;     Parent Loop BB148_15 Depth=2
                                        ; =>    This Inner Loop Header: Depth=3
	v_mov_b32_e32 v74, s25
	s_waitcnt lgkmcnt(0)
	v_max_f64 v[165:166], v[2:3], v[2:3]
	v_mov_b32_e32 v2, v4
	v_mov_b32_e32 v3, v5
	s_and_b32 vcc_lo, exec_lo, s23
	s_clause 0x3e
	buffer_load_dword v101, v74, s[0:3], 0 offen
	buffer_load_dword v102, v74, s[0:3], 0 offen offset:4
	buffer_load_dword v103, v74, s[0:3], 0 offen offset:8
	;; [unrolled: 1-line block ×63, first 2 shown]
	s_mov_b32 s23, 0
	s_mov_b32 s25, s7
	v_min_f64 v[167:168], v[18:19], v[165:166]
	v_min_f64 v[169:170], v[20:21], v[165:166]
	;; [unrolled: 1-line block ×32, first 2 shown]
	s_waitcnt vmcnt(62)
	v_add_f64 v[101:102], v[167:168], v[101:102]
	s_waitcnt vmcnt(60)
	v_add_f64 v[103:104], v[169:170], v[103:104]
	;; [unrolled: 2-line block ×32, first 2 shown]
	buffer_store_dword v101, v74, s[0:3], 0 offen
	buffer_store_dword v102, v74, s[0:3], 0 offen offset:4
	buffer_store_dword v103, v74, s[0:3], 0 offen offset:8
	;; [unrolled: 1-line block ×63, first 2 shown]
	s_cbranch_vccnz .LBB148_16
; %bb.17:                               ;   in Loop: Header=BB148_15 Depth=2
	s_add_i32 s21, s21, 1
	s_cmp_eq_u32 s21, 4
	s_cbranch_scc0 .LBB148_15
; %bb.18:                               ;   in Loop: Header=BB148_14 Depth=1
	v_add_nc_u32_e32 v4, s15, v90
	ds_write2st64_b64 v92, v[10:11], v[12:13] offset1:4
	ds_write2st64_b64 v94, v[14:15], v[16:17] offset1:4
	s_waitcnt lgkmcnt(0)
	s_waitcnt_vscnt null, 0x0
	s_barrier
	buffer_gl0_inv
	v_mad_u64_u32 v[2:3], null, v4, s24, 0
	s_mov_b32 s21, 0
	v_mad_u64_u32 v[3:4], null, v4, s22, v[3:4]
	v_lshlrev_b64 v[2:3], 3, v[2:3]
	v_add_co_u32 v2, vcc_lo, v99, v2
	v_add_co_ci_u32_e64 v3, null, v100, v3, vcc_lo
	s_clause 0x1
	flat_load_dwordx2 v[76:77], v[6:7] offset:32
	flat_load_dwordx2 v[78:79], v[8:9] offset:32
	s_clause 0x1
	flat_load_dwordx2 v[80:81], v[2:3]
	flat_load_dwordx2 v[82:83], v[2:3] offset:512
.LBB148_19:                             ;   Parent Loop BB148_14 Depth=1
                                        ; =>  This Loop Header: Depth=2
                                        ;       Child Loop BB148_20 Depth 3
	s_lshl_b32 s23, s21, 3
	s_mov_b32 s25, 0
	v_add_nc_u32_e32 v30, s23, v91
	v_add_nc_u32_e32 v66, s23, v93
	s_mov_b32 s23, -1
	ds_read2_b64 v[2:5], v30 offset1:16
	ds_read2_b64 v[6:9], v30 offset0:32 offset1:48
	ds_read2_b64 v[10:13], v30 offset0:64 offset1:80
	;; [unrolled: 1-line block ×3, first 2 shown]
	v_add_nc_u32_e32 v62, 0x800, v30
	ds_read2_b64 v[18:21], v30 offset0:128 offset1:144
	ds_read2_b64 v[22:25], v30 offset0:160 offset1:176
	;; [unrolled: 1-line block ×4, first 2 shown]
	ds_read2_b64 v[34:37], v62 offset1:16
	ds_read2_b64 v[38:41], v62 offset0:32 offset1:48
	ds_read2_b64 v[42:45], v62 offset0:64 offset1:80
	;; [unrolled: 1-line block ×7, first 2 shown]
	ds_read2st64_b64 v[66:69], v66 offset1:4
.LBB148_20:                             ;   Parent Loop BB148_14 Depth=1
                                        ;     Parent Loop BB148_19 Depth=2
                                        ; =>    This Inner Loop Header: Depth=3
	v_mov_b32_e32 v74, s25
	s_waitcnt lgkmcnt(16)
	v_max_f64 v[161:162], v[2:3], v[2:3]
	s_waitcnt lgkmcnt(0)
	v_max_f64 v[163:164], v[66:67], v[66:67]
	v_max_f64 v[165:166], v[4:5], v[4:5]
	;; [unrolled: 1-line block ×3, first 2 shown]
	s_clause 0x3e
	buffer_load_dword v84, v74, s[0:3], 0 offen
	buffer_load_dword v85, v74, s[0:3], 0 offen offset:4
	buffer_load_dword v86, v74, s[0:3], 0 offen offset:8
	;; [unrolled: 1-line block ×63, first 2 shown]
	v_max_f64 v[169:170], v[8:9], v[8:9]
	v_max_f64 v[171:172], v[10:11], v[10:11]
	;; [unrolled: 1-line block ×29, first 2 shown]
	v_min_f64 v[161:162], v[161:162], v[163:164]
	v_min_f64 v[165:166], v[165:166], v[163:164]
	;; [unrolled: 1-line block ×32, first 2 shown]
	v_mov_b32_e32 v66, v68
	v_mov_b32_e32 v67, v69
	s_and_b32 vcc_lo, exec_lo, s23
	s_mov_b32 s23, 0
	s_mov_b32 s25, s7
	s_waitcnt vmcnt(62)
	v_add_f64 v[84:85], v[161:162], v[84:85]
	s_waitcnt vmcnt(60)
	v_add_f64 v[86:87], v[165:166], v[86:87]
	;; [unrolled: 2-line block ×32, first 2 shown]
	buffer_store_dword v84, v74, s[0:3], 0 offen
	buffer_store_dword v85, v74, s[0:3], 0 offen offset:4
	buffer_store_dword v86, v74, s[0:3], 0 offen offset:8
	;; [unrolled: 1-line block ×63, first 2 shown]
	s_cbranch_vccnz .LBB148_20
; %bb.21:                               ;   in Loop: Header=BB148_19 Depth=2
	s_add_i32 s21, s21, 1
	s_cmp_eq_u32 s21, 4
	s_cbranch_scc0 .LBB148_19
; %bb.22:                               ;   in Loop: Header=BB148_14 Depth=1
	s_add_i32 s20, s20, 8
	s_add_i32 s15, s15, 8
	s_cmp_ge_i32 s20, s14
	ds_write2st64_b64 v97, v[76:77], v[78:79] offset1:4
	ds_write2st64_b64 v98, v[80:81], v[82:83] offset1:4
	s_waitcnt lgkmcnt(0)
	s_waitcnt_vscnt null, 0x0
	s_barrier
	buffer_gl0_inv
	s_cbranch_scc0 .LBB148_14
.LBB148_23:
	s_mov_b32 s14, 0
.LBB148_24:                             ; =>This Loop Header: Depth=1
                                        ;     Child Loop BB148_25 Depth 2
	s_lshl_b32 s15, s14, 3
	s_mov_b32 s18, 0
	v_add_nc_u32_e32 v6, s15, v95
	v_add_nc_u32_e32 v70, s15, v96
	s_mov_b32 s15, -1
	ds_read2_b64 v[2:5], v6 offset1:16
	ds_read2_b64 v[10:13], v6 offset0:32 offset1:48
	ds_read2_b64 v[14:17], v6 offset0:64 offset1:80
	v_add_nc_u32_e32 v7, 0x800, v6
	ds_read2_b64 v[18:21], v6 offset0:96 offset1:112
	ds_read2_b64 v[22:25], v6 offset0:128 offset1:144
	;; [unrolled: 1-line block ×5, first 2 shown]
	ds_read2_b64 v[38:41], v7 offset1:16
	ds_read2_b64 v[42:45], v7 offset0:32 offset1:48
	ds_read2_b64 v[46:49], v7 offset0:64 offset1:80
	;; [unrolled: 1-line block ×7, first 2 shown]
	s_waitcnt lgkmcnt(11)
	v_max_f64 v[22:23], v[22:23], v[22:23]
	v_max_f64 v[24:25], v[24:25], v[24:25]
	s_waitcnt lgkmcnt(10)
	v_max_f64 v[26:27], v[26:27], v[26:27]
	v_max_f64 v[28:29], v[28:29], v[28:29]
	;; [unrolled: 3-line block ×3, first 2 shown]
	v_max_f64 v[6:7], v[2:3], v[2:3]
	v_max_f64 v[8:9], v[4:5], v[4:5]
	;; [unrolled: 1-line block ×8, first 2 shown]
	s_waitcnt lgkmcnt(8)
	v_max_f64 v[34:35], v[34:35], v[34:35]
	v_max_f64 v[36:37], v[36:37], v[36:37]
	s_waitcnt lgkmcnt(7)
	v_max_f64 v[38:39], v[38:39], v[38:39]
	v_max_f64 v[40:41], v[40:41], v[40:41]
	;; [unrolled: 3-line block ×9, first 2 shown]
	ds_read2st64_b64 v[2:5], v70 offset1:4
.LBB148_25:                             ;   Parent Loop BB148_24 Depth=1
                                        ; =>  This Inner Loop Header: Depth=2
	v_mov_b32_e32 v94, s18
	s_waitcnt lgkmcnt(0)
	v_max_f64 v[137:138], v[2:3], v[2:3]
	v_mov_b32_e32 v2, v4
	v_mov_b32_e32 v3, v5
	s_and_b32 vcc_lo, exec_lo, s15
	s_clause 0x3e
	buffer_load_dword v70, v94, s[0:3], 0 offen
	buffer_load_dword v71, v94, s[0:3], 0 offen offset:4
	buffer_load_dword v72, v94, s[0:3], 0 offen offset:8
	;; [unrolled: 1-line block ×63, first 2 shown]
	s_mov_b32 s15, 0
	s_mov_b32 s18, s7
	v_min_f64 v[139:140], v[6:7], v[137:138]
	v_min_f64 v[141:142], v[8:9], v[137:138]
	v_min_f64 v[143:144], v[10:11], v[137:138]
	v_min_f64 v[145:146], v[12:13], v[137:138]
	v_min_f64 v[147:148], v[14:15], v[137:138]
	v_min_f64 v[149:150], v[16:17], v[137:138]
	v_min_f64 v[151:152], v[18:19], v[137:138]
	v_min_f64 v[153:154], v[20:21], v[137:138]
	v_min_f64 v[155:156], v[22:23], v[137:138]
	v_min_f64 v[157:158], v[24:25], v[137:138]
	v_min_f64 v[159:160], v[26:27], v[137:138]
	v_min_f64 v[161:162], v[28:29], v[137:138]
	v_min_f64 v[163:164], v[30:31], v[137:138]
	v_min_f64 v[165:166], v[32:33], v[137:138]
	v_min_f64 v[167:168], v[34:35], v[137:138]
	v_min_f64 v[169:170], v[36:37], v[137:138]
	v_min_f64 v[171:172], v[38:39], v[137:138]
	v_min_f64 v[173:174], v[40:41], v[137:138]
	v_min_f64 v[175:176], v[42:43], v[137:138]
	v_min_f64 v[177:178], v[44:45], v[137:138]
	v_min_f64 v[179:180], v[46:47], v[137:138]
	v_min_f64 v[181:182], v[48:49], v[137:138]
	v_min_f64 v[183:184], v[50:51], v[137:138]
	v_min_f64 v[185:186], v[52:53], v[137:138]
	v_min_f64 v[187:188], v[54:55], v[137:138]
	v_min_f64 v[189:190], v[56:57], v[137:138]
	v_min_f64 v[191:192], v[58:59], v[137:138]
	v_min_f64 v[193:194], v[60:61], v[137:138]
	v_min_f64 v[195:196], v[62:63], v[137:138]
	v_min_f64 v[197:198], v[64:65], v[137:138]
	v_min_f64 v[199:200], v[66:67], v[137:138]
	v_min_f64 v[137:138], v[68:69], v[137:138]
	s_waitcnt vmcnt(62)
	v_add_f64 v[70:71], v[139:140], v[70:71]
	s_waitcnt vmcnt(60)
	v_add_f64 v[72:73], v[141:142], v[72:73]
	;; [unrolled: 2-line block ×32, first 2 shown]
	buffer_store_dword v70, v94, s[0:3], 0 offen
	buffer_store_dword v71, v94, s[0:3], 0 offen offset:4
	buffer_store_dword v72, v94, s[0:3], 0 offen offset:8
	;; [unrolled: 1-line block ×63, first 2 shown]
	s_cbranch_vccnz .LBB148_25
; %bb.26:                               ;   in Loop: Header=BB148_24 Depth=1
	s_add_i32 s14, s14, 1
	s_cmp_eq_u32 s14, 4
	s_cbranch_scc0 .LBB148_24
; %bb.27:
	s_clause 0x1
	buffer_load_dword v2, off, s[0:3], 0
	buffer_load_dword v3, off, s[0:3], 0 offset:4
	s_load_dword s7, s[4:5], 0x58
	v_add_nc_u32_e32 v69, s12, v1
	v_add_nc_u32_e32 v12, s6, v0
	v_cndmask_b32_e64 v0, 0, 1, s13
	v_mov_b32_e32 v6, 0
	v_mov_b32_e32 v7, 0
	v_ashrrev_i32_e32 v13, 31, v12
	v_cmp_ne_u32_e64 s6, 1, v0
	v_lshlrev_b64 v[0:1], 3, v[12:13]
	s_waitcnt lgkmcnt(0)
	v_mad_i64_i32 v[4:5], null, v69, s7, 0
	v_lshlrev_b64 v[8:9], 3, v[4:5]
	v_mov_b32_e32 v4, 0
	v_mov_b32_e32 v5, 0
	v_add_co_u32 v70, vcc_lo, s16, v8
	v_add_co_ci_u32_e64 v71, null, s17, v9, vcc_lo
	s_andn2_b32 vcc_lo, exec_lo, s13
	s_cbranch_vccnz .LBB148_29
; %bb.28:
	v_add_co_u32 v6, vcc_lo, v70, v0
	v_add_co_ci_u32_e64 v7, null, v71, v1, vcc_lo
	flat_load_dwordx2 v[6:7], v[6:7]
	s_waitcnt vmcnt(0) lgkmcnt(0)
	v_mul_f64 v[6:7], s[10:11], v[6:7]
.LBB148_29:
	s_clause 0x1
	s_load_dword s12, s[4:5], 0x70
	s_load_dwordx2 s[4:5], s[4:5], 0x78
	s_waitcnt vmcnt(0)
	v_add_f64 v[2:3], v[2:3], v[6:7]
	s_waitcnt lgkmcnt(0)
	v_mad_i64_i32 v[8:9], null, v69, s12, 0
	s_lshl_b64 s[4:5], s[4:5], 3
	s_add_u32 s4, s8, s4
	s_addc_u32 s5, s9, s5
	v_lshlrev_b64 v[6:7], 3, v[8:9]
	v_add_co_u32 v72, vcc_lo, s4, v6
	v_add_co_ci_u32_e64 v73, null, s5, v7, vcc_lo
	v_add_co_u32 v6, vcc_lo, v72, v0
	v_add_co_ci_u32_e64 v7, null, v73, v1, vcc_lo
	s_and_b32 vcc_lo, exec_lo, s6
	flat_store_dwordx2 v[6:7], v[2:3]
	s_clause 0x1
	buffer_load_dword v6, off, s[0:3], 0 offset:8
	buffer_load_dword v7, off, s[0:3], 0 offset:12
	v_add_nc_u32_e32 v2, 4, v12
	v_ashrrev_i32_e32 v3, 31, v2
	v_lshlrev_b64 v[2:3], 3, v[2:3]
	s_cbranch_vccnz .LBB148_31
; %bb.30:
	v_add_co_u32 v4, vcc_lo, v70, v2
	v_add_co_ci_u32_e64 v5, null, v71, v3, vcc_lo
	flat_load_dwordx2 v[4:5], v[4:5]
	s_waitcnt vmcnt(0) lgkmcnt(0)
	v_mul_f64 v[4:5], s[10:11], v[4:5]
.LBB148_31:
	s_waitcnt vmcnt(0)
	v_add_f64 v[4:5], v[6:7], v[4:5]
	v_add_co_u32 v6, vcc_lo, v72, v2
	v_add_co_ci_u32_e64 v7, null, v73, v3, vcc_lo
	v_mov_b32_e32 v8, 0
	v_mov_b32_e32 v10, 0
	v_mov_b32_e32 v9, 0
	v_mov_b32_e32 v11, 0
	s_and_b32 vcc_lo, exec_lo, s6
	flat_store_dwordx2 v[6:7], v[4:5]
	s_clause 0x1
	buffer_load_dword v6, off, s[0:3], 0 offset:16
	buffer_load_dword v7, off, s[0:3], 0 offset:20
	v_add_nc_u32_e32 v4, 8, v12
	v_ashrrev_i32_e32 v5, 31, v4
	v_lshlrev_b64 v[4:5], 3, v[4:5]
	s_cbranch_vccnz .LBB148_33
; %bb.32:
	v_add_co_u32 v10, vcc_lo, v70, v4
	v_add_co_ci_u32_e64 v11, null, v71, v5, vcc_lo
	flat_load_dwordx2 v[10:11], v[10:11]
	s_waitcnt vmcnt(0) lgkmcnt(0)
	v_mul_f64 v[10:11], s[10:11], v[10:11]
.LBB148_33:
	s_waitcnt vmcnt(0)
	v_add_f64 v[6:7], v[6:7], v[10:11]
	v_add_co_u32 v10, vcc_lo, v72, v4
	v_add_co_ci_u32_e64 v11, null, v73, v5, vcc_lo
	s_and_b32 vcc_lo, exec_lo, s6
	flat_store_dwordx2 v[10:11], v[6:7]
	s_clause 0x1
	buffer_load_dword v10, off, s[0:3], 0 offset:24
	buffer_load_dword v11, off, s[0:3], 0 offset:28
	v_add_nc_u32_e32 v6, 12, v12
	v_ashrrev_i32_e32 v7, 31, v6
	v_lshlrev_b64 v[6:7], 3, v[6:7]
	s_cbranch_vccnz .LBB148_35
; %bb.34:
	v_add_co_u32 v8, vcc_lo, v70, v6
	v_add_co_ci_u32_e64 v9, null, v71, v7, vcc_lo
	flat_load_dwordx2 v[8:9], v[8:9]
	s_waitcnt vmcnt(0) lgkmcnt(0)
	v_mul_f64 v[8:9], s[10:11], v[8:9]
.LBB148_35:
	s_waitcnt vmcnt(0)
	v_add_f64 v[8:9], v[10:11], v[8:9]
	v_add_co_u32 v10, vcc_lo, v72, v6
	v_add_co_ci_u32_e64 v11, null, v73, v7, vcc_lo
	v_mov_b32_e32 v13, 0
	v_mov_b32_e32 v15, 0
	v_mov_b32_e32 v14, 0
	v_mov_b32_e32 v16, 0
	s_and_b32 vcc_lo, exec_lo, s6
	flat_store_dwordx2 v[10:11], v[8:9]
	s_clause 0x1
	buffer_load_dword v10, off, s[0:3], 0 offset:32
	buffer_load_dword v11, off, s[0:3], 0 offset:36
	v_add_nc_u32_e32 v8, 16, v12
	v_ashrrev_i32_e32 v9, 31, v8
	v_lshlrev_b64 v[8:9], 3, v[8:9]
	s_cbranch_vccnz .LBB148_37
; %bb.36:
	v_add_co_u32 v15, vcc_lo, v70, v8
	v_add_co_ci_u32_e64 v16, null, v71, v9, vcc_lo
	flat_load_dwordx2 v[15:16], v[15:16]
	s_waitcnt vmcnt(0) lgkmcnt(0)
	v_mul_f64 v[15:16], s[10:11], v[15:16]
.LBB148_37:
	s_waitcnt vmcnt(0)
	v_add_f64 v[10:11], v[10:11], v[15:16]
	;; [unrolled: 44-line block ×15, first 2 shown]
	v_add_co_u32 v67, vcc_lo, v72, v61
	v_add_co_ci_u32_e64 v68, null, v73, v62, vcc_lo
	s_and_b32 vcc_lo, exec_lo, s6
	flat_store_dwordx2 v[67:68], v[63:64]
	s_clause 0x1
	buffer_load_dword v67, off, s[0:3], 0 offset:248
	buffer_load_dword v68, off, s[0:3], 0 offset:252
	v_add_nc_u32_e32 v63, 0x7c, v12
	v_ashrrev_i32_e32 v64, 31, v63
	v_lshlrev_b64 v[63:64], 3, v[63:64]
	s_cbranch_vccnz .LBB148_91
; %bb.90:
	v_add_co_u32 v65, vcc_lo, v70, v63
	v_add_co_ci_u32_e64 v66, null, v71, v64, vcc_lo
	flat_load_dwordx2 v[65:66], v[65:66]
	s_waitcnt vmcnt(0) lgkmcnt(0)
	v_mul_f64 v[65:66], s[10:11], v[65:66]
.LBB148_91:
	s_waitcnt vmcnt(0)
	v_add_f64 v[65:66], v[67:68], v[65:66]
	v_add_co_u32 v67, vcc_lo, v72, v63
	v_add_co_ci_u32_e64 v68, null, v73, v64, vcc_lo
	v_add_nc_u32_e32 v72, 64, v69
	v_mov_b32_e32 v69, 0
	v_mov_b32_e32 v70, 0
	flat_store_dwordx2 v[67:68], v[65:66]
	s_clause 0x1
	buffer_load_dword v67, off, s[0:3], 0 offset:256
	buffer_load_dword v68, off, s[0:3], 0 offset:260
	v_mad_i64_i32 v[65:66], null, v72, s7, 0
	v_lshlrev_b64 v[73:74], 3, v[65:66]
	v_mov_b32_e32 v65, 0
	v_mov_b32_e32 v66, 0
	v_add_co_u32 v12, vcc_lo, s16, v73
	v_add_co_ci_u32_e64 v71, null, s17, v74, vcc_lo
	s_and_b32 vcc_lo, exec_lo, s6
	s_cbranch_vccnz .LBB148_93
; %bb.92:
	v_add_co_u32 v69, vcc_lo, v12, v0
	v_add_co_ci_u32_e64 v70, null, v71, v1, vcc_lo
	flat_load_dwordx2 v[69:70], v[69:70]
	s_waitcnt vmcnt(0) lgkmcnt(0)
	v_mul_f64 v[69:70], s[10:11], v[69:70]
.LBB148_93:
	v_mad_i64_i32 v[72:73], null, v72, s12, 0
	s_waitcnt vmcnt(0)
	v_add_f64 v[69:70], v[67:68], v[69:70]
	v_lshlrev_b64 v[67:68], 3, v[72:73]
	v_add_co_u32 v67, vcc_lo, s4, v67
	v_add_co_ci_u32_e64 v68, null, s5, v68, vcc_lo
	v_add_co_u32 v0, vcc_lo, v67, v0
	v_add_co_ci_u32_e64 v1, null, v68, v1, vcc_lo
	s_and_b32 vcc_lo, exec_lo, s6
	flat_store_dwordx2 v[0:1], v[69:70]
	s_clause 0x1
	buffer_load_dword v0, off, s[0:3], 0 offset:264
	buffer_load_dword v1, off, s[0:3], 0 offset:268
	s_cbranch_vccnz .LBB148_95
; %bb.94:
	v_add_co_u32 v65, vcc_lo, v12, v2
	v_add_co_ci_u32_e64 v66, null, v71, v3, vcc_lo
	flat_load_dwordx2 v[65:66], v[65:66]
	s_waitcnt vmcnt(0) lgkmcnt(0)
	v_mul_f64 v[65:66], s[10:11], v[65:66]
.LBB148_95:
	s_waitcnt vmcnt(0)
	v_add_f64 v[0:1], v[0:1], v[65:66]
	v_add_co_u32 v2, vcc_lo, v67, v2
	v_add_co_ci_u32_e64 v3, null, v68, v3, vcc_lo
	v_mov_b32_e32 v65, 0
	v_mov_b32_e32 v66, 0
	s_and_b32 vcc_lo, exec_lo, s6
	flat_store_dwordx2 v[2:3], v[0:1]
	s_clause 0x1
	buffer_load_dword v2, off, s[0:3], 0 offset:272
	buffer_load_dword v3, off, s[0:3], 0 offset:276
	v_mov_b32_e32 v0, 0
	v_mov_b32_e32 v1, 0
	s_cbranch_vccnz .LBB148_97
; %bb.96:
	v_add_co_u32 v65, vcc_lo, v12, v4
	v_add_co_ci_u32_e64 v66, null, v71, v5, vcc_lo
	flat_load_dwordx2 v[65:66], v[65:66]
	s_waitcnt vmcnt(0) lgkmcnt(0)
	v_mul_f64 v[65:66], s[10:11], v[65:66]
.LBB148_97:
	s_waitcnt vmcnt(0)
	v_add_f64 v[2:3], v[2:3], v[65:66]
	v_add_co_u32 v4, vcc_lo, v67, v4
	v_add_co_ci_u32_e64 v5, null, v68, v5, vcc_lo
	s_and_b32 vcc_lo, exec_lo, s6
	flat_store_dwordx2 v[4:5], v[2:3]
	s_clause 0x1
	buffer_load_dword v2, off, s[0:3], 0 offset:280
	buffer_load_dword v3, off, s[0:3], 0 offset:284
	s_cbranch_vccnz .LBB148_99
; %bb.98:
	v_add_co_u32 v0, vcc_lo, v12, v6
	v_add_co_ci_u32_e64 v1, null, v71, v7, vcc_lo
	flat_load_dwordx2 v[0:1], v[0:1]
	s_waitcnt vmcnt(0) lgkmcnt(0)
	v_mul_f64 v[0:1], s[10:11], v[0:1]
.LBB148_99:
	s_waitcnt vmcnt(0)
	v_add_f64 v[0:1], v[2:3], v[0:1]
	v_add_co_u32 v2, vcc_lo, v67, v6
	v_add_co_ci_u32_e64 v3, null, v68, v7, vcc_lo
	v_mov_b32_e32 v4, 0
	v_mov_b32_e32 v5, 0
	s_and_b32 vcc_lo, exec_lo, s6
	flat_store_dwordx2 v[2:3], v[0:1]
	s_clause 0x1
	buffer_load_dword v2, off, s[0:3], 0 offset:288
	buffer_load_dword v3, off, s[0:3], 0 offset:292
	v_mov_b32_e32 v0, 0
	v_mov_b32_e32 v1, 0
	s_cbranch_vccnz .LBB148_101
; %bb.100:
	v_add_co_u32 v4, vcc_lo, v12, v8
	v_add_co_ci_u32_e64 v5, null, v71, v9, vcc_lo
	flat_load_dwordx2 v[4:5], v[4:5]
	s_waitcnt vmcnt(0) lgkmcnt(0)
	v_mul_f64 v[4:5], s[10:11], v[4:5]
.LBB148_101:
	s_waitcnt vmcnt(0)
	v_add_f64 v[2:3], v[2:3], v[4:5]
	v_add_co_u32 v4, vcc_lo, v67, v8
	v_add_co_ci_u32_e64 v5, null, v68, v9, vcc_lo
	s_and_b32 vcc_lo, exec_lo, s6
	flat_store_dwordx2 v[4:5], v[2:3]
	s_clause 0x1
	buffer_load_dword v2, off, s[0:3], 0 offset:296
	buffer_load_dword v3, off, s[0:3], 0 offset:300
	s_cbranch_vccnz .LBB148_103
; %bb.102:
	v_add_co_u32 v0, vcc_lo, v12, v10
	v_add_co_ci_u32_e64 v1, null, v71, v11, vcc_lo
	flat_load_dwordx2 v[0:1], v[0:1]
	s_waitcnt vmcnt(0) lgkmcnt(0)
	v_mul_f64 v[0:1], s[10:11], v[0:1]
.LBB148_103:
	s_waitcnt vmcnt(0)
	v_add_f64 v[0:1], v[2:3], v[0:1]
	v_add_co_u32 v2, vcc_lo, v67, v10
	v_add_co_ci_u32_e64 v3, null, v68, v11, vcc_lo
	v_mov_b32_e32 v4, 0
	v_mov_b32_e32 v5, 0
	s_and_b32 vcc_lo, exec_lo, s6
	flat_store_dwordx2 v[2:3], v[0:1]
	s_clause 0x1
	buffer_load_dword v2, off, s[0:3], 0 offset:304
	buffer_load_dword v3, off, s[0:3], 0 offset:308
	v_mov_b32_e32 v0, 0
	v_mov_b32_e32 v1, 0
	s_cbranch_vccnz .LBB148_105
; %bb.104:
	v_add_co_u32 v4, vcc_lo, v12, v13
	v_add_co_ci_u32_e64 v5, null, v71, v14, vcc_lo
	flat_load_dwordx2 v[4:5], v[4:5]
	s_waitcnt vmcnt(0) lgkmcnt(0)
	v_mul_f64 v[4:5], s[10:11], v[4:5]
.LBB148_105:
	s_waitcnt vmcnt(0)
	v_add_f64 v[2:3], v[2:3], v[4:5]
	v_add_co_u32 v4, vcc_lo, v67, v13
	v_add_co_ci_u32_e64 v5, null, v68, v14, vcc_lo
	s_and_b32 vcc_lo, exec_lo, s6
	flat_store_dwordx2 v[4:5], v[2:3]
	s_clause 0x1
	buffer_load_dword v2, off, s[0:3], 0 offset:312
	buffer_load_dword v3, off, s[0:3], 0 offset:316
	s_cbranch_vccnz .LBB148_107
; %bb.106:
	v_add_co_u32 v0, vcc_lo, v12, v15
	v_add_co_ci_u32_e64 v1, null, v71, v16, vcc_lo
	flat_load_dwordx2 v[0:1], v[0:1]
	s_waitcnt vmcnt(0) lgkmcnt(0)
	v_mul_f64 v[0:1], s[10:11], v[0:1]
.LBB148_107:
	s_waitcnt vmcnt(0)
	v_add_f64 v[0:1], v[2:3], v[0:1]
	v_add_co_u32 v2, vcc_lo, v67, v15
	v_add_co_ci_u32_e64 v3, null, v68, v16, vcc_lo
	v_mov_b32_e32 v4, 0
	v_mov_b32_e32 v5, 0
	s_and_b32 vcc_lo, exec_lo, s6
	flat_store_dwordx2 v[2:3], v[0:1]
	s_clause 0x1
	buffer_load_dword v2, off, s[0:3], 0 offset:320
	buffer_load_dword v3, off, s[0:3], 0 offset:324
	v_mov_b32_e32 v0, 0
	v_mov_b32_e32 v1, 0
	s_cbranch_vccnz .LBB148_109
; %bb.108:
	v_add_co_u32 v4, vcc_lo, v12, v17
	v_add_co_ci_u32_e64 v5, null, v71, v18, vcc_lo
	flat_load_dwordx2 v[4:5], v[4:5]
	s_waitcnt vmcnt(0) lgkmcnt(0)
	v_mul_f64 v[4:5], s[10:11], v[4:5]
.LBB148_109:
	s_waitcnt vmcnt(0)
	v_add_f64 v[2:3], v[2:3], v[4:5]
	v_add_co_u32 v4, vcc_lo, v67, v17
	v_add_co_ci_u32_e64 v5, null, v68, v18, vcc_lo
	s_and_b32 vcc_lo, exec_lo, s6
	flat_store_dwordx2 v[4:5], v[2:3]
	s_clause 0x1
	buffer_load_dword v2, off, s[0:3], 0 offset:328
	buffer_load_dword v3, off, s[0:3], 0 offset:332
	s_cbranch_vccnz .LBB148_111
; %bb.110:
	v_add_co_u32 v0, vcc_lo, v12, v19
	v_add_co_ci_u32_e64 v1, null, v71, v20, vcc_lo
	flat_load_dwordx2 v[0:1], v[0:1]
	s_waitcnt vmcnt(0) lgkmcnt(0)
	v_mul_f64 v[0:1], s[10:11], v[0:1]
.LBB148_111:
	s_waitcnt vmcnt(0)
	v_add_f64 v[0:1], v[2:3], v[0:1]
	v_add_co_u32 v2, vcc_lo, v67, v19
	v_add_co_ci_u32_e64 v3, null, v68, v20, vcc_lo
	v_mov_b32_e32 v4, 0
	v_mov_b32_e32 v5, 0
	s_and_b32 vcc_lo, exec_lo, s6
	flat_store_dwordx2 v[2:3], v[0:1]
	s_clause 0x1
	buffer_load_dword v2, off, s[0:3], 0 offset:336
	buffer_load_dword v3, off, s[0:3], 0 offset:340
	v_mov_b32_e32 v0, 0
	v_mov_b32_e32 v1, 0
	s_cbranch_vccnz .LBB148_113
; %bb.112:
	v_add_co_u32 v4, vcc_lo, v12, v21
	v_add_co_ci_u32_e64 v5, null, v71, v22, vcc_lo
	flat_load_dwordx2 v[4:5], v[4:5]
	s_waitcnt vmcnt(0) lgkmcnt(0)
	v_mul_f64 v[4:5], s[10:11], v[4:5]
.LBB148_113:
	s_waitcnt vmcnt(0)
	v_add_f64 v[2:3], v[2:3], v[4:5]
	v_add_co_u32 v4, vcc_lo, v67, v21
	v_add_co_ci_u32_e64 v5, null, v68, v22, vcc_lo
	s_and_b32 vcc_lo, exec_lo, s6
	flat_store_dwordx2 v[4:5], v[2:3]
	s_clause 0x1
	buffer_load_dword v2, off, s[0:3], 0 offset:344
	buffer_load_dword v3, off, s[0:3], 0 offset:348
	s_cbranch_vccnz .LBB148_115
; %bb.114:
	v_add_co_u32 v0, vcc_lo, v12, v23
	v_add_co_ci_u32_e64 v1, null, v71, v24, vcc_lo
	flat_load_dwordx2 v[0:1], v[0:1]
	s_waitcnt vmcnt(0) lgkmcnt(0)
	v_mul_f64 v[0:1], s[10:11], v[0:1]
.LBB148_115:
	s_waitcnt vmcnt(0)
	v_add_f64 v[0:1], v[2:3], v[0:1]
	v_add_co_u32 v2, vcc_lo, v67, v23
	v_add_co_ci_u32_e64 v3, null, v68, v24, vcc_lo
	v_mov_b32_e32 v4, 0
	v_mov_b32_e32 v5, 0
	s_and_b32 vcc_lo, exec_lo, s6
	flat_store_dwordx2 v[2:3], v[0:1]
	s_clause 0x1
	buffer_load_dword v2, off, s[0:3], 0 offset:352
	buffer_load_dword v3, off, s[0:3], 0 offset:356
	v_mov_b32_e32 v0, 0
	v_mov_b32_e32 v1, 0
	s_cbranch_vccnz .LBB148_117
; %bb.116:
	v_add_co_u32 v4, vcc_lo, v12, v25
	v_add_co_ci_u32_e64 v5, null, v71, v26, vcc_lo
	flat_load_dwordx2 v[4:5], v[4:5]
	s_waitcnt vmcnt(0) lgkmcnt(0)
	v_mul_f64 v[4:5], s[10:11], v[4:5]
.LBB148_117:
	s_waitcnt vmcnt(0)
	v_add_f64 v[2:3], v[2:3], v[4:5]
	v_add_co_u32 v4, vcc_lo, v67, v25
	v_add_co_ci_u32_e64 v5, null, v68, v26, vcc_lo
	s_and_b32 vcc_lo, exec_lo, s6
	flat_store_dwordx2 v[4:5], v[2:3]
	s_clause 0x1
	buffer_load_dword v2, off, s[0:3], 0 offset:360
	buffer_load_dword v3, off, s[0:3], 0 offset:364
	s_cbranch_vccnz .LBB148_119
; %bb.118:
	v_add_co_u32 v0, vcc_lo, v12, v27
	v_add_co_ci_u32_e64 v1, null, v71, v28, vcc_lo
	flat_load_dwordx2 v[0:1], v[0:1]
	s_waitcnt vmcnt(0) lgkmcnt(0)
	v_mul_f64 v[0:1], s[10:11], v[0:1]
.LBB148_119:
	s_waitcnt vmcnt(0)
	v_add_f64 v[0:1], v[2:3], v[0:1]
	v_add_co_u32 v2, vcc_lo, v67, v27
	v_add_co_ci_u32_e64 v3, null, v68, v28, vcc_lo
	v_mov_b32_e32 v4, 0
	v_mov_b32_e32 v5, 0
	s_and_b32 vcc_lo, exec_lo, s6
	flat_store_dwordx2 v[2:3], v[0:1]
	s_clause 0x1
	buffer_load_dword v2, off, s[0:3], 0 offset:368
	buffer_load_dword v3, off, s[0:3], 0 offset:372
	v_mov_b32_e32 v0, 0
	v_mov_b32_e32 v1, 0
	s_cbranch_vccnz .LBB148_121
; %bb.120:
	v_add_co_u32 v4, vcc_lo, v12, v29
	v_add_co_ci_u32_e64 v5, null, v71, v30, vcc_lo
	flat_load_dwordx2 v[4:5], v[4:5]
	s_waitcnt vmcnt(0) lgkmcnt(0)
	v_mul_f64 v[4:5], s[10:11], v[4:5]
.LBB148_121:
	s_waitcnt vmcnt(0)
	v_add_f64 v[2:3], v[2:3], v[4:5]
	v_add_co_u32 v4, vcc_lo, v67, v29
	v_add_co_ci_u32_e64 v5, null, v68, v30, vcc_lo
	s_and_b32 vcc_lo, exec_lo, s6
	flat_store_dwordx2 v[4:5], v[2:3]
	s_clause 0x1
	buffer_load_dword v2, off, s[0:3], 0 offset:376
	buffer_load_dword v3, off, s[0:3], 0 offset:380
	s_cbranch_vccnz .LBB148_123
; %bb.122:
	v_add_co_u32 v0, vcc_lo, v12, v31
	v_add_co_ci_u32_e64 v1, null, v71, v32, vcc_lo
	flat_load_dwordx2 v[0:1], v[0:1]
	s_waitcnt vmcnt(0) lgkmcnt(0)
	v_mul_f64 v[0:1], s[10:11], v[0:1]
.LBB148_123:
	s_waitcnt vmcnt(0)
	v_add_f64 v[0:1], v[2:3], v[0:1]
	v_add_co_u32 v2, vcc_lo, v67, v31
	v_add_co_ci_u32_e64 v3, null, v68, v32, vcc_lo
	v_mov_b32_e32 v4, 0
	v_mov_b32_e32 v5, 0
	s_and_b32 vcc_lo, exec_lo, s6
	flat_store_dwordx2 v[2:3], v[0:1]
	s_clause 0x1
	buffer_load_dword v2, off, s[0:3], 0 offset:384
	buffer_load_dword v3, off, s[0:3], 0 offset:388
	v_mov_b32_e32 v0, 0
	v_mov_b32_e32 v1, 0
	s_cbranch_vccnz .LBB148_125
; %bb.124:
	v_add_co_u32 v4, vcc_lo, v12, v33
	v_add_co_ci_u32_e64 v5, null, v71, v34, vcc_lo
	flat_load_dwordx2 v[4:5], v[4:5]
	s_waitcnt vmcnt(0) lgkmcnt(0)
	v_mul_f64 v[4:5], s[10:11], v[4:5]
.LBB148_125:
	s_waitcnt vmcnt(0)
	v_add_f64 v[2:3], v[2:3], v[4:5]
	v_add_co_u32 v4, vcc_lo, v67, v33
	v_add_co_ci_u32_e64 v5, null, v68, v34, vcc_lo
	s_and_b32 vcc_lo, exec_lo, s6
	flat_store_dwordx2 v[4:5], v[2:3]
	s_clause 0x1
	buffer_load_dword v2, off, s[0:3], 0 offset:392
	buffer_load_dword v3, off, s[0:3], 0 offset:396
	s_cbranch_vccnz .LBB148_127
; %bb.126:
	v_add_co_u32 v0, vcc_lo, v12, v35
	v_add_co_ci_u32_e64 v1, null, v71, v36, vcc_lo
	flat_load_dwordx2 v[0:1], v[0:1]
	s_waitcnt vmcnt(0) lgkmcnt(0)
	v_mul_f64 v[0:1], s[10:11], v[0:1]
.LBB148_127:
	s_waitcnt vmcnt(0)
	v_add_f64 v[0:1], v[2:3], v[0:1]
	v_add_co_u32 v2, vcc_lo, v67, v35
	v_add_co_ci_u32_e64 v3, null, v68, v36, vcc_lo
	v_mov_b32_e32 v4, 0
	v_mov_b32_e32 v5, 0
	s_and_b32 vcc_lo, exec_lo, s6
	flat_store_dwordx2 v[2:3], v[0:1]
	s_clause 0x1
	buffer_load_dword v2, off, s[0:3], 0 offset:400
	buffer_load_dword v3, off, s[0:3], 0 offset:404
	v_mov_b32_e32 v0, 0
	v_mov_b32_e32 v1, 0
	s_cbranch_vccnz .LBB148_129
; %bb.128:
	v_add_co_u32 v4, vcc_lo, v12, v37
	v_add_co_ci_u32_e64 v5, null, v71, v38, vcc_lo
	flat_load_dwordx2 v[4:5], v[4:5]
	s_waitcnt vmcnt(0) lgkmcnt(0)
	v_mul_f64 v[4:5], s[10:11], v[4:5]
.LBB148_129:
	s_waitcnt vmcnt(0)
	v_add_f64 v[2:3], v[2:3], v[4:5]
	v_add_co_u32 v4, vcc_lo, v67, v37
	v_add_co_ci_u32_e64 v5, null, v68, v38, vcc_lo
	s_and_b32 vcc_lo, exec_lo, s6
	flat_store_dwordx2 v[4:5], v[2:3]
	s_clause 0x1
	buffer_load_dword v2, off, s[0:3], 0 offset:408
	buffer_load_dword v3, off, s[0:3], 0 offset:412
	s_cbranch_vccnz .LBB148_131
; %bb.130:
	v_add_co_u32 v0, vcc_lo, v12, v39
	v_add_co_ci_u32_e64 v1, null, v71, v40, vcc_lo
	flat_load_dwordx2 v[0:1], v[0:1]
	s_waitcnt vmcnt(0) lgkmcnt(0)
	v_mul_f64 v[0:1], s[10:11], v[0:1]
.LBB148_131:
	s_waitcnt vmcnt(0)
	v_add_f64 v[0:1], v[2:3], v[0:1]
	v_add_co_u32 v2, vcc_lo, v67, v39
	v_add_co_ci_u32_e64 v3, null, v68, v40, vcc_lo
	v_mov_b32_e32 v4, 0
	v_mov_b32_e32 v5, 0
	s_and_b32 vcc_lo, exec_lo, s6
	flat_store_dwordx2 v[2:3], v[0:1]
	s_clause 0x1
	buffer_load_dword v2, off, s[0:3], 0 offset:416
	buffer_load_dword v3, off, s[0:3], 0 offset:420
	v_mov_b32_e32 v0, 0
	v_mov_b32_e32 v1, 0
	s_cbranch_vccnz .LBB148_133
; %bb.132:
	v_add_co_u32 v4, vcc_lo, v12, v41
	v_add_co_ci_u32_e64 v5, null, v71, v42, vcc_lo
	flat_load_dwordx2 v[4:5], v[4:5]
	s_waitcnt vmcnt(0) lgkmcnt(0)
	v_mul_f64 v[4:5], s[10:11], v[4:5]
.LBB148_133:
	s_waitcnt vmcnt(0)
	v_add_f64 v[2:3], v[2:3], v[4:5]
	v_add_co_u32 v4, vcc_lo, v67, v41
	v_add_co_ci_u32_e64 v5, null, v68, v42, vcc_lo
	s_and_b32 vcc_lo, exec_lo, s6
	flat_store_dwordx2 v[4:5], v[2:3]
	s_clause 0x1
	buffer_load_dword v2, off, s[0:3], 0 offset:424
	buffer_load_dword v3, off, s[0:3], 0 offset:428
	s_cbranch_vccnz .LBB148_135
; %bb.134:
	v_add_co_u32 v0, vcc_lo, v12, v43
	v_add_co_ci_u32_e64 v1, null, v71, v44, vcc_lo
	flat_load_dwordx2 v[0:1], v[0:1]
	s_waitcnt vmcnt(0) lgkmcnt(0)
	v_mul_f64 v[0:1], s[10:11], v[0:1]
.LBB148_135:
	s_waitcnt vmcnt(0)
	v_add_f64 v[0:1], v[2:3], v[0:1]
	v_add_co_u32 v2, vcc_lo, v67, v43
	v_add_co_ci_u32_e64 v3, null, v68, v44, vcc_lo
	v_mov_b32_e32 v4, 0
	v_mov_b32_e32 v5, 0
	s_and_b32 vcc_lo, exec_lo, s6
	flat_store_dwordx2 v[2:3], v[0:1]
	s_clause 0x1
	buffer_load_dword v2, off, s[0:3], 0 offset:432
	buffer_load_dword v3, off, s[0:3], 0 offset:436
	v_mov_b32_e32 v0, 0
	v_mov_b32_e32 v1, 0
	s_cbranch_vccnz .LBB148_137
; %bb.136:
	v_add_co_u32 v4, vcc_lo, v12, v45
	v_add_co_ci_u32_e64 v5, null, v71, v46, vcc_lo
	flat_load_dwordx2 v[4:5], v[4:5]
	s_waitcnt vmcnt(0) lgkmcnt(0)
	v_mul_f64 v[4:5], s[10:11], v[4:5]
.LBB148_137:
	s_waitcnt vmcnt(0)
	v_add_f64 v[2:3], v[2:3], v[4:5]
	v_add_co_u32 v4, vcc_lo, v67, v45
	v_add_co_ci_u32_e64 v5, null, v68, v46, vcc_lo
	s_and_b32 vcc_lo, exec_lo, s6
	flat_store_dwordx2 v[4:5], v[2:3]
	s_clause 0x1
	buffer_load_dword v2, off, s[0:3], 0 offset:440
	buffer_load_dword v3, off, s[0:3], 0 offset:444
	s_cbranch_vccnz .LBB148_139
; %bb.138:
	v_add_co_u32 v0, vcc_lo, v12, v47
	v_add_co_ci_u32_e64 v1, null, v71, v48, vcc_lo
	flat_load_dwordx2 v[0:1], v[0:1]
	s_waitcnt vmcnt(0) lgkmcnt(0)
	v_mul_f64 v[0:1], s[10:11], v[0:1]
.LBB148_139:
	s_waitcnt vmcnt(0)
	v_add_f64 v[0:1], v[2:3], v[0:1]
	v_add_co_u32 v2, vcc_lo, v67, v47
	v_add_co_ci_u32_e64 v3, null, v68, v48, vcc_lo
	v_mov_b32_e32 v4, 0
	v_mov_b32_e32 v5, 0
	s_and_b32 vcc_lo, exec_lo, s6
	flat_store_dwordx2 v[2:3], v[0:1]
	s_clause 0x1
	buffer_load_dword v2, off, s[0:3], 0 offset:448
	buffer_load_dword v3, off, s[0:3], 0 offset:452
	v_mov_b32_e32 v0, 0
	v_mov_b32_e32 v1, 0
	s_cbranch_vccnz .LBB148_141
; %bb.140:
	v_add_co_u32 v4, vcc_lo, v12, v49
	v_add_co_ci_u32_e64 v5, null, v71, v50, vcc_lo
	flat_load_dwordx2 v[4:5], v[4:5]
	s_waitcnt vmcnt(0) lgkmcnt(0)
	v_mul_f64 v[4:5], s[10:11], v[4:5]
.LBB148_141:
	s_waitcnt vmcnt(0)
	v_add_f64 v[2:3], v[2:3], v[4:5]
	v_add_co_u32 v4, vcc_lo, v67, v49
	v_add_co_ci_u32_e64 v5, null, v68, v50, vcc_lo
	s_and_b32 vcc_lo, exec_lo, s6
	flat_store_dwordx2 v[4:5], v[2:3]
	s_clause 0x1
	buffer_load_dword v2, off, s[0:3], 0 offset:456
	buffer_load_dword v3, off, s[0:3], 0 offset:460
	s_cbranch_vccnz .LBB148_143
; %bb.142:
	v_add_co_u32 v0, vcc_lo, v12, v51
	v_add_co_ci_u32_e64 v1, null, v71, v52, vcc_lo
	flat_load_dwordx2 v[0:1], v[0:1]
	s_waitcnt vmcnt(0) lgkmcnt(0)
	v_mul_f64 v[0:1], s[10:11], v[0:1]
.LBB148_143:
	s_waitcnt vmcnt(0)
	v_add_f64 v[0:1], v[2:3], v[0:1]
	v_add_co_u32 v2, vcc_lo, v67, v51
	v_add_co_ci_u32_e64 v3, null, v68, v52, vcc_lo
	v_mov_b32_e32 v4, 0
	v_mov_b32_e32 v5, 0
	s_and_b32 vcc_lo, exec_lo, s6
	flat_store_dwordx2 v[2:3], v[0:1]
	s_clause 0x1
	buffer_load_dword v2, off, s[0:3], 0 offset:464
	buffer_load_dword v3, off, s[0:3], 0 offset:468
	v_mov_b32_e32 v0, 0
	v_mov_b32_e32 v1, 0
	s_cbranch_vccnz .LBB148_145
; %bb.144:
	v_add_co_u32 v4, vcc_lo, v12, v53
	v_add_co_ci_u32_e64 v5, null, v71, v54, vcc_lo
	flat_load_dwordx2 v[4:5], v[4:5]
	s_waitcnt vmcnt(0) lgkmcnt(0)
	v_mul_f64 v[4:5], s[10:11], v[4:5]
.LBB148_145:
	s_waitcnt vmcnt(0)
	v_add_f64 v[2:3], v[2:3], v[4:5]
	v_add_co_u32 v4, vcc_lo, v67, v53
	v_add_co_ci_u32_e64 v5, null, v68, v54, vcc_lo
	s_and_b32 vcc_lo, exec_lo, s6
	flat_store_dwordx2 v[4:5], v[2:3]
	s_clause 0x1
	buffer_load_dword v2, off, s[0:3], 0 offset:472
	buffer_load_dword v3, off, s[0:3], 0 offset:476
	s_cbranch_vccnz .LBB148_147
; %bb.146:
	v_add_co_u32 v0, vcc_lo, v12, v55
	v_add_co_ci_u32_e64 v1, null, v71, v56, vcc_lo
	flat_load_dwordx2 v[0:1], v[0:1]
	s_waitcnt vmcnt(0) lgkmcnt(0)
	v_mul_f64 v[0:1], s[10:11], v[0:1]
.LBB148_147:
	s_waitcnt vmcnt(0)
	v_add_f64 v[0:1], v[2:3], v[0:1]
	v_add_co_u32 v2, vcc_lo, v67, v55
	v_add_co_ci_u32_e64 v3, null, v68, v56, vcc_lo
	v_mov_b32_e32 v4, 0
	v_mov_b32_e32 v5, 0
	s_and_b32 vcc_lo, exec_lo, s6
	flat_store_dwordx2 v[2:3], v[0:1]
	s_clause 0x1
	buffer_load_dword v2, off, s[0:3], 0 offset:480
	buffer_load_dword v3, off, s[0:3], 0 offset:484
	v_mov_b32_e32 v0, 0
	v_mov_b32_e32 v1, 0
	s_cbranch_vccnz .LBB148_149
; %bb.148:
	v_add_co_u32 v4, vcc_lo, v12, v57
	v_add_co_ci_u32_e64 v5, null, v71, v58, vcc_lo
	flat_load_dwordx2 v[4:5], v[4:5]
	s_waitcnt vmcnt(0) lgkmcnt(0)
	v_mul_f64 v[4:5], s[10:11], v[4:5]
.LBB148_149:
	s_waitcnt vmcnt(0)
	v_add_f64 v[2:3], v[2:3], v[4:5]
	v_add_co_u32 v4, vcc_lo, v67, v57
	v_add_co_ci_u32_e64 v5, null, v68, v58, vcc_lo
	s_and_b32 vcc_lo, exec_lo, s6
	flat_store_dwordx2 v[4:5], v[2:3]
	s_clause 0x1
	buffer_load_dword v2, off, s[0:3], 0 offset:488
	buffer_load_dword v3, off, s[0:3], 0 offset:492
	s_cbranch_vccnz .LBB148_151
; %bb.150:
	v_add_co_u32 v0, vcc_lo, v12, v59
	v_add_co_ci_u32_e64 v1, null, v71, v60, vcc_lo
	flat_load_dwordx2 v[0:1], v[0:1]
	s_waitcnt vmcnt(0) lgkmcnt(0)
	v_mul_f64 v[0:1], s[10:11], v[0:1]
.LBB148_151:
	s_waitcnt vmcnt(0)
	v_add_f64 v[0:1], v[2:3], v[0:1]
	v_add_co_u32 v2, vcc_lo, v67, v59
	v_add_co_ci_u32_e64 v3, null, v68, v60, vcc_lo
	v_mov_b32_e32 v4, 0
	v_mov_b32_e32 v5, 0
	s_and_b32 vcc_lo, exec_lo, s6
	flat_store_dwordx2 v[2:3], v[0:1]
	s_clause 0x1
	buffer_load_dword v2, off, s[0:3], 0 offset:496
	buffer_load_dword v3, off, s[0:3], 0 offset:500
	v_mov_b32_e32 v0, 0
	v_mov_b32_e32 v1, 0
	s_cbranch_vccnz .LBB148_153
; %bb.152:
	v_add_co_u32 v4, vcc_lo, v12, v61
	v_add_co_ci_u32_e64 v5, null, v71, v62, vcc_lo
	flat_load_dwordx2 v[4:5], v[4:5]
	s_waitcnt vmcnt(0) lgkmcnt(0)
	v_mul_f64 v[4:5], s[10:11], v[4:5]
.LBB148_153:
	s_waitcnt vmcnt(0)
	v_add_f64 v[2:3], v[2:3], v[4:5]
	v_add_co_u32 v4, vcc_lo, v67, v61
	v_add_co_ci_u32_e64 v5, null, v68, v62, vcc_lo
	s_and_b32 vcc_lo, exec_lo, s6
	flat_store_dwordx2 v[4:5], v[2:3]
	s_clause 0x1
	buffer_load_dword v2, off, s[0:3], 0 offset:504
	buffer_load_dword v3, off, s[0:3], 0 offset:508
	s_cbranch_vccnz .LBB148_155
; %bb.154:
	v_add_co_u32 v0, vcc_lo, v12, v63
	v_add_co_ci_u32_e64 v1, null, v71, v64, vcc_lo
	flat_load_dwordx2 v[0:1], v[0:1]
	s_waitcnt vmcnt(0) lgkmcnt(0)
	v_mul_f64 v[0:1], s[10:11], v[0:1]
.LBB148_155:
	s_waitcnt vmcnt(0)
	v_add_f64 v[0:1], v[2:3], v[0:1]
	v_add_co_u32 v2, vcc_lo, v67, v63
	v_add_co_ci_u32_e64 v3, null, v68, v64, vcc_lo
	flat_store_dwordx2 v[2:3], v[0:1]
	s_endpgm
	.section	.rodata,"a",@progbits
	.p2align	6, 0x0
	.amdhsa_kernel _ZN12_GLOBAL__N_120geam_min_plus_kernelIdddLi4ELi64ELi128ELi128ELi4ELi4ELi64ELi64ELi4ELc84ELc84ELb1ELb0ELb0EdKPKdKPdEEviiiT16_PT17_ilS8_ilS6_S8_ilPT18_ili26rocblas_geam_ex_operation_
		.amdhsa_group_segment_fixed_size 16384
		.amdhsa_private_segment_fixed_size 528
		.amdhsa_kernarg_size 136
		.amdhsa_user_sgpr_count 6
		.amdhsa_user_sgpr_private_segment_buffer 1
		.amdhsa_user_sgpr_dispatch_ptr 0
		.amdhsa_user_sgpr_queue_ptr 0
		.amdhsa_user_sgpr_kernarg_segment_ptr 1
		.amdhsa_user_sgpr_dispatch_id 0
		.amdhsa_user_sgpr_flat_scratch_init 0
		.amdhsa_user_sgpr_private_segment_size 0
		.amdhsa_wavefront_size32 1
		.amdhsa_uses_dynamic_stack 0
		.amdhsa_system_sgpr_private_segment_wavefront_offset 1
		.amdhsa_system_sgpr_workgroup_id_x 1
		.amdhsa_system_sgpr_workgroup_id_y 0
		.amdhsa_system_sgpr_workgroup_id_z 1
		.amdhsa_system_sgpr_workgroup_info 0
		.amdhsa_system_vgpr_workitem_id 1
		.amdhsa_next_free_vgpr 229
		.amdhsa_next_free_sgpr 26
		.amdhsa_reserve_vcc 1
		.amdhsa_reserve_flat_scratch 1
		.amdhsa_float_round_mode_32 0
		.amdhsa_float_round_mode_16_64 0
		.amdhsa_float_denorm_mode_32 3
		.amdhsa_float_denorm_mode_16_64 3
		.amdhsa_dx10_clamp 1
		.amdhsa_ieee_mode 1
		.amdhsa_fp16_overflow 0
		.amdhsa_workgroup_processor_mode 1
		.amdhsa_memory_ordered 1
		.amdhsa_forward_progress 1
		.amdhsa_shared_vgpr_count 0
		.amdhsa_exception_fp_ieee_invalid_op 0
		.amdhsa_exception_fp_denorm_src 0
		.amdhsa_exception_fp_ieee_div_zero 0
		.amdhsa_exception_fp_ieee_overflow 0
		.amdhsa_exception_fp_ieee_underflow 0
		.amdhsa_exception_fp_ieee_inexact 0
		.amdhsa_exception_int_div_zero 0
	.end_amdhsa_kernel
	.section	.text._ZN12_GLOBAL__N_120geam_min_plus_kernelIdddLi4ELi64ELi128ELi128ELi4ELi4ELi64ELi64ELi4ELc84ELc84ELb1ELb0ELb0EdKPKdKPdEEviiiT16_PT17_ilS8_ilS6_S8_ilPT18_ili26rocblas_geam_ex_operation_,"axG",@progbits,_ZN12_GLOBAL__N_120geam_min_plus_kernelIdddLi4ELi64ELi128ELi128ELi4ELi4ELi64ELi64ELi4ELc84ELc84ELb1ELb0ELb0EdKPKdKPdEEviiiT16_PT17_ilS8_ilS6_S8_ilPT18_ili26rocblas_geam_ex_operation_,comdat
.Lfunc_end148:
	.size	_ZN12_GLOBAL__N_120geam_min_plus_kernelIdddLi4ELi64ELi128ELi128ELi4ELi4ELi64ELi64ELi4ELc84ELc84ELb1ELb0ELb0EdKPKdKPdEEviiiT16_PT17_ilS8_ilS6_S8_ilPT18_ili26rocblas_geam_ex_operation_, .Lfunc_end148-_ZN12_GLOBAL__N_120geam_min_plus_kernelIdddLi4ELi64ELi128ELi128ELi4ELi4ELi64ELi64ELi4ELc84ELc84ELb1ELb0ELb0EdKPKdKPdEEviiiT16_PT17_ilS8_ilS6_S8_ilPT18_ili26rocblas_geam_ex_operation_
                                        ; -- End function
	.set _ZN12_GLOBAL__N_120geam_min_plus_kernelIdddLi4ELi64ELi128ELi128ELi4ELi4ELi64ELi64ELi4ELc84ELc84ELb1ELb0ELb0EdKPKdKPdEEviiiT16_PT17_ilS8_ilS6_S8_ilPT18_ili26rocblas_geam_ex_operation_.num_vgpr, 229
	.set _ZN12_GLOBAL__N_120geam_min_plus_kernelIdddLi4ELi64ELi128ELi128ELi4ELi4ELi64ELi64ELi4ELc84ELc84ELb1ELb0ELb0EdKPKdKPdEEviiiT16_PT17_ilS8_ilS6_S8_ilPT18_ili26rocblas_geam_ex_operation_.num_agpr, 0
	.set _ZN12_GLOBAL__N_120geam_min_plus_kernelIdddLi4ELi64ELi128ELi128ELi4ELi4ELi64ELi64ELi4ELc84ELc84ELb1ELb0ELb0EdKPKdKPdEEviiiT16_PT17_ilS8_ilS6_S8_ilPT18_ili26rocblas_geam_ex_operation_.numbered_sgpr, 26
	.set _ZN12_GLOBAL__N_120geam_min_plus_kernelIdddLi4ELi64ELi128ELi128ELi4ELi4ELi64ELi64ELi4ELc84ELc84ELb1ELb0ELb0EdKPKdKPdEEviiiT16_PT17_ilS8_ilS6_S8_ilPT18_ili26rocblas_geam_ex_operation_.num_named_barrier, 0
	.set _ZN12_GLOBAL__N_120geam_min_plus_kernelIdddLi4ELi64ELi128ELi128ELi4ELi4ELi64ELi64ELi4ELc84ELc84ELb1ELb0ELb0EdKPKdKPdEEviiiT16_PT17_ilS8_ilS6_S8_ilPT18_ili26rocblas_geam_ex_operation_.private_seg_size, 528
	.set _ZN12_GLOBAL__N_120geam_min_plus_kernelIdddLi4ELi64ELi128ELi128ELi4ELi4ELi64ELi64ELi4ELc84ELc84ELb1ELb0ELb0EdKPKdKPdEEviiiT16_PT17_ilS8_ilS6_S8_ilPT18_ili26rocblas_geam_ex_operation_.uses_vcc, 1
	.set _ZN12_GLOBAL__N_120geam_min_plus_kernelIdddLi4ELi64ELi128ELi128ELi4ELi4ELi64ELi64ELi4ELc84ELc84ELb1ELb0ELb0EdKPKdKPdEEviiiT16_PT17_ilS8_ilS6_S8_ilPT18_ili26rocblas_geam_ex_operation_.uses_flat_scratch, 1
	.set _ZN12_GLOBAL__N_120geam_min_plus_kernelIdddLi4ELi64ELi128ELi128ELi4ELi4ELi64ELi64ELi4ELc84ELc84ELb1ELb0ELb0EdKPKdKPdEEviiiT16_PT17_ilS8_ilS6_S8_ilPT18_ili26rocblas_geam_ex_operation_.has_dyn_sized_stack, 0
	.set _ZN12_GLOBAL__N_120geam_min_plus_kernelIdddLi4ELi64ELi128ELi128ELi4ELi4ELi64ELi64ELi4ELc84ELc84ELb1ELb0ELb0EdKPKdKPdEEviiiT16_PT17_ilS8_ilS6_S8_ilPT18_ili26rocblas_geam_ex_operation_.has_recursion, 0
	.set _ZN12_GLOBAL__N_120geam_min_plus_kernelIdddLi4ELi64ELi128ELi128ELi4ELi4ELi64ELi64ELi4ELc84ELc84ELb1ELb0ELb0EdKPKdKPdEEviiiT16_PT17_ilS8_ilS6_S8_ilPT18_ili26rocblas_geam_ex_operation_.has_indirect_call, 0
	.section	.AMDGPU.csdata,"",@progbits
; Kernel info:
; codeLenInByte = 18748
; TotalNumSgprs: 28
; NumVgprs: 229
; ScratchSize: 528
; MemoryBound: 1
; FloatMode: 240
; IeeeMode: 1
; LDSByteSize: 16384 bytes/workgroup (compile time only)
; SGPRBlocks: 0
; VGPRBlocks: 28
; NumSGPRsForWavesPerEU: 28
; NumVGPRsForWavesPerEU: 229
; Occupancy: 4
; WaveLimiterHint : 1
; COMPUTE_PGM_RSRC2:SCRATCH_EN: 1
; COMPUTE_PGM_RSRC2:USER_SGPR: 6
; COMPUTE_PGM_RSRC2:TRAP_HANDLER: 0
; COMPUTE_PGM_RSRC2:TGID_X_EN: 1
; COMPUTE_PGM_RSRC2:TGID_Y_EN: 0
; COMPUTE_PGM_RSRC2:TGID_Z_EN: 1
; COMPUTE_PGM_RSRC2:TIDIG_COMP_CNT: 1
	.section	.text._ZN12_GLOBAL__N_120geam_min_plus_kernelIdddLi4ELi64ELi128ELi128ELi4ELi4ELi64ELi64ELi4ELc84ELc84ELb0ELb0ELb0EdKPKdKPdEEviiiT16_PT17_ilS8_ilS6_S8_ilPT18_ili26rocblas_geam_ex_operation_,"axG",@progbits,_ZN12_GLOBAL__N_120geam_min_plus_kernelIdddLi4ELi64ELi128ELi128ELi4ELi4ELi64ELi64ELi4ELc84ELc84ELb0ELb0ELb0EdKPKdKPdEEviiiT16_PT17_ilS8_ilS6_S8_ilPT18_ili26rocblas_geam_ex_operation_,comdat
	.globl	_ZN12_GLOBAL__N_120geam_min_plus_kernelIdddLi4ELi64ELi128ELi128ELi4ELi4ELi64ELi64ELi4ELc84ELc84ELb0ELb0ELb0EdKPKdKPdEEviiiT16_PT17_ilS8_ilS6_S8_ilPT18_ili26rocblas_geam_ex_operation_ ; -- Begin function _ZN12_GLOBAL__N_120geam_min_plus_kernelIdddLi4ELi64ELi128ELi128ELi4ELi4ELi64ELi64ELi4ELc84ELc84ELb0ELb0ELb0EdKPKdKPdEEviiiT16_PT17_ilS8_ilS6_S8_ilPT18_ili26rocblas_geam_ex_operation_
	.p2align	8
	.type	_ZN12_GLOBAL__N_120geam_min_plus_kernelIdddLi4ELi64ELi128ELi128ELi4ELi4ELi64ELi64ELi4ELc84ELc84ELb0ELb0ELb0EdKPKdKPdEEviiiT16_PT17_ilS8_ilS6_S8_ilPT18_ili26rocblas_geam_ex_operation_,@function
_ZN12_GLOBAL__N_120geam_min_plus_kernelIdddLi4ELi64ELi128ELi128ELi4ELi4ELi64ELi64ELi4ELc84ELc84ELb0ELb0ELb0EdKPKdKPdEEviiiT16_PT17_ilS8_ilS6_S8_ilPT18_ili26rocblas_geam_ex_operation_: ; @_ZN12_GLOBAL__N_120geam_min_plus_kernelIdddLi4ELi64ELi128ELi128ELi4ELi4ELi64ELi64ELi4ELc84ELc84ELb0ELb0ELb0EdKPKdKPdEEviiiT16_PT17_ilS8_ilS6_S8_ilPT18_ili26rocblas_geam_ex_operation_
; %bb.0:
	s_clause 0x1
	s_load_dwordx4 s[12:15], s[4:5], 0x10
	s_load_dwordx4 s[16:19], s[4:5], 0x28
	s_mov_b32 s24, s7
	s_add_u32 s0, s0, s8
	s_addc_u32 s1, s1, 0
	s_mov_b64 s[20:21], 0
	s_waitcnt lgkmcnt(0)
	v_cmp_eq_f64_e64 s7, s[12:13], 0
	s_and_b32 vcc_lo, exec_lo, s7
	s_cbranch_vccnz .LBB149_2
; %bb.1:
	s_mov_b32 s25, 0
	s_lshl_b64 s[8:9], s[24:25], 3
	s_add_u32 s8, s14, s8
	s_addc_u32 s9, s15, s9
	s_lshl_b64 s[10:11], s[16:17], 3
	s_load_dwordx2 s[8:9], s[8:9], 0x0
	s_waitcnt lgkmcnt(0)
	s_add_u32 s20, s8, s10
	s_addc_u32 s21, s9, s11
.LBB149_2:
	s_clause 0x1
	s_load_dwordx4 s[8:11], s[4:5], 0x40
	s_load_dwordx2 s[26:27], s[4:5], 0x50
	s_andn2_b32 vcc_lo, exec_lo, s7
	s_mov_b32 s25, 0
	s_cbranch_vccnz .LBB149_4
; %bb.3:
	s_mov_b32 s7, s25
	s_mov_b64 s[14:15], 0
	s_andn2_b32 vcc_lo, exec_lo, s7
	s_mov_b64 s[22:23], 0
	s_cbranch_vccz .LBB149_5
	s_branch .LBB149_6
.LBB149_4:
	s_mov_b64 s[14:15], 0
	s_mov_b64 s[22:23], 0
.LBB149_5:
	s_lshl_b64 s[16:17], s[24:25], 3
	s_add_u32 s16, s18, s16
	s_addc_u32 s17, s19, s17
	s_waitcnt lgkmcnt(0)
	s_lshl_b64 s[8:9], s[8:9], 3
	s_load_dwordx2 s[16:17], s[16:17], 0x0
	s_waitcnt lgkmcnt(0)
	s_add_u32 s22, s16, s8
	s_addc_u32 s23, s17, s9
.LBB149_6:
	s_waitcnt lgkmcnt(0)
	v_cmp_eq_f64_e64 s7, s[10:11], 0
	v_cmp_neq_f64_e64 s28, s[12:13], 0
	s_load_dwordx4 s[16:19], s[4:5], 0x60
	s_and_b32 vcc_lo, exec_lo, s7
	s_cbranch_vccnz .LBB149_8
; %bb.7:
	s_lshl_b64 s[8:9], s[24:25], 3
	s_add_u32 s8, s26, s8
	s_addc_u32 s9, s27, s9
	s_waitcnt lgkmcnt(0)
	s_lshl_b64 s[14:15], s[16:17], 3
	s_load_dwordx2 s[8:9], s[8:9], 0x0
	s_waitcnt lgkmcnt(0)
	s_add_u32 s14, s8, s14
	s_addc_u32 s15, s9, s15
.LBB149_8:
	s_clause 0x1
	s_load_dword s7, s[4:5], 0x0
	s_load_dword s26, s[4:5], 0x20
	s_lshl_b64 s[8:9], s[24:25], 3
	v_and_b32_e32 v84, 3, v0
	s_waitcnt lgkmcnt(0)
	s_add_u32 s8, s18, s8
	s_addc_u32 s9, s19, s9
	v_lshl_add_u32 v7, v1, 2, v0
	s_load_dwordx2 s[8:9], s[8:9], 0x0
	v_lshlrev_b32_e32 v82, 3, v84
	v_mov_b32_e32 v4, 0
	v_mov_b32_e32 v6, 0
	v_lshrrev_b32_e32 v80, 2, v7
	v_mov_b32_e32 v5, 0
	buffer_store_dword v6, off, s[0:3], 0 offset:4
	buffer_store_dword v6, off, s[0:3], 0
	buffer_store_dword v6, off, s[0:3], 0 offset:12
	buffer_store_dword v6, off, s[0:3], 0 offset:8
	;; [unrolled: 1-line block ×12, first 2 shown]
	s_add_i32 s7, s7, -1
	buffer_store_dword v6, off, s[0:3], 0 offset:60
	s_ashr_i32 s16, s7, 31
	buffer_store_dword v6, off, s[0:3], 0 offset:56
	s_lshr_b32 s16, s16, 25
	buffer_store_dword v6, off, s[0:3], 0 offset:68
	buffer_store_dword v6, off, s[0:3], 0 offset:64
	;; [unrolled: 1-line block ×4, first 2 shown]
	s_add_i32 s7, s7, s16
	buffer_store_dword v6, off, s[0:3], 0 offset:84
	buffer_store_dword v6, off, s[0:3], 0 offset:80
	;; [unrolled: 1-line block ×9, first 2 shown]
	s_ashr_i32 s7, s7, 7
	buffer_store_dword v6, off, s[0:3], 0 offset:112
	buffer_store_dword v6, off, s[0:3], 0 offset:124
	;; [unrolled: 1-line block ×4, first 2 shown]
	s_add_i32 s17, s7, 1
	s_not_b32 s7, s7
	v_cvt_f32_u32_e32 v2, s17
	buffer_store_dword v6, off, s[0:3], 0 offset:128
	buffer_store_dword v6, off, s[0:3], 0 offset:140
	;; [unrolled: 1-line block ×8, first 2 shown]
	v_rcp_iflag_f32_e32 v2, v2
	buffer_store_dword v6, off, s[0:3], 0 offset:160
	buffer_store_dword v6, off, s[0:3], 0 offset:172
	;; [unrolled: 1-line block ×9, first 2 shown]
	v_mul_f32_e32 v2, 0x4f7ffffe, v2
	buffer_store_dword v6, off, s[0:3], 0 offset:204
	buffer_store_dword v6, off, s[0:3], 0 offset:200
	;; [unrolled: 1-line block ×78, first 2 shown]
	v_cvt_u32_f32_e32 v2, v2
	v_readfirstlane_b32 s16, v2
	v_cndmask_b32_e64 v2, 0, 1, s28
	s_mul_i32 s7, s7, s16
	s_mul_hi_u32 s7, s16, s7
	s_add_i32 s16, s16, s7
	s_mul_hi_u32 s7, s6, s16
	s_mul_i32 s16, s7, s17
	s_add_i32 s18, s7, 1
	s_sub_i32 s16, s6, s16
	s_sub_i32 s19, s16, s17
	s_cmp_ge_u32 s16, s17
	s_cselect_b32 s7, s18, s7
	s_cselect_b32 s16, s19, s16
	s_add_i32 s18, s7, 1
	s_cmp_ge_u32 s16, s17
	s_cselect_b32 s16, s18, s7
	s_andn2_b32 vcc_lo, exec_lo, s28
	s_mul_i32 s7, s16, s17
	v_add_co_u32 v21, s17, s20, v82
	s_sub_i32 s6, s6, s7
	v_add_co_ci_u32_e64 v22, null, s21, 0, s17
	s_lshl_b32 s7, s6, 7
	v_cmp_ne_u32_e64 s6, 1, v2
	v_mov_b32_e32 v2, 0
	v_add_nc_u32_e32 v81, s7, v80
	v_mov_b32_e32 v3, 0
	s_cbranch_vccnz .LBB149_10
; %bb.9:
	v_mad_i64_i32 v[2:3], null, v81, s26, 0
	v_lshlrev_b64 v[2:3], 3, v[2:3]
	v_add_co_u32 v2, vcc_lo, v21, v2
	v_add_co_ci_u32_e64 v3, null, v22, v3, vcc_lo
	flat_load_dwordx2 v[2:3], v[2:3]
	s_waitcnt vmcnt(0) lgkmcnt(0)
	v_mul_f64 v[2:3], s[12:13], v[2:3]
.LBB149_10:
	s_load_dword s19, s[4:5], 0x38
	v_and_b32_e32 v20, 63, v7
	s_lshl_b32 s16, s16, 7
	v_mov_b32_e32 v16, 0
	v_mov_b32_e32 v18, 0
	v_lshrrev_b32_e32 v85, 6, v7
	v_or_b32_e32 v6, s16, v20
	v_add_nc_u32_e32 v83, 64, v81
	v_mov_b32_e32 v17, 0
	v_mov_b32_e32 v19, 0
	s_and_b32 vcc_lo, exec_lo, s6
	v_ashrrev_i32_e32 v7, 31, v6
	s_waitcnt lgkmcnt(0)
	s_ashr_i32 s24, s19, 31
	s_cbranch_vccnz .LBB149_12
; %bb.11:
	v_mad_i64_i32 v[4:5], null, s19, v85, 0
	v_mad_i64_i32 v[8:9], null, v83, s26, 0
	v_lshlrev_b64 v[10:11], 3, v[6:7]
	v_lshlrev_b64 v[4:5], 3, v[4:5]
	;; [unrolled: 1-line block ×3, first 2 shown]
	v_add_co_u32 v12, vcc_lo, s22, v4
	v_add_co_ci_u32_e64 v13, null, s23, v5, vcc_lo
	v_add_co_u32 v4, vcc_lo, v21, v8
	v_add_co_ci_u32_e64 v5, null, v22, v9, vcc_lo
	;; [unrolled: 2-line block ×3, first 2 shown]
	flat_load_dwordx2 v[4:5], v[4:5]
	s_clause 0x1
	flat_load_dwordx2 v[10:11], v[8:9]
	flat_load_dwordx2 v[8:9], v[8:9] offset:512
	s_waitcnt vmcnt(2) lgkmcnt(2)
	v_mul_f64 v[4:5], s[12:13], v[4:5]
	s_waitcnt vmcnt(1) lgkmcnt(1)
	v_mul_f64 v[16:17], s[12:13], v[10:11]
	;; [unrolled: 2-line block ×3, first 2 shown]
.LBB149_12:
	v_mov_b32_e32 v10, 0
	v_mov_b32_e32 v8, 0
	v_mov_b32_e32 v11, 0
	v_mov_b32_e32 v9, 0
	s_and_b32 vcc_lo, exec_lo, s6
	s_cbranch_vccnz .LBB149_14
; %bb.13:
	v_mad_i64_i32 v[8:9], null, v81, s26, 0
	v_lshlrev_b64 v[8:9], 3, v[8:9]
	v_add_co_u32 v8, vcc_lo, v21, v8
	v_add_co_ci_u32_e64 v9, null, v22, v9, vcc_lo
	flat_load_dwordx2 v[8:9], v[8:9] offset:32
	s_waitcnt vmcnt(0) lgkmcnt(0)
	v_mul_f64 v[8:9], s[12:13], v[8:9]
.LBB149_14:
	v_mov_b32_e32 v12, 0
	v_mov_b32_e32 v14, 0
	;; [unrolled: 1-line block ×4, first 2 shown]
	v_add_nc_u32_e32 v86, 4, v85
	s_and_b32 vcc_lo, exec_lo, s6
	s_cbranch_vccnz .LBB149_16
; %bb.15:
	v_mad_i64_i32 v[10:11], null, s19, v86, 0
	v_mad_i64_i32 v[12:13], null, v83, s26, 0
	v_lshlrev_b64 v[14:15], 3, v[6:7]
	v_lshlrev_b64 v[10:11], 3, v[10:11]
	;; [unrolled: 1-line block ×3, first 2 shown]
	v_add_co_u32 v23, vcc_lo, s22, v10
	v_add_co_ci_u32_e64 v24, null, s23, v11, vcc_lo
	v_add_co_u32 v10, vcc_lo, v21, v12
	v_add_co_ci_u32_e64 v11, null, v22, v13, vcc_lo
	;; [unrolled: 2-line block ×3, first 2 shown]
	flat_load_dwordx2 v[10:11], v[10:11] offset:32
	s_clause 0x1
	flat_load_dwordx2 v[14:15], v[12:13]
	flat_load_dwordx2 v[21:22], v[12:13] offset:512
	s_waitcnt vmcnt(2) lgkmcnt(2)
	v_mul_f64 v[10:11], s[12:13], v[10:11]
	s_waitcnt vmcnt(1) lgkmcnt(1)
	v_mul_f64 v[12:13], s[12:13], v[14:15]
	;; [unrolled: 2-line block ×3, first 2 shown]
.LBB149_16:
	v_cmp_neq_f64_e64 s17, s[10:11], 0
	v_lshlrev_b32_e32 v22, 3, v85
	v_lshlrev_b32_e32 v21, 5, v80
	;; [unrolled: 1-line block ×3, first 2 shown]
	v_lshl_or_b32 v90, v1, 5, 0x2000
	s_mov_b32 s18, 0
	v_lshl_add_u32 v94, v20, 5, v22
	v_lshl_or_b32 v87, v84, 3, v21
	s_addk_i32 s18, 0x100
	v_or_b32_e32 v88, 0x2000, v94
	ds_write2st64_b64 v87, v[2:3], v[4:5] offset1:4
	ds_write2st64_b64 v94, v[16:17], v[18:19] offset0:16 offset1:20
	s_waitcnt lgkmcnt(0)
	s_waitcnt_vscnt null, 0x0
	s_barrier
	buffer_gl0_inv
.LBB149_17:                             ; =>This Loop Header: Depth=1
                                        ;     Child Loop BB149_18 Depth 2
	s_lshl_b32 s27, s25, 3
	s_mov_b32 s28, 0
	v_add_nc_u32_e32 v16, s27, v89
	v_add_nc_u32_e32 v91, s27, v90
	s_mov_b32 s27, -1
	ds_read2_b64 v[2:5], v16 offset1:16
	ds_read2_b64 v[20:23], v16 offset0:32 offset1:48
	ds_read2_b64 v[24:27], v16 offset0:64 offset1:80
	;; [unrolled: 1-line block ×4, first 2 shown]
	v_add_nc_u32_e32 v76, 0x800, v16
	ds_read2_b64 v[36:39], v16 offset0:160 offset1:176
	ds_read2_b64 v[40:43], v16 offset0:192 offset1:208
	;; [unrolled: 1-line block ×3, first 2 shown]
	ds_read2_b64 v[48:51], v76 offset1:16
	ds_read2_b64 v[52:55], v76 offset0:32 offset1:48
	ds_read2_b64 v[56:59], v76 offset0:64 offset1:80
	;; [unrolled: 1-line block ×6, first 2 shown]
	s_waitcnt lgkmcnt(9)
	v_max_f64 v[36:37], v[36:37], v[36:37]
	v_max_f64 v[38:39], v[38:39], v[38:39]
	;; [unrolled: 1-line block ×4, first 2 shown]
	ds_read2_b64 v[2:5], v76 offset0:224 offset1:240
	v_max_f64 v[20:21], v[20:21], v[20:21]
	v_max_f64 v[22:23], v[22:23], v[22:23]
	;; [unrolled: 1-line block ×8, first 2 shown]
	s_waitcnt lgkmcnt(9)
	v_max_f64 v[40:41], v[40:41], v[40:41]
	v_max_f64 v[42:43], v[42:43], v[42:43]
	s_waitcnt lgkmcnt(8)
	v_max_f64 v[44:45], v[44:45], v[44:45]
	v_max_f64 v[46:47], v[46:47], v[46:47]
	;; [unrolled: 3-line block ×10, first 2 shown]
	ds_read2st64_b64 v[2:5], v91 offset1:4
.LBB149_18:                             ;   Parent Loop BB149_17 Depth=1
                                        ; =>  This Inner Loop Header: Depth=2
	v_mov_b32_e32 v93, s28
	s_waitcnt lgkmcnt(0)
	v_max_f64 v[157:158], v[2:3], v[2:3]
	v_mov_b32_e32 v2, v4
	v_mov_b32_e32 v3, v5
	s_and_b32 vcc_lo, exec_lo, s27
	s_clause 0x3e
	buffer_load_dword v91, v93, s[0:3], 0 offen
	buffer_load_dword v92, v93, s[0:3], 0 offen offset:4
	buffer_load_dword v95, v93, s[0:3], 0 offen offset:8
	;; [unrolled: 1-line block ×63, first 2 shown]
	s_mov_b32 s27, 0
	s_mov_b32 s28, s18
	v_min_f64 v[159:160], v[16:17], v[157:158]
	v_min_f64 v[161:162], v[18:19], v[157:158]
	;; [unrolled: 1-line block ×32, first 2 shown]
	s_waitcnt vmcnt(62)
	v_add_f64 v[91:92], v[159:160], v[91:92]
	s_waitcnt vmcnt(60)
	v_add_f64 v[95:96], v[161:162], v[95:96]
	;; [unrolled: 2-line block ×32, first 2 shown]
	buffer_store_dword v91, v93, s[0:3], 0 offen
	buffer_store_dword v92, v93, s[0:3], 0 offen offset:4
	buffer_store_dword v95, v93, s[0:3], 0 offen offset:8
	;; [unrolled: 1-line block ×63, first 2 shown]
	s_cbranch_vccnz .LBB149_18
; %bb.19:                               ;   in Loop: Header=BB149_17 Depth=1
	s_add_i32 s25, s25, 1
	s_cmp_eq_u32 s25, 4
	s_cbranch_scc0 .LBB149_17
; %bb.20:
	s_load_dword s25, s[4:5], 0x8
	v_lshl_or_b32 v2, v80, 5, v82
	v_lshl_add_u32 v91, v0, 5, 0x1000
	v_lshl_add_u32 v92, v1, 5, 0x3000
	ds_write2st64_b64 v2, v[8:9], v[10:11] offset0:8 offset1:12
	ds_write2st64_b64 v94, v[12:13], v[14:15] offset0:24 offset1:28
	s_waitcnt lgkmcnt(0)
	s_waitcnt_vscnt null, 0x0
	s_barrier
	buffer_gl0_inv
	s_cmp_lt_i32 s25, 9
	s_cbranch_scc1 .LBB149_39
; %bb.21:
	v_mad_i64_i32 v[3:4], null, v81, s26, 0
	v_lshlrev_b64 v[5:6], 3, v[6:7]
	v_mad_i64_i32 v[7:8], null, v83, s26, 0
	v_add_nc_u32_e32 v93, 0x1000, v2
	v_or_b32_e32 v94, 0x3000, v94
	v_mov_b32_e32 v75, 0
	v_add_co_u32 v95, vcc_lo, s22, v5
	v_lshlrev_b64 v[70:71], 3, v[3:4]
	v_lshlrev_b64 v[72:73], 3, v[7:8]
	v_add_co_ci_u32_e64 v96, null, s23, v6, vcc_lo
	s_add_i32 s22, s25, -8
	s_mov_b32 s23, 8
	s_mov_b32 s25, 0
.LBB149_22:                             ; =>This Loop Header: Depth=1
                                        ;     Child Loop BB149_27 Depth 2
                                        ;       Child Loop BB149_28 Depth 3
                                        ;     Child Loop BB149_35 Depth 2
                                        ;       Child Loop BB149_36 Depth 3
	v_or_b32_e32 v74, s23, v84
	v_mov_b32_e32 v8, 0
	v_mov_b32_e32 v6, 0
	;; [unrolled: 1-line block ×4, first 2 shown]
	v_lshlrev_b64 v[2:3], 3, v[74:75]
	v_add_co_u32 v74, vcc_lo, s20, v2
	v_add_co_ci_u32_e64 v97, null, s21, v3, vcc_lo
	s_and_b32 vcc_lo, exec_lo, s6
	s_cbranch_vccnz .LBB149_24
; %bb.23:                               ;   in Loop: Header=BB149_22 Depth=1
	v_add_co_u32 v2, vcc_lo, v74, v70
	v_add_co_ci_u32_e64 v3, null, v97, v71, vcc_lo
	flat_load_dwordx2 v[2:3], v[2:3]
	s_waitcnt vmcnt(0) lgkmcnt(0)
	v_mul_f64 v[6:7], s[12:13], v[2:3]
.LBB149_24:                             ;   in Loop: Header=BB149_22 Depth=1
	v_mov_b32_e32 v10, 0
	v_mov_b32_e32 v12, 0
	;; [unrolled: 1-line block ×4, first 2 shown]
	s_and_b32 vcc_lo, exec_lo, s6
	s_cbranch_vccnz .LBB149_26
; %bb.25:                               ;   in Loop: Header=BB149_22 Depth=1
	v_add_nc_u32_e32 v4, s23, v85
	v_mad_u64_u32 v[2:3], null, v4, s19, 0
	v_mad_u64_u32 v[3:4], null, v4, s24, v[3:4]
	v_add_co_u32 v4, vcc_lo, v74, v72
	v_add_co_ci_u32_e64 v5, null, v97, v73, vcc_lo
	v_lshlrev_b64 v[2:3], 3, v[2:3]
	v_add_co_u32 v2, vcc_lo, v95, v2
	v_add_co_ci_u32_e64 v3, null, v96, v3, vcc_lo
	flat_load_dwordx2 v[4:5], v[4:5]
	s_clause 0x1
	flat_load_dwordx2 v[10:11], v[2:3]
	flat_load_dwordx2 v[2:3], v[2:3] offset:512
	s_waitcnt vmcnt(2) lgkmcnt(2)
	v_mul_f64 v[8:9], s[12:13], v[4:5]
	s_waitcnt vmcnt(1) lgkmcnt(1)
	v_mul_f64 v[10:11], s[12:13], v[10:11]
	s_waitcnt vmcnt(0) lgkmcnt(0)
	v_mul_f64 v[12:13], s[12:13], v[2:3]
.LBB149_26:                             ;   in Loop: Header=BB149_22 Depth=1
	s_mov_b32 s26, 0
.LBB149_27:                             ;   Parent Loop BB149_22 Depth=1
                                        ; =>  This Loop Header: Depth=2
                                        ;       Child Loop BB149_28 Depth 3
	s_lshl_b32 s27, s26, 3
	s_mov_b32 s28, 0
	v_add_nc_u32_e32 v14, s27, v91
	v_add_nc_u32_e32 v98, s27, v92
	s_mov_b32 s27, -1
	ds_read2_b64 v[2:5], v14 offset1:16
	ds_read2_b64 v[18:21], v14 offset0:32 offset1:48
	ds_read2_b64 v[22:25], v14 offset0:64 offset1:80
	v_add_nc_u32_e32 v15, 0x800, v14
	ds_read2_b64 v[26:29], v14 offset0:96 offset1:112
	ds_read2_b64 v[30:33], v14 offset0:128 offset1:144
	;; [unrolled: 1-line block ×5, first 2 shown]
	ds_read2_b64 v[46:49], v15 offset1:16
	ds_read2_b64 v[50:53], v15 offset0:32 offset1:48
	ds_read2_b64 v[54:57], v15 offset0:64 offset1:80
	;; [unrolled: 1-line block ×7, first 2 shown]
	s_waitcnt lgkmcnt(11)
	v_max_f64 v[30:31], v[30:31], v[30:31]
	v_max_f64 v[32:33], v[32:33], v[32:33]
	s_waitcnt lgkmcnt(10)
	v_max_f64 v[34:35], v[34:35], v[34:35]
	v_max_f64 v[36:37], v[36:37], v[36:37]
	;; [unrolled: 3-line block ×3, first 2 shown]
	v_max_f64 v[14:15], v[2:3], v[2:3]
	v_max_f64 v[16:17], v[4:5], v[4:5]
	;; [unrolled: 1-line block ×8, first 2 shown]
	s_waitcnt lgkmcnt(8)
	v_max_f64 v[42:43], v[42:43], v[42:43]
	v_max_f64 v[44:45], v[44:45], v[44:45]
	s_waitcnt lgkmcnt(7)
	v_max_f64 v[46:47], v[46:47], v[46:47]
	v_max_f64 v[48:49], v[48:49], v[48:49]
	;; [unrolled: 3-line block ×9, first 2 shown]
	ds_read2st64_b64 v[2:5], v98 offset1:4
.LBB149_28:                             ;   Parent Loop BB149_22 Depth=1
                                        ;     Parent Loop BB149_27 Depth=2
                                        ; =>    This Inner Loop Header: Depth=3
	v_mov_b32_e32 v226, s28
	s_waitcnt lgkmcnt(0)
	v_max_f64 v[162:163], v[2:3], v[2:3]
	v_mov_b32_e32 v2, v4
	v_mov_b32_e32 v3, v5
	s_and_b32 vcc_lo, exec_lo, s27
	s_clause 0x3e
	buffer_load_dword v98, v226, s[0:3], 0 offen
	buffer_load_dword v99, v226, s[0:3], 0 offen offset:4
	buffer_load_dword v100, v226, s[0:3], 0 offen offset:8
	buffer_load_dword v101, v226, s[0:3], 0 offen offset:12
	buffer_load_dword v102, v226, s[0:3], 0 offen offset:16
	buffer_load_dword v103, v226, s[0:3], 0 offen offset:20
	buffer_load_dword v104, v226, s[0:3], 0 offen offset:24
	buffer_load_dword v105, v226, s[0:3], 0 offen offset:28
	buffer_load_dword v106, v226, s[0:3], 0 offen offset:32
	buffer_load_dword v107, v226, s[0:3], 0 offen offset:36
	buffer_load_dword v108, v226, s[0:3], 0 offen offset:40
	buffer_load_dword v109, v226, s[0:3], 0 offen offset:44
	buffer_load_dword v110, v226, s[0:3], 0 offen offset:48
	buffer_load_dword v111, v226, s[0:3], 0 offen offset:52
	buffer_load_dword v112, v226, s[0:3], 0 offen offset:56
	buffer_load_dword v113, v226, s[0:3], 0 offen offset:60
	buffer_load_dword v115, v226, s[0:3], 0 offen offset:68
	buffer_load_dword v116, v226, s[0:3], 0 offen offset:72
	buffer_load_dword v117, v226, s[0:3], 0 offen offset:76
	buffer_load_dword v118, v226, s[0:3], 0 offen offset:80
	buffer_load_dword v119, v226, s[0:3], 0 offen offset:84
	buffer_load_dword v120, v226, s[0:3], 0 offen offset:88
	buffer_load_dword v121, v226, s[0:3], 0 offen offset:92
	buffer_load_dword v114, v226, s[0:3], 0 offen offset:64
	buffer_load_dword v122, v226, s[0:3], 0 offen offset:96
	buffer_load_dword v123, v226, s[0:3], 0 offen offset:100
	buffer_load_dword v124, v226, s[0:3], 0 offen offset:104
	buffer_load_dword v125, v226, s[0:3], 0 offen offset:108
	buffer_load_dword v126, v226, s[0:3], 0 offen offset:112
	buffer_load_dword v127, v226, s[0:3], 0 offen offset:116
	buffer_load_dword v128, v226, s[0:3], 0 offen offset:120
	buffer_load_dword v129, v226, s[0:3], 0 offen offset:124
	buffer_load_dword v130, v226, s[0:3], 0 offen offset:128
	buffer_load_dword v131, v226, s[0:3], 0 offen offset:132
	buffer_load_dword v132, v226, s[0:3], 0 offen offset:136
	buffer_load_dword v133, v226, s[0:3], 0 offen offset:140
	buffer_load_dword v134, v226, s[0:3], 0 offen offset:144
	buffer_load_dword v135, v226, s[0:3], 0 offen offset:148
	buffer_load_dword v136, v226, s[0:3], 0 offen offset:152
	buffer_load_dword v137, v226, s[0:3], 0 offen offset:156
	buffer_load_dword v138, v226, s[0:3], 0 offen offset:160
	buffer_load_dword v139, v226, s[0:3], 0 offen offset:164
	buffer_load_dword v140, v226, s[0:3], 0 offen offset:168
	buffer_load_dword v141, v226, s[0:3], 0 offen offset:172
	buffer_load_dword v142, v226, s[0:3], 0 offen offset:176
	buffer_load_dword v143, v226, s[0:3], 0 offen offset:180
	buffer_load_dword v144, v226, s[0:3], 0 offen offset:184
	buffer_load_dword v145, v226, s[0:3], 0 offen offset:188
	buffer_load_dword v146, v226, s[0:3], 0 offen offset:192
	buffer_load_dword v147, v226, s[0:3], 0 offen offset:196
	buffer_load_dword v148, v226, s[0:3], 0 offen offset:200
	buffer_load_dword v149, v226, s[0:3], 0 offen offset:204
	buffer_load_dword v150, v226, s[0:3], 0 offen offset:208
	buffer_load_dword v151, v226, s[0:3], 0 offen offset:212
	buffer_load_dword v152, v226, s[0:3], 0 offen offset:216
	buffer_load_dword v153, v226, s[0:3], 0 offen offset:220
	buffer_load_dword v154, v226, s[0:3], 0 offen offset:224
	buffer_load_dword v155, v226, s[0:3], 0 offen offset:228
	buffer_load_dword v156, v226, s[0:3], 0 offen offset:232
	buffer_load_dword v157, v226, s[0:3], 0 offen offset:236
	buffer_load_dword v158, v226, s[0:3], 0 offen offset:240
	buffer_load_dword v159, v226, s[0:3], 0 offen offset:244
	buffer_load_dword v160, v226, s[0:3], 0 offen offset:248
	buffer_load_dword v161, v226, s[0:3], 0 offen offset:252
	s_mov_b32 s27, 0
	s_mov_b32 s28, s18
	v_min_f64 v[164:165], v[14:15], v[162:163]
	v_min_f64 v[166:167], v[16:17], v[162:163]
	;; [unrolled: 1-line block ×32, first 2 shown]
	s_waitcnt vmcnt(62)
	v_add_f64 v[98:99], v[164:165], v[98:99]
	s_waitcnt vmcnt(60)
	v_add_f64 v[100:101], v[166:167], v[100:101]
	;; [unrolled: 2-line block ×32, first 2 shown]
	buffer_store_dword v98, v226, s[0:3], 0 offen
	buffer_store_dword v99, v226, s[0:3], 0 offen offset:4
	buffer_store_dword v100, v226, s[0:3], 0 offen offset:8
	;; [unrolled: 1-line block ×63, first 2 shown]
	s_cbranch_vccnz .LBB149_28
; %bb.29:                               ;   in Loop: Header=BB149_27 Depth=2
	s_add_i32 s26, s26, 1
	s_cmp_eq_u32 s26, 4
	s_cbranch_scc0 .LBB149_27
; %bb.30:                               ;   in Loop: Header=BB149_22 Depth=1
	v_mov_b32_e32 v78, 0
	v_mov_b32_e32 v76, 0
	;; [unrolled: 1-line block ×4, first 2 shown]
	s_and_b32 vcc_lo, exec_lo, s6
	ds_write2st64_b64 v87, v[6:7], v[8:9] offset1:4
	ds_write2st64_b64 v88, v[10:11], v[12:13] offset1:4
	s_waitcnt lgkmcnt(0)
	s_waitcnt_vscnt null, 0x0
	s_barrier
	buffer_gl0_inv
	s_cbranch_vccnz .LBB149_32
; %bb.31:                               ;   in Loop: Header=BB149_22 Depth=1
	v_add_co_u32 v2, vcc_lo, v74, v70
	v_add_co_ci_u32_e64 v3, null, v97, v71, vcc_lo
	flat_load_dwordx2 v[2:3], v[2:3] offset:32
	s_waitcnt vmcnt(0) lgkmcnt(0)
	v_mul_f64 v[76:77], s[12:13], v[2:3]
.LBB149_32:                             ;   in Loop: Header=BB149_22 Depth=1
	v_mov_b32_e32 v80, 0
	v_mov_b32_e32 v82, 0
	v_mov_b32_e32 v81, 0
	v_mov_b32_e32 v83, 0
	s_and_b32 vcc_lo, exec_lo, s6
	s_cbranch_vccnz .LBB149_34
; %bb.33:                               ;   in Loop: Header=BB149_22 Depth=1
	v_add_nc_u32_e32 v4, s23, v86
	v_mad_u64_u32 v[2:3], null, v4, s19, 0
	v_mad_u64_u32 v[3:4], null, v4, s24, v[3:4]
	v_add_co_u32 v4, vcc_lo, v74, v72
	v_add_co_ci_u32_e64 v5, null, v97, v73, vcc_lo
	v_lshlrev_b64 v[2:3], 3, v[2:3]
	v_add_co_u32 v2, vcc_lo, v95, v2
	v_add_co_ci_u32_e64 v3, null, v96, v3, vcc_lo
	flat_load_dwordx2 v[4:5], v[4:5] offset:32
	s_clause 0x1
	flat_load_dwordx2 v[6:7], v[2:3]
	flat_load_dwordx2 v[2:3], v[2:3] offset:512
	s_waitcnt vmcnt(2) lgkmcnt(2)
	v_mul_f64 v[78:79], s[12:13], v[4:5]
	s_waitcnt vmcnt(1) lgkmcnt(1)
	v_mul_f64 v[80:81], s[12:13], v[6:7]
	;; [unrolled: 2-line block ×3, first 2 shown]
.LBB149_34:                             ;   in Loop: Header=BB149_22 Depth=1
	s_mov_b32 s26, 0
.LBB149_35:                             ;   Parent Loop BB149_22 Depth=1
                                        ; =>  This Loop Header: Depth=2
                                        ;       Child Loop BB149_36 Depth 3
	s_lshl_b32 s27, s26, 3
	s_mov_b32 s28, 0
	v_add_nc_u32_e32 v30, s27, v89
	v_add_nc_u32_e32 v66, s27, v90
	s_mov_b32 s27, -1
	ds_read2_b64 v[2:5], v30 offset1:16
	ds_read2_b64 v[6:9], v30 offset0:32 offset1:48
	ds_read2_b64 v[10:13], v30 offset0:64 offset1:80
	;; [unrolled: 1-line block ×3, first 2 shown]
	v_add_nc_u32_e32 v62, 0x800, v30
	ds_read2_b64 v[18:21], v30 offset0:128 offset1:144
	ds_read2_b64 v[22:25], v30 offset0:160 offset1:176
	;; [unrolled: 1-line block ×4, first 2 shown]
	ds_read2_b64 v[34:37], v62 offset1:16
	ds_read2_b64 v[38:41], v62 offset0:32 offset1:48
	ds_read2_b64 v[42:45], v62 offset0:64 offset1:80
	;; [unrolled: 1-line block ×7, first 2 shown]
	ds_read2st64_b64 v[66:69], v66 offset1:4
.LBB149_36:                             ;   Parent Loop BB149_22 Depth=1
                                        ;     Parent Loop BB149_35 Depth=2
                                        ; =>    This Inner Loop Header: Depth=3
	v_mov_b32_e32 v74, s28
	s_waitcnt lgkmcnt(16)
	v_max_f64 v[161:162], v[2:3], v[2:3]
	s_waitcnt lgkmcnt(0)
	v_max_f64 v[163:164], v[66:67], v[66:67]
	v_max_f64 v[165:166], v[4:5], v[4:5]
	;; [unrolled: 1-line block ×3, first 2 shown]
	s_clause 0x3e
	buffer_load_dword v97, v74, s[0:3], 0 offen
	buffer_load_dword v98, v74, s[0:3], 0 offen offset:4
	buffer_load_dword v99, v74, s[0:3], 0 offen offset:8
	;; [unrolled: 1-line block ×63, first 2 shown]
	v_max_f64 v[169:170], v[8:9], v[8:9]
	v_max_f64 v[171:172], v[10:11], v[10:11]
	;; [unrolled: 1-line block ×29, first 2 shown]
	v_min_f64 v[161:162], v[161:162], v[163:164]
	v_min_f64 v[165:166], v[165:166], v[163:164]
	;; [unrolled: 1-line block ×32, first 2 shown]
	v_mov_b32_e32 v66, v68
	v_mov_b32_e32 v67, v69
	s_and_b32 vcc_lo, exec_lo, s27
	s_mov_b32 s27, 0
	s_mov_b32 s28, s18
	s_waitcnt vmcnt(62)
	v_add_f64 v[97:98], v[161:162], v[97:98]
	s_waitcnt vmcnt(60)
	v_add_f64 v[99:100], v[165:166], v[99:100]
	;; [unrolled: 2-line block ×32, first 2 shown]
	buffer_store_dword v97, v74, s[0:3], 0 offen
	buffer_store_dword v98, v74, s[0:3], 0 offen offset:4
	buffer_store_dword v99, v74, s[0:3], 0 offen offset:8
	;; [unrolled: 1-line block ×63, first 2 shown]
	s_cbranch_vccnz .LBB149_36
; %bb.37:                               ;   in Loop: Header=BB149_35 Depth=2
	s_add_i32 s26, s26, 1
	s_cmp_eq_u32 s26, 4
	s_cbranch_scc0 .LBB149_35
; %bb.38:                               ;   in Loop: Header=BB149_22 Depth=1
	s_add_i32 s25, s25, 8
	s_add_i32 s23, s23, 8
	s_cmp_ge_i32 s25, s22
	ds_write2st64_b64 v93, v[76:77], v[78:79] offset1:4
	ds_write2st64_b64 v94, v[80:81], v[82:83] offset1:4
	s_waitcnt lgkmcnt(0)
	s_waitcnt_vscnt null, 0x0
	s_barrier
	buffer_gl0_inv
	s_cbranch_scc0 .LBB149_22
.LBB149_39:
	s_mov_b32 s6, 0
.LBB149_40:                             ; =>This Loop Header: Depth=1
                                        ;     Child Loop BB149_41 Depth 2
	s_lshl_b32 s12, s6, 3
	s_mov_b32 s13, 0
	v_add_nc_u32_e32 v6, s12, v91
	v_add_nc_u32_e32 v70, s12, v92
	s_mov_b32 s12, -1
	ds_read2_b64 v[2:5], v6 offset1:16
	ds_read2_b64 v[10:13], v6 offset0:32 offset1:48
	ds_read2_b64 v[14:17], v6 offset0:64 offset1:80
	v_add_nc_u32_e32 v7, 0x800, v6
	ds_read2_b64 v[18:21], v6 offset0:96 offset1:112
	ds_read2_b64 v[22:25], v6 offset0:128 offset1:144
	;; [unrolled: 1-line block ×5, first 2 shown]
	ds_read2_b64 v[38:41], v7 offset1:16
	ds_read2_b64 v[42:45], v7 offset0:32 offset1:48
	ds_read2_b64 v[46:49], v7 offset0:64 offset1:80
	;; [unrolled: 1-line block ×7, first 2 shown]
	s_waitcnt lgkmcnt(11)
	v_max_f64 v[22:23], v[22:23], v[22:23]
	v_max_f64 v[24:25], v[24:25], v[24:25]
	s_waitcnt lgkmcnt(10)
	v_max_f64 v[26:27], v[26:27], v[26:27]
	v_max_f64 v[28:29], v[28:29], v[28:29]
	;; [unrolled: 3-line block ×3, first 2 shown]
	v_max_f64 v[6:7], v[2:3], v[2:3]
	v_max_f64 v[8:9], v[4:5], v[4:5]
	v_max_f64 v[10:11], v[10:11], v[10:11]
	v_max_f64 v[12:13], v[12:13], v[12:13]
	v_max_f64 v[14:15], v[14:15], v[14:15]
	v_max_f64 v[16:17], v[16:17], v[16:17]
	v_max_f64 v[18:19], v[18:19], v[18:19]
	v_max_f64 v[20:21], v[20:21], v[20:21]
	s_waitcnt lgkmcnt(8)
	v_max_f64 v[34:35], v[34:35], v[34:35]
	v_max_f64 v[36:37], v[36:37], v[36:37]
	s_waitcnt lgkmcnt(7)
	v_max_f64 v[38:39], v[38:39], v[38:39]
	v_max_f64 v[40:41], v[40:41], v[40:41]
	;; [unrolled: 3-line block ×9, first 2 shown]
	ds_read2st64_b64 v[2:5], v70 offset1:4
.LBB149_41:                             ;   Parent Loop BB149_40 Depth=1
                                        ; =>  This Inner Loop Header: Depth=2
	v_mov_b32_e32 v90, s13
	s_waitcnt lgkmcnt(0)
	v_max_f64 v[137:138], v[2:3], v[2:3]
	v_mov_b32_e32 v2, v4
	v_mov_b32_e32 v3, v5
	s_and_b32 vcc_lo, exec_lo, s12
	s_clause 0x3e
	buffer_load_dword v70, v90, s[0:3], 0 offen
	buffer_load_dword v71, v90, s[0:3], 0 offen offset:4
	buffer_load_dword v72, v90, s[0:3], 0 offen offset:8
	;; [unrolled: 1-line block ×63, first 2 shown]
	s_mov_b32 s12, 0
	s_mov_b32 s13, s18
	v_min_f64 v[139:140], v[6:7], v[137:138]
	v_min_f64 v[141:142], v[8:9], v[137:138]
	;; [unrolled: 1-line block ×32, first 2 shown]
	s_waitcnt vmcnt(62)
	v_add_f64 v[70:71], v[139:140], v[70:71]
	s_waitcnt vmcnt(60)
	v_add_f64 v[72:73], v[141:142], v[72:73]
	;; [unrolled: 2-line block ×32, first 2 shown]
	buffer_store_dword v70, v90, s[0:3], 0 offen
	buffer_store_dword v71, v90, s[0:3], 0 offen offset:4
	buffer_store_dword v72, v90, s[0:3], 0 offen offset:8
	buffer_store_dword v73, v90, s[0:3], 0 offen offset:12
	buffer_store_dword v74, v90, s[0:3], 0 offen offset:16
	buffer_store_dword v75, v90, s[0:3], 0 offen offset:20
	buffer_store_dword v76, v90, s[0:3], 0 offen offset:24
	buffer_store_dword v77, v90, s[0:3], 0 offen offset:28
	buffer_store_dword v78, v90, s[0:3], 0 offen offset:32
	buffer_store_dword v79, v90, s[0:3], 0 offen offset:36
	buffer_store_dword v80, v90, s[0:3], 0 offen offset:40
	buffer_store_dword v81, v90, s[0:3], 0 offen offset:44
	buffer_store_dword v82, v90, s[0:3], 0 offen offset:48
	buffer_store_dword v83, v90, s[0:3], 0 offen offset:52
	buffer_store_dword v84, v90, s[0:3], 0 offen offset:56
	buffer_store_dword v85, v90, s[0:3], 0 offen offset:60
	buffer_store_dword v87, v90, s[0:3], 0 offen offset:68
	buffer_store_dword v86, v90, s[0:3], 0 offen offset:64
	buffer_store_dword v89, v90, s[0:3], 0 offen offset:76
	buffer_store_dword v88, v90, s[0:3], 0 offen offset:72
	buffer_store_dword v94, v90, s[0:3], 0 offen offset:84
	buffer_store_dword v93, v90, s[0:3], 0 offen offset:80
	buffer_store_dword v96, v90, s[0:3], 0 offen offset:92
	buffer_store_dword v95, v90, s[0:3], 0 offen offset:88
	buffer_store_dword v98, v90, s[0:3], 0 offen offset:100
	buffer_store_dword v97, v90, s[0:3], 0 offen offset:96
	buffer_store_dword v100, v90, s[0:3], 0 offen offset:108
	buffer_store_dword v99, v90, s[0:3], 0 offen offset:104
	buffer_store_dword v102, v90, s[0:3], 0 offen offset:116
	buffer_store_dword v101, v90, s[0:3], 0 offen offset:112
	buffer_store_dword v104, v90, s[0:3], 0 offen offset:124
	buffer_store_dword v103, v90, s[0:3], 0 offen offset:120
	buffer_store_dword v106, v90, s[0:3], 0 offen offset:132
	buffer_store_dword v105, v90, s[0:3], 0 offen offset:128
	buffer_store_dword v108, v90, s[0:3], 0 offen offset:140
	buffer_store_dword v107, v90, s[0:3], 0 offen offset:136
	buffer_store_dword v110, v90, s[0:3], 0 offen offset:148
	buffer_store_dword v109, v90, s[0:3], 0 offen offset:144
	buffer_store_dword v112, v90, s[0:3], 0 offen offset:156
	buffer_store_dword v111, v90, s[0:3], 0 offen offset:152
	buffer_store_dword v114, v90, s[0:3], 0 offen offset:164
	buffer_store_dword v113, v90, s[0:3], 0 offen offset:160
	buffer_store_dword v116, v90, s[0:3], 0 offen offset:172
	buffer_store_dword v115, v90, s[0:3], 0 offen offset:168
	buffer_store_dword v118, v90, s[0:3], 0 offen offset:180
	buffer_store_dword v117, v90, s[0:3], 0 offen offset:176
	buffer_store_dword v120, v90, s[0:3], 0 offen offset:188
	buffer_store_dword v119, v90, s[0:3], 0 offen offset:184
	buffer_store_dword v122, v90, s[0:3], 0 offen offset:196
	buffer_store_dword v121, v90, s[0:3], 0 offen offset:192
	buffer_store_dword v124, v90, s[0:3], 0 offen offset:204
	buffer_store_dword v123, v90, s[0:3], 0 offen offset:200
	buffer_store_dword v126, v90, s[0:3], 0 offen offset:212
	buffer_store_dword v125, v90, s[0:3], 0 offen offset:208
	buffer_store_dword v128, v90, s[0:3], 0 offen offset:220
	buffer_store_dword v127, v90, s[0:3], 0 offen offset:216
	buffer_store_dword v130, v90, s[0:3], 0 offen offset:228
	buffer_store_dword v129, v90, s[0:3], 0 offen offset:224
	buffer_store_dword v132, v90, s[0:3], 0 offen offset:236
	buffer_store_dword v131, v90, s[0:3], 0 offen offset:232
	buffer_store_dword v134, v90, s[0:3], 0 offen offset:244
	buffer_store_dword v133, v90, s[0:3], 0 offen offset:240
	buffer_store_dword v136, v90, s[0:3], 0 offen offset:252
	buffer_store_dword v135, v90, s[0:3], 0 offen offset:248
	s_cbranch_vccnz .LBB149_41
; %bb.42:                               ;   in Loop: Header=BB149_40 Depth=1
	s_add_i32 s6, s6, 1
	s_cmp_eq_u32 s6, 4
	s_cbranch_scc0 .LBB149_40
; %bb.43:
	s_clause 0x1
	buffer_load_dword v2, off, s[0:3], 0
	buffer_load_dword v3, off, s[0:3], 0 offset:4
	s_load_dword s12, s[4:5], 0x58
	v_add_nc_u32_e32 v69, s16, v1
	v_add_nc_u32_e32 v12, s7, v0
	v_cndmask_b32_e64 v0, 0, 1, s17
	v_mov_b32_e32 v6, 0
	v_mov_b32_e32 v7, 0
	v_ashrrev_i32_e32 v13, 31, v12
	v_cmp_ne_u32_e64 s6, 1, v0
	v_lshlrev_b64 v[0:1], 3, v[12:13]
	s_waitcnt lgkmcnt(0)
	v_mad_i64_i32 v[4:5], null, v69, s12, 0
	v_lshlrev_b64 v[8:9], 3, v[4:5]
	v_mov_b32_e32 v4, 0
	v_mov_b32_e32 v5, 0
	v_add_co_u32 v70, vcc_lo, s14, v8
	v_add_co_ci_u32_e64 v71, null, s15, v9, vcc_lo
	s_andn2_b32 vcc_lo, exec_lo, s17
	s_cbranch_vccnz .LBB149_45
; %bb.44:
	v_add_co_u32 v6, vcc_lo, v70, v0
	v_add_co_ci_u32_e64 v7, null, v71, v1, vcc_lo
	flat_load_dwordx2 v[6:7], v[6:7]
	s_waitcnt vmcnt(0) lgkmcnt(0)
	v_mul_f64 v[6:7], s[10:11], v[6:7]
.LBB149_45:
	s_clause 0x1
	s_load_dword s7, s[4:5], 0x70
	s_load_dwordx2 s[4:5], s[4:5], 0x78
	s_waitcnt vmcnt(0)
	v_add_f64 v[2:3], v[2:3], v[6:7]
	s_waitcnt lgkmcnt(0)
	v_mad_i64_i32 v[8:9], null, v69, s7, 0
	s_lshl_b64 s[4:5], s[4:5], 3
	s_add_u32 s4, s8, s4
	s_addc_u32 s5, s9, s5
	v_lshlrev_b64 v[6:7], 3, v[8:9]
	v_add_co_u32 v72, vcc_lo, s4, v6
	v_add_co_ci_u32_e64 v73, null, s5, v7, vcc_lo
	v_add_co_u32 v6, vcc_lo, v72, v0
	v_add_co_ci_u32_e64 v7, null, v73, v1, vcc_lo
	s_and_b32 vcc_lo, exec_lo, s6
	flat_store_dwordx2 v[6:7], v[2:3]
	s_clause 0x1
	buffer_load_dword v6, off, s[0:3], 0 offset:8
	buffer_load_dword v7, off, s[0:3], 0 offset:12
	v_add_nc_u32_e32 v2, 4, v12
	v_ashrrev_i32_e32 v3, 31, v2
	v_lshlrev_b64 v[2:3], 3, v[2:3]
	s_cbranch_vccnz .LBB149_47
; %bb.46:
	v_add_co_u32 v4, vcc_lo, v70, v2
	v_add_co_ci_u32_e64 v5, null, v71, v3, vcc_lo
	flat_load_dwordx2 v[4:5], v[4:5]
	s_waitcnt vmcnt(0) lgkmcnt(0)
	v_mul_f64 v[4:5], s[10:11], v[4:5]
.LBB149_47:
	s_waitcnt vmcnt(0)
	v_add_f64 v[4:5], v[6:7], v[4:5]
	v_add_co_u32 v6, vcc_lo, v72, v2
	v_add_co_ci_u32_e64 v7, null, v73, v3, vcc_lo
	v_mov_b32_e32 v8, 0
	v_mov_b32_e32 v10, 0
	v_mov_b32_e32 v9, 0
	v_mov_b32_e32 v11, 0
	s_and_b32 vcc_lo, exec_lo, s6
	flat_store_dwordx2 v[6:7], v[4:5]
	s_clause 0x1
	buffer_load_dword v6, off, s[0:3], 0 offset:16
	buffer_load_dword v7, off, s[0:3], 0 offset:20
	v_add_nc_u32_e32 v4, 8, v12
	v_ashrrev_i32_e32 v5, 31, v4
	v_lshlrev_b64 v[4:5], 3, v[4:5]
	s_cbranch_vccnz .LBB149_49
; %bb.48:
	v_add_co_u32 v10, vcc_lo, v70, v4
	v_add_co_ci_u32_e64 v11, null, v71, v5, vcc_lo
	flat_load_dwordx2 v[10:11], v[10:11]
	s_waitcnt vmcnt(0) lgkmcnt(0)
	v_mul_f64 v[10:11], s[10:11], v[10:11]
.LBB149_49:
	s_waitcnt vmcnt(0)
	v_add_f64 v[6:7], v[6:7], v[10:11]
	v_add_co_u32 v10, vcc_lo, v72, v4
	v_add_co_ci_u32_e64 v11, null, v73, v5, vcc_lo
	s_and_b32 vcc_lo, exec_lo, s6
	flat_store_dwordx2 v[10:11], v[6:7]
	s_clause 0x1
	buffer_load_dword v10, off, s[0:3], 0 offset:24
	buffer_load_dword v11, off, s[0:3], 0 offset:28
	v_add_nc_u32_e32 v6, 12, v12
	v_ashrrev_i32_e32 v7, 31, v6
	v_lshlrev_b64 v[6:7], 3, v[6:7]
	s_cbranch_vccnz .LBB149_51
; %bb.50:
	v_add_co_u32 v8, vcc_lo, v70, v6
	v_add_co_ci_u32_e64 v9, null, v71, v7, vcc_lo
	flat_load_dwordx2 v[8:9], v[8:9]
	s_waitcnt vmcnt(0) lgkmcnt(0)
	v_mul_f64 v[8:9], s[10:11], v[8:9]
.LBB149_51:
	s_waitcnt vmcnt(0)
	v_add_f64 v[8:9], v[10:11], v[8:9]
	v_add_co_u32 v10, vcc_lo, v72, v6
	v_add_co_ci_u32_e64 v11, null, v73, v7, vcc_lo
	v_mov_b32_e32 v13, 0
	v_mov_b32_e32 v15, 0
	v_mov_b32_e32 v14, 0
	v_mov_b32_e32 v16, 0
	s_and_b32 vcc_lo, exec_lo, s6
	flat_store_dwordx2 v[10:11], v[8:9]
	s_clause 0x1
	buffer_load_dword v10, off, s[0:3], 0 offset:32
	buffer_load_dword v11, off, s[0:3], 0 offset:36
	v_add_nc_u32_e32 v8, 16, v12
	v_ashrrev_i32_e32 v9, 31, v8
	v_lshlrev_b64 v[8:9], 3, v[8:9]
	s_cbranch_vccnz .LBB149_53
; %bb.52:
	v_add_co_u32 v15, vcc_lo, v70, v8
	v_add_co_ci_u32_e64 v16, null, v71, v9, vcc_lo
	flat_load_dwordx2 v[15:16], v[15:16]
	s_waitcnt vmcnt(0) lgkmcnt(0)
	v_mul_f64 v[15:16], s[10:11], v[15:16]
.LBB149_53:
	s_waitcnt vmcnt(0)
	v_add_f64 v[10:11], v[10:11], v[15:16]
	;; [unrolled: 44-line block ×15, first 2 shown]
	v_add_co_u32 v67, vcc_lo, v72, v61
	v_add_co_ci_u32_e64 v68, null, v73, v62, vcc_lo
	s_and_b32 vcc_lo, exec_lo, s6
	flat_store_dwordx2 v[67:68], v[63:64]
	s_clause 0x1
	buffer_load_dword v67, off, s[0:3], 0 offset:248
	buffer_load_dword v68, off, s[0:3], 0 offset:252
	v_add_nc_u32_e32 v63, 0x7c, v12
	v_ashrrev_i32_e32 v64, 31, v63
	v_lshlrev_b64 v[63:64], 3, v[63:64]
	s_cbranch_vccnz .LBB149_107
; %bb.106:
	v_add_co_u32 v65, vcc_lo, v70, v63
	v_add_co_ci_u32_e64 v66, null, v71, v64, vcc_lo
	flat_load_dwordx2 v[65:66], v[65:66]
	s_waitcnt vmcnt(0) lgkmcnt(0)
	v_mul_f64 v[65:66], s[10:11], v[65:66]
.LBB149_107:
	s_waitcnt vmcnt(0)
	v_add_f64 v[65:66], v[67:68], v[65:66]
	v_add_co_u32 v67, vcc_lo, v72, v63
	v_add_co_ci_u32_e64 v68, null, v73, v64, vcc_lo
	v_add_nc_u32_e32 v72, 64, v69
	v_mov_b32_e32 v69, 0
	v_mov_b32_e32 v70, 0
	flat_store_dwordx2 v[67:68], v[65:66]
	s_clause 0x1
	buffer_load_dword v67, off, s[0:3], 0 offset:256
	buffer_load_dword v68, off, s[0:3], 0 offset:260
	v_mad_i64_i32 v[65:66], null, v72, s12, 0
	v_lshlrev_b64 v[73:74], 3, v[65:66]
	v_mov_b32_e32 v65, 0
	v_mov_b32_e32 v66, 0
	v_add_co_u32 v12, vcc_lo, s14, v73
	v_add_co_ci_u32_e64 v71, null, s15, v74, vcc_lo
	s_and_b32 vcc_lo, exec_lo, s6
	s_cbranch_vccnz .LBB149_109
; %bb.108:
	v_add_co_u32 v69, vcc_lo, v12, v0
	v_add_co_ci_u32_e64 v70, null, v71, v1, vcc_lo
	flat_load_dwordx2 v[69:70], v[69:70]
	s_waitcnt vmcnt(0) lgkmcnt(0)
	v_mul_f64 v[69:70], s[10:11], v[69:70]
.LBB149_109:
	v_mad_i64_i32 v[72:73], null, v72, s7, 0
	s_waitcnt vmcnt(0)
	v_add_f64 v[69:70], v[67:68], v[69:70]
	v_lshlrev_b64 v[67:68], 3, v[72:73]
	v_add_co_u32 v67, vcc_lo, s4, v67
	v_add_co_ci_u32_e64 v68, null, s5, v68, vcc_lo
	v_add_co_u32 v0, vcc_lo, v67, v0
	v_add_co_ci_u32_e64 v1, null, v68, v1, vcc_lo
	s_and_b32 vcc_lo, exec_lo, s6
	flat_store_dwordx2 v[0:1], v[69:70]
	s_clause 0x1
	buffer_load_dword v0, off, s[0:3], 0 offset:264
	buffer_load_dword v1, off, s[0:3], 0 offset:268
	s_cbranch_vccnz .LBB149_111
; %bb.110:
	v_add_co_u32 v65, vcc_lo, v12, v2
	v_add_co_ci_u32_e64 v66, null, v71, v3, vcc_lo
	flat_load_dwordx2 v[65:66], v[65:66]
	s_waitcnt vmcnt(0) lgkmcnt(0)
	v_mul_f64 v[65:66], s[10:11], v[65:66]
.LBB149_111:
	s_waitcnt vmcnt(0)
	v_add_f64 v[0:1], v[0:1], v[65:66]
	v_add_co_u32 v2, vcc_lo, v67, v2
	v_add_co_ci_u32_e64 v3, null, v68, v3, vcc_lo
	v_mov_b32_e32 v65, 0
	v_mov_b32_e32 v66, 0
	s_and_b32 vcc_lo, exec_lo, s6
	flat_store_dwordx2 v[2:3], v[0:1]
	s_clause 0x1
	buffer_load_dword v2, off, s[0:3], 0 offset:272
	buffer_load_dword v3, off, s[0:3], 0 offset:276
	v_mov_b32_e32 v0, 0
	v_mov_b32_e32 v1, 0
	s_cbranch_vccnz .LBB149_113
; %bb.112:
	v_add_co_u32 v65, vcc_lo, v12, v4
	v_add_co_ci_u32_e64 v66, null, v71, v5, vcc_lo
	flat_load_dwordx2 v[65:66], v[65:66]
	s_waitcnt vmcnt(0) lgkmcnt(0)
	v_mul_f64 v[65:66], s[10:11], v[65:66]
.LBB149_113:
	s_waitcnt vmcnt(0)
	v_add_f64 v[2:3], v[2:3], v[65:66]
	v_add_co_u32 v4, vcc_lo, v67, v4
	v_add_co_ci_u32_e64 v5, null, v68, v5, vcc_lo
	s_and_b32 vcc_lo, exec_lo, s6
	flat_store_dwordx2 v[4:5], v[2:3]
	s_clause 0x1
	buffer_load_dword v2, off, s[0:3], 0 offset:280
	buffer_load_dword v3, off, s[0:3], 0 offset:284
	s_cbranch_vccnz .LBB149_115
; %bb.114:
	v_add_co_u32 v0, vcc_lo, v12, v6
	v_add_co_ci_u32_e64 v1, null, v71, v7, vcc_lo
	flat_load_dwordx2 v[0:1], v[0:1]
	s_waitcnt vmcnt(0) lgkmcnt(0)
	v_mul_f64 v[0:1], s[10:11], v[0:1]
.LBB149_115:
	s_waitcnt vmcnt(0)
	v_add_f64 v[0:1], v[2:3], v[0:1]
	v_add_co_u32 v2, vcc_lo, v67, v6
	v_add_co_ci_u32_e64 v3, null, v68, v7, vcc_lo
	v_mov_b32_e32 v4, 0
	v_mov_b32_e32 v5, 0
	s_and_b32 vcc_lo, exec_lo, s6
	flat_store_dwordx2 v[2:3], v[0:1]
	s_clause 0x1
	buffer_load_dword v2, off, s[0:3], 0 offset:288
	buffer_load_dword v3, off, s[0:3], 0 offset:292
	v_mov_b32_e32 v0, 0
	v_mov_b32_e32 v1, 0
	s_cbranch_vccnz .LBB149_117
; %bb.116:
	v_add_co_u32 v4, vcc_lo, v12, v8
	v_add_co_ci_u32_e64 v5, null, v71, v9, vcc_lo
	flat_load_dwordx2 v[4:5], v[4:5]
	s_waitcnt vmcnt(0) lgkmcnt(0)
	v_mul_f64 v[4:5], s[10:11], v[4:5]
.LBB149_117:
	s_waitcnt vmcnt(0)
	v_add_f64 v[2:3], v[2:3], v[4:5]
	;; [unrolled: 38-line block ×15, first 2 shown]
	v_add_co_u32 v4, vcc_lo, v67, v61
	v_add_co_ci_u32_e64 v5, null, v68, v62, vcc_lo
	s_and_b32 vcc_lo, exec_lo, s6
	flat_store_dwordx2 v[4:5], v[2:3]
	s_clause 0x1
	buffer_load_dword v2, off, s[0:3], 0 offset:504
	buffer_load_dword v3, off, s[0:3], 0 offset:508
	s_cbranch_vccnz .LBB149_171
; %bb.170:
	v_add_co_u32 v0, vcc_lo, v12, v63
	v_add_co_ci_u32_e64 v1, null, v71, v64, vcc_lo
	flat_load_dwordx2 v[0:1], v[0:1]
	s_waitcnt vmcnt(0) lgkmcnt(0)
	v_mul_f64 v[0:1], s[10:11], v[0:1]
.LBB149_171:
	s_waitcnt vmcnt(0)
	v_add_f64 v[0:1], v[2:3], v[0:1]
	v_add_co_u32 v2, vcc_lo, v67, v63
	v_add_co_ci_u32_e64 v3, null, v68, v64, vcc_lo
	flat_store_dwordx2 v[2:3], v[0:1]
	s_endpgm
	.section	.rodata,"a",@progbits
	.p2align	6, 0x0
	.amdhsa_kernel _ZN12_GLOBAL__N_120geam_min_plus_kernelIdddLi4ELi64ELi128ELi128ELi4ELi4ELi64ELi64ELi4ELc84ELc84ELb0ELb0ELb0EdKPKdKPdEEviiiT16_PT17_ilS8_ilS6_S8_ilPT18_ili26rocblas_geam_ex_operation_
		.amdhsa_group_segment_fixed_size 16384
		.amdhsa_private_segment_fixed_size 528
		.amdhsa_kernarg_size 136
		.amdhsa_user_sgpr_count 6
		.amdhsa_user_sgpr_private_segment_buffer 1
		.amdhsa_user_sgpr_dispatch_ptr 0
		.amdhsa_user_sgpr_queue_ptr 0
		.amdhsa_user_sgpr_kernarg_segment_ptr 1
		.amdhsa_user_sgpr_dispatch_id 0
		.amdhsa_user_sgpr_flat_scratch_init 0
		.amdhsa_user_sgpr_private_segment_size 0
		.amdhsa_wavefront_size32 1
		.amdhsa_uses_dynamic_stack 0
		.amdhsa_system_sgpr_private_segment_wavefront_offset 1
		.amdhsa_system_sgpr_workgroup_id_x 1
		.amdhsa_system_sgpr_workgroup_id_y 0
		.amdhsa_system_sgpr_workgroup_id_z 1
		.amdhsa_system_sgpr_workgroup_info 0
		.amdhsa_system_vgpr_workitem_id 1
		.amdhsa_next_free_vgpr 227
		.amdhsa_next_free_sgpr 29
		.amdhsa_reserve_vcc 1
		.amdhsa_reserve_flat_scratch 1
		.amdhsa_float_round_mode_32 0
		.amdhsa_float_round_mode_16_64 0
		.amdhsa_float_denorm_mode_32 3
		.amdhsa_float_denorm_mode_16_64 3
		.amdhsa_dx10_clamp 1
		.amdhsa_ieee_mode 1
		.amdhsa_fp16_overflow 0
		.amdhsa_workgroup_processor_mode 1
		.amdhsa_memory_ordered 1
		.amdhsa_forward_progress 1
		.amdhsa_shared_vgpr_count 0
		.amdhsa_exception_fp_ieee_invalid_op 0
		.amdhsa_exception_fp_denorm_src 0
		.amdhsa_exception_fp_ieee_div_zero 0
		.amdhsa_exception_fp_ieee_overflow 0
		.amdhsa_exception_fp_ieee_underflow 0
		.amdhsa_exception_fp_ieee_inexact 0
		.amdhsa_exception_int_div_zero 0
	.end_amdhsa_kernel
	.section	.text._ZN12_GLOBAL__N_120geam_min_plus_kernelIdddLi4ELi64ELi128ELi128ELi4ELi4ELi64ELi64ELi4ELc84ELc84ELb0ELb0ELb0EdKPKdKPdEEviiiT16_PT17_ilS8_ilS6_S8_ilPT18_ili26rocblas_geam_ex_operation_,"axG",@progbits,_ZN12_GLOBAL__N_120geam_min_plus_kernelIdddLi4ELi64ELi128ELi128ELi4ELi4ELi64ELi64ELi4ELc84ELc84ELb0ELb0ELb0EdKPKdKPdEEviiiT16_PT17_ilS8_ilS6_S8_ilPT18_ili26rocblas_geam_ex_operation_,comdat
.Lfunc_end149:
	.size	_ZN12_GLOBAL__N_120geam_min_plus_kernelIdddLi4ELi64ELi128ELi128ELi4ELi4ELi64ELi64ELi4ELc84ELc84ELb0ELb0ELb0EdKPKdKPdEEviiiT16_PT17_ilS8_ilS6_S8_ilPT18_ili26rocblas_geam_ex_operation_, .Lfunc_end149-_ZN12_GLOBAL__N_120geam_min_plus_kernelIdddLi4ELi64ELi128ELi128ELi4ELi4ELi64ELi64ELi4ELc84ELc84ELb0ELb0ELb0EdKPKdKPdEEviiiT16_PT17_ilS8_ilS6_S8_ilPT18_ili26rocblas_geam_ex_operation_
                                        ; -- End function
	.set _ZN12_GLOBAL__N_120geam_min_plus_kernelIdddLi4ELi64ELi128ELi128ELi4ELi4ELi64ELi64ELi4ELc84ELc84ELb0ELb0ELb0EdKPKdKPdEEviiiT16_PT17_ilS8_ilS6_S8_ilPT18_ili26rocblas_geam_ex_operation_.num_vgpr, 227
	.set _ZN12_GLOBAL__N_120geam_min_plus_kernelIdddLi4ELi64ELi128ELi128ELi4ELi4ELi64ELi64ELi4ELc84ELc84ELb0ELb0ELb0EdKPKdKPdEEviiiT16_PT17_ilS8_ilS6_S8_ilPT18_ili26rocblas_geam_ex_operation_.num_agpr, 0
	.set _ZN12_GLOBAL__N_120geam_min_plus_kernelIdddLi4ELi64ELi128ELi128ELi4ELi4ELi64ELi64ELi4ELc84ELc84ELb0ELb0ELb0EdKPKdKPdEEviiiT16_PT17_ilS8_ilS6_S8_ilPT18_ili26rocblas_geam_ex_operation_.numbered_sgpr, 29
	.set _ZN12_GLOBAL__N_120geam_min_plus_kernelIdddLi4ELi64ELi128ELi128ELi4ELi4ELi64ELi64ELi4ELc84ELc84ELb0ELb0ELb0EdKPKdKPdEEviiiT16_PT17_ilS8_ilS6_S8_ilPT18_ili26rocblas_geam_ex_operation_.num_named_barrier, 0
	.set _ZN12_GLOBAL__N_120geam_min_plus_kernelIdddLi4ELi64ELi128ELi128ELi4ELi4ELi64ELi64ELi4ELc84ELc84ELb0ELb0ELb0EdKPKdKPdEEviiiT16_PT17_ilS8_ilS6_S8_ilPT18_ili26rocblas_geam_ex_operation_.private_seg_size, 528
	.set _ZN12_GLOBAL__N_120geam_min_plus_kernelIdddLi4ELi64ELi128ELi128ELi4ELi4ELi64ELi64ELi4ELc84ELc84ELb0ELb0ELb0EdKPKdKPdEEviiiT16_PT17_ilS8_ilS6_S8_ilPT18_ili26rocblas_geam_ex_operation_.uses_vcc, 1
	.set _ZN12_GLOBAL__N_120geam_min_plus_kernelIdddLi4ELi64ELi128ELi128ELi4ELi4ELi64ELi64ELi4ELc84ELc84ELb0ELb0ELb0EdKPKdKPdEEviiiT16_PT17_ilS8_ilS6_S8_ilPT18_ili26rocblas_geam_ex_operation_.uses_flat_scratch, 1
	.set _ZN12_GLOBAL__N_120geam_min_plus_kernelIdddLi4ELi64ELi128ELi128ELi4ELi4ELi64ELi64ELi4ELc84ELc84ELb0ELb0ELb0EdKPKdKPdEEviiiT16_PT17_ilS8_ilS6_S8_ilPT18_ili26rocblas_geam_ex_operation_.has_dyn_sized_stack, 0
	.set _ZN12_GLOBAL__N_120geam_min_plus_kernelIdddLi4ELi64ELi128ELi128ELi4ELi4ELi64ELi64ELi4ELc84ELc84ELb0ELb0ELb0EdKPKdKPdEEviiiT16_PT17_ilS8_ilS6_S8_ilPT18_ili26rocblas_geam_ex_operation_.has_recursion, 0
	.set _ZN12_GLOBAL__N_120geam_min_plus_kernelIdddLi4ELi64ELi128ELi128ELi4ELi4ELi64ELi64ELi4ELc84ELc84ELb0ELb0ELb0EdKPKdKPdEEviiiT16_PT17_ilS8_ilS6_S8_ilPT18_ili26rocblas_geam_ex_operation_.has_indirect_call, 0
	.section	.AMDGPU.csdata,"",@progbits
; Kernel info:
; codeLenInByte = 19280
; TotalNumSgprs: 31
; NumVgprs: 227
; ScratchSize: 528
; MemoryBound: 1
; FloatMode: 240
; IeeeMode: 1
; LDSByteSize: 16384 bytes/workgroup (compile time only)
; SGPRBlocks: 0
; VGPRBlocks: 28
; NumSGPRsForWavesPerEU: 31
; NumVGPRsForWavesPerEU: 227
; Occupancy: 4
; WaveLimiterHint : 1
; COMPUTE_PGM_RSRC2:SCRATCH_EN: 1
; COMPUTE_PGM_RSRC2:USER_SGPR: 6
; COMPUTE_PGM_RSRC2:TRAP_HANDLER: 0
; COMPUTE_PGM_RSRC2:TGID_X_EN: 1
; COMPUTE_PGM_RSRC2:TGID_Y_EN: 0
; COMPUTE_PGM_RSRC2:TGID_Z_EN: 1
; COMPUTE_PGM_RSRC2:TIDIG_COMP_CNT: 1
	.section	.text._ZN12_GLOBAL__N_120geam_min_plus_kernelIdddLi4ELi64ELi128ELi128ELi4ELi4ELi64ELi64ELi4ELc84ELc84ELb0ELb1ELb0EPKdKS2_KPdEEviiiT16_PT17_ilS8_ilS6_S8_ilPT18_ili26rocblas_geam_ex_operation_,"axG",@progbits,_ZN12_GLOBAL__N_120geam_min_plus_kernelIdddLi4ELi64ELi128ELi128ELi4ELi4ELi64ELi64ELi4ELc84ELc84ELb0ELb1ELb0EPKdKS2_KPdEEviiiT16_PT17_ilS8_ilS6_S8_ilPT18_ili26rocblas_geam_ex_operation_,comdat
	.globl	_ZN12_GLOBAL__N_120geam_min_plus_kernelIdddLi4ELi64ELi128ELi128ELi4ELi4ELi64ELi64ELi4ELc84ELc84ELb0ELb1ELb0EPKdKS2_KPdEEviiiT16_PT17_ilS8_ilS6_S8_ilPT18_ili26rocblas_geam_ex_operation_ ; -- Begin function _ZN12_GLOBAL__N_120geam_min_plus_kernelIdddLi4ELi64ELi128ELi128ELi4ELi4ELi64ELi64ELi4ELc84ELc84ELb0ELb1ELb0EPKdKS2_KPdEEviiiT16_PT17_ilS8_ilS6_S8_ilPT18_ili26rocblas_geam_ex_operation_
	.p2align	8
	.type	_ZN12_GLOBAL__N_120geam_min_plus_kernelIdddLi4ELi64ELi128ELi128ELi4ELi4ELi64ELi64ELi4ELc84ELc84ELb0ELb1ELb0EPKdKS2_KPdEEviiiT16_PT17_ilS8_ilS6_S8_ilPT18_ili26rocblas_geam_ex_operation_,@function
_ZN12_GLOBAL__N_120geam_min_plus_kernelIdddLi4ELi64ELi128ELi128ELi4ELi4ELi64ELi64ELi4ELc84ELc84ELb0ELb1ELb0EPKdKS2_KPdEEviiiT16_PT17_ilS8_ilS6_S8_ilPT18_ili26rocblas_geam_ex_operation_: ; @_ZN12_GLOBAL__N_120geam_min_plus_kernelIdddLi4ELi64ELi128ELi128ELi4ELi4ELi64ELi64ELi4ELc84ELc84ELb0ELb1ELb0EPKdKS2_KPdEEviiiT16_PT17_ilS8_ilS6_S8_ilPT18_ili26rocblas_geam_ex_operation_
; %bb.0:
	s_load_dwordx4 s[16:19], s[4:5], 0x10
	s_add_u32 s0, s0, s8
	s_mov_b32 s8, s7
	s_mov_b32 s9, 0
	s_addc_u32 s1, s1, 0
	s_lshl_b64 s[22:23], s[8:9], 3
	s_clause 0x1
	s_load_dwordx4 s[8:11], s[4:5], 0x28
	s_load_dwordx2 s[24:25], s[4:5], 0x50
	s_waitcnt lgkmcnt(0)
	s_add_u32 s12, s16, s22
	s_addc_u32 s13, s17, s23
	s_load_dwordx2 s[16:17], s[12:13], 0x0
	s_load_dwordx4 s[12:15], s[4:5], 0x40
	s_waitcnt lgkmcnt(0)
	v_cmp_eq_f64_e64 s20, s[16:17], 0
	v_cmp_neq_f64_e64 s7, s[16:17], 0
	s_add_u32 s26, s14, s22
	s_addc_u32 s27, s15, s23
	s_mov_b64 s[14:15], 0
	s_and_b32 vcc_lo, exec_lo, s20
	s_mov_b64 s[20:21], 0
	s_cbranch_vccnz .LBB150_2
; %bb.1:
	s_add_u32 s18, s18, s22
	s_addc_u32 s19, s19, s23
	s_lshl_b64 s[8:9], s[8:9], 3
	s_load_dwordx2 s[18:19], s[18:19], 0x0
	s_waitcnt lgkmcnt(0)
	s_add_u32 s20, s18, s8
	s_addc_u32 s21, s19, s9
.LBB150_2:
	s_load_dwordx2 s[38:39], s[26:27], 0x0
	s_andn2_b32 vcc_lo, exec_lo, s7
	s_cbranch_vccnz .LBB150_4
; %bb.3:
	s_add_u32 s8, s10, s22
	s_addc_u32 s9, s11, s23
	s_lshl_b64 s[10:11], s[12:13], 3
	s_load_dwordx2 s[8:9], s[8:9], 0x0
	s_waitcnt lgkmcnt(0)
	s_add_u32 s14, s8, s10
	s_addc_u32 s15, s9, s11
.LBB150_4:
	s_waitcnt lgkmcnt(0)
	v_cmp_eq_f64_e64 s7, s[38:39], 0
	v_cmp_neq_f64_e64 s46, s[38:39], 0
	s_load_dwordx4 s[8:11], s[4:5], 0x60
	s_mov_b64 s[44:45], 0
	s_and_b32 vcc_lo, exec_lo, s7
	s_cbranch_vccnz .LBB150_6
; %bb.5:
	s_add_u32 s12, s24, s22
	s_addc_u32 s13, s25, s23
	s_waitcnt lgkmcnt(0)
	s_lshl_b64 s[8:9], s[8:9], 3
	s_load_dwordx2 s[12:13], s[12:13], 0x0
	s_waitcnt lgkmcnt(0)
	s_add_u32 s44, s12, s8
	s_addc_u32 s45, s13, s9
.LBB150_6:
	s_clause 0x1
	s_load_dwordx4 s[40:43], s[4:5], 0x0
	s_load_dword s24, s[4:5], 0x20
	s_waitcnt lgkmcnt(0)
	s_add_u32 s8, s10, s22
	s_addc_u32 s9, s11, s23
	v_and_b32_e32 v84, 3, v0
	s_load_dwordx2 s[12:13], s[8:9], 0x0
	v_lshl_add_u32 v6, v1, 2, v0
	v_cmp_eq_f64_e64 s22, s[16:17], 0
	v_mov_b32_e32 v4, 0
	v_mov_b32_e32 v9, 0
	;; [unrolled: 1-line block ×3, first 2 shown]
	v_lshrrev_b32_e32 v80, 2, v6
	buffer_store_dword v9, off, s[0:3], 0 offset:4
	buffer_store_dword v9, off, s[0:3], 0
	buffer_store_dword v9, off, s[0:3], 0 offset:12
	buffer_store_dword v9, off, s[0:3], 0 offset:8
	;; [unrolled: 1-line block ×14, first 2 shown]
	s_add_i32 s7, s40, -1
	v_cmp_le_i32_e32 vcc_lo, s42, v84
	s_ashr_i32 s8, s7, 31
	buffer_store_dword v9, off, s[0:3], 0 offset:68
	s_lshr_b32 s8, s8, 25
	buffer_store_dword v9, off, s[0:3], 0 offset:64
	buffer_store_dword v9, off, s[0:3], 0 offset:76
	;; [unrolled: 1-line block ×4, first 2 shown]
	s_add_i32 s7, s7, s8
	buffer_store_dword v9, off, s[0:3], 0 offset:80
	buffer_store_dword v9, off, s[0:3], 0 offset:92
	;; [unrolled: 1-line block ×9, first 2 shown]
	s_ashr_i32 s7, s7, 7
	buffer_store_dword v9, off, s[0:3], 0 offset:124
	buffer_store_dword v9, off, s[0:3], 0 offset:120
	;; [unrolled: 1-line block ×4, first 2 shown]
	s_add_i32 s8, s7, 1
	s_not_b32 s7, s7
	v_cvt_f32_u32_e32 v2, s8
	buffer_store_dword v9, off, s[0:3], 0 offset:140
	buffer_store_dword v9, off, s[0:3], 0 offset:136
	;; [unrolled: 1-line block ×8, first 2 shown]
	v_rcp_iflag_f32_e32 v2, v2
	buffer_store_dword v9, off, s[0:3], 0 offset:172
	buffer_store_dword v9, off, s[0:3], 0 offset:168
	;; [unrolled: 1-line block ×9, first 2 shown]
	v_mul_f32_e32 v2, 0x4f7ffffe, v2
	buffer_store_dword v9, off, s[0:3], 0 offset:200
	buffer_store_dword v9, off, s[0:3], 0 offset:212
	;; [unrolled: 1-line block ×75, first 2 shown]
	v_cvt_u32_f32_e32 v2, v2
	buffer_store_dword v9, off, s[0:3], 0 offset:508
	buffer_store_dword v9, off, s[0:3], 0 offset:504
	v_readfirstlane_b32 s9, v2
	s_mul_i32 s7, s7, s9
	s_mul_hi_u32 s7, s9, s7
	s_add_i32 s9, s9, s7
	s_mul_hi_u32 s7, s6, s9
	s_mul_i32 s9, s7, s8
	s_add_i32 s10, s7, 1
	s_sub_i32 s9, s6, s9
	s_sub_i32 s11, s9, s8
	s_cmp_ge_u32 s9, s8
	s_cselect_b32 s7, s10, s7
	s_cselect_b32 s9, s11, s9
	s_add_i32 s10, s7, 1
	s_cmp_ge_u32 s9, s8
	s_cselect_b32 s7, s10, s7
	s_add_i32 s19, s42, -1
	s_mul_i32 s8, s7, s8
	v_min_i32_e32 v2, s19, v84
	s_sub_i32 s6, s6, s8
	s_lshl_b32 s11, s6, 7
	v_ashrrev_i32_e32 v3, 31, v2
	v_add_nc_u32_e32 v81, s11, v80
	v_lshlrev_b64 v[7:8], 3, v[2:3]
	v_cmp_le_i32_e64 s8, s40, v81
	v_mov_b32_e32 v2, 0
	v_mov_b32_e32 v3, 0
	v_add_co_u32 v7, s6, s20, v7
	v_add_co_ci_u32_e64 v8, null, s21, v8, s6
	s_or_b32 s6, vcc_lo, s8
	s_nor_b32 s6, s22, s6
	s_and_saveexec_b32 s9, s6
	s_cbranch_execz .LBB150_8
; %bb.7:
	v_mad_i64_i32 v[4:5], null, v81, s24, 0
	v_lshlrev_b64 v[4:5], 3, v[4:5]
	v_add_co_u32 v4, s6, v7, v4
	v_add_co_ci_u32_e64 v5, null, v8, v5, s6
	flat_load_dwordx2 v[4:5], v[4:5]
	s_waitcnt vmcnt(0) lgkmcnt(0)
	v_mul_f64 v[4:5], s[16:17], v[4:5]
.LBB150_8:
	s_or_b32 exec_lo, exec_lo, s9
	v_add_nc_u32_e32 v82, 64, v81
	v_cmp_le_i32_e64 s9, s40, v82
	s_or_b32 s6, vcc_lo, s9
	s_nor_b32 s10, s22, s6
	s_and_saveexec_b32 s6, s10
	s_cbranch_execz .LBB150_10
; %bb.9:
	v_mad_i64_i32 v[2:3], null, v82, s24, 0
	v_lshlrev_b64 v[2:3], 3, v[2:3]
	v_add_co_u32 v2, vcc_lo, v7, v2
	v_add_co_ci_u32_e64 v3, null, v8, v3, vcc_lo
	flat_load_dwordx2 v[2:3], v[2:3]
	s_waitcnt vmcnt(0) lgkmcnt(0)
	v_mul_f64 v[2:3], s[16:17], v[2:3]
.LBB150_10:
	s_or_b32 exec_lo, exec_lo, s6
	s_load_dword s23, s[4:5], 0x38
	v_lshrrev_b32_e32 v85, 6, v6
	v_and_b32_e32 v20, 63, v6
	s_lshl_b32 s18, s7, 7
	v_mov_b32_e32 v16, 0
	v_mov_b32_e32 v18, 0
	v_min_i32_e32 v7, s19, v85
	v_or_b32_e32 v6, s18, v20
	v_cmp_le_i32_e32 vcc_lo, s42, v85
	v_mov_b32_e32 v17, 0
	v_mov_b32_e32 v19, 0
	v_cmp_le_i32_e64 s6, s41, v6
	s_waitcnt lgkmcnt(0)
	v_mad_i64_i32 v[7:8], null, s23, v7, 0
	v_lshlrev_b64 v[8:9], 3, v[7:8]
	v_ashrrev_i32_e32 v7, 31, v6
	v_add_co_u32 v8, s7, s14, v8
	v_add_co_ci_u32_e64 v9, null, s15, v9, s7
	s_or_b32 s7, s6, vcc_lo
	s_nor_b32 s7, s22, s7
	s_and_saveexec_b32 s10, s7
	s_cbranch_execz .LBB150_12
; %bb.11:
	v_lshlrev_b64 v[10:11], 3, v[6:7]
	v_add_co_u32 v10, s7, v8, v10
	v_add_co_ci_u32_e64 v11, null, v9, v11, s7
	flat_load_dwordx2 v[10:11], v[10:11]
	s_waitcnt vmcnt(0) lgkmcnt(0)
	v_mul_f64 v[18:19], s[16:17], v[10:11]
.LBB150_12:
	s_or_b32 exec_lo, exec_lo, s10
	v_or_b32_e32 v10, 64, v6
	v_cmp_le_i32_e64 s7, s41, v10
	s_or_b32 s10, s7, vcc_lo
	s_nor_b32 s25, s22, s10
	s_and_saveexec_b32 s10, s25
	s_cbranch_execz .LBB150_14
; %bb.13:
	v_lshlrev_b64 v[10:11], 3, v[6:7]
	v_add_co_u32 v8, vcc_lo, v8, v10
	v_add_co_ci_u32_e64 v9, null, v9, v11, vcc_lo
	flat_load_dwordx2 v[8:9], v[8:9] offset:512
	s_waitcnt vmcnt(0) lgkmcnt(0)
	v_mul_f64 v[16:17], s[16:17], v[8:9]
.LBB150_14:
	s_or_b32 exec_lo, exec_lo, s10
	v_or_b32_e32 v14, 4, v84
	v_mov_b32_e32 v10, 0
	v_mov_b32_e32 v11, 0
	v_min_i32_e32 v8, s19, v14
	v_cmp_le_i32_e32 vcc_lo, s42, v14
	v_ashrrev_i32_e32 v9, 31, v8
	v_lshlrev_b64 v[12:13], 3, v[8:9]
	v_mov_b32_e32 v8, 0
	v_mov_b32_e32 v9, 0
	v_add_co_u32 v12, s10, s20, v12
	v_add_co_ci_u32_e64 v13, null, s21, v13, s10
	s_or_b32 s10, vcc_lo, s8
	s_nor_b32 s10, s22, s10
	s_and_saveexec_b32 s25, s10
	s_cbranch_execz .LBB150_16
; %bb.15:
	v_mad_i64_i32 v[10:11], null, v81, s24, 0
	v_lshlrev_b64 v[10:11], 3, v[10:11]
	v_add_co_u32 v10, s10, v12, v10
	v_add_co_ci_u32_e64 v11, null, v13, v11, s10
	flat_load_dwordx2 v[10:11], v[10:11]
	s_waitcnt vmcnt(0) lgkmcnt(0)
	v_mul_f64 v[10:11], s[16:17], v[10:11]
.LBB150_16:
	s_or_b32 exec_lo, exec_lo, s25
	s_or_b32 s10, vcc_lo, s9
	s_nor_b32 s25, s22, s10
	s_and_saveexec_b32 s10, s25
	s_cbranch_execz .LBB150_18
; %bb.17:
	v_mad_i64_i32 v[8:9], null, v82, s24, 0
	v_lshlrev_b64 v[8:9], 3, v[8:9]
	v_add_co_u32 v8, vcc_lo, v12, v8
	v_add_co_ci_u32_e64 v9, null, v13, v9, vcc_lo
	flat_load_dwordx2 v[8:9], v[8:9]
	s_waitcnt vmcnt(0) lgkmcnt(0)
	v_mul_f64 v[8:9], s[16:17], v[8:9]
.LBB150_18:
	s_or_b32 exec_lo, exec_lo, s10
	v_add_nc_u32_e32 v23, 4, v85
	v_mov_b32_e32 v14, 0
	v_mov_b32_e32 v15, 0
	v_min_i32_e32 v12, s19, v23
	v_cmp_le_i32_e32 vcc_lo, s42, v23
	v_mad_i64_i32 v[12:13], null, s23, v12, 0
	v_lshlrev_b64 v[21:22], 3, v[12:13]
	v_mov_b32_e32 v12, 0
	v_mov_b32_e32 v13, 0
	v_add_co_u32 v21, s10, s14, v21
	v_add_co_ci_u32_e64 v22, null, s15, v22, s10
	s_or_b32 s10, s6, vcc_lo
	s_nor_b32 s10, s22, s10
	s_and_saveexec_b32 s25, s10
	s_cbranch_execz .LBB150_20
; %bb.19:
	v_lshlrev_b64 v[14:15], 3, v[6:7]
	v_add_co_u32 v14, s10, v21, v14
	v_add_co_ci_u32_e64 v15, null, v22, v15, s10
	flat_load_dwordx2 v[14:15], v[14:15]
	s_waitcnt vmcnt(0) lgkmcnt(0)
	v_mul_f64 v[14:15], s[16:17], v[14:15]
.LBB150_20:
	s_or_b32 exec_lo, exec_lo, s25
	s_or_b32 s10, s7, vcc_lo
	s_nor_b32 s25, s22, s10
	s_and_saveexec_b32 s10, s25
	s_cbranch_execz .LBB150_22
; %bb.21:
	v_lshlrev_b64 v[12:13], 3, v[6:7]
	v_add_co_u32 v12, vcc_lo, v21, v12
	v_add_co_ci_u32_e64 v13, null, v22, v13, vcc_lo
	flat_load_dwordx2 v[12:13], v[12:13] offset:512
	s_waitcnt vmcnt(0) lgkmcnt(0)
	v_mul_f64 v[12:13], s[16:17], v[12:13]
.LBB150_22:
	s_or_b32 exec_lo, exec_lo, s10
	v_lshlrev_b32_e32 v20, 5, v20
	v_lshlrev_b32_e32 v21, 5, v80
	v_lshlrev_b32_e32 v87, 5, v0
	v_lshl_or_b32 v89, v1, 5, 0x2000
	s_mov_b32 s10, 0
	v_lshl_add_u32 v83, v85, 3, v20
	v_lshl_or_b32 v86, v84, 3, v21
	s_addk_i32 s10, 0x100
	s_mov_b32 s25, 0
	v_add_nc_u32_e32 v88, 0x2000, v83
	ds_write2st64_b64 v86, v[4:5], v[2:3] offset1:4
	ds_write2st64_b64 v83, v[18:19], v[16:17] offset0:16 offset1:20
	s_waitcnt lgkmcnt(0)
	s_waitcnt_vscnt null, 0x0
	s_barrier
	buffer_gl0_inv
.LBB150_23:                             ; =>This Loop Header: Depth=1
                                        ;     Child Loop BB150_24 Depth 2
	s_lshl_b32 s26, s25, 3
	s_mov_b32 s27, 0
	v_add_nc_u32_e32 v16, s26, v87
	v_add_nc_u32_e32 v90, s26, v89
	s_mov_b32 s26, -1
	ds_read2_b64 v[2:5], v16 offset1:16
	ds_read2_b64 v[20:23], v16 offset0:32 offset1:48
	ds_read2_b64 v[24:27], v16 offset0:64 offset1:80
	;; [unrolled: 1-line block ×4, first 2 shown]
	v_add_nc_u32_e32 v76, 0x800, v16
	ds_read2_b64 v[36:39], v16 offset0:160 offset1:176
	ds_read2_b64 v[40:43], v16 offset0:192 offset1:208
	;; [unrolled: 1-line block ×3, first 2 shown]
	ds_read2_b64 v[48:51], v76 offset1:16
	ds_read2_b64 v[52:55], v76 offset0:32 offset1:48
	ds_read2_b64 v[56:59], v76 offset0:64 offset1:80
	;; [unrolled: 1-line block ×6, first 2 shown]
	s_waitcnt lgkmcnt(9)
	v_max_f64 v[36:37], v[36:37], v[36:37]
	v_max_f64 v[38:39], v[38:39], v[38:39]
	;; [unrolled: 1-line block ×4, first 2 shown]
	ds_read2_b64 v[2:5], v76 offset0:224 offset1:240
	v_max_f64 v[20:21], v[20:21], v[20:21]
	v_max_f64 v[22:23], v[22:23], v[22:23]
	;; [unrolled: 1-line block ×8, first 2 shown]
	s_waitcnt lgkmcnt(9)
	v_max_f64 v[40:41], v[40:41], v[40:41]
	v_max_f64 v[42:43], v[42:43], v[42:43]
	s_waitcnt lgkmcnt(8)
	v_max_f64 v[44:45], v[44:45], v[44:45]
	v_max_f64 v[46:47], v[46:47], v[46:47]
	;; [unrolled: 3-line block ×10, first 2 shown]
	ds_read2st64_b64 v[2:5], v90 offset1:4
.LBB150_24:                             ;   Parent Loop BB150_23 Depth=1
                                        ; =>  This Inner Loop Header: Depth=2
	v_mov_b32_e32 v218, s27
	s_waitcnt lgkmcnt(0)
	v_max_f64 v[154:155], v[2:3], v[2:3]
	v_mov_b32_e32 v2, v4
	v_mov_b32_e32 v3, v5
	s_and_b32 vcc_lo, exec_lo, s26
	s_clause 0x3e
	buffer_load_dword v90, v218, s[0:3], 0 offen
	buffer_load_dword v91, v218, s[0:3], 0 offen offset:4
	buffer_load_dword v92, v218, s[0:3], 0 offen offset:8
	;; [unrolled: 1-line block ×63, first 2 shown]
	s_mov_b32 s26, 0
	s_mov_b32 s27, s10
	v_min_f64 v[156:157], v[16:17], v[154:155]
	v_min_f64 v[158:159], v[18:19], v[154:155]
	;; [unrolled: 1-line block ×32, first 2 shown]
	s_waitcnt vmcnt(62)
	v_add_f64 v[90:91], v[156:157], v[90:91]
	s_waitcnt vmcnt(60)
	v_add_f64 v[92:93], v[158:159], v[92:93]
	;; [unrolled: 2-line block ×32, first 2 shown]
	buffer_store_dword v90, v218, s[0:3], 0 offen
	buffer_store_dword v91, v218, s[0:3], 0 offen offset:4
	buffer_store_dword v92, v218, s[0:3], 0 offen offset:8
	;; [unrolled: 1-line block ×63, first 2 shown]
	s_cbranch_vccnz .LBB150_24
; %bb.25:                               ;   in Loop: Header=BB150_23 Depth=1
	s_add_i32 s25, s25, 1
	s_cmp_eq_u32 s25, 4
	s_cbranch_scc0 .LBB150_23
; %bb.26:
	v_lshlrev_b32_e32 v2, 3, v84
	v_lshl_add_u32 v90, v0, 5, 0x1000
	v_lshl_add_u32 v91, v1, 5, 0x3000
	s_cmp_lt_i32 s42, 9
	ds_write2st64_b64 v83, v[14:15], v[12:13] offset0:24 offset1:28
	v_lshl_or_b32 v2, v80, 5, v2
	ds_write2st64_b64 v2, v[10:11], v[8:9] offset0:8 offset1:12
	s_waitcnt lgkmcnt(0)
	s_waitcnt_vscnt null, 0x0
	s_barrier
	buffer_gl0_inv
	s_cbranch_scc1 .LBB150_53
; %bb.27:
	v_mad_i64_i32 v[3:4], null, v81, s24, 0
	v_mad_i64_i32 v[8:9], null, v82, s24, 0
	v_lshlrev_b64 v[74:75], 3, v[6:7]
	v_add_nc_u32_e32 v92, 0x1000, v2
	v_add_nc_u32_e32 v93, 0x3000, v83
	s_add_i32 s24, s42, -8
	v_lshlrev_b64 v[70:71], 3, v[3:4]
	s_or_b32 s25, s8, s22
	v_lshlrev_b64 v[72:73], 3, v[8:9]
	s_or_b32 s9, s9, s22
	s_mov_b32 s26, 8
	s_mov_b32 s27, 0
.LBB150_28:                             ; =>This Loop Header: Depth=1
                                        ;     Child Loop BB150_37 Depth 2
                                        ;       Child Loop BB150_38 Depth 3
                                        ;     Child Loop BB150_49 Depth 2
                                        ;       Child Loop BB150_50 Depth 3
	v_or_b32_e32 v94, s26, v84
	v_mov_b32_e32 v6, 0
	v_mov_b32_e32 v8, 0
	;; [unrolled: 1-line block ×4, first 2 shown]
	v_min_i32_e32 v2, s19, v94
	v_cmp_le_i32_e32 vcc_lo, s42, v94
	v_ashrrev_i32_e32 v3, 31, v2
	v_lshlrev_b64 v[2:3], 3, v[2:3]
	v_add_co_u32 v2, s8, s20, v2
	v_add_co_ci_u32_e64 v3, null, s21, v3, s8
	s_nor_b32 s8, vcc_lo, s25
	s_and_saveexec_b32 s28, s8
	s_cbranch_execz .LBB150_30
; %bb.29:                               ;   in Loop: Header=BB150_28 Depth=1
	v_add_co_u32 v4, s8, v2, v70
	v_add_co_ci_u32_e64 v5, null, v3, v71, s8
	flat_load_dwordx2 v[4:5], v[4:5]
	s_waitcnt vmcnt(0) lgkmcnt(0)
	v_mul_f64 v[8:9], s[16:17], v[4:5]
.LBB150_30:                             ;   in Loop: Header=BB150_28 Depth=1
	s_or_b32 exec_lo, exec_lo, s28
	s_nor_b32 s28, vcc_lo, s9
	s_and_saveexec_b32 s8, s28
	s_cbranch_execz .LBB150_32
; %bb.31:                               ;   in Loop: Header=BB150_28 Depth=1
	v_add_co_u32 v2, vcc_lo, v2, v72
	v_add_co_ci_u32_e64 v3, null, v3, v73, vcc_lo
	flat_load_dwordx2 v[2:3], v[2:3]
	s_waitcnt vmcnt(0) lgkmcnt(0)
	v_mul_f64 v[6:7], s[16:17], v[2:3]
.LBB150_32:                             ;   in Loop: Header=BB150_28 Depth=1
	s_or_b32 exec_lo, exec_lo, s8
	v_add_nc_u32_e32 v4, s26, v85
	v_mov_b32_e32 v10, 0
	v_mov_b32_e32 v12, 0
	v_mov_b32_e32 v11, 0
	v_mov_b32_e32 v13, 0
	v_min_i32_e32 v2, s19, v4
	v_cmp_le_i32_e32 vcc_lo, s42, v4
	v_mad_i64_i32 v[2:3], null, v2, s23, 0
	v_lshlrev_b64 v[2:3], 3, v[2:3]
	v_add_co_u32 v2, s8, s14, v2
	v_add_co_ci_u32_e64 v3, null, s15, v3, s8
	s_or_b32 s8, s6, vcc_lo
	s_nor_b32 s8, s22, s8
	s_and_saveexec_b32 s28, s8
	s_cbranch_execz .LBB150_34
; %bb.33:                               ;   in Loop: Header=BB150_28 Depth=1
	v_add_co_u32 v4, s8, v2, v74
	v_add_co_ci_u32_e64 v5, null, v3, v75, s8
	flat_load_dwordx2 v[4:5], v[4:5]
	s_waitcnt vmcnt(0) lgkmcnt(0)
	v_mul_f64 v[12:13], s[16:17], v[4:5]
.LBB150_34:                             ;   in Loop: Header=BB150_28 Depth=1
	s_or_b32 exec_lo, exec_lo, s28
	s_or_b32 s8, s7, vcc_lo
	s_nor_b32 s28, s22, s8
	s_and_saveexec_b32 s8, s28
	s_cbranch_execz .LBB150_36
; %bb.35:                               ;   in Loop: Header=BB150_28 Depth=1
	v_add_co_u32 v2, vcc_lo, v2, v74
	v_add_co_ci_u32_e64 v3, null, v3, v75, vcc_lo
	flat_load_dwordx2 v[2:3], v[2:3] offset:512
	s_waitcnt vmcnt(0) lgkmcnt(0)
	v_mul_f64 v[10:11], s[16:17], v[2:3]
.LBB150_36:                             ;   in Loop: Header=BB150_28 Depth=1
	s_or_b32 exec_lo, exec_lo, s8
	s_mov_b32 s8, 0
.LBB150_37:                             ;   Parent Loop BB150_28 Depth=1
                                        ; =>  This Loop Header: Depth=2
                                        ;       Child Loop BB150_38 Depth 3
	s_lshl_b32 s28, s8, 3
	s_mov_b32 s29, 0
	v_add_nc_u32_e32 v14, s28, v90
	v_add_nc_u32_e32 v95, s28, v91
	s_mov_b32 s28, -1
	ds_read2_b64 v[2:5], v14 offset1:16
	ds_read2_b64 v[18:21], v14 offset0:32 offset1:48
	ds_read2_b64 v[22:25], v14 offset0:64 offset1:80
	v_add_nc_u32_e32 v15, 0x800, v14
	ds_read2_b64 v[26:29], v14 offset0:96 offset1:112
	ds_read2_b64 v[30:33], v14 offset0:128 offset1:144
	;; [unrolled: 1-line block ×5, first 2 shown]
	ds_read2_b64 v[46:49], v15 offset1:16
	ds_read2_b64 v[50:53], v15 offset0:32 offset1:48
	ds_read2_b64 v[54:57], v15 offset0:64 offset1:80
	;; [unrolled: 1-line block ×7, first 2 shown]
	s_waitcnt lgkmcnt(11)
	v_max_f64 v[30:31], v[30:31], v[30:31]
	v_max_f64 v[32:33], v[32:33], v[32:33]
	s_waitcnt lgkmcnt(10)
	v_max_f64 v[34:35], v[34:35], v[34:35]
	v_max_f64 v[36:37], v[36:37], v[36:37]
	;; [unrolled: 3-line block ×3, first 2 shown]
	v_max_f64 v[14:15], v[2:3], v[2:3]
	v_max_f64 v[16:17], v[4:5], v[4:5]
	;; [unrolled: 1-line block ×8, first 2 shown]
	s_waitcnt lgkmcnt(8)
	v_max_f64 v[42:43], v[42:43], v[42:43]
	v_max_f64 v[44:45], v[44:45], v[44:45]
	s_waitcnt lgkmcnt(7)
	v_max_f64 v[46:47], v[46:47], v[46:47]
	v_max_f64 v[48:49], v[48:49], v[48:49]
	;; [unrolled: 3-line block ×9, first 2 shown]
	ds_read2st64_b64 v[2:5], v95 offset1:4
.LBB150_38:                             ;   Parent Loop BB150_28 Depth=1
                                        ;     Parent Loop BB150_37 Depth=2
                                        ; =>    This Inner Loop Header: Depth=3
	v_mov_b32_e32 v223, s29
	s_waitcnt lgkmcnt(0)
	v_max_f64 v[159:160], v[2:3], v[2:3]
	v_mov_b32_e32 v2, v4
	v_mov_b32_e32 v3, v5
	s_and_b32 vcc_lo, exec_lo, s28
	s_clause 0x3e
	buffer_load_dword v95, v223, s[0:3], 0 offen
	buffer_load_dword v96, v223, s[0:3], 0 offen offset:4
	buffer_load_dword v97, v223, s[0:3], 0 offen offset:8
	buffer_load_dword v98, v223, s[0:3], 0 offen offset:12
	buffer_load_dword v99, v223, s[0:3], 0 offen offset:16
	buffer_load_dword v100, v223, s[0:3], 0 offen offset:20
	buffer_load_dword v101, v223, s[0:3], 0 offen offset:24
	buffer_load_dword v102, v223, s[0:3], 0 offen offset:28
	buffer_load_dword v103, v223, s[0:3], 0 offen offset:32
	buffer_load_dword v104, v223, s[0:3], 0 offen offset:36
	buffer_load_dword v105, v223, s[0:3], 0 offen offset:40
	buffer_load_dword v106, v223, s[0:3], 0 offen offset:44
	buffer_load_dword v107, v223, s[0:3], 0 offen offset:48
	buffer_load_dword v108, v223, s[0:3], 0 offen offset:52
	buffer_load_dword v109, v223, s[0:3], 0 offen offset:56
	buffer_load_dword v110, v223, s[0:3], 0 offen offset:60
	buffer_load_dword v112, v223, s[0:3], 0 offen offset:68
	buffer_load_dword v113, v223, s[0:3], 0 offen offset:72
	buffer_load_dword v114, v223, s[0:3], 0 offen offset:76
	buffer_load_dword v115, v223, s[0:3], 0 offen offset:80
	buffer_load_dword v116, v223, s[0:3], 0 offen offset:84
	buffer_load_dword v117, v223, s[0:3], 0 offen offset:88
	buffer_load_dword v118, v223, s[0:3], 0 offen offset:92
	buffer_load_dword v111, v223, s[0:3], 0 offen offset:64
	buffer_load_dword v119, v223, s[0:3], 0 offen offset:96
	buffer_load_dword v120, v223, s[0:3], 0 offen offset:100
	buffer_load_dword v121, v223, s[0:3], 0 offen offset:104
	buffer_load_dword v122, v223, s[0:3], 0 offen offset:108
	buffer_load_dword v123, v223, s[0:3], 0 offen offset:112
	buffer_load_dword v124, v223, s[0:3], 0 offen offset:116
	buffer_load_dword v125, v223, s[0:3], 0 offen offset:120
	buffer_load_dword v126, v223, s[0:3], 0 offen offset:124
	buffer_load_dword v127, v223, s[0:3], 0 offen offset:128
	buffer_load_dword v128, v223, s[0:3], 0 offen offset:132
	buffer_load_dword v129, v223, s[0:3], 0 offen offset:136
	buffer_load_dword v130, v223, s[0:3], 0 offen offset:140
	buffer_load_dword v131, v223, s[0:3], 0 offen offset:144
	buffer_load_dword v132, v223, s[0:3], 0 offen offset:148
	buffer_load_dword v133, v223, s[0:3], 0 offen offset:152
	buffer_load_dword v134, v223, s[0:3], 0 offen offset:156
	buffer_load_dword v135, v223, s[0:3], 0 offen offset:160
	buffer_load_dword v136, v223, s[0:3], 0 offen offset:164
	buffer_load_dword v137, v223, s[0:3], 0 offen offset:168
	buffer_load_dword v138, v223, s[0:3], 0 offen offset:172
	buffer_load_dword v139, v223, s[0:3], 0 offen offset:176
	buffer_load_dword v140, v223, s[0:3], 0 offen offset:180
	buffer_load_dword v141, v223, s[0:3], 0 offen offset:184
	buffer_load_dword v142, v223, s[0:3], 0 offen offset:188
	buffer_load_dword v143, v223, s[0:3], 0 offen offset:192
	buffer_load_dword v144, v223, s[0:3], 0 offen offset:196
	buffer_load_dword v145, v223, s[0:3], 0 offen offset:200
	buffer_load_dword v146, v223, s[0:3], 0 offen offset:204
	buffer_load_dword v147, v223, s[0:3], 0 offen offset:208
	buffer_load_dword v148, v223, s[0:3], 0 offen offset:212
	buffer_load_dword v149, v223, s[0:3], 0 offen offset:216
	buffer_load_dword v150, v223, s[0:3], 0 offen offset:220
	buffer_load_dword v151, v223, s[0:3], 0 offen offset:224
	buffer_load_dword v152, v223, s[0:3], 0 offen offset:228
	buffer_load_dword v153, v223, s[0:3], 0 offen offset:232
	buffer_load_dword v154, v223, s[0:3], 0 offen offset:236
	buffer_load_dword v155, v223, s[0:3], 0 offen offset:240
	buffer_load_dword v156, v223, s[0:3], 0 offen offset:244
	buffer_load_dword v157, v223, s[0:3], 0 offen offset:248
	buffer_load_dword v158, v223, s[0:3], 0 offen offset:252
	s_mov_b32 s28, 0
	s_mov_b32 s29, s10
	v_min_f64 v[161:162], v[14:15], v[159:160]
	v_min_f64 v[163:164], v[16:17], v[159:160]
	;; [unrolled: 1-line block ×32, first 2 shown]
	s_waitcnt vmcnt(62)
	v_add_f64 v[95:96], v[161:162], v[95:96]
	s_waitcnt vmcnt(60)
	v_add_f64 v[97:98], v[163:164], v[97:98]
	;; [unrolled: 2-line block ×32, first 2 shown]
	buffer_store_dword v95, v223, s[0:3], 0 offen
	buffer_store_dword v96, v223, s[0:3], 0 offen offset:4
	buffer_store_dword v97, v223, s[0:3], 0 offen offset:8
	;; [unrolled: 1-line block ×63, first 2 shown]
	s_cbranch_vccnz .LBB150_38
; %bb.39:                               ;   in Loop: Header=BB150_37 Depth=2
	s_add_i32 s8, s8, 1
	s_cmp_eq_u32 s8, 4
	s_cbranch_scc0 .LBB150_37
; %bb.40:                               ;   in Loop: Header=BB150_28 Depth=1
	v_or_b32_e32 v4, 4, v94
	v_mov_b32_e32 v76, 0
	v_mov_b32_e32 v78, 0
	;; [unrolled: 1-line block ×4, first 2 shown]
	v_min_i32_e32 v2, s19, v4
	v_cmp_le_i32_e32 vcc_lo, s42, v4
	ds_write2st64_b64 v86, v[8:9], v[6:7] offset1:4
	ds_write2st64_b64 v88, v[12:13], v[10:11] offset1:4
	s_waitcnt lgkmcnt(0)
	s_waitcnt_vscnt null, 0x0
	v_ashrrev_i32_e32 v3, 31, v2
	s_barrier
	buffer_gl0_inv
	v_lshlrev_b64 v[2:3], 3, v[2:3]
	v_add_co_u32 v2, s8, s20, v2
	v_add_co_ci_u32_e64 v3, null, s21, v3, s8
	s_nor_b32 s8, vcc_lo, s25
	s_and_saveexec_b32 s28, s8
	s_cbranch_execz .LBB150_42
; %bb.41:                               ;   in Loop: Header=BB150_28 Depth=1
	v_add_co_u32 v4, s8, v2, v70
	v_add_co_ci_u32_e64 v5, null, v3, v71, s8
	flat_load_dwordx2 v[4:5], v[4:5]
	s_waitcnt vmcnt(0) lgkmcnt(0)
	v_mul_f64 v[78:79], s[16:17], v[4:5]
.LBB150_42:                             ;   in Loop: Header=BB150_28 Depth=1
	s_or_b32 exec_lo, exec_lo, s28
	s_nor_b32 s28, vcc_lo, s9
	s_and_saveexec_b32 s8, s28
	s_cbranch_execz .LBB150_44
; %bb.43:                               ;   in Loop: Header=BB150_28 Depth=1
	v_add_co_u32 v2, vcc_lo, v2, v72
	v_add_co_ci_u32_e64 v3, null, v3, v73, vcc_lo
	flat_load_dwordx2 v[2:3], v[2:3]
	s_waitcnt vmcnt(0) lgkmcnt(0)
	v_mul_f64 v[76:77], s[16:17], v[2:3]
.LBB150_44:                             ;   in Loop: Header=BB150_28 Depth=1
	s_or_b32 exec_lo, exec_lo, s8
	v_add3_u32 v4, v85, s26, 4
	v_mov_b32_e32 v80, 0
	v_mov_b32_e32 v82, 0
	;; [unrolled: 1-line block ×4, first 2 shown]
	v_min_i32_e32 v2, s19, v4
	v_cmp_le_i32_e32 vcc_lo, s42, v4
	v_mad_i64_i32 v[2:3], null, v2, s23, 0
	v_lshlrev_b64 v[2:3], 3, v[2:3]
	v_add_co_u32 v2, s8, s14, v2
	v_add_co_ci_u32_e64 v3, null, s15, v3, s8
	s_or_b32 s8, s6, vcc_lo
	s_nor_b32 s8, s22, s8
	s_and_saveexec_b32 s28, s8
	s_cbranch_execz .LBB150_46
; %bb.45:                               ;   in Loop: Header=BB150_28 Depth=1
	v_add_co_u32 v4, s8, v2, v74
	v_add_co_ci_u32_e64 v5, null, v3, v75, s8
	flat_load_dwordx2 v[4:5], v[4:5]
	s_waitcnt vmcnt(0) lgkmcnt(0)
	v_mul_f64 v[82:83], s[16:17], v[4:5]
.LBB150_46:                             ;   in Loop: Header=BB150_28 Depth=1
	s_or_b32 exec_lo, exec_lo, s28
	s_or_b32 s8, s7, vcc_lo
	s_nor_b32 s28, s22, s8
	s_and_saveexec_b32 s8, s28
	s_cbranch_execz .LBB150_48
; %bb.47:                               ;   in Loop: Header=BB150_28 Depth=1
	v_add_co_u32 v2, vcc_lo, v2, v74
	v_add_co_ci_u32_e64 v3, null, v3, v75, vcc_lo
	flat_load_dwordx2 v[2:3], v[2:3] offset:512
	s_waitcnt vmcnt(0) lgkmcnt(0)
	v_mul_f64 v[80:81], s[16:17], v[2:3]
.LBB150_48:                             ;   in Loop: Header=BB150_28 Depth=1
	s_or_b32 exec_lo, exec_lo, s8
	s_mov_b32 s8, 0
.LBB150_49:                             ;   Parent Loop BB150_28 Depth=1
                                        ; =>  This Loop Header: Depth=2
                                        ;       Child Loop BB150_50 Depth 3
	s_lshl_b32 s28, s8, 3
	s_mov_b32 s29, 0
	v_add_nc_u32_e32 v30, s28, v87
	v_add_nc_u32_e32 v66, s28, v89
	s_mov_b32 s28, -1
	ds_read2_b64 v[2:5], v30 offset1:16
	ds_read2_b64 v[6:9], v30 offset0:32 offset1:48
	ds_read2_b64 v[10:13], v30 offset0:64 offset1:80
	;; [unrolled: 1-line block ×3, first 2 shown]
	v_add_nc_u32_e32 v62, 0x800, v30
	ds_read2_b64 v[18:21], v30 offset0:128 offset1:144
	ds_read2_b64 v[22:25], v30 offset0:160 offset1:176
	;; [unrolled: 1-line block ×4, first 2 shown]
	ds_read2_b64 v[34:37], v62 offset1:16
	ds_read2_b64 v[38:41], v62 offset0:32 offset1:48
	ds_read2_b64 v[42:45], v62 offset0:64 offset1:80
	;; [unrolled: 1-line block ×7, first 2 shown]
	ds_read2st64_b64 v[66:69], v66 offset1:4
.LBB150_50:                             ;   Parent Loop BB150_28 Depth=1
                                        ;     Parent Loop BB150_49 Depth=2
                                        ; =>    This Inner Loop Header: Depth=3
	v_mov_b32_e32 v94, s29
	s_waitcnt lgkmcnt(16)
	v_max_f64 v[159:160], v[2:3], v[2:3]
	s_waitcnt lgkmcnt(0)
	v_max_f64 v[161:162], v[66:67], v[66:67]
	v_max_f64 v[163:164], v[4:5], v[4:5]
	v_max_f64 v[165:166], v[6:7], v[6:7]
	s_clause 0x3e
	buffer_load_dword v95, v94, s[0:3], 0 offen
	buffer_load_dword v96, v94, s[0:3], 0 offen offset:4
	buffer_load_dword v97, v94, s[0:3], 0 offen offset:8
	;; [unrolled: 1-line block ×63, first 2 shown]
	v_max_f64 v[167:168], v[8:9], v[8:9]
	v_max_f64 v[169:170], v[10:11], v[10:11]
	;; [unrolled: 1-line block ×29, first 2 shown]
	v_min_f64 v[159:160], v[159:160], v[161:162]
	v_min_f64 v[163:164], v[163:164], v[161:162]
	;; [unrolled: 1-line block ×32, first 2 shown]
	v_mov_b32_e32 v66, v68
	v_mov_b32_e32 v67, v69
	s_and_b32 vcc_lo, exec_lo, s28
	s_mov_b32 s28, 0
	s_mov_b32 s29, s10
	s_waitcnt vmcnt(62)
	v_add_f64 v[95:96], v[159:160], v[95:96]
	s_waitcnt vmcnt(60)
	v_add_f64 v[97:98], v[163:164], v[97:98]
	;; [unrolled: 2-line block ×32, first 2 shown]
	buffer_store_dword v95, v94, s[0:3], 0 offen
	buffer_store_dword v96, v94, s[0:3], 0 offen offset:4
	buffer_store_dword v97, v94, s[0:3], 0 offen offset:8
	;; [unrolled: 1-line block ×63, first 2 shown]
	s_cbranch_vccnz .LBB150_50
; %bb.51:                               ;   in Loop: Header=BB150_49 Depth=2
	s_add_i32 s8, s8, 1
	s_cmp_eq_u32 s8, 4
	s_cbranch_scc0 .LBB150_49
; %bb.52:                               ;   in Loop: Header=BB150_28 Depth=1
	s_add_i32 s27, s27, 8
	s_add_i32 s26, s26, 8
	s_cmp_ge_i32 s27, s24
	ds_write2st64_b64 v92, v[78:79], v[76:77] offset1:4
	ds_write2st64_b64 v93, v[82:83], v[80:81] offset1:4
	s_waitcnt lgkmcnt(0)
	s_waitcnt_vscnt null, 0x0
	s_barrier
	buffer_gl0_inv
	s_cbranch_scc0 .LBB150_28
.LBB150_53:
	s_mov_b32 s6, 0
.LBB150_54:                             ; =>This Loop Header: Depth=1
                                        ;     Child Loop BB150_55 Depth 2
	s_lshl_b32 s7, s6, 3
	s_mov_b32 s8, 0
	v_add_nc_u32_e32 v6, s7, v90
	v_add_nc_u32_e32 v70, s7, v91
	s_mov_b32 s7, -1
	ds_read2_b64 v[2:5], v6 offset1:16
	ds_read2_b64 v[10:13], v6 offset0:32 offset1:48
	ds_read2_b64 v[14:17], v6 offset0:64 offset1:80
	v_add_nc_u32_e32 v7, 0x800, v6
	ds_read2_b64 v[18:21], v6 offset0:96 offset1:112
	ds_read2_b64 v[22:25], v6 offset0:128 offset1:144
	;; [unrolled: 1-line block ×5, first 2 shown]
	ds_read2_b64 v[38:41], v7 offset1:16
	ds_read2_b64 v[42:45], v7 offset0:32 offset1:48
	ds_read2_b64 v[46:49], v7 offset0:64 offset1:80
	;; [unrolled: 1-line block ×7, first 2 shown]
	s_waitcnt lgkmcnt(11)
	v_max_f64 v[22:23], v[22:23], v[22:23]
	v_max_f64 v[24:25], v[24:25], v[24:25]
	s_waitcnt lgkmcnt(10)
	v_max_f64 v[26:27], v[26:27], v[26:27]
	v_max_f64 v[28:29], v[28:29], v[28:29]
	s_waitcnt lgkmcnt(9)
	v_max_f64 v[30:31], v[30:31], v[30:31]
	v_max_f64 v[32:33], v[32:33], v[32:33]
	v_max_f64 v[6:7], v[2:3], v[2:3]
	v_max_f64 v[8:9], v[4:5], v[4:5]
	;; [unrolled: 1-line block ×8, first 2 shown]
	s_waitcnt lgkmcnt(8)
	v_max_f64 v[34:35], v[34:35], v[34:35]
	v_max_f64 v[36:37], v[36:37], v[36:37]
	s_waitcnt lgkmcnt(7)
	v_max_f64 v[38:39], v[38:39], v[38:39]
	v_max_f64 v[40:41], v[40:41], v[40:41]
	s_waitcnt lgkmcnt(6)
	v_max_f64 v[42:43], v[42:43], v[42:43]
	v_max_f64 v[44:45], v[44:45], v[44:45]
	s_waitcnt lgkmcnt(5)
	v_max_f64 v[46:47], v[46:47], v[46:47]
	v_max_f64 v[48:49], v[48:49], v[48:49]
	s_waitcnt lgkmcnt(4)
	v_max_f64 v[50:51], v[50:51], v[50:51]
	v_max_f64 v[52:53], v[52:53], v[52:53]
	s_waitcnt lgkmcnt(3)
	v_max_f64 v[54:55], v[54:55], v[54:55]
	v_max_f64 v[56:57], v[56:57], v[56:57]
	s_waitcnt lgkmcnt(2)
	v_max_f64 v[58:59], v[58:59], v[58:59]
	v_max_f64 v[60:61], v[60:61], v[60:61]
	s_waitcnt lgkmcnt(1)
	v_max_f64 v[62:63], v[62:63], v[62:63]
	v_max_f64 v[64:65], v[64:65], v[64:65]
	s_waitcnt lgkmcnt(0)
	v_max_f64 v[66:67], v[66:67], v[66:67]
	v_max_f64 v[68:69], v[68:69], v[68:69]
	ds_read2st64_b64 v[2:5], v70 offset1:4
.LBB150_55:                             ;   Parent Loop BB150_54 Depth=1
                                        ; =>  This Inner Loop Header: Depth=2
	v_mov_b32_e32 v200, s8
	s_waitcnt lgkmcnt(0)
	v_max_f64 v[136:137], v[2:3], v[2:3]
	v_mov_b32_e32 v2, v4
	v_mov_b32_e32 v3, v5
	s_and_b32 vcc_lo, exec_lo, s7
	s_clause 0x3e
	buffer_load_dword v70, v200, s[0:3], 0 offen
	buffer_load_dword v71, v200, s[0:3], 0 offen offset:4
	buffer_load_dword v72, v200, s[0:3], 0 offen offset:8
	;; [unrolled: 1-line block ×63, first 2 shown]
	s_mov_b32 s7, 0
	s_mov_b32 s8, s10
	v_min_f64 v[138:139], v[6:7], v[136:137]
	v_min_f64 v[140:141], v[8:9], v[136:137]
	;; [unrolled: 1-line block ×32, first 2 shown]
	s_waitcnt vmcnt(62)
	v_add_f64 v[70:71], v[138:139], v[70:71]
	s_waitcnt vmcnt(60)
	v_add_f64 v[72:73], v[140:141], v[72:73]
	;; [unrolled: 2-line block ×32, first 2 shown]
	buffer_store_dword v70, v200, s[0:3], 0 offen
	buffer_store_dword v71, v200, s[0:3], 0 offen offset:4
	buffer_store_dword v72, v200, s[0:3], 0 offen offset:8
	;; [unrolled: 1-line block ×63, first 2 shown]
	s_cbranch_vccnz .LBB150_55
; %bb.56:                               ;   in Loop: Header=BB150_54 Depth=1
	s_add_i32 s6, s6, 1
	s_cmp_eq_u32 s6, 4
	s_cbranch_scc0 .LBB150_54
; %bb.57:
	s_clause 0x2
	s_load_dword s43, s[4:5], 0x58
	s_load_dword s42, s[4:5], 0x70
	s_load_dwordx2 s[6:7], s[4:5], 0x78
	v_add_nc_u32_e32 v71, s18, v1
	v_add_nc_u32_e32 v0, s11, v0
	v_cndmask_b32_e64 v70, 0, 1, s46
	v_cmp_gt_i32_e64 s16, s41, v71
	v_cmp_gt_i32_e64 s4, s40, v0
	s_waitcnt lgkmcnt(0)
	v_mad_i64_i32 v[1:2], null, v71, s43, 0
	v_mad_i64_i32 v[3:4], null, v71, s42, 0
	s_lshl_b64 s[6:7], s[6:7], 3
	s_add_u32 s47, s12, s6
	s_addc_u32 s48, s13, s7
	v_lshlrev_b64 v[5:6], 3, v[1:2]
	v_ashrrev_i32_e32 v1, 31, v0
	v_lshlrev_b64 v[2:3], 3, v[3:4]
	s_and_b32 s6, s16, s4
	v_add_co_u32 v68, vcc_lo, s44, v5
	v_add_co_ci_u32_e64 v69, null, s45, v6, vcc_lo
	v_add_co_u32 v72, vcc_lo, s47, v2
	v_add_co_ci_u32_e64 v73, null, s48, v3, vcc_lo
	s_and_saveexec_b32 s5, s6
	s_cbranch_execz .LBB150_62
; %bb.58:
	s_clause 0x1
	buffer_load_dword v2, off, s[0:3], 0
	buffer_load_dword v3, off, s[0:3], 0 offset:4
	v_lshlrev_b64 v[4:5], 3, v[0:1]
	s_andn2_b32 vcc_lo, exec_lo, s46
	s_cbranch_vccnz .LBB150_60
; %bb.59:
	v_add_co_u32 v6, vcc_lo, v68, v4
	v_add_co_ci_u32_e64 v7, null, v69, v5, vcc_lo
	flat_load_dwordx2 v[6:7], v[6:7]
	s_waitcnt vmcnt(0) lgkmcnt(0)
	v_mul_f64 v[6:7], s[38:39], v[6:7]
	s_branch .LBB150_61
.LBB150_60:
	v_mov_b32_e32 v6, 0
	v_mov_b32_e32 v7, 0
.LBB150_61:
	s_waitcnt vmcnt(0)
	v_add_f64 v[2:3], v[2:3], v[6:7]
	v_add_co_u32 v4, vcc_lo, v72, v4
	v_add_co_ci_u32_e64 v5, null, v73, v5, vcc_lo
	flat_store_dwordx2 v[4:5], v[2:3]
.LBB150_62:
	s_or_b32 exec_lo, exec_lo, s5
	v_add_nc_u32_e32 v2, 4, v0
	v_cmp_gt_i32_e64 s5, s40, v2
	v_ashrrev_i32_e32 v3, 31, v2
	s_and_b32 s7, s16, s5
	s_and_saveexec_b32 s6, s7
	s_cbranch_execz .LBB150_67
; %bb.63:
	s_clause 0x1
	buffer_load_dword v4, off, s[0:3], 0 offset:8
	buffer_load_dword v5, off, s[0:3], 0 offset:12
	v_lshlrev_b64 v[6:7], 3, v[2:3]
	s_andn2_b32 vcc_lo, exec_lo, s46
	s_cbranch_vccnz .LBB150_65
; %bb.64:
	v_add_co_u32 v8, vcc_lo, v68, v6
	v_add_co_ci_u32_e64 v9, null, v69, v7, vcc_lo
	flat_load_dwordx2 v[8:9], v[8:9]
	s_waitcnt vmcnt(0) lgkmcnt(0)
	v_mul_f64 v[8:9], s[38:39], v[8:9]
	s_branch .LBB150_66
.LBB150_65:
	v_mov_b32_e32 v8, 0
	v_mov_b32_e32 v9, 0
.LBB150_66:
	s_waitcnt vmcnt(0)
	v_add_f64 v[4:5], v[4:5], v[8:9]
	v_add_co_u32 v6, vcc_lo, v72, v6
	v_add_co_ci_u32_e64 v7, null, v73, v7, vcc_lo
	flat_store_dwordx2 v[6:7], v[4:5]
.LBB150_67:
	s_or_b32 exec_lo, exec_lo, s6
	v_add_nc_u32_e32 v4, 8, v0
	v_cmp_gt_i32_e64 s6, s40, v4
	v_ashrrev_i32_e32 v5, 31, v4
	s_and_b32 s8, s16, s6
	s_and_saveexec_b32 s7, s8
	s_cbranch_execz .LBB150_72
; %bb.68:
	s_clause 0x1
	buffer_load_dword v6, off, s[0:3], 0 offset:16
	buffer_load_dword v7, off, s[0:3], 0 offset:20
	v_lshlrev_b64 v[8:9], 3, v[4:5]
	s_andn2_b32 vcc_lo, exec_lo, s46
	s_cbranch_vccnz .LBB150_70
; %bb.69:
	v_add_co_u32 v10, vcc_lo, v68, v8
	v_add_co_ci_u32_e64 v11, null, v69, v9, vcc_lo
	flat_load_dwordx2 v[10:11], v[10:11]
	s_waitcnt vmcnt(0) lgkmcnt(0)
	v_mul_f64 v[10:11], s[38:39], v[10:11]
	s_branch .LBB150_71
.LBB150_70:
	v_mov_b32_e32 v10, 0
	v_mov_b32_e32 v11, 0
.LBB150_71:
	s_waitcnt vmcnt(0)
	v_add_f64 v[6:7], v[6:7], v[10:11]
	v_add_co_u32 v8, vcc_lo, v72, v8
	v_add_co_ci_u32_e64 v9, null, v73, v9, vcc_lo
	flat_store_dwordx2 v[8:9], v[6:7]
.LBB150_72:
	;; [unrolled: 31-line block ×31, first 2 shown]
	s_or_b32 exec_lo, exec_lo, s16
	v_add_nc_u32_e32 v68, 64, v71
	v_mad_i64_i32 v[64:65], null, v68, s43, 0
	v_mad_i64_i32 v[66:67], null, v68, s42, 0
	v_cmp_gt_i32_e64 s16, s41, v68
	v_lshlrev_b64 v[64:65], 3, v[64:65]
	s_and_b32 s4, s16, s4
	v_lshlrev_b64 v[66:67], 3, v[66:67]
	v_add_co_u32 v71, vcc_lo, s44, v64
	v_add_co_ci_u32_e64 v72, null, s45, v65, vcc_lo
	v_add_co_u32 v68, vcc_lo, s47, v66
	v_add_co_ci_u32_e64 v69, null, s48, v67, vcc_lo
	s_and_saveexec_b32 s40, s4
	s_xor_b32 s4, exec_lo, s40
	s_cbranch_execnz .LBB150_250
; %bb.218:
	s_or_b32 exec_lo, exec_lo, s4
	s_and_b32 s5, s16, s5
	s_and_saveexec_b32 s4, s5
	s_cbranch_execnz .LBB150_254
.LBB150_219:
	s_or_b32 exec_lo, exec_lo, s4
	s_and_b32 s5, s16, s6
	s_and_saveexec_b32 s4, s5
	s_cbranch_execnz .LBB150_258
.LBB150_220:
	s_or_b32 exec_lo, exec_lo, s4
	s_and_b32 s5, s16, s7
	s_and_saveexec_b32 s4, s5
	s_cbranch_execnz .LBB150_262
.LBB150_221:
	s_or_b32 exec_lo, exec_lo, s4
	s_and_b32 s5, s16, s8
	s_and_saveexec_b32 s4, s5
	s_cbranch_execnz .LBB150_266
.LBB150_222:
	s_or_b32 exec_lo, exec_lo, s4
	s_and_b32 s5, s16, s9
	s_and_saveexec_b32 s4, s5
	s_cbranch_execnz .LBB150_270
.LBB150_223:
	s_or_b32 exec_lo, exec_lo, s4
	s_and_b32 s5, s16, s10
	s_and_saveexec_b32 s4, s5
	s_cbranch_execnz .LBB150_274
.LBB150_224:
	s_or_b32 exec_lo, exec_lo, s4
	s_and_b32 s5, s16, s11
	s_and_saveexec_b32 s4, s5
	s_cbranch_execnz .LBB150_278
.LBB150_225:
	s_or_b32 exec_lo, exec_lo, s4
	s_and_b32 s5, s16, s12
	s_and_saveexec_b32 s4, s5
	s_cbranch_execnz .LBB150_282
.LBB150_226:
	s_or_b32 exec_lo, exec_lo, s4
	s_and_b32 s5, s16, s13
	s_and_saveexec_b32 s4, s5
	s_cbranch_execnz .LBB150_286
.LBB150_227:
	s_or_b32 exec_lo, exec_lo, s4
	s_and_b32 s5, s16, s14
	s_and_saveexec_b32 s4, s5
	s_cbranch_execnz .LBB150_290
.LBB150_228:
	s_or_b32 exec_lo, exec_lo, s4
	s_and_b32 s5, s16, s15
	s_and_saveexec_b32 s4, s5
	s_cbranch_execnz .LBB150_294
.LBB150_229:
	s_or_b32 exec_lo, exec_lo, s4
	s_and_b32 s5, s16, s17
	s_and_saveexec_b32 s4, s5
	s_cbranch_execnz .LBB150_298
.LBB150_230:
	s_or_b32 exec_lo, exec_lo, s4
	s_and_b32 s5, s16, s18
	s_and_saveexec_b32 s4, s5
	s_cbranch_execnz .LBB150_302
.LBB150_231:
	s_or_b32 exec_lo, exec_lo, s4
	s_and_b32 s5, s16, s19
	s_and_saveexec_b32 s4, s5
	s_cbranch_execnz .LBB150_306
.LBB150_232:
	s_or_b32 exec_lo, exec_lo, s4
	s_and_b32 s5, s16, s20
	s_and_saveexec_b32 s4, s5
	s_cbranch_execnz .LBB150_310
.LBB150_233:
	s_or_b32 exec_lo, exec_lo, s4
	s_and_b32 s5, s16, s21
	s_and_saveexec_b32 s4, s5
	s_cbranch_execnz .LBB150_314
.LBB150_234:
	s_or_b32 exec_lo, exec_lo, s4
	s_and_b32 s5, s16, s22
	s_and_saveexec_b32 s4, s5
	s_cbranch_execnz .LBB150_318
.LBB150_235:
	s_or_b32 exec_lo, exec_lo, s4
	s_and_b32 s5, s16, s23
	s_and_saveexec_b32 s4, s5
	s_cbranch_execnz .LBB150_322
.LBB150_236:
	s_or_b32 exec_lo, exec_lo, s4
	s_and_b32 s5, s16, s24
	s_and_saveexec_b32 s4, s5
	s_cbranch_execnz .LBB150_326
.LBB150_237:
	s_or_b32 exec_lo, exec_lo, s4
	s_and_b32 s5, s16, s25
	s_and_saveexec_b32 s4, s5
	s_cbranch_execnz .LBB150_330
.LBB150_238:
	s_or_b32 exec_lo, exec_lo, s4
	s_and_b32 s5, s16, s26
	s_and_saveexec_b32 s4, s5
	s_cbranch_execnz .LBB150_334
.LBB150_239:
	s_or_b32 exec_lo, exec_lo, s4
	s_and_b32 s5, s16, s27
	s_and_saveexec_b32 s4, s5
	s_cbranch_execnz .LBB150_338
.LBB150_240:
	s_or_b32 exec_lo, exec_lo, s4
	s_and_b32 s5, s16, s28
	s_and_saveexec_b32 s4, s5
	s_cbranch_execnz .LBB150_342
.LBB150_241:
	s_or_b32 exec_lo, exec_lo, s4
	s_and_b32 s5, s16, s29
	s_and_saveexec_b32 s4, s5
	s_cbranch_execnz .LBB150_346
.LBB150_242:
	s_or_b32 exec_lo, exec_lo, s4
	s_and_b32 s5, s16, s30
	s_and_saveexec_b32 s4, s5
	s_cbranch_execnz .LBB150_350
.LBB150_243:
	s_or_b32 exec_lo, exec_lo, s4
	s_and_b32 s5, s16, s31
	s_and_saveexec_b32 s4, s5
	s_cbranch_execnz .LBB150_354
.LBB150_244:
	s_or_b32 exec_lo, exec_lo, s4
	s_and_b32 s5, s16, s33
	s_and_saveexec_b32 s4, s5
	s_cbranch_execnz .LBB150_358
.LBB150_245:
	s_or_b32 exec_lo, exec_lo, s4
	s_and_b32 s5, s16, s34
	s_and_saveexec_b32 s4, s5
	s_cbranch_execnz .LBB150_362
.LBB150_246:
	s_or_b32 exec_lo, exec_lo, s4
	s_and_b32 s5, s16, s35
	s_and_saveexec_b32 s4, s5
	s_cbranch_execnz .LBB150_366
.LBB150_247:
	s_or_b32 exec_lo, exec_lo, s4
	s_and_b32 s5, s16, s36
	s_and_saveexec_b32 s4, s5
	s_cbranch_execnz .LBB150_370
.LBB150_248:
	s_or_b32 exec_lo, exec_lo, s4
	s_and_b32 s4, s16, s37
	s_and_saveexec_b32 s5, s4
	s_cbranch_execnz .LBB150_374
.LBB150_249:
	s_endpgm
.LBB150_250:
	s_clause 0x1
	buffer_load_dword v64, off, s[0:3], 0 offset:256
	buffer_load_dword v65, off, s[0:3], 0 offset:260
	v_lshlrev_b64 v[0:1], 3, v[0:1]
	s_andn2_b32 vcc_lo, exec_lo, s46
	s_cbranch_vccnz .LBB150_252
; %bb.251:
	v_add_co_u32 v66, vcc_lo, v71, v0
	v_add_co_ci_u32_e64 v67, null, v72, v1, vcc_lo
	flat_load_dwordx2 v[66:67], v[66:67]
	s_waitcnt vmcnt(0) lgkmcnt(0)
	v_mul_f64 v[66:67], s[38:39], v[66:67]
	s_branch .LBB150_253
.LBB150_252:
	v_mov_b32_e32 v66, 0
	v_mov_b32_e32 v67, 0
.LBB150_253:
	s_waitcnt vmcnt(0)
	v_add_f64 v[64:65], v[64:65], v[66:67]
	v_add_co_u32 v0, vcc_lo, v68, v0
	v_add_co_ci_u32_e64 v1, null, v69, v1, vcc_lo
	flat_store_dwordx2 v[0:1], v[64:65]
	s_or_b32 exec_lo, exec_lo, s4
	s_and_b32 s5, s16, s5
	s_and_saveexec_b32 s4, s5
	s_cbranch_execz .LBB150_219
.LBB150_254:
	s_clause 0x1
	buffer_load_dword v0, off, s[0:3], 0 offset:264
	buffer_load_dword v1, off, s[0:3], 0 offset:268
	v_cmp_ne_u32_e32 vcc_lo, 1, v70
	v_lshlrev_b64 v[2:3], 3, v[2:3]
	s_cbranch_vccnz .LBB150_256
; %bb.255:
	v_add_co_u32 v64, vcc_lo, v71, v2
	v_add_co_ci_u32_e64 v65, null, v72, v3, vcc_lo
	flat_load_dwordx2 v[64:65], v[64:65]
	s_waitcnt vmcnt(0) lgkmcnt(0)
	v_mul_f64 v[64:65], s[38:39], v[64:65]
	s_branch .LBB150_257
.LBB150_256:
	v_mov_b32_e32 v64, 0
	v_mov_b32_e32 v65, 0
.LBB150_257:
	s_waitcnt vmcnt(0)
	v_add_f64 v[0:1], v[0:1], v[64:65]
	v_add_co_u32 v2, vcc_lo, v68, v2
	v_add_co_ci_u32_e64 v3, null, v69, v3, vcc_lo
	flat_store_dwordx2 v[2:3], v[0:1]
	s_or_b32 exec_lo, exec_lo, s4
	s_and_b32 s5, s16, s6
	s_and_saveexec_b32 s4, s5
	s_cbranch_execz .LBB150_220
.LBB150_258:
	s_clause 0x1
	buffer_load_dword v0, off, s[0:3], 0 offset:272
	buffer_load_dword v1, off, s[0:3], 0 offset:276
	v_cmp_ne_u32_e32 vcc_lo, 1, v70
	v_lshlrev_b64 v[2:3], 3, v[4:5]
	s_cbranch_vccnz .LBB150_260
; %bb.259:
	v_add_co_u32 v4, vcc_lo, v71, v2
	v_add_co_ci_u32_e64 v5, null, v72, v3, vcc_lo
	flat_load_dwordx2 v[4:5], v[4:5]
	s_waitcnt vmcnt(0) lgkmcnt(0)
	v_mul_f64 v[4:5], s[38:39], v[4:5]
	s_branch .LBB150_261
.LBB150_260:
	v_mov_b32_e32 v4, 0
	v_mov_b32_e32 v5, 0
.LBB150_261:
	s_waitcnt vmcnt(0)
	v_add_f64 v[0:1], v[0:1], v[4:5]
	v_add_co_u32 v2, vcc_lo, v68, v2
	v_add_co_ci_u32_e64 v3, null, v69, v3, vcc_lo
	flat_store_dwordx2 v[2:3], v[0:1]
	s_or_b32 exec_lo, exec_lo, s4
	s_and_b32 s5, s16, s7
	s_and_saveexec_b32 s4, s5
	s_cbranch_execz .LBB150_221
.LBB150_262:
	s_clause 0x1
	buffer_load_dword v0, off, s[0:3], 0 offset:280
	buffer_load_dword v1, off, s[0:3], 0 offset:284
	v_cmp_ne_u32_e32 vcc_lo, 1, v70
	v_lshlrev_b64 v[2:3], 3, v[6:7]
	s_cbranch_vccnz .LBB150_264
; %bb.263:
	v_add_co_u32 v4, vcc_lo, v71, v2
	v_add_co_ci_u32_e64 v5, null, v72, v3, vcc_lo
	flat_load_dwordx2 v[4:5], v[4:5]
	s_waitcnt vmcnt(0) lgkmcnt(0)
	v_mul_f64 v[4:5], s[38:39], v[4:5]
	s_branch .LBB150_265
.LBB150_264:
	v_mov_b32_e32 v4, 0
	v_mov_b32_e32 v5, 0
.LBB150_265:
	s_waitcnt vmcnt(0)
	v_add_f64 v[0:1], v[0:1], v[4:5]
	v_add_co_u32 v2, vcc_lo, v68, v2
	v_add_co_ci_u32_e64 v3, null, v69, v3, vcc_lo
	flat_store_dwordx2 v[2:3], v[0:1]
	s_or_b32 exec_lo, exec_lo, s4
	s_and_b32 s5, s16, s8
	s_and_saveexec_b32 s4, s5
	s_cbranch_execz .LBB150_222
.LBB150_266:
	s_clause 0x1
	buffer_load_dword v0, off, s[0:3], 0 offset:288
	buffer_load_dword v1, off, s[0:3], 0 offset:292
	v_cmp_ne_u32_e32 vcc_lo, 1, v70
	v_lshlrev_b64 v[2:3], 3, v[8:9]
	s_cbranch_vccnz .LBB150_268
; %bb.267:
	v_add_co_u32 v4, vcc_lo, v71, v2
	v_add_co_ci_u32_e64 v5, null, v72, v3, vcc_lo
	flat_load_dwordx2 v[4:5], v[4:5]
	s_waitcnt vmcnt(0) lgkmcnt(0)
	v_mul_f64 v[4:5], s[38:39], v[4:5]
	s_branch .LBB150_269
.LBB150_268:
	v_mov_b32_e32 v4, 0
	v_mov_b32_e32 v5, 0
.LBB150_269:
	s_waitcnt vmcnt(0)
	v_add_f64 v[0:1], v[0:1], v[4:5]
	v_add_co_u32 v2, vcc_lo, v68, v2
	v_add_co_ci_u32_e64 v3, null, v69, v3, vcc_lo
	flat_store_dwordx2 v[2:3], v[0:1]
	s_or_b32 exec_lo, exec_lo, s4
	s_and_b32 s5, s16, s9
	s_and_saveexec_b32 s4, s5
	s_cbranch_execz .LBB150_223
.LBB150_270:
	s_clause 0x1
	buffer_load_dword v0, off, s[0:3], 0 offset:296
	buffer_load_dword v1, off, s[0:3], 0 offset:300
	v_cmp_ne_u32_e32 vcc_lo, 1, v70
	v_lshlrev_b64 v[2:3], 3, v[10:11]
	s_cbranch_vccnz .LBB150_272
; %bb.271:
	v_add_co_u32 v4, vcc_lo, v71, v2
	v_add_co_ci_u32_e64 v5, null, v72, v3, vcc_lo
	flat_load_dwordx2 v[4:5], v[4:5]
	s_waitcnt vmcnt(0) lgkmcnt(0)
	v_mul_f64 v[4:5], s[38:39], v[4:5]
	s_branch .LBB150_273
.LBB150_272:
	v_mov_b32_e32 v4, 0
	v_mov_b32_e32 v5, 0
.LBB150_273:
	s_waitcnt vmcnt(0)
	v_add_f64 v[0:1], v[0:1], v[4:5]
	v_add_co_u32 v2, vcc_lo, v68, v2
	v_add_co_ci_u32_e64 v3, null, v69, v3, vcc_lo
	flat_store_dwordx2 v[2:3], v[0:1]
	s_or_b32 exec_lo, exec_lo, s4
	s_and_b32 s5, s16, s10
	s_and_saveexec_b32 s4, s5
	s_cbranch_execz .LBB150_224
.LBB150_274:
	s_clause 0x1
	buffer_load_dword v0, off, s[0:3], 0 offset:304
	buffer_load_dword v1, off, s[0:3], 0 offset:308
	v_cmp_ne_u32_e32 vcc_lo, 1, v70
	v_lshlrev_b64 v[2:3], 3, v[12:13]
	s_cbranch_vccnz .LBB150_276
; %bb.275:
	v_add_co_u32 v4, vcc_lo, v71, v2
	v_add_co_ci_u32_e64 v5, null, v72, v3, vcc_lo
	flat_load_dwordx2 v[4:5], v[4:5]
	s_waitcnt vmcnt(0) lgkmcnt(0)
	v_mul_f64 v[4:5], s[38:39], v[4:5]
	s_branch .LBB150_277
.LBB150_276:
	v_mov_b32_e32 v4, 0
	v_mov_b32_e32 v5, 0
.LBB150_277:
	s_waitcnt vmcnt(0)
	v_add_f64 v[0:1], v[0:1], v[4:5]
	v_add_co_u32 v2, vcc_lo, v68, v2
	v_add_co_ci_u32_e64 v3, null, v69, v3, vcc_lo
	flat_store_dwordx2 v[2:3], v[0:1]
	s_or_b32 exec_lo, exec_lo, s4
	s_and_b32 s5, s16, s11
	s_and_saveexec_b32 s4, s5
	s_cbranch_execz .LBB150_225
.LBB150_278:
	s_clause 0x1
	buffer_load_dword v0, off, s[0:3], 0 offset:312
	buffer_load_dword v1, off, s[0:3], 0 offset:316
	v_cmp_ne_u32_e32 vcc_lo, 1, v70
	v_lshlrev_b64 v[2:3], 3, v[14:15]
	s_cbranch_vccnz .LBB150_280
; %bb.279:
	v_add_co_u32 v4, vcc_lo, v71, v2
	v_add_co_ci_u32_e64 v5, null, v72, v3, vcc_lo
	flat_load_dwordx2 v[4:5], v[4:5]
	s_waitcnt vmcnt(0) lgkmcnt(0)
	v_mul_f64 v[4:5], s[38:39], v[4:5]
	s_branch .LBB150_281
.LBB150_280:
	v_mov_b32_e32 v4, 0
	v_mov_b32_e32 v5, 0
.LBB150_281:
	s_waitcnt vmcnt(0)
	v_add_f64 v[0:1], v[0:1], v[4:5]
	v_add_co_u32 v2, vcc_lo, v68, v2
	v_add_co_ci_u32_e64 v3, null, v69, v3, vcc_lo
	flat_store_dwordx2 v[2:3], v[0:1]
	s_or_b32 exec_lo, exec_lo, s4
	s_and_b32 s5, s16, s12
	s_and_saveexec_b32 s4, s5
	s_cbranch_execz .LBB150_226
.LBB150_282:
	s_clause 0x1
	buffer_load_dword v0, off, s[0:3], 0 offset:320
	buffer_load_dword v1, off, s[0:3], 0 offset:324
	v_cmp_ne_u32_e32 vcc_lo, 1, v70
	v_lshlrev_b64 v[2:3], 3, v[16:17]
	s_cbranch_vccnz .LBB150_284
; %bb.283:
	v_add_co_u32 v4, vcc_lo, v71, v2
	v_add_co_ci_u32_e64 v5, null, v72, v3, vcc_lo
	flat_load_dwordx2 v[4:5], v[4:5]
	s_waitcnt vmcnt(0) lgkmcnt(0)
	v_mul_f64 v[4:5], s[38:39], v[4:5]
	s_branch .LBB150_285
.LBB150_284:
	v_mov_b32_e32 v4, 0
	v_mov_b32_e32 v5, 0
.LBB150_285:
	s_waitcnt vmcnt(0)
	v_add_f64 v[0:1], v[0:1], v[4:5]
	v_add_co_u32 v2, vcc_lo, v68, v2
	v_add_co_ci_u32_e64 v3, null, v69, v3, vcc_lo
	flat_store_dwordx2 v[2:3], v[0:1]
	s_or_b32 exec_lo, exec_lo, s4
	s_and_b32 s5, s16, s13
	s_and_saveexec_b32 s4, s5
	s_cbranch_execz .LBB150_227
.LBB150_286:
	s_clause 0x1
	buffer_load_dword v0, off, s[0:3], 0 offset:328
	buffer_load_dword v1, off, s[0:3], 0 offset:332
	v_cmp_ne_u32_e32 vcc_lo, 1, v70
	v_lshlrev_b64 v[2:3], 3, v[18:19]
	s_cbranch_vccnz .LBB150_288
; %bb.287:
	v_add_co_u32 v4, vcc_lo, v71, v2
	v_add_co_ci_u32_e64 v5, null, v72, v3, vcc_lo
	flat_load_dwordx2 v[4:5], v[4:5]
	s_waitcnt vmcnt(0) lgkmcnt(0)
	v_mul_f64 v[4:5], s[38:39], v[4:5]
	s_branch .LBB150_289
.LBB150_288:
	v_mov_b32_e32 v4, 0
	v_mov_b32_e32 v5, 0
.LBB150_289:
	s_waitcnt vmcnt(0)
	v_add_f64 v[0:1], v[0:1], v[4:5]
	v_add_co_u32 v2, vcc_lo, v68, v2
	v_add_co_ci_u32_e64 v3, null, v69, v3, vcc_lo
	flat_store_dwordx2 v[2:3], v[0:1]
	s_or_b32 exec_lo, exec_lo, s4
	s_and_b32 s5, s16, s14
	s_and_saveexec_b32 s4, s5
	s_cbranch_execz .LBB150_228
.LBB150_290:
	s_clause 0x1
	buffer_load_dword v0, off, s[0:3], 0 offset:336
	buffer_load_dword v1, off, s[0:3], 0 offset:340
	v_cmp_ne_u32_e32 vcc_lo, 1, v70
	v_lshlrev_b64 v[2:3], 3, v[20:21]
	s_cbranch_vccnz .LBB150_292
; %bb.291:
	v_add_co_u32 v4, vcc_lo, v71, v2
	v_add_co_ci_u32_e64 v5, null, v72, v3, vcc_lo
	flat_load_dwordx2 v[4:5], v[4:5]
	s_waitcnt vmcnt(0) lgkmcnt(0)
	v_mul_f64 v[4:5], s[38:39], v[4:5]
	s_branch .LBB150_293
.LBB150_292:
	v_mov_b32_e32 v4, 0
	v_mov_b32_e32 v5, 0
.LBB150_293:
	s_waitcnt vmcnt(0)
	v_add_f64 v[0:1], v[0:1], v[4:5]
	v_add_co_u32 v2, vcc_lo, v68, v2
	v_add_co_ci_u32_e64 v3, null, v69, v3, vcc_lo
	flat_store_dwordx2 v[2:3], v[0:1]
	s_or_b32 exec_lo, exec_lo, s4
	s_and_b32 s5, s16, s15
	s_and_saveexec_b32 s4, s5
	s_cbranch_execz .LBB150_229
.LBB150_294:
	s_clause 0x1
	buffer_load_dword v0, off, s[0:3], 0 offset:344
	buffer_load_dword v1, off, s[0:3], 0 offset:348
	v_cmp_ne_u32_e32 vcc_lo, 1, v70
	v_lshlrev_b64 v[2:3], 3, v[22:23]
	s_cbranch_vccnz .LBB150_296
; %bb.295:
	v_add_co_u32 v4, vcc_lo, v71, v2
	v_add_co_ci_u32_e64 v5, null, v72, v3, vcc_lo
	flat_load_dwordx2 v[4:5], v[4:5]
	s_waitcnt vmcnt(0) lgkmcnt(0)
	v_mul_f64 v[4:5], s[38:39], v[4:5]
	s_branch .LBB150_297
.LBB150_296:
	v_mov_b32_e32 v4, 0
	v_mov_b32_e32 v5, 0
.LBB150_297:
	s_waitcnt vmcnt(0)
	v_add_f64 v[0:1], v[0:1], v[4:5]
	v_add_co_u32 v2, vcc_lo, v68, v2
	v_add_co_ci_u32_e64 v3, null, v69, v3, vcc_lo
	flat_store_dwordx2 v[2:3], v[0:1]
	s_or_b32 exec_lo, exec_lo, s4
	s_and_b32 s5, s16, s17
	s_and_saveexec_b32 s4, s5
	s_cbranch_execz .LBB150_230
.LBB150_298:
	s_clause 0x1
	buffer_load_dword v0, off, s[0:3], 0 offset:352
	buffer_load_dword v1, off, s[0:3], 0 offset:356
	v_cmp_ne_u32_e32 vcc_lo, 1, v70
	v_lshlrev_b64 v[2:3], 3, v[24:25]
	s_cbranch_vccnz .LBB150_300
; %bb.299:
	v_add_co_u32 v4, vcc_lo, v71, v2
	v_add_co_ci_u32_e64 v5, null, v72, v3, vcc_lo
	flat_load_dwordx2 v[4:5], v[4:5]
	s_waitcnt vmcnt(0) lgkmcnt(0)
	v_mul_f64 v[4:5], s[38:39], v[4:5]
	s_branch .LBB150_301
.LBB150_300:
	v_mov_b32_e32 v4, 0
	v_mov_b32_e32 v5, 0
.LBB150_301:
	s_waitcnt vmcnt(0)
	v_add_f64 v[0:1], v[0:1], v[4:5]
	v_add_co_u32 v2, vcc_lo, v68, v2
	v_add_co_ci_u32_e64 v3, null, v69, v3, vcc_lo
	flat_store_dwordx2 v[2:3], v[0:1]
	s_or_b32 exec_lo, exec_lo, s4
	s_and_b32 s5, s16, s18
	s_and_saveexec_b32 s4, s5
	s_cbranch_execz .LBB150_231
.LBB150_302:
	s_clause 0x1
	buffer_load_dword v0, off, s[0:3], 0 offset:360
	buffer_load_dword v1, off, s[0:3], 0 offset:364
	v_cmp_ne_u32_e32 vcc_lo, 1, v70
	v_lshlrev_b64 v[2:3], 3, v[26:27]
	s_cbranch_vccnz .LBB150_304
; %bb.303:
	v_add_co_u32 v4, vcc_lo, v71, v2
	v_add_co_ci_u32_e64 v5, null, v72, v3, vcc_lo
	flat_load_dwordx2 v[4:5], v[4:5]
	s_waitcnt vmcnt(0) lgkmcnt(0)
	v_mul_f64 v[4:5], s[38:39], v[4:5]
	s_branch .LBB150_305
.LBB150_304:
	v_mov_b32_e32 v4, 0
	v_mov_b32_e32 v5, 0
.LBB150_305:
	s_waitcnt vmcnt(0)
	v_add_f64 v[0:1], v[0:1], v[4:5]
	v_add_co_u32 v2, vcc_lo, v68, v2
	v_add_co_ci_u32_e64 v3, null, v69, v3, vcc_lo
	flat_store_dwordx2 v[2:3], v[0:1]
	s_or_b32 exec_lo, exec_lo, s4
	s_and_b32 s5, s16, s19
	s_and_saveexec_b32 s4, s5
	s_cbranch_execz .LBB150_232
.LBB150_306:
	s_clause 0x1
	buffer_load_dword v0, off, s[0:3], 0 offset:368
	buffer_load_dword v1, off, s[0:3], 0 offset:372
	v_cmp_ne_u32_e32 vcc_lo, 1, v70
	v_lshlrev_b64 v[2:3], 3, v[28:29]
	s_cbranch_vccnz .LBB150_308
; %bb.307:
	v_add_co_u32 v4, vcc_lo, v71, v2
	v_add_co_ci_u32_e64 v5, null, v72, v3, vcc_lo
	flat_load_dwordx2 v[4:5], v[4:5]
	s_waitcnt vmcnt(0) lgkmcnt(0)
	v_mul_f64 v[4:5], s[38:39], v[4:5]
	s_branch .LBB150_309
.LBB150_308:
	v_mov_b32_e32 v4, 0
	v_mov_b32_e32 v5, 0
.LBB150_309:
	s_waitcnt vmcnt(0)
	v_add_f64 v[0:1], v[0:1], v[4:5]
	v_add_co_u32 v2, vcc_lo, v68, v2
	v_add_co_ci_u32_e64 v3, null, v69, v3, vcc_lo
	flat_store_dwordx2 v[2:3], v[0:1]
	s_or_b32 exec_lo, exec_lo, s4
	s_and_b32 s5, s16, s20
	s_and_saveexec_b32 s4, s5
	s_cbranch_execz .LBB150_233
.LBB150_310:
	s_clause 0x1
	buffer_load_dword v0, off, s[0:3], 0 offset:376
	buffer_load_dword v1, off, s[0:3], 0 offset:380
	v_cmp_ne_u32_e32 vcc_lo, 1, v70
	v_lshlrev_b64 v[2:3], 3, v[30:31]
	s_cbranch_vccnz .LBB150_312
; %bb.311:
	v_add_co_u32 v4, vcc_lo, v71, v2
	v_add_co_ci_u32_e64 v5, null, v72, v3, vcc_lo
	flat_load_dwordx2 v[4:5], v[4:5]
	s_waitcnt vmcnt(0) lgkmcnt(0)
	v_mul_f64 v[4:5], s[38:39], v[4:5]
	s_branch .LBB150_313
.LBB150_312:
	v_mov_b32_e32 v4, 0
	v_mov_b32_e32 v5, 0
.LBB150_313:
	s_waitcnt vmcnt(0)
	v_add_f64 v[0:1], v[0:1], v[4:5]
	v_add_co_u32 v2, vcc_lo, v68, v2
	v_add_co_ci_u32_e64 v3, null, v69, v3, vcc_lo
	flat_store_dwordx2 v[2:3], v[0:1]
	s_or_b32 exec_lo, exec_lo, s4
	s_and_b32 s5, s16, s21
	s_and_saveexec_b32 s4, s5
	s_cbranch_execz .LBB150_234
.LBB150_314:
	s_clause 0x1
	buffer_load_dword v0, off, s[0:3], 0 offset:384
	buffer_load_dword v1, off, s[0:3], 0 offset:388
	v_cmp_ne_u32_e32 vcc_lo, 1, v70
	v_lshlrev_b64 v[2:3], 3, v[32:33]
	s_cbranch_vccnz .LBB150_316
; %bb.315:
	v_add_co_u32 v4, vcc_lo, v71, v2
	v_add_co_ci_u32_e64 v5, null, v72, v3, vcc_lo
	flat_load_dwordx2 v[4:5], v[4:5]
	s_waitcnt vmcnt(0) lgkmcnt(0)
	v_mul_f64 v[4:5], s[38:39], v[4:5]
	s_branch .LBB150_317
.LBB150_316:
	v_mov_b32_e32 v4, 0
	v_mov_b32_e32 v5, 0
.LBB150_317:
	s_waitcnt vmcnt(0)
	v_add_f64 v[0:1], v[0:1], v[4:5]
	v_add_co_u32 v2, vcc_lo, v68, v2
	v_add_co_ci_u32_e64 v3, null, v69, v3, vcc_lo
	flat_store_dwordx2 v[2:3], v[0:1]
	s_or_b32 exec_lo, exec_lo, s4
	s_and_b32 s5, s16, s22
	s_and_saveexec_b32 s4, s5
	s_cbranch_execz .LBB150_235
.LBB150_318:
	s_clause 0x1
	buffer_load_dword v0, off, s[0:3], 0 offset:392
	buffer_load_dword v1, off, s[0:3], 0 offset:396
	v_cmp_ne_u32_e32 vcc_lo, 1, v70
	v_lshlrev_b64 v[2:3], 3, v[34:35]
	s_cbranch_vccnz .LBB150_320
; %bb.319:
	v_add_co_u32 v4, vcc_lo, v71, v2
	v_add_co_ci_u32_e64 v5, null, v72, v3, vcc_lo
	flat_load_dwordx2 v[4:5], v[4:5]
	s_waitcnt vmcnt(0) lgkmcnt(0)
	v_mul_f64 v[4:5], s[38:39], v[4:5]
	s_branch .LBB150_321
.LBB150_320:
	v_mov_b32_e32 v4, 0
	v_mov_b32_e32 v5, 0
.LBB150_321:
	s_waitcnt vmcnt(0)
	v_add_f64 v[0:1], v[0:1], v[4:5]
	v_add_co_u32 v2, vcc_lo, v68, v2
	v_add_co_ci_u32_e64 v3, null, v69, v3, vcc_lo
	flat_store_dwordx2 v[2:3], v[0:1]
	s_or_b32 exec_lo, exec_lo, s4
	s_and_b32 s5, s16, s23
	s_and_saveexec_b32 s4, s5
	s_cbranch_execz .LBB150_236
.LBB150_322:
	s_clause 0x1
	buffer_load_dword v0, off, s[0:3], 0 offset:400
	buffer_load_dword v1, off, s[0:3], 0 offset:404
	v_cmp_ne_u32_e32 vcc_lo, 1, v70
	v_lshlrev_b64 v[2:3], 3, v[36:37]
	s_cbranch_vccnz .LBB150_324
; %bb.323:
	v_add_co_u32 v4, vcc_lo, v71, v2
	v_add_co_ci_u32_e64 v5, null, v72, v3, vcc_lo
	flat_load_dwordx2 v[4:5], v[4:5]
	s_waitcnt vmcnt(0) lgkmcnt(0)
	v_mul_f64 v[4:5], s[38:39], v[4:5]
	s_branch .LBB150_325
.LBB150_324:
	v_mov_b32_e32 v4, 0
	v_mov_b32_e32 v5, 0
.LBB150_325:
	s_waitcnt vmcnt(0)
	v_add_f64 v[0:1], v[0:1], v[4:5]
	v_add_co_u32 v2, vcc_lo, v68, v2
	v_add_co_ci_u32_e64 v3, null, v69, v3, vcc_lo
	flat_store_dwordx2 v[2:3], v[0:1]
	s_or_b32 exec_lo, exec_lo, s4
	s_and_b32 s5, s16, s24
	s_and_saveexec_b32 s4, s5
	s_cbranch_execz .LBB150_237
.LBB150_326:
	s_clause 0x1
	buffer_load_dword v0, off, s[0:3], 0 offset:408
	buffer_load_dword v1, off, s[0:3], 0 offset:412
	v_cmp_ne_u32_e32 vcc_lo, 1, v70
	v_lshlrev_b64 v[2:3], 3, v[38:39]
	s_cbranch_vccnz .LBB150_328
; %bb.327:
	v_add_co_u32 v4, vcc_lo, v71, v2
	v_add_co_ci_u32_e64 v5, null, v72, v3, vcc_lo
	flat_load_dwordx2 v[4:5], v[4:5]
	s_waitcnt vmcnt(0) lgkmcnt(0)
	v_mul_f64 v[4:5], s[38:39], v[4:5]
	s_branch .LBB150_329
.LBB150_328:
	v_mov_b32_e32 v4, 0
	v_mov_b32_e32 v5, 0
.LBB150_329:
	s_waitcnt vmcnt(0)
	v_add_f64 v[0:1], v[0:1], v[4:5]
	v_add_co_u32 v2, vcc_lo, v68, v2
	v_add_co_ci_u32_e64 v3, null, v69, v3, vcc_lo
	flat_store_dwordx2 v[2:3], v[0:1]
	s_or_b32 exec_lo, exec_lo, s4
	s_and_b32 s5, s16, s25
	s_and_saveexec_b32 s4, s5
	s_cbranch_execz .LBB150_238
.LBB150_330:
	s_clause 0x1
	buffer_load_dword v0, off, s[0:3], 0 offset:416
	buffer_load_dword v1, off, s[0:3], 0 offset:420
	v_cmp_ne_u32_e32 vcc_lo, 1, v70
	v_lshlrev_b64 v[2:3], 3, v[40:41]
	s_cbranch_vccnz .LBB150_332
; %bb.331:
	v_add_co_u32 v4, vcc_lo, v71, v2
	v_add_co_ci_u32_e64 v5, null, v72, v3, vcc_lo
	flat_load_dwordx2 v[4:5], v[4:5]
	s_waitcnt vmcnt(0) lgkmcnt(0)
	v_mul_f64 v[4:5], s[38:39], v[4:5]
	s_branch .LBB150_333
.LBB150_332:
	v_mov_b32_e32 v4, 0
	v_mov_b32_e32 v5, 0
.LBB150_333:
	s_waitcnt vmcnt(0)
	v_add_f64 v[0:1], v[0:1], v[4:5]
	v_add_co_u32 v2, vcc_lo, v68, v2
	v_add_co_ci_u32_e64 v3, null, v69, v3, vcc_lo
	flat_store_dwordx2 v[2:3], v[0:1]
	s_or_b32 exec_lo, exec_lo, s4
	s_and_b32 s5, s16, s26
	s_and_saveexec_b32 s4, s5
	s_cbranch_execz .LBB150_239
.LBB150_334:
	s_clause 0x1
	buffer_load_dword v0, off, s[0:3], 0 offset:424
	buffer_load_dword v1, off, s[0:3], 0 offset:428
	v_cmp_ne_u32_e32 vcc_lo, 1, v70
	v_lshlrev_b64 v[2:3], 3, v[42:43]
	s_cbranch_vccnz .LBB150_336
; %bb.335:
	v_add_co_u32 v4, vcc_lo, v71, v2
	v_add_co_ci_u32_e64 v5, null, v72, v3, vcc_lo
	flat_load_dwordx2 v[4:5], v[4:5]
	s_waitcnt vmcnt(0) lgkmcnt(0)
	v_mul_f64 v[4:5], s[38:39], v[4:5]
	s_branch .LBB150_337
.LBB150_336:
	v_mov_b32_e32 v4, 0
	v_mov_b32_e32 v5, 0
.LBB150_337:
	s_waitcnt vmcnt(0)
	v_add_f64 v[0:1], v[0:1], v[4:5]
	v_add_co_u32 v2, vcc_lo, v68, v2
	v_add_co_ci_u32_e64 v3, null, v69, v3, vcc_lo
	flat_store_dwordx2 v[2:3], v[0:1]
	s_or_b32 exec_lo, exec_lo, s4
	s_and_b32 s5, s16, s27
	s_and_saveexec_b32 s4, s5
	s_cbranch_execz .LBB150_240
.LBB150_338:
	s_clause 0x1
	buffer_load_dword v0, off, s[0:3], 0 offset:432
	buffer_load_dword v1, off, s[0:3], 0 offset:436
	v_cmp_ne_u32_e32 vcc_lo, 1, v70
	v_lshlrev_b64 v[2:3], 3, v[44:45]
	s_cbranch_vccnz .LBB150_340
; %bb.339:
	v_add_co_u32 v4, vcc_lo, v71, v2
	v_add_co_ci_u32_e64 v5, null, v72, v3, vcc_lo
	flat_load_dwordx2 v[4:5], v[4:5]
	s_waitcnt vmcnt(0) lgkmcnt(0)
	v_mul_f64 v[4:5], s[38:39], v[4:5]
	s_branch .LBB150_341
.LBB150_340:
	v_mov_b32_e32 v4, 0
	v_mov_b32_e32 v5, 0
.LBB150_341:
	s_waitcnt vmcnt(0)
	v_add_f64 v[0:1], v[0:1], v[4:5]
	v_add_co_u32 v2, vcc_lo, v68, v2
	v_add_co_ci_u32_e64 v3, null, v69, v3, vcc_lo
	flat_store_dwordx2 v[2:3], v[0:1]
	s_or_b32 exec_lo, exec_lo, s4
	s_and_b32 s5, s16, s28
	s_and_saveexec_b32 s4, s5
	s_cbranch_execz .LBB150_241
.LBB150_342:
	s_clause 0x1
	buffer_load_dword v0, off, s[0:3], 0 offset:440
	buffer_load_dword v1, off, s[0:3], 0 offset:444
	v_cmp_ne_u32_e32 vcc_lo, 1, v70
	v_lshlrev_b64 v[2:3], 3, v[46:47]
	s_cbranch_vccnz .LBB150_344
; %bb.343:
	v_add_co_u32 v4, vcc_lo, v71, v2
	v_add_co_ci_u32_e64 v5, null, v72, v3, vcc_lo
	flat_load_dwordx2 v[4:5], v[4:5]
	s_waitcnt vmcnt(0) lgkmcnt(0)
	v_mul_f64 v[4:5], s[38:39], v[4:5]
	s_branch .LBB150_345
.LBB150_344:
	v_mov_b32_e32 v4, 0
	v_mov_b32_e32 v5, 0
.LBB150_345:
	s_waitcnt vmcnt(0)
	v_add_f64 v[0:1], v[0:1], v[4:5]
	v_add_co_u32 v2, vcc_lo, v68, v2
	v_add_co_ci_u32_e64 v3, null, v69, v3, vcc_lo
	flat_store_dwordx2 v[2:3], v[0:1]
	s_or_b32 exec_lo, exec_lo, s4
	s_and_b32 s5, s16, s29
	s_and_saveexec_b32 s4, s5
	s_cbranch_execz .LBB150_242
.LBB150_346:
	s_clause 0x1
	buffer_load_dword v0, off, s[0:3], 0 offset:448
	buffer_load_dword v1, off, s[0:3], 0 offset:452
	v_cmp_ne_u32_e32 vcc_lo, 1, v70
	v_lshlrev_b64 v[2:3], 3, v[48:49]
	s_cbranch_vccnz .LBB150_348
; %bb.347:
	v_add_co_u32 v4, vcc_lo, v71, v2
	v_add_co_ci_u32_e64 v5, null, v72, v3, vcc_lo
	flat_load_dwordx2 v[4:5], v[4:5]
	s_waitcnt vmcnt(0) lgkmcnt(0)
	v_mul_f64 v[4:5], s[38:39], v[4:5]
	s_branch .LBB150_349
.LBB150_348:
	v_mov_b32_e32 v4, 0
	v_mov_b32_e32 v5, 0
.LBB150_349:
	s_waitcnt vmcnt(0)
	v_add_f64 v[0:1], v[0:1], v[4:5]
	v_add_co_u32 v2, vcc_lo, v68, v2
	v_add_co_ci_u32_e64 v3, null, v69, v3, vcc_lo
	flat_store_dwordx2 v[2:3], v[0:1]
	s_or_b32 exec_lo, exec_lo, s4
	s_and_b32 s5, s16, s30
	s_and_saveexec_b32 s4, s5
	s_cbranch_execz .LBB150_243
.LBB150_350:
	s_clause 0x1
	buffer_load_dword v0, off, s[0:3], 0 offset:456
	buffer_load_dword v1, off, s[0:3], 0 offset:460
	v_cmp_ne_u32_e32 vcc_lo, 1, v70
	v_lshlrev_b64 v[2:3], 3, v[50:51]
	s_cbranch_vccnz .LBB150_352
; %bb.351:
	v_add_co_u32 v4, vcc_lo, v71, v2
	v_add_co_ci_u32_e64 v5, null, v72, v3, vcc_lo
	flat_load_dwordx2 v[4:5], v[4:5]
	s_waitcnt vmcnt(0) lgkmcnt(0)
	v_mul_f64 v[4:5], s[38:39], v[4:5]
	s_branch .LBB150_353
.LBB150_352:
	v_mov_b32_e32 v4, 0
	v_mov_b32_e32 v5, 0
.LBB150_353:
	s_waitcnt vmcnt(0)
	v_add_f64 v[0:1], v[0:1], v[4:5]
	v_add_co_u32 v2, vcc_lo, v68, v2
	v_add_co_ci_u32_e64 v3, null, v69, v3, vcc_lo
	flat_store_dwordx2 v[2:3], v[0:1]
	s_or_b32 exec_lo, exec_lo, s4
	s_and_b32 s5, s16, s31
	s_and_saveexec_b32 s4, s5
	s_cbranch_execz .LBB150_244
.LBB150_354:
	s_clause 0x1
	buffer_load_dword v0, off, s[0:3], 0 offset:464
	buffer_load_dword v1, off, s[0:3], 0 offset:468
	v_cmp_ne_u32_e32 vcc_lo, 1, v70
	v_lshlrev_b64 v[2:3], 3, v[52:53]
	s_cbranch_vccnz .LBB150_356
; %bb.355:
	v_add_co_u32 v4, vcc_lo, v71, v2
	v_add_co_ci_u32_e64 v5, null, v72, v3, vcc_lo
	flat_load_dwordx2 v[4:5], v[4:5]
	s_waitcnt vmcnt(0) lgkmcnt(0)
	v_mul_f64 v[4:5], s[38:39], v[4:5]
	s_branch .LBB150_357
.LBB150_356:
	v_mov_b32_e32 v4, 0
	v_mov_b32_e32 v5, 0
.LBB150_357:
	s_waitcnt vmcnt(0)
	v_add_f64 v[0:1], v[0:1], v[4:5]
	v_add_co_u32 v2, vcc_lo, v68, v2
	v_add_co_ci_u32_e64 v3, null, v69, v3, vcc_lo
	flat_store_dwordx2 v[2:3], v[0:1]
	s_or_b32 exec_lo, exec_lo, s4
	s_and_b32 s5, s16, s33
	s_and_saveexec_b32 s4, s5
	s_cbranch_execz .LBB150_245
.LBB150_358:
	s_clause 0x1
	buffer_load_dword v0, off, s[0:3], 0 offset:472
	buffer_load_dword v1, off, s[0:3], 0 offset:476
	v_cmp_ne_u32_e32 vcc_lo, 1, v70
	v_lshlrev_b64 v[2:3], 3, v[54:55]
	s_cbranch_vccnz .LBB150_360
; %bb.359:
	v_add_co_u32 v4, vcc_lo, v71, v2
	v_add_co_ci_u32_e64 v5, null, v72, v3, vcc_lo
	flat_load_dwordx2 v[4:5], v[4:5]
	s_waitcnt vmcnt(0) lgkmcnt(0)
	v_mul_f64 v[4:5], s[38:39], v[4:5]
	s_branch .LBB150_361
.LBB150_360:
	v_mov_b32_e32 v4, 0
	v_mov_b32_e32 v5, 0
.LBB150_361:
	s_waitcnt vmcnt(0)
	v_add_f64 v[0:1], v[0:1], v[4:5]
	v_add_co_u32 v2, vcc_lo, v68, v2
	v_add_co_ci_u32_e64 v3, null, v69, v3, vcc_lo
	flat_store_dwordx2 v[2:3], v[0:1]
	s_or_b32 exec_lo, exec_lo, s4
	s_and_b32 s5, s16, s34
	s_and_saveexec_b32 s4, s5
	s_cbranch_execz .LBB150_246
.LBB150_362:
	s_clause 0x1
	buffer_load_dword v0, off, s[0:3], 0 offset:480
	buffer_load_dword v1, off, s[0:3], 0 offset:484
	v_cmp_ne_u32_e32 vcc_lo, 1, v70
	v_lshlrev_b64 v[2:3], 3, v[56:57]
	s_cbranch_vccnz .LBB150_364
; %bb.363:
	v_add_co_u32 v4, vcc_lo, v71, v2
	v_add_co_ci_u32_e64 v5, null, v72, v3, vcc_lo
	flat_load_dwordx2 v[4:5], v[4:5]
	s_waitcnt vmcnt(0) lgkmcnt(0)
	v_mul_f64 v[4:5], s[38:39], v[4:5]
	s_branch .LBB150_365
.LBB150_364:
	v_mov_b32_e32 v4, 0
	v_mov_b32_e32 v5, 0
.LBB150_365:
	s_waitcnt vmcnt(0)
	v_add_f64 v[0:1], v[0:1], v[4:5]
	v_add_co_u32 v2, vcc_lo, v68, v2
	v_add_co_ci_u32_e64 v3, null, v69, v3, vcc_lo
	flat_store_dwordx2 v[2:3], v[0:1]
	s_or_b32 exec_lo, exec_lo, s4
	s_and_b32 s5, s16, s35
	s_and_saveexec_b32 s4, s5
	s_cbranch_execz .LBB150_247
.LBB150_366:
	s_clause 0x1
	buffer_load_dword v0, off, s[0:3], 0 offset:488
	buffer_load_dword v1, off, s[0:3], 0 offset:492
	v_cmp_ne_u32_e32 vcc_lo, 1, v70
	v_lshlrev_b64 v[2:3], 3, v[58:59]
	s_cbranch_vccnz .LBB150_368
; %bb.367:
	v_add_co_u32 v4, vcc_lo, v71, v2
	v_add_co_ci_u32_e64 v5, null, v72, v3, vcc_lo
	flat_load_dwordx2 v[4:5], v[4:5]
	s_waitcnt vmcnt(0) lgkmcnt(0)
	v_mul_f64 v[4:5], s[38:39], v[4:5]
	s_branch .LBB150_369
.LBB150_368:
	v_mov_b32_e32 v4, 0
	v_mov_b32_e32 v5, 0
.LBB150_369:
	s_waitcnt vmcnt(0)
	v_add_f64 v[0:1], v[0:1], v[4:5]
	v_add_co_u32 v2, vcc_lo, v68, v2
	v_add_co_ci_u32_e64 v3, null, v69, v3, vcc_lo
	flat_store_dwordx2 v[2:3], v[0:1]
	s_or_b32 exec_lo, exec_lo, s4
	s_and_b32 s5, s16, s36
	s_and_saveexec_b32 s4, s5
	s_cbranch_execz .LBB150_248
.LBB150_370:
	s_clause 0x1
	buffer_load_dword v0, off, s[0:3], 0 offset:496
	buffer_load_dword v1, off, s[0:3], 0 offset:500
	v_cmp_ne_u32_e32 vcc_lo, 1, v70
	v_lshlrev_b64 v[2:3], 3, v[60:61]
	s_cbranch_vccnz .LBB150_372
; %bb.371:
	v_add_co_u32 v4, vcc_lo, v71, v2
	v_add_co_ci_u32_e64 v5, null, v72, v3, vcc_lo
	flat_load_dwordx2 v[4:5], v[4:5]
	s_waitcnt vmcnt(0) lgkmcnt(0)
	v_mul_f64 v[4:5], s[38:39], v[4:5]
	s_branch .LBB150_373
.LBB150_372:
	v_mov_b32_e32 v4, 0
	v_mov_b32_e32 v5, 0
.LBB150_373:
	s_waitcnt vmcnt(0)
	v_add_f64 v[0:1], v[0:1], v[4:5]
	v_add_co_u32 v2, vcc_lo, v68, v2
	v_add_co_ci_u32_e64 v3, null, v69, v3, vcc_lo
	flat_store_dwordx2 v[2:3], v[0:1]
	s_or_b32 exec_lo, exec_lo, s4
	s_and_b32 s4, s16, s37
	s_and_saveexec_b32 s5, s4
	s_cbranch_execz .LBB150_249
.LBB150_374:
	s_clause 0x1
	buffer_load_dword v0, off, s[0:3], 0 offset:504
	buffer_load_dword v1, off, s[0:3], 0 offset:508
	v_cmp_ne_u32_e32 vcc_lo, 1, v70
	v_lshlrev_b64 v[2:3], 3, v[62:63]
	s_cbranch_vccnz .LBB150_376
; %bb.375:
	v_add_co_u32 v4, vcc_lo, v71, v2
	v_add_co_ci_u32_e64 v5, null, v72, v3, vcc_lo
	flat_load_dwordx2 v[4:5], v[4:5]
	s_waitcnt vmcnt(0) lgkmcnt(0)
	v_mul_f64 v[4:5], s[38:39], v[4:5]
	s_branch .LBB150_377
.LBB150_376:
	v_mov_b32_e32 v4, 0
	v_mov_b32_e32 v5, 0
.LBB150_377:
	s_waitcnt vmcnt(0)
	v_add_f64 v[0:1], v[0:1], v[4:5]
	v_add_co_u32 v2, vcc_lo, v68, v2
	v_add_co_ci_u32_e64 v3, null, v69, v3, vcc_lo
	flat_store_dwordx2 v[2:3], v[0:1]
	s_endpgm
	.section	.rodata,"a",@progbits
	.p2align	6, 0x0
	.amdhsa_kernel _ZN12_GLOBAL__N_120geam_min_plus_kernelIdddLi4ELi64ELi128ELi128ELi4ELi4ELi64ELi64ELi4ELc84ELc84ELb0ELb1ELb0EPKdKS2_KPdEEviiiT16_PT17_ilS8_ilS6_S8_ilPT18_ili26rocblas_geam_ex_operation_
		.amdhsa_group_segment_fixed_size 16384
		.amdhsa_private_segment_fixed_size 528
		.amdhsa_kernarg_size 136
		.amdhsa_user_sgpr_count 6
		.amdhsa_user_sgpr_private_segment_buffer 1
		.amdhsa_user_sgpr_dispatch_ptr 0
		.amdhsa_user_sgpr_queue_ptr 0
		.amdhsa_user_sgpr_kernarg_segment_ptr 1
		.amdhsa_user_sgpr_dispatch_id 0
		.amdhsa_user_sgpr_flat_scratch_init 0
		.amdhsa_user_sgpr_private_segment_size 0
		.amdhsa_wavefront_size32 1
		.amdhsa_uses_dynamic_stack 0
		.amdhsa_system_sgpr_private_segment_wavefront_offset 1
		.amdhsa_system_sgpr_workgroup_id_x 1
		.amdhsa_system_sgpr_workgroup_id_y 0
		.amdhsa_system_sgpr_workgroup_id_z 1
		.amdhsa_system_sgpr_workgroup_info 0
		.amdhsa_system_vgpr_workitem_id 1
		.amdhsa_next_free_vgpr 225
		.amdhsa_next_free_sgpr 50
		.amdhsa_reserve_vcc 1
		.amdhsa_reserve_flat_scratch 0
		.amdhsa_float_round_mode_32 0
		.amdhsa_float_round_mode_16_64 0
		.amdhsa_float_denorm_mode_32 3
		.amdhsa_float_denorm_mode_16_64 3
		.amdhsa_dx10_clamp 1
		.amdhsa_ieee_mode 1
		.amdhsa_fp16_overflow 0
		.amdhsa_workgroup_processor_mode 1
		.amdhsa_memory_ordered 1
		.amdhsa_forward_progress 1
		.amdhsa_shared_vgpr_count 0
		.amdhsa_exception_fp_ieee_invalid_op 0
		.amdhsa_exception_fp_denorm_src 0
		.amdhsa_exception_fp_ieee_div_zero 0
		.amdhsa_exception_fp_ieee_overflow 0
		.amdhsa_exception_fp_ieee_underflow 0
		.amdhsa_exception_fp_ieee_inexact 0
		.amdhsa_exception_int_div_zero 0
	.end_amdhsa_kernel
	.section	.text._ZN12_GLOBAL__N_120geam_min_plus_kernelIdddLi4ELi64ELi128ELi128ELi4ELi4ELi64ELi64ELi4ELc84ELc84ELb0ELb1ELb0EPKdKS2_KPdEEviiiT16_PT17_ilS8_ilS6_S8_ilPT18_ili26rocblas_geam_ex_operation_,"axG",@progbits,_ZN12_GLOBAL__N_120geam_min_plus_kernelIdddLi4ELi64ELi128ELi128ELi4ELi4ELi64ELi64ELi4ELc84ELc84ELb0ELb1ELb0EPKdKS2_KPdEEviiiT16_PT17_ilS8_ilS6_S8_ilPT18_ili26rocblas_geam_ex_operation_,comdat
.Lfunc_end150:
	.size	_ZN12_GLOBAL__N_120geam_min_plus_kernelIdddLi4ELi64ELi128ELi128ELi4ELi4ELi64ELi64ELi4ELc84ELc84ELb0ELb1ELb0EPKdKS2_KPdEEviiiT16_PT17_ilS8_ilS6_S8_ilPT18_ili26rocblas_geam_ex_operation_, .Lfunc_end150-_ZN12_GLOBAL__N_120geam_min_plus_kernelIdddLi4ELi64ELi128ELi128ELi4ELi4ELi64ELi64ELi4ELc84ELc84ELb0ELb1ELb0EPKdKS2_KPdEEviiiT16_PT17_ilS8_ilS6_S8_ilPT18_ili26rocblas_geam_ex_operation_
                                        ; -- End function
	.set _ZN12_GLOBAL__N_120geam_min_plus_kernelIdddLi4ELi64ELi128ELi128ELi4ELi4ELi64ELi64ELi4ELc84ELc84ELb0ELb1ELb0EPKdKS2_KPdEEviiiT16_PT17_ilS8_ilS6_S8_ilPT18_ili26rocblas_geam_ex_operation_.num_vgpr, 225
	.set _ZN12_GLOBAL__N_120geam_min_plus_kernelIdddLi4ELi64ELi128ELi128ELi4ELi4ELi64ELi64ELi4ELc84ELc84ELb0ELb1ELb0EPKdKS2_KPdEEviiiT16_PT17_ilS8_ilS6_S8_ilPT18_ili26rocblas_geam_ex_operation_.num_agpr, 0
	.set _ZN12_GLOBAL__N_120geam_min_plus_kernelIdddLi4ELi64ELi128ELi128ELi4ELi4ELi64ELi64ELi4ELc84ELc84ELb0ELb1ELb0EPKdKS2_KPdEEviiiT16_PT17_ilS8_ilS6_S8_ilPT18_ili26rocblas_geam_ex_operation_.numbered_sgpr, 50
	.set _ZN12_GLOBAL__N_120geam_min_plus_kernelIdddLi4ELi64ELi128ELi128ELi4ELi4ELi64ELi64ELi4ELc84ELc84ELb0ELb1ELb0EPKdKS2_KPdEEviiiT16_PT17_ilS8_ilS6_S8_ilPT18_ili26rocblas_geam_ex_operation_.num_named_barrier, 0
	.set _ZN12_GLOBAL__N_120geam_min_plus_kernelIdddLi4ELi64ELi128ELi128ELi4ELi4ELi64ELi64ELi4ELc84ELc84ELb0ELb1ELb0EPKdKS2_KPdEEviiiT16_PT17_ilS8_ilS6_S8_ilPT18_ili26rocblas_geam_ex_operation_.private_seg_size, 528
	.set _ZN12_GLOBAL__N_120geam_min_plus_kernelIdddLi4ELi64ELi128ELi128ELi4ELi4ELi64ELi64ELi4ELc84ELc84ELb0ELb1ELb0EPKdKS2_KPdEEviiiT16_PT17_ilS8_ilS6_S8_ilPT18_ili26rocblas_geam_ex_operation_.uses_vcc, 1
	.set _ZN12_GLOBAL__N_120geam_min_plus_kernelIdddLi4ELi64ELi128ELi128ELi4ELi4ELi64ELi64ELi4ELc84ELc84ELb0ELb1ELb0EPKdKS2_KPdEEviiiT16_PT17_ilS8_ilS6_S8_ilPT18_ili26rocblas_geam_ex_operation_.uses_flat_scratch, 0
	.set _ZN12_GLOBAL__N_120geam_min_plus_kernelIdddLi4ELi64ELi128ELi128ELi4ELi4ELi64ELi64ELi4ELc84ELc84ELb0ELb1ELb0EPKdKS2_KPdEEviiiT16_PT17_ilS8_ilS6_S8_ilPT18_ili26rocblas_geam_ex_operation_.has_dyn_sized_stack, 0
	.set _ZN12_GLOBAL__N_120geam_min_plus_kernelIdddLi4ELi64ELi128ELi128ELi4ELi4ELi64ELi64ELi4ELc84ELc84ELb0ELb1ELb0EPKdKS2_KPdEEviiiT16_PT17_ilS8_ilS6_S8_ilPT18_ili26rocblas_geam_ex_operation_.has_recursion, 0
	.set _ZN12_GLOBAL__N_120geam_min_plus_kernelIdddLi4ELi64ELi128ELi128ELi4ELi4ELi64ELi64ELi4ELc84ELc84ELb0ELb1ELb0EPKdKS2_KPdEEviiiT16_PT17_ilS8_ilS6_S8_ilPT18_ili26rocblas_geam_ex_operation_.has_indirect_call, 0
	.section	.AMDGPU.csdata,"",@progbits
; Kernel info:
; codeLenInByte = 22044
; TotalNumSgprs: 52
; NumVgprs: 225
; ScratchSize: 528
; MemoryBound: 0
; FloatMode: 240
; IeeeMode: 1
; LDSByteSize: 16384 bytes/workgroup (compile time only)
; SGPRBlocks: 0
; VGPRBlocks: 28
; NumSGPRsForWavesPerEU: 52
; NumVGPRsForWavesPerEU: 225
; Occupancy: 4
; WaveLimiterHint : 1
; COMPUTE_PGM_RSRC2:SCRATCH_EN: 1
; COMPUTE_PGM_RSRC2:USER_SGPR: 6
; COMPUTE_PGM_RSRC2:TRAP_HANDLER: 0
; COMPUTE_PGM_RSRC2:TGID_X_EN: 1
; COMPUTE_PGM_RSRC2:TGID_Y_EN: 0
; COMPUTE_PGM_RSRC2:TGID_Z_EN: 1
; COMPUTE_PGM_RSRC2:TIDIG_COMP_CNT: 1
	.section	.text._ZN12_GLOBAL__N_120geam_min_plus_kernelIdddLi4ELi64ELi128ELi128ELi4ELi4ELi64ELi64ELi4ELc84ELc84ELb1ELb1ELb0EdKPKdKPdEEviiiT16_PT17_ilS8_ilS6_S8_ilPT18_ili26rocblas_geam_ex_operation_,"axG",@progbits,_ZN12_GLOBAL__N_120geam_min_plus_kernelIdddLi4ELi64ELi128ELi128ELi4ELi4ELi64ELi64ELi4ELc84ELc84ELb1ELb1ELb0EdKPKdKPdEEviiiT16_PT17_ilS8_ilS6_S8_ilPT18_ili26rocblas_geam_ex_operation_,comdat
	.globl	_ZN12_GLOBAL__N_120geam_min_plus_kernelIdddLi4ELi64ELi128ELi128ELi4ELi4ELi64ELi64ELi4ELc84ELc84ELb1ELb1ELb0EdKPKdKPdEEviiiT16_PT17_ilS8_ilS6_S8_ilPT18_ili26rocblas_geam_ex_operation_ ; -- Begin function _ZN12_GLOBAL__N_120geam_min_plus_kernelIdddLi4ELi64ELi128ELi128ELi4ELi4ELi64ELi64ELi4ELc84ELc84ELb1ELb1ELb0EdKPKdKPdEEviiiT16_PT17_ilS8_ilS6_S8_ilPT18_ili26rocblas_geam_ex_operation_
	.p2align	8
	.type	_ZN12_GLOBAL__N_120geam_min_plus_kernelIdddLi4ELi64ELi128ELi128ELi4ELi4ELi64ELi64ELi4ELc84ELc84ELb1ELb1ELb0EdKPKdKPdEEviiiT16_PT17_ilS8_ilS6_S8_ilPT18_ili26rocblas_geam_ex_operation_,@function
_ZN12_GLOBAL__N_120geam_min_plus_kernelIdddLi4ELi64ELi128ELi128ELi4ELi4ELi64ELi64ELi4ELc84ELc84ELb1ELb1ELb0EdKPKdKPdEEviiiT16_PT17_ilS8_ilS6_S8_ilPT18_ili26rocblas_geam_ex_operation_: ; @_ZN12_GLOBAL__N_120geam_min_plus_kernelIdddLi4ELi64ELi128ELi128ELi4ELi4ELi64ELi64ELi4ELc84ELc84ELb1ELb1ELb0EdKPKdKPdEEviiiT16_PT17_ilS8_ilS6_S8_ilPT18_ili26rocblas_geam_ex_operation_
; %bb.0:
	s_add_u32 s0, s0, s8
	s_clause 0x1
	s_load_dwordx4 s[12:15], s[4:5], 0x10
	s_load_dwordx4 s[8:11], s[4:5], 0x28
	s_mov_b32 s18, s7
	s_addc_u32 s1, s1, 0
	s_mov_b64 s[16:17], 0
	s_waitcnt lgkmcnt(0)
	v_cmp_eq_f64_e64 s7, s[12:13], 0
	s_and_b32 vcc_lo, exec_lo, s7
	s_cbranch_vccnz .LBB151_2
; %bb.1:
	s_mov_b32 s19, 0
	s_lshl_b64 s[12:13], s[18:19], 3
	s_add_u32 s12, s14, s12
	s_addc_u32 s13, s15, s13
	s_lshl_b64 s[8:9], s[8:9], 3
	s_load_dwordx2 s[12:13], s[12:13], 0x0
	s_waitcnt lgkmcnt(0)
	s_add_u32 s16, s12, s8
	s_addc_u32 s17, s13, s9
.LBB151_2:
	s_clause 0x1
	s_load_dwordx4 s[36:39], s[4:5], 0x40
	s_load_dwordx2 s[12:13], s[4:5], 0x50
	s_andn2_b32 vcc_lo, exec_lo, s7
	s_mov_b32 s19, 0
	s_cbranch_vccnz .LBB151_4
; %bb.3:
	s_mov_b32 s7, s19
	s_mov_b64 s[44:45], 0
	s_andn2_b32 vcc_lo, exec_lo, s7
	s_mov_b64 s[14:15], 0
	s_cbranch_vccz .LBB151_5
	s_branch .LBB151_6
.LBB151_4:
	s_mov_b64 s[44:45], 0
	s_mov_b64 s[14:15], 0
.LBB151_5:
	s_lshl_b64 s[8:9], s[18:19], 3
	s_add_u32 s8, s10, s8
	s_addc_u32 s9, s11, s9
	s_waitcnt lgkmcnt(0)
	s_lshl_b64 s[10:11], s[36:37], 3
	s_load_dwordx2 s[8:9], s[8:9], 0x0
	s_waitcnt lgkmcnt(0)
	s_add_u32 s14, s8, s10
	s_addc_u32 s15, s9, s11
.LBB151_6:
	s_waitcnt lgkmcnt(0)
	v_cmp_eq_f64_e64 s7, s[38:39], 0
	v_cmp_neq_f64_e64 s46, s[38:39], 0
	s_load_dwordx4 s[8:11], s[4:5], 0x60
	s_and_b32 vcc_lo, exec_lo, s7
	s_cbranch_vccnz .LBB151_8
; %bb.7:
	s_lshl_b64 s[20:21], s[18:19], 3
	s_add_u32 s12, s12, s20
	s_addc_u32 s13, s13, s21
	s_waitcnt lgkmcnt(0)
	s_lshl_b64 s[8:9], s[8:9], 3
	s_load_dwordx2 s[12:13], s[12:13], 0x0
	s_waitcnt lgkmcnt(0)
	s_add_u32 s44, s12, s8
	s_addc_u32 s45, s13, s9
.LBB151_8:
	s_clause 0x1
	s_load_dwordx4 s[40:43], s[4:5], 0x0
	s_load_dword s22, s[4:5], 0x20
	s_waitcnt lgkmcnt(0)
	s_lshl_b64 s[8:9], s[18:19], 3
	v_lshl_add_u32 v6, v1, 2, v0
	s_add_u32 s8, s10, s8
	s_addc_u32 s9, s11, s9
	v_and_b32_e32 v86, 3, v0
	s_load_dwordx2 s[12:13], s[8:9], 0x0
	v_lshrrev_b32_e32 v80, 2, v6
	v_mov_b32_e32 v4, 0
	v_mov_b32_e32 v7, 0
	v_lshlrev_b32_e32 v82, 3, v86
	v_mov_b32_e32 v5, 0
	buffer_store_dword v7, off, s[0:3], 0 offset:4
	buffer_store_dword v7, off, s[0:3], 0
	buffer_store_dword v7, off, s[0:3], 0 offset:12
	buffer_store_dword v7, off, s[0:3], 0 offset:8
	;; [unrolled: 1-line block ×12, first 2 shown]
	s_add_i32 s7, s40, -1
	v_cmp_le_i32_e32 vcc_lo, s42, v86
	s_ashr_i32 s8, s7, 31
	buffer_store_dword v7, off, s[0:3], 0 offset:60
	s_lshr_b32 s8, s8, 25
	buffer_store_dword v7, off, s[0:3], 0 offset:56
	s_add_i32 s7, s7, s8
	buffer_store_dword v7, off, s[0:3], 0 offset:68
	buffer_store_dword v7, off, s[0:3], 0 offset:64
	;; [unrolled: 1-line block ×4, first 2 shown]
	s_ashr_i32 s7, s7, 7
	buffer_store_dword v7, off, s[0:3], 0 offset:84
	buffer_store_dword v7, off, s[0:3], 0 offset:80
	;; [unrolled: 1-line block ×9, first 2 shown]
	s_add_i32 s9, s7, 1
	s_not_b32 s7, s7
	v_cvt_f32_u32_e32 v2, s9
	buffer_store_dword v7, off, s[0:3], 0 offset:112
	buffer_store_dword v7, off, s[0:3], 0 offset:124
	;; [unrolled: 1-line block ×11, first 2 shown]
	v_rcp_iflag_f32_e32 v2, v2
	buffer_store_dword v7, off, s[0:3], 0 offset:164
	buffer_store_dword v7, off, s[0:3], 0 offset:160
	;; [unrolled: 1-line block ×9, first 2 shown]
	v_mul_f32_e32 v2, 0x4f7ffffe, v2
	buffer_store_dword v7, off, s[0:3], 0 offset:192
	buffer_store_dword v7, off, s[0:3], 0 offset:204
	;; [unrolled: 1-line block ×78, first 2 shown]
	v_cvt_u32_f32_e32 v2, v2
	buffer_store_dword v7, off, s[0:3], 0 offset:504
	v_readfirstlane_b32 s8, v2
	v_mov_b32_e32 v2, 0
	v_mov_b32_e32 v3, 0
	s_mul_i32 s7, s7, s8
	s_mul_hi_u32 s7, s8, s7
	s_add_i32 s8, s8, s7
	s_mul_hi_u32 s7, s6, s8
	s_mul_i32 s8, s7, s9
	s_add_i32 s10, s7, 1
	s_sub_i32 s8, s6, s8
	s_sub_i32 s11, s8, s9
	s_cmp_ge_u32 s8, s9
	s_cselect_b32 s7, s10, s7
	s_cselect_b32 s8, s11, s8
	s_add_i32 s10, s7, 1
	s_cmp_ge_u32 s8, s9
	s_cselect_b32 s8, s10, s7
	s_mul_i32 s7, s8, s9
	s_sub_i32 s6, s6, s7
	v_add_co_u32 v12, s7, s16, v82
	s_lshl_b32 s11, s6, 7
	v_add_co_ci_u32_e64 v13, null, s17, 0, s7
	v_add_nc_u32_e32 v81, s11, v80
	v_cmp_le_i32_e64 s6, s40, v81
	s_nor_b32 s7, vcc_lo, s6
	s_and_saveexec_b32 s9, s7
	s_cbranch_execz .LBB151_10
; %bb.9:
	v_mad_i64_i32 v[4:5], null, v81, s22, 0
	v_lshlrev_b64 v[4:5], 3, v[4:5]
	v_add_co_u32 v4, s7, v12, v4
	v_add_co_ci_u32_e64 v5, null, v13, v5, s7
	flat_load_dwordx2 v[4:5], v[4:5]
.LBB151_10:
	s_or_b32 exec_lo, exec_lo, s9
	v_add_nc_u32_e32 v83, 64, v81
	v_cmp_le_i32_e64 s7, s40, v83
	s_nor_b32 s10, vcc_lo, s7
	s_and_saveexec_b32 s9, s10
	s_cbranch_execz .LBB151_12
; %bb.11:
	v_mad_i64_i32 v[2:3], null, v83, s22, 0
	v_lshlrev_b64 v[2:3], 3, v[2:3]
	v_add_co_u32 v2, vcc_lo, v12, v2
	v_add_co_ci_u32_e64 v3, null, v13, v3, vcc_lo
	flat_load_dwordx2 v[2:3], v[2:3]
.LBB151_12:
	s_or_b32 exec_lo, exec_lo, s9
	s_load_dword s20, s[4:5], 0x38
	v_lshrrev_b32_e32 v87, 6, v6
	v_and_b32_e32 v20, 63, v6
	s_lshl_b32 s18, s8, 7
	v_mov_b32_e32 v16, 0
	v_mov_b32_e32 v18, 0
	v_cmp_le_i32_e32 vcc_lo, s42, v87
	v_or_b32_e32 v6, s18, v20
	v_mov_b32_e32 v17, 0
	v_mov_b32_e32 v19, 0
	v_cmp_le_i32_e64 s8, s41, v6
	s_waitcnt lgkmcnt(0)
	v_mad_i64_i32 v[7:8], null, s20, v87, 0
	v_lshlrev_b64 v[8:9], 3, v[7:8]
	v_ashrrev_i32_e32 v7, 31, v6
	v_add_co_u32 v8, s9, s14, v8
	v_add_co_ci_u32_e64 v9, null, s15, v9, s9
	s_nor_b32 s9, s8, vcc_lo
	s_and_saveexec_b32 s10, s9
	s_cbranch_execz .LBB151_14
; %bb.13:
	v_lshlrev_b64 v[10:11], 3, v[6:7]
	v_add_co_u32 v10, s9, v8, v10
	v_add_co_ci_u32_e64 v11, null, v9, v11, s9
	flat_load_dwordx2 v[18:19], v[10:11]
.LBB151_14:
	s_or_b32 exec_lo, exec_lo, s10
	v_or_b32_e32 v10, 64, v6
	s_ashr_i32 s21, s20, 31
	v_cmp_le_i32_e64 s9, s41, v10
	s_nor_b32 s19, s9, vcc_lo
	s_and_saveexec_b32 s10, s19
	s_cbranch_execz .LBB151_16
; %bb.15:
	v_lshlrev_b64 v[10:11], 3, v[6:7]
	v_add_co_u32 v8, vcc_lo, v8, v10
	v_add_co_ci_u32_e64 v9, null, v9, v11, vcc_lo
	flat_load_dwordx2 v[16:17], v[8:9] offset:512
.LBB151_16:
	s_or_b32 exec_lo, exec_lo, s10
	v_or_b32_e32 v8, 4, v86
	v_mov_b32_e32 v10, 0
	v_mov_b32_e32 v11, 0
	v_cmp_le_i32_e32 vcc_lo, s42, v8
	v_mov_b32_e32 v8, 0
	v_mov_b32_e32 v9, 0
	s_nor_b32 s10, vcc_lo, s6
	s_and_saveexec_b32 s19, s10
	s_cbranch_execz .LBB151_18
; %bb.17:
	v_mad_i64_i32 v[10:11], null, v81, s22, 0
	v_lshlrev_b64 v[10:11], 3, v[10:11]
	v_add_co_u32 v10, s10, v12, v10
	v_add_co_ci_u32_e64 v11, null, v13, v11, s10
	flat_load_dwordx2 v[10:11], v[10:11] offset:32
.LBB151_18:
	s_or_b32 exec_lo, exec_lo, s19
	s_nor_b32 s19, vcc_lo, s7
	s_and_saveexec_b32 s10, s19
	s_cbranch_execz .LBB151_20
; %bb.19:
	v_mad_i64_i32 v[8:9], null, v83, s22, 0
	v_lshlrev_b64 v[8:9], 3, v[8:9]
	v_add_co_u32 v8, vcc_lo, v12, v8
	v_add_co_ci_u32_e64 v9, null, v13, v9, vcc_lo
	flat_load_dwordx2 v[8:9], v[8:9] offset:32
.LBB151_20:
	s_or_b32 exec_lo, exec_lo, s10
	v_add_nc_u32_e32 v23, 4, v87
	v_mad_u64_u32 v[12:13], null, s20, v23, 0
	v_cmp_le_i32_e32 vcc_lo, s42, v23
	v_mad_u64_u32 v[13:14], null, s21, v23, v[13:14]
	v_mov_b32_e32 v14, 0
	v_mov_b32_e32 v15, 0
	v_lshlrev_b64 v[21:22], 3, v[12:13]
	v_mov_b32_e32 v12, 0
	v_mov_b32_e32 v13, 0
	v_add_co_u32 v21, s10, s14, v21
	v_add_co_ci_u32_e64 v22, null, s15, v22, s10
	s_nor_b32 s10, s8, vcc_lo
	s_and_saveexec_b32 s19, s10
	s_cbranch_execz .LBB151_22
; %bb.21:
	v_lshlrev_b64 v[14:15], 3, v[6:7]
	v_add_co_u32 v14, s10, v21, v14
	v_add_co_ci_u32_e64 v15, null, v22, v15, s10
	flat_load_dwordx2 v[14:15], v[14:15]
.LBB151_22:
	s_or_b32 exec_lo, exec_lo, s19
	s_nor_b32 s19, s9, vcc_lo
	s_and_saveexec_b32 s10, s19
	s_cbranch_execz .LBB151_24
; %bb.23:
	v_lshlrev_b64 v[12:13], 3, v[6:7]
	v_add_co_u32 v12, vcc_lo, v21, v12
	v_add_co_ci_u32_e64 v13, null, v22, v13, vcc_lo
	flat_load_dwordx2 v[12:13], v[12:13] offset:512
.LBB151_24:
	s_or_b32 exec_lo, exec_lo, s10
	v_lshlrev_b32_e32 v20, 5, v20
	v_lshlrev_b32_e32 v21, 5, v80
	v_lshlrev_b32_e32 v89, 5, v0
	v_lshl_or_b32 v91, v1, 5, 0x2000
	s_mov_b32 s19, 0
	v_lshl_add_u32 v84, v87, 3, v20
	v_lshl_or_b32 v88, v86, 3, v21
	s_addk_i32 s19, 0x100
	s_mov_b32 s10, 0
	v_add_nc_u32_e32 v90, 0x2000, v84
	s_waitcnt vmcnt(0)
	ds_write2st64_b64 v88, v[4:5], v[2:3] offset1:4
	s_waitcnt lgkmcnt(1)
	ds_write2st64_b64 v84, v[18:19], v[16:17] offset0:16 offset1:20
	s_waitcnt lgkmcnt(0)
	s_waitcnt_vscnt null, 0x0
	s_barrier
	buffer_gl0_inv
.LBB151_25:                             ; =>This Loop Header: Depth=1
                                        ;     Child Loop BB151_26 Depth 2
	s_lshl_b32 s23, s10, 3
	s_mov_b32 s24, 0
	v_add_nc_u32_e32 v16, s23, v89
	v_add_nc_u32_e32 v85, s23, v91
	s_mov_b32 s23, -1
	ds_read2_b64 v[2:5], v16 offset1:16
	ds_read2_b64 v[20:23], v16 offset0:32 offset1:48
	ds_read2_b64 v[24:27], v16 offset0:64 offset1:80
	;; [unrolled: 1-line block ×4, first 2 shown]
	v_add_nc_u32_e32 v76, 0x800, v16
	ds_read2_b64 v[36:39], v16 offset0:160 offset1:176
	ds_read2_b64 v[40:43], v16 offset0:192 offset1:208
	;; [unrolled: 1-line block ×3, first 2 shown]
	ds_read2_b64 v[48:51], v76 offset1:16
	ds_read2_b64 v[52:55], v76 offset0:32 offset1:48
	ds_read2_b64 v[56:59], v76 offset0:64 offset1:80
	;; [unrolled: 1-line block ×6, first 2 shown]
	s_waitcnt lgkmcnt(9)
	v_max_f64 v[36:37], v[36:37], v[36:37]
	v_max_f64 v[38:39], v[38:39], v[38:39]
	v_max_f64 v[16:17], v[2:3], v[2:3]
	v_max_f64 v[18:19], v[4:5], v[4:5]
	ds_read2_b64 v[2:5], v76 offset0:224 offset1:240
	v_max_f64 v[20:21], v[20:21], v[20:21]
	v_max_f64 v[22:23], v[22:23], v[22:23]
	v_max_f64 v[24:25], v[24:25], v[24:25]
	v_max_f64 v[26:27], v[26:27], v[26:27]
	v_max_f64 v[28:29], v[28:29], v[28:29]
	v_max_f64 v[30:31], v[30:31], v[30:31]
	v_max_f64 v[32:33], v[32:33], v[32:33]
	v_max_f64 v[34:35], v[34:35], v[34:35]
	s_waitcnt lgkmcnt(9)
	v_max_f64 v[40:41], v[40:41], v[40:41]
	v_max_f64 v[42:43], v[42:43], v[42:43]
	s_waitcnt lgkmcnt(8)
	v_max_f64 v[44:45], v[44:45], v[44:45]
	v_max_f64 v[46:47], v[46:47], v[46:47]
	;; [unrolled: 3-line block ×10, first 2 shown]
	ds_read2st64_b64 v[2:5], v85 offset1:4
.LBB151_26:                             ;   Parent Loop BB151_25 Depth=1
                                        ; =>  This Inner Loop Header: Depth=2
	v_mov_b32_e32 v85, s24
	s_waitcnt lgkmcnt(0)
	v_max_f64 v[156:157], v[2:3], v[2:3]
	v_mov_b32_e32 v2, v4
	v_mov_b32_e32 v3, v5
	s_and_b32 vcc_lo, exec_lo, s23
	s_clause 0x3e
	buffer_load_dword v92, v85, s[0:3], 0 offen
	buffer_load_dword v93, v85, s[0:3], 0 offen offset:4
	buffer_load_dword v94, v85, s[0:3], 0 offen offset:8
	buffer_load_dword v95, v85, s[0:3], 0 offen offset:12
	buffer_load_dword v96, v85, s[0:3], 0 offen offset:16
	buffer_load_dword v97, v85, s[0:3], 0 offen offset:20
	buffer_load_dword v98, v85, s[0:3], 0 offen offset:24
	buffer_load_dword v99, v85, s[0:3], 0 offen offset:28
	buffer_load_dword v100, v85, s[0:3], 0 offen offset:32
	buffer_load_dword v101, v85, s[0:3], 0 offen offset:36
	buffer_load_dword v102, v85, s[0:3], 0 offen offset:40
	buffer_load_dword v103, v85, s[0:3], 0 offen offset:44
	buffer_load_dword v104, v85, s[0:3], 0 offen offset:48
	buffer_load_dword v105, v85, s[0:3], 0 offen offset:52
	buffer_load_dword v106, v85, s[0:3], 0 offen offset:56
	buffer_load_dword v107, v85, s[0:3], 0 offen offset:60
	buffer_load_dword v108, v85, s[0:3], 0 offen offset:72
	buffer_load_dword v109, v85, s[0:3], 0 offen offset:76
	buffer_load_dword v110, v85, s[0:3], 0 offen offset:80
	buffer_load_dword v111, v85, s[0:3], 0 offen offset:84
	buffer_load_dword v112, v85, s[0:3], 0 offen offset:88
	buffer_load_dword v113, v85, s[0:3], 0 offen offset:92
	buffer_load_dword v115, v85, s[0:3], 0 offen offset:68
	buffer_load_dword v114, v85, s[0:3], 0 offen offset:64
	buffer_load_dword v116, v85, s[0:3], 0 offen offset:96
	buffer_load_dword v117, v85, s[0:3], 0 offen offset:100
	buffer_load_dword v118, v85, s[0:3], 0 offen offset:104
	buffer_load_dword v119, v85, s[0:3], 0 offen offset:108
	buffer_load_dword v120, v85, s[0:3], 0 offen offset:112
	buffer_load_dword v121, v85, s[0:3], 0 offen offset:116
	buffer_load_dword v122, v85, s[0:3], 0 offen offset:120
	buffer_load_dword v123, v85, s[0:3], 0 offen offset:124
	buffer_load_dword v124, v85, s[0:3], 0 offen offset:128
	buffer_load_dword v125, v85, s[0:3], 0 offen offset:132
	buffer_load_dword v126, v85, s[0:3], 0 offen offset:136
	buffer_load_dword v127, v85, s[0:3], 0 offen offset:140
	buffer_load_dword v128, v85, s[0:3], 0 offen offset:144
	buffer_load_dword v129, v85, s[0:3], 0 offen offset:148
	buffer_load_dword v130, v85, s[0:3], 0 offen offset:152
	buffer_load_dword v131, v85, s[0:3], 0 offen offset:156
	buffer_load_dword v132, v85, s[0:3], 0 offen offset:160
	buffer_load_dword v133, v85, s[0:3], 0 offen offset:164
	buffer_load_dword v134, v85, s[0:3], 0 offen offset:168
	buffer_load_dword v135, v85, s[0:3], 0 offen offset:172
	buffer_load_dword v136, v85, s[0:3], 0 offen offset:176
	buffer_load_dword v137, v85, s[0:3], 0 offen offset:180
	buffer_load_dword v138, v85, s[0:3], 0 offen offset:184
	buffer_load_dword v139, v85, s[0:3], 0 offen offset:188
	buffer_load_dword v140, v85, s[0:3], 0 offen offset:192
	buffer_load_dword v141, v85, s[0:3], 0 offen offset:196
	buffer_load_dword v142, v85, s[0:3], 0 offen offset:200
	buffer_load_dword v143, v85, s[0:3], 0 offen offset:204
	buffer_load_dword v144, v85, s[0:3], 0 offen offset:208
	buffer_load_dword v145, v85, s[0:3], 0 offen offset:212
	buffer_load_dword v146, v85, s[0:3], 0 offen offset:216
	buffer_load_dword v147, v85, s[0:3], 0 offen offset:220
	buffer_load_dword v148, v85, s[0:3], 0 offen offset:224
	buffer_load_dword v149, v85, s[0:3], 0 offen offset:228
	buffer_load_dword v150, v85, s[0:3], 0 offen offset:232
	buffer_load_dword v151, v85, s[0:3], 0 offen offset:236
	buffer_load_dword v152, v85, s[0:3], 0 offen offset:240
	buffer_load_dword v153, v85, s[0:3], 0 offen offset:244
	buffer_load_dword v154, v85, s[0:3], 0 offen offset:248
	buffer_load_dword v155, v85, s[0:3], 0 offen offset:252
	s_mov_b32 s23, 0
	s_mov_b32 s24, s19
	v_min_f64 v[158:159], v[16:17], v[156:157]
	v_min_f64 v[160:161], v[18:19], v[156:157]
	;; [unrolled: 1-line block ×32, first 2 shown]
	s_waitcnt vmcnt(62)
	v_add_f64 v[92:93], v[158:159], v[92:93]
	s_waitcnt vmcnt(60)
	v_add_f64 v[94:95], v[160:161], v[94:95]
	;; [unrolled: 2-line block ×32, first 2 shown]
	buffer_store_dword v92, v85, s[0:3], 0 offen
	buffer_store_dword v93, v85, s[0:3], 0 offen offset:4
	buffer_store_dword v94, v85, s[0:3], 0 offen offset:8
	;; [unrolled: 1-line block ×63, first 2 shown]
	s_cbranch_vccnz .LBB151_26
; %bb.27:                               ;   in Loop: Header=BB151_25 Depth=1
	s_add_i32 s10, s10, 1
	s_cmp_eq_u32 s10, 4
	s_cbranch_scc0 .LBB151_25
; %bb.28:
	v_lshl_or_b32 v2, v80, 5, v82
	v_lshl_add_u32 v92, v0, 5, 0x1000
	v_lshl_add_u32 v93, v1, 5, 0x3000
	s_cmp_lt_i32 s42, 9
	ds_write2st64_b64 v84, v[14:15], v[12:13] offset0:24 offset1:28
	ds_write2st64_b64 v2, v[10:11], v[8:9] offset0:8 offset1:12
	s_waitcnt lgkmcnt(0)
	s_waitcnt_vscnt null, 0x0
	s_barrier
	buffer_gl0_inv
	s_cbranch_scc1 .LBB151_55
; %bb.29:
	v_mad_i64_i32 v[3:4], null, v81, s22, 0
	v_mad_i64_i32 v[8:9], null, v83, s22, 0
	v_lshlrev_b64 v[74:75], 3, v[6:7]
	v_add_nc_u32_e32 v94, 0x1000, v2
	v_add_nc_u32_e32 v95, 0x3000, v84
	v_mov_b32_e32 v77, 0
	v_lshlrev_b64 v[70:71], 3, v[3:4]
	s_add_i32 s22, s42, -8
	v_lshlrev_b64 v[72:73], 3, v[8:9]
	s_mov_b32 s23, 8
	s_mov_b32 s24, 0
.LBB151_30:                             ; =>This Loop Header: Depth=1
                                        ;     Child Loop BB151_39 Depth 2
                                        ;       Child Loop BB151_40 Depth 3
                                        ;     Child Loop BB151_51 Depth 2
                                        ;       Child Loop BB151_52 Depth 3
	v_or_b32_e32 v76, s23, v86
	v_mov_b32_e32 v6, 0
	v_mov_b32_e32 v8, 0
	;; [unrolled: 1-line block ×4, first 2 shown]
	v_lshlrev_b64 v[2:3], 3, v[76:77]
	v_cmp_le_i32_e32 vcc_lo, s42, v76
	v_add_co_u32 v96, s10, s16, v2
	v_add_co_ci_u32_e64 v97, null, s17, v3, s10
	s_nor_b32 s10, s6, vcc_lo
	s_and_saveexec_b32 s25, s10
	s_cbranch_execz .LBB151_32
; %bb.31:                               ;   in Loop: Header=BB151_30 Depth=1
	v_add_co_u32 v2, s10, v96, v70
	v_add_co_ci_u32_e64 v3, null, v97, v71, s10
	flat_load_dwordx2 v[8:9], v[2:3]
.LBB151_32:                             ;   in Loop: Header=BB151_30 Depth=1
	s_or_b32 exec_lo, exec_lo, s25
	s_nor_b32 s25, s7, vcc_lo
	s_and_saveexec_b32 s10, s25
	s_cbranch_execz .LBB151_34
; %bb.33:                               ;   in Loop: Header=BB151_30 Depth=1
	v_add_co_u32 v2, vcc_lo, v96, v72
	v_add_co_ci_u32_e64 v3, null, v97, v73, vcc_lo
	flat_load_dwordx2 v[6:7], v[2:3]
.LBB151_34:                             ;   in Loop: Header=BB151_30 Depth=1
	s_or_b32 exec_lo, exec_lo, s10
	v_add_nc_u32_e32 v5, s23, v87
	v_mov_b32_e32 v10, 0
	v_mov_b32_e32 v12, 0
	;; [unrolled: 1-line block ×4, first 2 shown]
	v_mad_u64_u32 v[2:3], null, v5, s20, 0
	v_cmp_le_i32_e32 vcc_lo, s42, v5
	v_mad_u64_u32 v[3:4], null, v5, s21, v[3:4]
	v_lshlrev_b64 v[2:3], 3, v[2:3]
	v_add_co_u32 v2, s10, s14, v2
	v_add_co_ci_u32_e64 v3, null, s15, v3, s10
	s_nor_b32 s10, s8, vcc_lo
	s_and_saveexec_b32 s25, s10
	s_cbranch_execz .LBB151_36
; %bb.35:                               ;   in Loop: Header=BB151_30 Depth=1
	v_add_co_u32 v4, s10, v2, v74
	v_add_co_ci_u32_e64 v5, null, v3, v75, s10
	flat_load_dwordx2 v[12:13], v[4:5]
.LBB151_36:                             ;   in Loop: Header=BB151_30 Depth=1
	s_or_b32 exec_lo, exec_lo, s25
	s_nor_b32 s25, s9, vcc_lo
	s_and_saveexec_b32 s10, s25
	s_cbranch_execz .LBB151_38
; %bb.37:                               ;   in Loop: Header=BB151_30 Depth=1
	v_add_co_u32 v2, vcc_lo, v2, v74
	v_add_co_ci_u32_e64 v3, null, v3, v75, vcc_lo
	flat_load_dwordx2 v[10:11], v[2:3] offset:512
.LBB151_38:                             ;   in Loop: Header=BB151_30 Depth=1
	s_or_b32 exec_lo, exec_lo, s10
	s_mov_b32 s10, 0
.LBB151_39:                             ;   Parent Loop BB151_30 Depth=1
                                        ; =>  This Loop Header: Depth=2
                                        ;       Child Loop BB151_40 Depth 3
	s_lshl_b32 s25, s10, 3
	s_mov_b32 s26, 0
	v_add_nc_u32_e32 v14, s25, v92
	v_add_nc_u32_e32 v98, s25, v93
	s_mov_b32 s25, -1
	ds_read2_b64 v[2:5], v14 offset1:16
	ds_read2_b64 v[18:21], v14 offset0:32 offset1:48
	ds_read2_b64 v[22:25], v14 offset0:64 offset1:80
	v_add_nc_u32_e32 v15, 0x800, v14
	ds_read2_b64 v[26:29], v14 offset0:96 offset1:112
	ds_read2_b64 v[30:33], v14 offset0:128 offset1:144
	;; [unrolled: 1-line block ×5, first 2 shown]
	ds_read2_b64 v[46:49], v15 offset1:16
	ds_read2_b64 v[50:53], v15 offset0:32 offset1:48
	ds_read2_b64 v[54:57], v15 offset0:64 offset1:80
	;; [unrolled: 1-line block ×7, first 2 shown]
	s_waitcnt lgkmcnt(11)
	v_max_f64 v[30:31], v[30:31], v[30:31]
	v_max_f64 v[32:33], v[32:33], v[32:33]
	s_waitcnt lgkmcnt(10)
	v_max_f64 v[34:35], v[34:35], v[34:35]
	v_max_f64 v[36:37], v[36:37], v[36:37]
	;; [unrolled: 3-line block ×3, first 2 shown]
	v_max_f64 v[14:15], v[2:3], v[2:3]
	v_max_f64 v[16:17], v[4:5], v[4:5]
	;; [unrolled: 1-line block ×8, first 2 shown]
	s_waitcnt lgkmcnt(8)
	v_max_f64 v[42:43], v[42:43], v[42:43]
	v_max_f64 v[44:45], v[44:45], v[44:45]
	s_waitcnt lgkmcnt(7)
	v_max_f64 v[46:47], v[46:47], v[46:47]
	v_max_f64 v[48:49], v[48:49], v[48:49]
	;; [unrolled: 3-line block ×9, first 2 shown]
	ds_read2st64_b64 v[2:5], v98 offset1:4
.LBB151_40:                             ;   Parent Loop BB151_30 Depth=1
                                        ;     Parent Loop BB151_39 Depth=2
                                        ; =>    This Inner Loop Header: Depth=3
	v_mov_b32_e32 v226, s26
	s_waitcnt lgkmcnt(0)
	v_max_f64 v[162:163], v[2:3], v[2:3]
	v_mov_b32_e32 v2, v4
	v_mov_b32_e32 v3, v5
	s_and_b32 vcc_lo, exec_lo, s25
	s_clause 0x3e
	buffer_load_dword v98, v226, s[0:3], 0 offen
	buffer_load_dword v99, v226, s[0:3], 0 offen offset:4
	buffer_load_dword v100, v226, s[0:3], 0 offen offset:8
	;; [unrolled: 1-line block ×63, first 2 shown]
	s_mov_b32 s25, 0
	s_mov_b32 s26, s19
	v_min_f64 v[164:165], v[14:15], v[162:163]
	v_min_f64 v[166:167], v[16:17], v[162:163]
	;; [unrolled: 1-line block ×32, first 2 shown]
	s_waitcnt vmcnt(62)
	v_add_f64 v[98:99], v[164:165], v[98:99]
	s_waitcnt vmcnt(60)
	v_add_f64 v[100:101], v[166:167], v[100:101]
	s_waitcnt vmcnt(58)
	v_add_f64 v[102:103], v[168:169], v[102:103]
	s_waitcnt vmcnt(56)
	v_add_f64 v[104:105], v[170:171], v[104:105]
	s_waitcnt vmcnt(54)
	v_add_f64 v[106:107], v[172:173], v[106:107]
	s_waitcnt vmcnt(52)
	v_add_f64 v[108:109], v[174:175], v[108:109]
	s_waitcnt vmcnt(50)
	v_add_f64 v[110:111], v[176:177], v[110:111]
	s_waitcnt vmcnt(48)
	v_add_f64 v[112:113], v[178:179], v[112:113]
	s_waitcnt vmcnt(45)
	v_add_f64 v[116:117], v[182:183], v[116:117]
	s_waitcnt vmcnt(43)
	v_add_f64 v[118:119], v[184:185], v[118:119]
	s_waitcnt vmcnt(41)
	v_add_f64 v[120:121], v[186:187], v[120:121]
	s_waitcnt vmcnt(40)
	v_add_f64 v[114:115], v[180:181], v[114:115]
	s_waitcnt vmcnt(38)
	v_add_f64 v[122:123], v[188:189], v[122:123]
	s_waitcnt vmcnt(36)
	v_add_f64 v[124:125], v[190:191], v[124:125]
	s_waitcnt vmcnt(34)
	v_add_f64 v[126:127], v[192:193], v[126:127]
	s_waitcnt vmcnt(32)
	v_add_f64 v[128:129], v[194:195], v[128:129]
	s_waitcnt vmcnt(30)
	v_add_f64 v[130:131], v[196:197], v[130:131]
	s_waitcnt vmcnt(28)
	v_add_f64 v[132:133], v[198:199], v[132:133]
	s_waitcnt vmcnt(26)
	v_add_f64 v[134:135], v[200:201], v[134:135]
	s_waitcnt vmcnt(24)
	v_add_f64 v[136:137], v[202:203], v[136:137]
	s_waitcnt vmcnt(22)
	v_add_f64 v[138:139], v[204:205], v[138:139]
	s_waitcnt vmcnt(20)
	v_add_f64 v[140:141], v[206:207], v[140:141]
	s_waitcnt vmcnt(18)
	v_add_f64 v[142:143], v[208:209], v[142:143]
	s_waitcnt vmcnt(16)
	v_add_f64 v[144:145], v[210:211], v[144:145]
	s_waitcnt vmcnt(14)
	v_add_f64 v[146:147], v[212:213], v[146:147]
	s_waitcnt vmcnt(12)
	v_add_f64 v[148:149], v[214:215], v[148:149]
	s_waitcnt vmcnt(10)
	v_add_f64 v[150:151], v[216:217], v[150:151]
	s_waitcnt vmcnt(8)
	v_add_f64 v[152:153], v[218:219], v[152:153]
	s_waitcnt vmcnt(6)
	v_add_f64 v[154:155], v[220:221], v[154:155]
	s_waitcnt vmcnt(4)
	v_add_f64 v[156:157], v[222:223], v[156:157]
	s_waitcnt vmcnt(2)
	v_add_f64 v[158:159], v[224:225], v[158:159]
	s_waitcnt vmcnt(0)
	v_add_f64 v[160:161], v[162:163], v[160:161]
	buffer_store_dword v98, v226, s[0:3], 0 offen
	buffer_store_dword v99, v226, s[0:3], 0 offen offset:4
	buffer_store_dword v100, v226, s[0:3], 0 offen offset:8
	;; [unrolled: 1-line block ×63, first 2 shown]
	s_cbranch_vccnz .LBB151_40
; %bb.41:                               ;   in Loop: Header=BB151_39 Depth=2
	s_add_i32 s10, s10, 1
	s_cmp_eq_u32 s10, 4
	s_cbranch_scc0 .LBB151_39
; %bb.42:                               ;   in Loop: Header=BB151_30 Depth=1
	v_or_b32_e32 v2, 4, v76
	v_mov_b32_e32 v78, 0
	v_mov_b32_e32 v80, 0
	;; [unrolled: 1-line block ×4, first 2 shown]
	v_cmp_le_i32_e32 vcc_lo, s42, v2
	ds_write2st64_b64 v88, v[8:9], v[6:7] offset1:4
	ds_write2st64_b64 v90, v[12:13], v[10:11] offset1:4
	s_waitcnt lgkmcnt(0)
	s_waitcnt_vscnt null, 0x0
	s_barrier
	s_nor_b32 s10, s6, vcc_lo
	buffer_gl0_inv
	s_and_saveexec_b32 s25, s10
	s_cbranch_execz .LBB151_44
; %bb.43:                               ;   in Loop: Header=BB151_30 Depth=1
	v_add_co_u32 v2, s10, v96, v70
	v_add_co_ci_u32_e64 v3, null, v97, v71, s10
	flat_load_dwordx2 v[80:81], v[2:3] offset:32
.LBB151_44:                             ;   in Loop: Header=BB151_30 Depth=1
	s_or_b32 exec_lo, exec_lo, s25
	s_nor_b32 s25, s7, vcc_lo
	s_and_saveexec_b32 s10, s25
	s_cbranch_execz .LBB151_46
; %bb.45:                               ;   in Loop: Header=BB151_30 Depth=1
	v_add_co_u32 v2, vcc_lo, v96, v72
	v_add_co_ci_u32_e64 v3, null, v97, v73, vcc_lo
	flat_load_dwordx2 v[78:79], v[2:3] offset:32
.LBB151_46:                             ;   in Loop: Header=BB151_30 Depth=1
	s_or_b32 exec_lo, exec_lo, s10
	v_add3_u32 v5, v87, s23, 4
	v_mov_b32_e32 v82, 0
	v_mov_b32_e32 v84, 0
	v_mov_b32_e32 v83, 0
	v_mov_b32_e32 v85, 0
	v_mad_u64_u32 v[2:3], null, v5, s20, 0
	v_cmp_le_i32_e32 vcc_lo, s42, v5
	v_mad_u64_u32 v[3:4], null, v5, s21, v[3:4]
	v_lshlrev_b64 v[2:3], 3, v[2:3]
	v_add_co_u32 v2, s10, s14, v2
	v_add_co_ci_u32_e64 v3, null, s15, v3, s10
	s_nor_b32 s10, s8, vcc_lo
	s_and_saveexec_b32 s25, s10
	s_cbranch_execz .LBB151_48
; %bb.47:                               ;   in Loop: Header=BB151_30 Depth=1
	v_add_co_u32 v4, s10, v2, v74
	v_add_co_ci_u32_e64 v5, null, v3, v75, s10
	flat_load_dwordx2 v[84:85], v[4:5]
.LBB151_48:                             ;   in Loop: Header=BB151_30 Depth=1
	s_or_b32 exec_lo, exec_lo, s25
	s_nor_b32 s25, s9, vcc_lo
	s_and_saveexec_b32 s10, s25
	s_cbranch_execz .LBB151_50
; %bb.49:                               ;   in Loop: Header=BB151_30 Depth=1
	v_add_co_u32 v2, vcc_lo, v2, v74
	v_add_co_ci_u32_e64 v3, null, v3, v75, vcc_lo
	flat_load_dwordx2 v[82:83], v[2:3] offset:512
.LBB151_50:                             ;   in Loop: Header=BB151_30 Depth=1
	s_or_b32 exec_lo, exec_lo, s10
	s_mov_b32 s10, 0
.LBB151_51:                             ;   Parent Loop BB151_30 Depth=1
                                        ; =>  This Loop Header: Depth=2
                                        ;       Child Loop BB151_52 Depth 3
	s_lshl_b32 s25, s10, 3
	s_mov_b32 s26, 0
	v_add_nc_u32_e32 v30, s25, v89
	v_add_nc_u32_e32 v66, s25, v91
	s_mov_b32 s25, -1
	ds_read2_b64 v[2:5], v30 offset1:16
	ds_read2_b64 v[6:9], v30 offset0:32 offset1:48
	ds_read2_b64 v[10:13], v30 offset0:64 offset1:80
	;; [unrolled: 1-line block ×3, first 2 shown]
	v_add_nc_u32_e32 v62, 0x800, v30
	ds_read2_b64 v[18:21], v30 offset0:128 offset1:144
	ds_read2_b64 v[22:25], v30 offset0:160 offset1:176
	;; [unrolled: 1-line block ×4, first 2 shown]
	ds_read2_b64 v[34:37], v62 offset1:16
	ds_read2_b64 v[38:41], v62 offset0:32 offset1:48
	ds_read2_b64 v[42:45], v62 offset0:64 offset1:80
	;; [unrolled: 1-line block ×7, first 2 shown]
	ds_read2st64_b64 v[66:69], v66 offset1:4
.LBB151_52:                             ;   Parent Loop BB151_30 Depth=1
                                        ;     Parent Loop BB151_51 Depth=2
                                        ; =>    This Inner Loop Header: Depth=3
	v_mov_b32_e32 v76, s26
	s_waitcnt lgkmcnt(16)
	v_max_f64 v[160:161], v[2:3], v[2:3]
	s_waitcnt lgkmcnt(0)
	v_max_f64 v[162:163], v[66:67], v[66:67]
	v_max_f64 v[164:165], v[4:5], v[4:5]
	v_max_f64 v[166:167], v[6:7], v[6:7]
	s_clause 0x3e
	buffer_load_dword v96, v76, s[0:3], 0 offen
	buffer_load_dword v97, v76, s[0:3], 0 offen offset:4
	buffer_load_dword v98, v76, s[0:3], 0 offen offset:8
	;; [unrolled: 1-line block ×63, first 2 shown]
	v_max_f64 v[168:169], v[8:9], v[8:9]
	v_max_f64 v[170:171], v[10:11], v[10:11]
	;; [unrolled: 1-line block ×29, first 2 shown]
	v_min_f64 v[160:161], v[160:161], v[162:163]
	v_min_f64 v[164:165], v[164:165], v[162:163]
	v_min_f64 v[166:167], v[166:167], v[162:163]
	v_min_f64 v[168:169], v[168:169], v[162:163]
	v_min_f64 v[170:171], v[170:171], v[162:163]
	v_min_f64 v[172:173], v[172:173], v[162:163]
	v_min_f64 v[174:175], v[174:175], v[162:163]
	v_min_f64 v[176:177], v[176:177], v[162:163]
	v_min_f64 v[178:179], v[178:179], v[162:163]
	v_min_f64 v[180:181], v[180:181], v[162:163]
	v_min_f64 v[182:183], v[182:183], v[162:163]
	v_min_f64 v[184:185], v[184:185], v[162:163]
	v_min_f64 v[186:187], v[186:187], v[162:163]
	v_min_f64 v[188:189], v[188:189], v[162:163]
	v_min_f64 v[190:191], v[190:191], v[162:163]
	v_min_f64 v[192:193], v[192:193], v[162:163]
	v_min_f64 v[194:195], v[194:195], v[162:163]
	v_min_f64 v[196:197], v[196:197], v[162:163]
	v_min_f64 v[198:199], v[198:199], v[162:163]
	v_min_f64 v[200:201], v[200:201], v[162:163]
	v_min_f64 v[202:203], v[202:203], v[162:163]
	v_min_f64 v[204:205], v[204:205], v[162:163]
	v_min_f64 v[206:207], v[206:207], v[162:163]
	v_min_f64 v[208:209], v[208:209], v[162:163]
	v_min_f64 v[210:211], v[210:211], v[162:163]
	v_min_f64 v[212:213], v[212:213], v[162:163]
	v_min_f64 v[214:215], v[214:215], v[162:163]
	v_min_f64 v[216:217], v[216:217], v[162:163]
	v_min_f64 v[218:219], v[218:219], v[162:163]
	v_min_f64 v[220:221], v[220:221], v[162:163]
	v_min_f64 v[222:223], v[222:223], v[162:163]
	v_min_f64 v[162:163], v[224:225], v[162:163]
	v_mov_b32_e32 v66, v68
	v_mov_b32_e32 v67, v69
	s_and_b32 vcc_lo, exec_lo, s25
	s_mov_b32 s25, 0
	s_mov_b32 s26, s19
	s_waitcnt vmcnt(62)
	v_add_f64 v[96:97], v[160:161], v[96:97]
	s_waitcnt vmcnt(60)
	v_add_f64 v[98:99], v[164:165], v[98:99]
	;; [unrolled: 2-line block ×32, first 2 shown]
	buffer_store_dword v96, v76, s[0:3], 0 offen
	buffer_store_dword v97, v76, s[0:3], 0 offen offset:4
	buffer_store_dword v98, v76, s[0:3], 0 offen offset:8
	;; [unrolled: 1-line block ×63, first 2 shown]
	s_cbranch_vccnz .LBB151_52
; %bb.53:                               ;   in Loop: Header=BB151_51 Depth=2
	s_add_i32 s10, s10, 1
	s_cmp_eq_u32 s10, 4
	s_cbranch_scc0 .LBB151_51
; %bb.54:                               ;   in Loop: Header=BB151_30 Depth=1
	s_add_i32 s24, s24, 8
	s_add_i32 s23, s23, 8
	s_cmp_ge_i32 s24, s22
	ds_write2st64_b64 v94, v[80:81], v[78:79] offset1:4
	ds_write2st64_b64 v95, v[84:85], v[82:83] offset1:4
	s_waitcnt lgkmcnt(0)
	s_waitcnt_vscnt null, 0x0
	s_barrier
	buffer_gl0_inv
	s_cbranch_scc0 .LBB151_30
.LBB151_55:
	s_mov_b32 s6, 0
.LBB151_56:                             ; =>This Loop Header: Depth=1
                                        ;     Child Loop BB151_57 Depth 2
	s_lshl_b32 s7, s6, 3
	s_mov_b32 s8, 0
	v_add_nc_u32_e32 v6, s7, v92
	v_add_nc_u32_e32 v70, s7, v93
	s_mov_b32 s7, -1
	ds_read2_b64 v[2:5], v6 offset1:16
	ds_read2_b64 v[10:13], v6 offset0:32 offset1:48
	ds_read2_b64 v[14:17], v6 offset0:64 offset1:80
	v_add_nc_u32_e32 v7, 0x800, v6
	ds_read2_b64 v[18:21], v6 offset0:96 offset1:112
	ds_read2_b64 v[22:25], v6 offset0:128 offset1:144
	;; [unrolled: 1-line block ×5, first 2 shown]
	ds_read2_b64 v[38:41], v7 offset1:16
	ds_read2_b64 v[42:45], v7 offset0:32 offset1:48
	ds_read2_b64 v[46:49], v7 offset0:64 offset1:80
	;; [unrolled: 1-line block ×7, first 2 shown]
	s_waitcnt lgkmcnt(11)
	v_max_f64 v[22:23], v[22:23], v[22:23]
	v_max_f64 v[24:25], v[24:25], v[24:25]
	s_waitcnt lgkmcnt(10)
	v_max_f64 v[26:27], v[26:27], v[26:27]
	v_max_f64 v[28:29], v[28:29], v[28:29]
	;; [unrolled: 3-line block ×3, first 2 shown]
	v_max_f64 v[6:7], v[2:3], v[2:3]
	v_max_f64 v[8:9], v[4:5], v[4:5]
	;; [unrolled: 1-line block ×8, first 2 shown]
	s_waitcnt lgkmcnt(8)
	v_max_f64 v[34:35], v[34:35], v[34:35]
	v_max_f64 v[36:37], v[36:37], v[36:37]
	s_waitcnt lgkmcnt(7)
	v_max_f64 v[38:39], v[38:39], v[38:39]
	v_max_f64 v[40:41], v[40:41], v[40:41]
	;; [unrolled: 3-line block ×9, first 2 shown]
	ds_read2st64_b64 v[2:5], v70 offset1:4
.LBB151_57:                             ;   Parent Loop BB151_56 Depth=1
                                        ; =>  This Inner Loop Header: Depth=2
	v_mov_b32_e32 v200, s8
	s_waitcnt lgkmcnt(0)
	v_max_f64 v[136:137], v[2:3], v[2:3]
	v_mov_b32_e32 v2, v4
	v_mov_b32_e32 v3, v5
	s_and_b32 vcc_lo, exec_lo, s7
	s_clause 0x3e
	buffer_load_dword v70, v200, s[0:3], 0 offen
	buffer_load_dword v71, v200, s[0:3], 0 offen offset:4
	buffer_load_dword v72, v200, s[0:3], 0 offen offset:8
	;; [unrolled: 1-line block ×63, first 2 shown]
	s_mov_b32 s7, 0
	s_mov_b32 s8, s19
	v_min_f64 v[138:139], v[6:7], v[136:137]
	v_min_f64 v[140:141], v[8:9], v[136:137]
	;; [unrolled: 1-line block ×32, first 2 shown]
	s_waitcnt vmcnt(62)
	v_add_f64 v[70:71], v[138:139], v[70:71]
	s_waitcnt vmcnt(60)
	v_add_f64 v[72:73], v[140:141], v[72:73]
	;; [unrolled: 2-line block ×32, first 2 shown]
	buffer_store_dword v70, v200, s[0:3], 0 offen
	buffer_store_dword v71, v200, s[0:3], 0 offen offset:4
	buffer_store_dword v72, v200, s[0:3], 0 offen offset:8
	;; [unrolled: 1-line block ×63, first 2 shown]
	s_cbranch_vccnz .LBB151_57
; %bb.58:                               ;   in Loop: Header=BB151_56 Depth=1
	s_add_i32 s6, s6, 1
	s_cmp_eq_u32 s6, 4
	s_cbranch_scc0 .LBB151_56
; %bb.59:
	s_clause 0x2
	s_load_dword s43, s[4:5], 0x58
	s_load_dword s42, s[4:5], 0x70
	s_load_dwordx2 s[6:7], s[4:5], 0x78
	v_add_nc_u32_e32 v71, s18, v1
	v_add_nc_u32_e32 v0, s11, v0
	v_cndmask_b32_e64 v70, 0, 1, s46
	v_cmp_gt_i32_e64 s16, s41, v71
	v_cmp_gt_i32_e64 s4, s40, v0
	s_waitcnt lgkmcnt(0)
	v_mad_i64_i32 v[1:2], null, v71, s43, 0
	v_mad_i64_i32 v[3:4], null, v71, s42, 0
	s_lshl_b64 s[6:7], s[6:7], 3
	s_add_u32 s47, s12, s6
	s_addc_u32 s48, s13, s7
	v_lshlrev_b64 v[5:6], 3, v[1:2]
	v_ashrrev_i32_e32 v1, 31, v0
	v_lshlrev_b64 v[2:3], 3, v[3:4]
	s_and_b32 s6, s16, s4
	v_add_co_u32 v68, vcc_lo, s44, v5
	v_add_co_ci_u32_e64 v69, null, s45, v6, vcc_lo
	v_add_co_u32 v72, vcc_lo, s47, v2
	v_add_co_ci_u32_e64 v73, null, s48, v3, vcc_lo
	s_and_saveexec_b32 s5, s6
	s_cbranch_execz .LBB151_64
; %bb.60:
	s_clause 0x1
	buffer_load_dword v2, off, s[0:3], 0
	buffer_load_dword v3, off, s[0:3], 0 offset:4
	v_lshlrev_b64 v[4:5], 3, v[0:1]
	s_andn2_b32 vcc_lo, exec_lo, s46
	s_cbranch_vccnz .LBB151_62
; %bb.61:
	v_add_co_u32 v6, vcc_lo, v68, v4
	v_add_co_ci_u32_e64 v7, null, v69, v5, vcc_lo
	flat_load_dwordx2 v[6:7], v[6:7]
	s_waitcnt vmcnt(0) lgkmcnt(0)
	v_mul_f64 v[6:7], s[38:39], v[6:7]
	s_branch .LBB151_63
.LBB151_62:
	v_mov_b32_e32 v6, 0
	v_mov_b32_e32 v7, 0
.LBB151_63:
	s_waitcnt vmcnt(0)
	v_add_f64 v[2:3], v[2:3], v[6:7]
	v_add_co_u32 v4, vcc_lo, v72, v4
	v_add_co_ci_u32_e64 v5, null, v73, v5, vcc_lo
	flat_store_dwordx2 v[4:5], v[2:3]
.LBB151_64:
	s_or_b32 exec_lo, exec_lo, s5
	v_add_nc_u32_e32 v2, 4, v0
	v_cmp_gt_i32_e64 s5, s40, v2
	v_ashrrev_i32_e32 v3, 31, v2
	s_and_b32 s7, s16, s5
	s_and_saveexec_b32 s6, s7
	s_cbranch_execz .LBB151_69
; %bb.65:
	s_clause 0x1
	buffer_load_dword v4, off, s[0:3], 0 offset:8
	buffer_load_dword v5, off, s[0:3], 0 offset:12
	v_lshlrev_b64 v[6:7], 3, v[2:3]
	s_andn2_b32 vcc_lo, exec_lo, s46
	s_cbranch_vccnz .LBB151_67
; %bb.66:
	v_add_co_u32 v8, vcc_lo, v68, v6
	v_add_co_ci_u32_e64 v9, null, v69, v7, vcc_lo
	flat_load_dwordx2 v[8:9], v[8:9]
	s_waitcnt vmcnt(0) lgkmcnt(0)
	v_mul_f64 v[8:9], s[38:39], v[8:9]
	s_branch .LBB151_68
.LBB151_67:
	v_mov_b32_e32 v8, 0
	v_mov_b32_e32 v9, 0
.LBB151_68:
	s_waitcnt vmcnt(0)
	v_add_f64 v[4:5], v[4:5], v[8:9]
	v_add_co_u32 v6, vcc_lo, v72, v6
	v_add_co_ci_u32_e64 v7, null, v73, v7, vcc_lo
	flat_store_dwordx2 v[6:7], v[4:5]
.LBB151_69:
	s_or_b32 exec_lo, exec_lo, s6
	v_add_nc_u32_e32 v4, 8, v0
	v_cmp_gt_i32_e64 s6, s40, v4
	v_ashrrev_i32_e32 v5, 31, v4
	s_and_b32 s8, s16, s6
	s_and_saveexec_b32 s7, s8
	s_cbranch_execz .LBB151_74
; %bb.70:
	s_clause 0x1
	buffer_load_dword v6, off, s[0:3], 0 offset:16
	buffer_load_dword v7, off, s[0:3], 0 offset:20
	v_lshlrev_b64 v[8:9], 3, v[4:5]
	s_andn2_b32 vcc_lo, exec_lo, s46
	s_cbranch_vccnz .LBB151_72
; %bb.71:
	v_add_co_u32 v10, vcc_lo, v68, v8
	v_add_co_ci_u32_e64 v11, null, v69, v9, vcc_lo
	flat_load_dwordx2 v[10:11], v[10:11]
	s_waitcnt vmcnt(0) lgkmcnt(0)
	v_mul_f64 v[10:11], s[38:39], v[10:11]
	s_branch .LBB151_73
.LBB151_72:
	v_mov_b32_e32 v10, 0
	v_mov_b32_e32 v11, 0
.LBB151_73:
	s_waitcnt vmcnt(0)
	v_add_f64 v[6:7], v[6:7], v[10:11]
	v_add_co_u32 v8, vcc_lo, v72, v8
	v_add_co_ci_u32_e64 v9, null, v73, v9, vcc_lo
	flat_store_dwordx2 v[8:9], v[6:7]
.LBB151_74:
	;; [unrolled: 31-line block ×31, first 2 shown]
	s_or_b32 exec_lo, exec_lo, s16
	v_add_nc_u32_e32 v68, 64, v71
	v_mad_i64_i32 v[64:65], null, v68, s43, 0
	v_mad_i64_i32 v[66:67], null, v68, s42, 0
	v_cmp_gt_i32_e64 s16, s41, v68
	v_lshlrev_b64 v[64:65], 3, v[64:65]
	s_and_b32 s4, s16, s4
	v_lshlrev_b64 v[66:67], 3, v[66:67]
	v_add_co_u32 v71, vcc_lo, s44, v64
	v_add_co_ci_u32_e64 v72, null, s45, v65, vcc_lo
	v_add_co_u32 v68, vcc_lo, s47, v66
	v_add_co_ci_u32_e64 v69, null, s48, v67, vcc_lo
	s_and_saveexec_b32 s40, s4
	s_xor_b32 s4, exec_lo, s40
	s_cbranch_execnz .LBB151_252
; %bb.220:
	s_or_b32 exec_lo, exec_lo, s4
	s_and_b32 s5, s16, s5
	s_and_saveexec_b32 s4, s5
	s_cbranch_execnz .LBB151_256
.LBB151_221:
	s_or_b32 exec_lo, exec_lo, s4
	s_and_b32 s5, s16, s6
	s_and_saveexec_b32 s4, s5
	s_cbranch_execnz .LBB151_260
.LBB151_222:
	s_or_b32 exec_lo, exec_lo, s4
	s_and_b32 s5, s16, s7
	s_and_saveexec_b32 s4, s5
	s_cbranch_execnz .LBB151_264
.LBB151_223:
	s_or_b32 exec_lo, exec_lo, s4
	s_and_b32 s5, s16, s8
	s_and_saveexec_b32 s4, s5
	s_cbranch_execnz .LBB151_268
.LBB151_224:
	s_or_b32 exec_lo, exec_lo, s4
	s_and_b32 s5, s16, s9
	s_and_saveexec_b32 s4, s5
	s_cbranch_execnz .LBB151_272
.LBB151_225:
	s_or_b32 exec_lo, exec_lo, s4
	s_and_b32 s5, s16, s10
	s_and_saveexec_b32 s4, s5
	s_cbranch_execnz .LBB151_276
.LBB151_226:
	s_or_b32 exec_lo, exec_lo, s4
	s_and_b32 s5, s16, s11
	s_and_saveexec_b32 s4, s5
	s_cbranch_execnz .LBB151_280
.LBB151_227:
	s_or_b32 exec_lo, exec_lo, s4
	s_and_b32 s5, s16, s12
	s_and_saveexec_b32 s4, s5
	s_cbranch_execnz .LBB151_284
.LBB151_228:
	s_or_b32 exec_lo, exec_lo, s4
	s_and_b32 s5, s16, s13
	s_and_saveexec_b32 s4, s5
	s_cbranch_execnz .LBB151_288
.LBB151_229:
	s_or_b32 exec_lo, exec_lo, s4
	s_and_b32 s5, s16, s14
	s_and_saveexec_b32 s4, s5
	s_cbranch_execnz .LBB151_292
.LBB151_230:
	s_or_b32 exec_lo, exec_lo, s4
	s_and_b32 s5, s16, s15
	s_and_saveexec_b32 s4, s5
	s_cbranch_execnz .LBB151_296
.LBB151_231:
	s_or_b32 exec_lo, exec_lo, s4
	s_and_b32 s5, s16, s17
	s_and_saveexec_b32 s4, s5
	s_cbranch_execnz .LBB151_300
.LBB151_232:
	s_or_b32 exec_lo, exec_lo, s4
	s_and_b32 s5, s16, s18
	s_and_saveexec_b32 s4, s5
	s_cbranch_execnz .LBB151_304
.LBB151_233:
	s_or_b32 exec_lo, exec_lo, s4
	s_and_b32 s5, s16, s19
	s_and_saveexec_b32 s4, s5
	s_cbranch_execnz .LBB151_308
.LBB151_234:
	s_or_b32 exec_lo, exec_lo, s4
	s_and_b32 s5, s16, s20
	s_and_saveexec_b32 s4, s5
	s_cbranch_execnz .LBB151_312
.LBB151_235:
	s_or_b32 exec_lo, exec_lo, s4
	s_and_b32 s5, s16, s21
	s_and_saveexec_b32 s4, s5
	s_cbranch_execnz .LBB151_316
.LBB151_236:
	s_or_b32 exec_lo, exec_lo, s4
	s_and_b32 s5, s16, s22
	s_and_saveexec_b32 s4, s5
	s_cbranch_execnz .LBB151_320
.LBB151_237:
	s_or_b32 exec_lo, exec_lo, s4
	s_and_b32 s5, s16, s23
	s_and_saveexec_b32 s4, s5
	s_cbranch_execnz .LBB151_324
.LBB151_238:
	s_or_b32 exec_lo, exec_lo, s4
	s_and_b32 s5, s16, s24
	s_and_saveexec_b32 s4, s5
	s_cbranch_execnz .LBB151_328
.LBB151_239:
	s_or_b32 exec_lo, exec_lo, s4
	s_and_b32 s5, s16, s25
	s_and_saveexec_b32 s4, s5
	s_cbranch_execnz .LBB151_332
.LBB151_240:
	s_or_b32 exec_lo, exec_lo, s4
	s_and_b32 s5, s16, s26
	s_and_saveexec_b32 s4, s5
	s_cbranch_execnz .LBB151_336
.LBB151_241:
	s_or_b32 exec_lo, exec_lo, s4
	s_and_b32 s5, s16, s27
	s_and_saveexec_b32 s4, s5
	s_cbranch_execnz .LBB151_340
.LBB151_242:
	s_or_b32 exec_lo, exec_lo, s4
	s_and_b32 s5, s16, s28
	s_and_saveexec_b32 s4, s5
	s_cbranch_execnz .LBB151_344
.LBB151_243:
	s_or_b32 exec_lo, exec_lo, s4
	s_and_b32 s5, s16, s29
	s_and_saveexec_b32 s4, s5
	s_cbranch_execnz .LBB151_348
.LBB151_244:
	s_or_b32 exec_lo, exec_lo, s4
	s_and_b32 s5, s16, s30
	s_and_saveexec_b32 s4, s5
	s_cbranch_execnz .LBB151_352
.LBB151_245:
	s_or_b32 exec_lo, exec_lo, s4
	s_and_b32 s5, s16, s31
	s_and_saveexec_b32 s4, s5
	s_cbranch_execnz .LBB151_356
.LBB151_246:
	s_or_b32 exec_lo, exec_lo, s4
	s_and_b32 s5, s16, s33
	s_and_saveexec_b32 s4, s5
	s_cbranch_execnz .LBB151_360
.LBB151_247:
	s_or_b32 exec_lo, exec_lo, s4
	s_and_b32 s5, s16, s34
	s_and_saveexec_b32 s4, s5
	s_cbranch_execnz .LBB151_364
.LBB151_248:
	s_or_b32 exec_lo, exec_lo, s4
	s_and_b32 s5, s16, s35
	s_and_saveexec_b32 s4, s5
	s_cbranch_execnz .LBB151_368
.LBB151_249:
	s_or_b32 exec_lo, exec_lo, s4
	s_and_b32 s5, s16, s36
	s_and_saveexec_b32 s4, s5
	s_cbranch_execnz .LBB151_372
.LBB151_250:
	s_or_b32 exec_lo, exec_lo, s4
	s_and_b32 s4, s16, s37
	s_and_saveexec_b32 s5, s4
	s_cbranch_execnz .LBB151_376
.LBB151_251:
	s_endpgm
.LBB151_252:
	s_clause 0x1
	buffer_load_dword v64, off, s[0:3], 0 offset:256
	buffer_load_dword v65, off, s[0:3], 0 offset:260
	v_lshlrev_b64 v[0:1], 3, v[0:1]
	s_andn2_b32 vcc_lo, exec_lo, s46
	s_cbranch_vccnz .LBB151_254
; %bb.253:
	v_add_co_u32 v66, vcc_lo, v71, v0
	v_add_co_ci_u32_e64 v67, null, v72, v1, vcc_lo
	flat_load_dwordx2 v[66:67], v[66:67]
	s_waitcnt vmcnt(0) lgkmcnt(0)
	v_mul_f64 v[66:67], s[38:39], v[66:67]
	s_branch .LBB151_255
.LBB151_254:
	v_mov_b32_e32 v66, 0
	v_mov_b32_e32 v67, 0
.LBB151_255:
	s_waitcnt vmcnt(0)
	v_add_f64 v[64:65], v[64:65], v[66:67]
	v_add_co_u32 v0, vcc_lo, v68, v0
	v_add_co_ci_u32_e64 v1, null, v69, v1, vcc_lo
	flat_store_dwordx2 v[0:1], v[64:65]
	s_or_b32 exec_lo, exec_lo, s4
	s_and_b32 s5, s16, s5
	s_and_saveexec_b32 s4, s5
	s_cbranch_execz .LBB151_221
.LBB151_256:
	s_clause 0x1
	buffer_load_dword v0, off, s[0:3], 0 offset:264
	buffer_load_dword v1, off, s[0:3], 0 offset:268
	v_cmp_ne_u32_e32 vcc_lo, 1, v70
	v_lshlrev_b64 v[2:3], 3, v[2:3]
	s_cbranch_vccnz .LBB151_258
; %bb.257:
	v_add_co_u32 v64, vcc_lo, v71, v2
	v_add_co_ci_u32_e64 v65, null, v72, v3, vcc_lo
	flat_load_dwordx2 v[64:65], v[64:65]
	s_waitcnt vmcnt(0) lgkmcnt(0)
	v_mul_f64 v[64:65], s[38:39], v[64:65]
	s_branch .LBB151_259
.LBB151_258:
	v_mov_b32_e32 v64, 0
	v_mov_b32_e32 v65, 0
.LBB151_259:
	s_waitcnt vmcnt(0)
	v_add_f64 v[0:1], v[0:1], v[64:65]
	v_add_co_u32 v2, vcc_lo, v68, v2
	v_add_co_ci_u32_e64 v3, null, v69, v3, vcc_lo
	flat_store_dwordx2 v[2:3], v[0:1]
	s_or_b32 exec_lo, exec_lo, s4
	s_and_b32 s5, s16, s6
	s_and_saveexec_b32 s4, s5
	s_cbranch_execz .LBB151_222
.LBB151_260:
	s_clause 0x1
	buffer_load_dword v0, off, s[0:3], 0 offset:272
	buffer_load_dword v1, off, s[0:3], 0 offset:276
	v_cmp_ne_u32_e32 vcc_lo, 1, v70
	v_lshlrev_b64 v[2:3], 3, v[4:5]
	s_cbranch_vccnz .LBB151_262
; %bb.261:
	v_add_co_u32 v4, vcc_lo, v71, v2
	v_add_co_ci_u32_e64 v5, null, v72, v3, vcc_lo
	flat_load_dwordx2 v[4:5], v[4:5]
	s_waitcnt vmcnt(0) lgkmcnt(0)
	v_mul_f64 v[4:5], s[38:39], v[4:5]
	s_branch .LBB151_263
.LBB151_262:
	v_mov_b32_e32 v4, 0
	v_mov_b32_e32 v5, 0
.LBB151_263:
	s_waitcnt vmcnt(0)
	v_add_f64 v[0:1], v[0:1], v[4:5]
	v_add_co_u32 v2, vcc_lo, v68, v2
	v_add_co_ci_u32_e64 v3, null, v69, v3, vcc_lo
	flat_store_dwordx2 v[2:3], v[0:1]
	s_or_b32 exec_lo, exec_lo, s4
	s_and_b32 s5, s16, s7
	s_and_saveexec_b32 s4, s5
	s_cbranch_execz .LBB151_223
.LBB151_264:
	s_clause 0x1
	buffer_load_dword v0, off, s[0:3], 0 offset:280
	buffer_load_dword v1, off, s[0:3], 0 offset:284
	v_cmp_ne_u32_e32 vcc_lo, 1, v70
	v_lshlrev_b64 v[2:3], 3, v[6:7]
	s_cbranch_vccnz .LBB151_266
; %bb.265:
	v_add_co_u32 v4, vcc_lo, v71, v2
	v_add_co_ci_u32_e64 v5, null, v72, v3, vcc_lo
	flat_load_dwordx2 v[4:5], v[4:5]
	s_waitcnt vmcnt(0) lgkmcnt(0)
	v_mul_f64 v[4:5], s[38:39], v[4:5]
	s_branch .LBB151_267
.LBB151_266:
	v_mov_b32_e32 v4, 0
	v_mov_b32_e32 v5, 0
.LBB151_267:
	s_waitcnt vmcnt(0)
	v_add_f64 v[0:1], v[0:1], v[4:5]
	v_add_co_u32 v2, vcc_lo, v68, v2
	v_add_co_ci_u32_e64 v3, null, v69, v3, vcc_lo
	flat_store_dwordx2 v[2:3], v[0:1]
	s_or_b32 exec_lo, exec_lo, s4
	s_and_b32 s5, s16, s8
	s_and_saveexec_b32 s4, s5
	s_cbranch_execz .LBB151_224
.LBB151_268:
	s_clause 0x1
	buffer_load_dword v0, off, s[0:3], 0 offset:288
	buffer_load_dword v1, off, s[0:3], 0 offset:292
	v_cmp_ne_u32_e32 vcc_lo, 1, v70
	v_lshlrev_b64 v[2:3], 3, v[8:9]
	s_cbranch_vccnz .LBB151_270
; %bb.269:
	v_add_co_u32 v4, vcc_lo, v71, v2
	v_add_co_ci_u32_e64 v5, null, v72, v3, vcc_lo
	flat_load_dwordx2 v[4:5], v[4:5]
	s_waitcnt vmcnt(0) lgkmcnt(0)
	v_mul_f64 v[4:5], s[38:39], v[4:5]
	s_branch .LBB151_271
.LBB151_270:
	v_mov_b32_e32 v4, 0
	v_mov_b32_e32 v5, 0
.LBB151_271:
	s_waitcnt vmcnt(0)
	v_add_f64 v[0:1], v[0:1], v[4:5]
	v_add_co_u32 v2, vcc_lo, v68, v2
	v_add_co_ci_u32_e64 v3, null, v69, v3, vcc_lo
	flat_store_dwordx2 v[2:3], v[0:1]
	s_or_b32 exec_lo, exec_lo, s4
	s_and_b32 s5, s16, s9
	s_and_saveexec_b32 s4, s5
	s_cbranch_execz .LBB151_225
.LBB151_272:
	s_clause 0x1
	buffer_load_dword v0, off, s[0:3], 0 offset:296
	buffer_load_dword v1, off, s[0:3], 0 offset:300
	v_cmp_ne_u32_e32 vcc_lo, 1, v70
	v_lshlrev_b64 v[2:3], 3, v[10:11]
	s_cbranch_vccnz .LBB151_274
; %bb.273:
	v_add_co_u32 v4, vcc_lo, v71, v2
	v_add_co_ci_u32_e64 v5, null, v72, v3, vcc_lo
	flat_load_dwordx2 v[4:5], v[4:5]
	s_waitcnt vmcnt(0) lgkmcnt(0)
	v_mul_f64 v[4:5], s[38:39], v[4:5]
	s_branch .LBB151_275
.LBB151_274:
	v_mov_b32_e32 v4, 0
	v_mov_b32_e32 v5, 0
.LBB151_275:
	s_waitcnt vmcnt(0)
	v_add_f64 v[0:1], v[0:1], v[4:5]
	v_add_co_u32 v2, vcc_lo, v68, v2
	v_add_co_ci_u32_e64 v3, null, v69, v3, vcc_lo
	flat_store_dwordx2 v[2:3], v[0:1]
	s_or_b32 exec_lo, exec_lo, s4
	s_and_b32 s5, s16, s10
	s_and_saveexec_b32 s4, s5
	s_cbranch_execz .LBB151_226
.LBB151_276:
	s_clause 0x1
	buffer_load_dword v0, off, s[0:3], 0 offset:304
	buffer_load_dword v1, off, s[0:3], 0 offset:308
	v_cmp_ne_u32_e32 vcc_lo, 1, v70
	v_lshlrev_b64 v[2:3], 3, v[12:13]
	s_cbranch_vccnz .LBB151_278
; %bb.277:
	v_add_co_u32 v4, vcc_lo, v71, v2
	v_add_co_ci_u32_e64 v5, null, v72, v3, vcc_lo
	flat_load_dwordx2 v[4:5], v[4:5]
	s_waitcnt vmcnt(0) lgkmcnt(0)
	v_mul_f64 v[4:5], s[38:39], v[4:5]
	s_branch .LBB151_279
.LBB151_278:
	v_mov_b32_e32 v4, 0
	v_mov_b32_e32 v5, 0
.LBB151_279:
	s_waitcnt vmcnt(0)
	v_add_f64 v[0:1], v[0:1], v[4:5]
	v_add_co_u32 v2, vcc_lo, v68, v2
	v_add_co_ci_u32_e64 v3, null, v69, v3, vcc_lo
	flat_store_dwordx2 v[2:3], v[0:1]
	s_or_b32 exec_lo, exec_lo, s4
	s_and_b32 s5, s16, s11
	s_and_saveexec_b32 s4, s5
	s_cbranch_execz .LBB151_227
.LBB151_280:
	s_clause 0x1
	buffer_load_dword v0, off, s[0:3], 0 offset:312
	buffer_load_dword v1, off, s[0:3], 0 offset:316
	v_cmp_ne_u32_e32 vcc_lo, 1, v70
	v_lshlrev_b64 v[2:3], 3, v[14:15]
	s_cbranch_vccnz .LBB151_282
; %bb.281:
	v_add_co_u32 v4, vcc_lo, v71, v2
	v_add_co_ci_u32_e64 v5, null, v72, v3, vcc_lo
	flat_load_dwordx2 v[4:5], v[4:5]
	s_waitcnt vmcnt(0) lgkmcnt(0)
	v_mul_f64 v[4:5], s[38:39], v[4:5]
	s_branch .LBB151_283
.LBB151_282:
	v_mov_b32_e32 v4, 0
	v_mov_b32_e32 v5, 0
.LBB151_283:
	s_waitcnt vmcnt(0)
	v_add_f64 v[0:1], v[0:1], v[4:5]
	v_add_co_u32 v2, vcc_lo, v68, v2
	v_add_co_ci_u32_e64 v3, null, v69, v3, vcc_lo
	flat_store_dwordx2 v[2:3], v[0:1]
	s_or_b32 exec_lo, exec_lo, s4
	s_and_b32 s5, s16, s12
	s_and_saveexec_b32 s4, s5
	s_cbranch_execz .LBB151_228
.LBB151_284:
	s_clause 0x1
	buffer_load_dword v0, off, s[0:3], 0 offset:320
	buffer_load_dword v1, off, s[0:3], 0 offset:324
	v_cmp_ne_u32_e32 vcc_lo, 1, v70
	v_lshlrev_b64 v[2:3], 3, v[16:17]
	s_cbranch_vccnz .LBB151_286
; %bb.285:
	v_add_co_u32 v4, vcc_lo, v71, v2
	v_add_co_ci_u32_e64 v5, null, v72, v3, vcc_lo
	flat_load_dwordx2 v[4:5], v[4:5]
	s_waitcnt vmcnt(0) lgkmcnt(0)
	v_mul_f64 v[4:5], s[38:39], v[4:5]
	s_branch .LBB151_287
.LBB151_286:
	v_mov_b32_e32 v4, 0
	v_mov_b32_e32 v5, 0
.LBB151_287:
	s_waitcnt vmcnt(0)
	v_add_f64 v[0:1], v[0:1], v[4:5]
	v_add_co_u32 v2, vcc_lo, v68, v2
	v_add_co_ci_u32_e64 v3, null, v69, v3, vcc_lo
	flat_store_dwordx2 v[2:3], v[0:1]
	s_or_b32 exec_lo, exec_lo, s4
	s_and_b32 s5, s16, s13
	s_and_saveexec_b32 s4, s5
	s_cbranch_execz .LBB151_229
.LBB151_288:
	s_clause 0x1
	buffer_load_dword v0, off, s[0:3], 0 offset:328
	buffer_load_dword v1, off, s[0:3], 0 offset:332
	v_cmp_ne_u32_e32 vcc_lo, 1, v70
	v_lshlrev_b64 v[2:3], 3, v[18:19]
	s_cbranch_vccnz .LBB151_290
; %bb.289:
	v_add_co_u32 v4, vcc_lo, v71, v2
	v_add_co_ci_u32_e64 v5, null, v72, v3, vcc_lo
	flat_load_dwordx2 v[4:5], v[4:5]
	s_waitcnt vmcnt(0) lgkmcnt(0)
	v_mul_f64 v[4:5], s[38:39], v[4:5]
	s_branch .LBB151_291
.LBB151_290:
	v_mov_b32_e32 v4, 0
	v_mov_b32_e32 v5, 0
.LBB151_291:
	s_waitcnt vmcnt(0)
	v_add_f64 v[0:1], v[0:1], v[4:5]
	v_add_co_u32 v2, vcc_lo, v68, v2
	v_add_co_ci_u32_e64 v3, null, v69, v3, vcc_lo
	flat_store_dwordx2 v[2:3], v[0:1]
	s_or_b32 exec_lo, exec_lo, s4
	s_and_b32 s5, s16, s14
	s_and_saveexec_b32 s4, s5
	s_cbranch_execz .LBB151_230
.LBB151_292:
	s_clause 0x1
	buffer_load_dword v0, off, s[0:3], 0 offset:336
	buffer_load_dword v1, off, s[0:3], 0 offset:340
	v_cmp_ne_u32_e32 vcc_lo, 1, v70
	v_lshlrev_b64 v[2:3], 3, v[20:21]
	s_cbranch_vccnz .LBB151_294
; %bb.293:
	v_add_co_u32 v4, vcc_lo, v71, v2
	v_add_co_ci_u32_e64 v5, null, v72, v3, vcc_lo
	flat_load_dwordx2 v[4:5], v[4:5]
	s_waitcnt vmcnt(0) lgkmcnt(0)
	v_mul_f64 v[4:5], s[38:39], v[4:5]
	s_branch .LBB151_295
.LBB151_294:
	v_mov_b32_e32 v4, 0
	v_mov_b32_e32 v5, 0
.LBB151_295:
	s_waitcnt vmcnt(0)
	v_add_f64 v[0:1], v[0:1], v[4:5]
	v_add_co_u32 v2, vcc_lo, v68, v2
	v_add_co_ci_u32_e64 v3, null, v69, v3, vcc_lo
	flat_store_dwordx2 v[2:3], v[0:1]
	s_or_b32 exec_lo, exec_lo, s4
	s_and_b32 s5, s16, s15
	s_and_saveexec_b32 s4, s5
	s_cbranch_execz .LBB151_231
.LBB151_296:
	s_clause 0x1
	buffer_load_dword v0, off, s[0:3], 0 offset:344
	buffer_load_dword v1, off, s[0:3], 0 offset:348
	v_cmp_ne_u32_e32 vcc_lo, 1, v70
	v_lshlrev_b64 v[2:3], 3, v[22:23]
	s_cbranch_vccnz .LBB151_298
; %bb.297:
	v_add_co_u32 v4, vcc_lo, v71, v2
	v_add_co_ci_u32_e64 v5, null, v72, v3, vcc_lo
	flat_load_dwordx2 v[4:5], v[4:5]
	s_waitcnt vmcnt(0) lgkmcnt(0)
	v_mul_f64 v[4:5], s[38:39], v[4:5]
	s_branch .LBB151_299
.LBB151_298:
	v_mov_b32_e32 v4, 0
	v_mov_b32_e32 v5, 0
.LBB151_299:
	s_waitcnt vmcnt(0)
	v_add_f64 v[0:1], v[0:1], v[4:5]
	v_add_co_u32 v2, vcc_lo, v68, v2
	v_add_co_ci_u32_e64 v3, null, v69, v3, vcc_lo
	flat_store_dwordx2 v[2:3], v[0:1]
	s_or_b32 exec_lo, exec_lo, s4
	s_and_b32 s5, s16, s17
	s_and_saveexec_b32 s4, s5
	s_cbranch_execz .LBB151_232
.LBB151_300:
	s_clause 0x1
	buffer_load_dword v0, off, s[0:3], 0 offset:352
	buffer_load_dword v1, off, s[0:3], 0 offset:356
	v_cmp_ne_u32_e32 vcc_lo, 1, v70
	v_lshlrev_b64 v[2:3], 3, v[24:25]
	s_cbranch_vccnz .LBB151_302
; %bb.301:
	v_add_co_u32 v4, vcc_lo, v71, v2
	v_add_co_ci_u32_e64 v5, null, v72, v3, vcc_lo
	flat_load_dwordx2 v[4:5], v[4:5]
	s_waitcnt vmcnt(0) lgkmcnt(0)
	v_mul_f64 v[4:5], s[38:39], v[4:5]
	s_branch .LBB151_303
.LBB151_302:
	v_mov_b32_e32 v4, 0
	v_mov_b32_e32 v5, 0
.LBB151_303:
	s_waitcnt vmcnt(0)
	v_add_f64 v[0:1], v[0:1], v[4:5]
	v_add_co_u32 v2, vcc_lo, v68, v2
	v_add_co_ci_u32_e64 v3, null, v69, v3, vcc_lo
	flat_store_dwordx2 v[2:3], v[0:1]
	s_or_b32 exec_lo, exec_lo, s4
	s_and_b32 s5, s16, s18
	s_and_saveexec_b32 s4, s5
	s_cbranch_execz .LBB151_233
.LBB151_304:
	s_clause 0x1
	buffer_load_dword v0, off, s[0:3], 0 offset:360
	buffer_load_dword v1, off, s[0:3], 0 offset:364
	v_cmp_ne_u32_e32 vcc_lo, 1, v70
	v_lshlrev_b64 v[2:3], 3, v[26:27]
	s_cbranch_vccnz .LBB151_306
; %bb.305:
	v_add_co_u32 v4, vcc_lo, v71, v2
	v_add_co_ci_u32_e64 v5, null, v72, v3, vcc_lo
	flat_load_dwordx2 v[4:5], v[4:5]
	s_waitcnt vmcnt(0) lgkmcnt(0)
	v_mul_f64 v[4:5], s[38:39], v[4:5]
	s_branch .LBB151_307
.LBB151_306:
	v_mov_b32_e32 v4, 0
	v_mov_b32_e32 v5, 0
.LBB151_307:
	s_waitcnt vmcnt(0)
	v_add_f64 v[0:1], v[0:1], v[4:5]
	v_add_co_u32 v2, vcc_lo, v68, v2
	v_add_co_ci_u32_e64 v3, null, v69, v3, vcc_lo
	flat_store_dwordx2 v[2:3], v[0:1]
	s_or_b32 exec_lo, exec_lo, s4
	s_and_b32 s5, s16, s19
	s_and_saveexec_b32 s4, s5
	s_cbranch_execz .LBB151_234
.LBB151_308:
	s_clause 0x1
	buffer_load_dword v0, off, s[0:3], 0 offset:368
	buffer_load_dword v1, off, s[0:3], 0 offset:372
	v_cmp_ne_u32_e32 vcc_lo, 1, v70
	v_lshlrev_b64 v[2:3], 3, v[28:29]
	s_cbranch_vccnz .LBB151_310
; %bb.309:
	v_add_co_u32 v4, vcc_lo, v71, v2
	v_add_co_ci_u32_e64 v5, null, v72, v3, vcc_lo
	flat_load_dwordx2 v[4:5], v[4:5]
	s_waitcnt vmcnt(0) lgkmcnt(0)
	v_mul_f64 v[4:5], s[38:39], v[4:5]
	s_branch .LBB151_311
.LBB151_310:
	v_mov_b32_e32 v4, 0
	v_mov_b32_e32 v5, 0
.LBB151_311:
	s_waitcnt vmcnt(0)
	v_add_f64 v[0:1], v[0:1], v[4:5]
	v_add_co_u32 v2, vcc_lo, v68, v2
	v_add_co_ci_u32_e64 v3, null, v69, v3, vcc_lo
	flat_store_dwordx2 v[2:3], v[0:1]
	s_or_b32 exec_lo, exec_lo, s4
	s_and_b32 s5, s16, s20
	s_and_saveexec_b32 s4, s5
	s_cbranch_execz .LBB151_235
.LBB151_312:
	s_clause 0x1
	buffer_load_dword v0, off, s[0:3], 0 offset:376
	buffer_load_dword v1, off, s[0:3], 0 offset:380
	v_cmp_ne_u32_e32 vcc_lo, 1, v70
	v_lshlrev_b64 v[2:3], 3, v[30:31]
	s_cbranch_vccnz .LBB151_314
; %bb.313:
	v_add_co_u32 v4, vcc_lo, v71, v2
	v_add_co_ci_u32_e64 v5, null, v72, v3, vcc_lo
	flat_load_dwordx2 v[4:5], v[4:5]
	s_waitcnt vmcnt(0) lgkmcnt(0)
	v_mul_f64 v[4:5], s[38:39], v[4:5]
	s_branch .LBB151_315
.LBB151_314:
	v_mov_b32_e32 v4, 0
	v_mov_b32_e32 v5, 0
.LBB151_315:
	s_waitcnt vmcnt(0)
	v_add_f64 v[0:1], v[0:1], v[4:5]
	v_add_co_u32 v2, vcc_lo, v68, v2
	v_add_co_ci_u32_e64 v3, null, v69, v3, vcc_lo
	flat_store_dwordx2 v[2:3], v[0:1]
	s_or_b32 exec_lo, exec_lo, s4
	s_and_b32 s5, s16, s21
	s_and_saveexec_b32 s4, s5
	s_cbranch_execz .LBB151_236
.LBB151_316:
	s_clause 0x1
	buffer_load_dword v0, off, s[0:3], 0 offset:384
	buffer_load_dword v1, off, s[0:3], 0 offset:388
	v_cmp_ne_u32_e32 vcc_lo, 1, v70
	v_lshlrev_b64 v[2:3], 3, v[32:33]
	s_cbranch_vccnz .LBB151_318
; %bb.317:
	v_add_co_u32 v4, vcc_lo, v71, v2
	v_add_co_ci_u32_e64 v5, null, v72, v3, vcc_lo
	flat_load_dwordx2 v[4:5], v[4:5]
	s_waitcnt vmcnt(0) lgkmcnt(0)
	v_mul_f64 v[4:5], s[38:39], v[4:5]
	s_branch .LBB151_319
.LBB151_318:
	v_mov_b32_e32 v4, 0
	v_mov_b32_e32 v5, 0
.LBB151_319:
	s_waitcnt vmcnt(0)
	v_add_f64 v[0:1], v[0:1], v[4:5]
	v_add_co_u32 v2, vcc_lo, v68, v2
	v_add_co_ci_u32_e64 v3, null, v69, v3, vcc_lo
	flat_store_dwordx2 v[2:3], v[0:1]
	s_or_b32 exec_lo, exec_lo, s4
	s_and_b32 s5, s16, s22
	s_and_saveexec_b32 s4, s5
	s_cbranch_execz .LBB151_237
.LBB151_320:
	s_clause 0x1
	buffer_load_dword v0, off, s[0:3], 0 offset:392
	buffer_load_dword v1, off, s[0:3], 0 offset:396
	v_cmp_ne_u32_e32 vcc_lo, 1, v70
	v_lshlrev_b64 v[2:3], 3, v[34:35]
	s_cbranch_vccnz .LBB151_322
; %bb.321:
	v_add_co_u32 v4, vcc_lo, v71, v2
	v_add_co_ci_u32_e64 v5, null, v72, v3, vcc_lo
	flat_load_dwordx2 v[4:5], v[4:5]
	s_waitcnt vmcnt(0) lgkmcnt(0)
	v_mul_f64 v[4:5], s[38:39], v[4:5]
	s_branch .LBB151_323
.LBB151_322:
	v_mov_b32_e32 v4, 0
	v_mov_b32_e32 v5, 0
.LBB151_323:
	s_waitcnt vmcnt(0)
	v_add_f64 v[0:1], v[0:1], v[4:5]
	v_add_co_u32 v2, vcc_lo, v68, v2
	v_add_co_ci_u32_e64 v3, null, v69, v3, vcc_lo
	flat_store_dwordx2 v[2:3], v[0:1]
	s_or_b32 exec_lo, exec_lo, s4
	s_and_b32 s5, s16, s23
	s_and_saveexec_b32 s4, s5
	s_cbranch_execz .LBB151_238
.LBB151_324:
	s_clause 0x1
	buffer_load_dword v0, off, s[0:3], 0 offset:400
	buffer_load_dword v1, off, s[0:3], 0 offset:404
	v_cmp_ne_u32_e32 vcc_lo, 1, v70
	v_lshlrev_b64 v[2:3], 3, v[36:37]
	s_cbranch_vccnz .LBB151_326
; %bb.325:
	v_add_co_u32 v4, vcc_lo, v71, v2
	v_add_co_ci_u32_e64 v5, null, v72, v3, vcc_lo
	flat_load_dwordx2 v[4:5], v[4:5]
	s_waitcnt vmcnt(0) lgkmcnt(0)
	v_mul_f64 v[4:5], s[38:39], v[4:5]
	s_branch .LBB151_327
.LBB151_326:
	v_mov_b32_e32 v4, 0
	v_mov_b32_e32 v5, 0
.LBB151_327:
	s_waitcnt vmcnt(0)
	v_add_f64 v[0:1], v[0:1], v[4:5]
	v_add_co_u32 v2, vcc_lo, v68, v2
	v_add_co_ci_u32_e64 v3, null, v69, v3, vcc_lo
	flat_store_dwordx2 v[2:3], v[0:1]
	s_or_b32 exec_lo, exec_lo, s4
	s_and_b32 s5, s16, s24
	s_and_saveexec_b32 s4, s5
	s_cbranch_execz .LBB151_239
.LBB151_328:
	s_clause 0x1
	buffer_load_dword v0, off, s[0:3], 0 offset:408
	buffer_load_dword v1, off, s[0:3], 0 offset:412
	v_cmp_ne_u32_e32 vcc_lo, 1, v70
	v_lshlrev_b64 v[2:3], 3, v[38:39]
	s_cbranch_vccnz .LBB151_330
; %bb.329:
	v_add_co_u32 v4, vcc_lo, v71, v2
	v_add_co_ci_u32_e64 v5, null, v72, v3, vcc_lo
	flat_load_dwordx2 v[4:5], v[4:5]
	s_waitcnt vmcnt(0) lgkmcnt(0)
	v_mul_f64 v[4:5], s[38:39], v[4:5]
	s_branch .LBB151_331
.LBB151_330:
	v_mov_b32_e32 v4, 0
	v_mov_b32_e32 v5, 0
.LBB151_331:
	s_waitcnt vmcnt(0)
	v_add_f64 v[0:1], v[0:1], v[4:5]
	v_add_co_u32 v2, vcc_lo, v68, v2
	v_add_co_ci_u32_e64 v3, null, v69, v3, vcc_lo
	flat_store_dwordx2 v[2:3], v[0:1]
	s_or_b32 exec_lo, exec_lo, s4
	s_and_b32 s5, s16, s25
	s_and_saveexec_b32 s4, s5
	s_cbranch_execz .LBB151_240
.LBB151_332:
	s_clause 0x1
	buffer_load_dword v0, off, s[0:3], 0 offset:416
	buffer_load_dword v1, off, s[0:3], 0 offset:420
	v_cmp_ne_u32_e32 vcc_lo, 1, v70
	v_lshlrev_b64 v[2:3], 3, v[40:41]
	s_cbranch_vccnz .LBB151_334
; %bb.333:
	v_add_co_u32 v4, vcc_lo, v71, v2
	v_add_co_ci_u32_e64 v5, null, v72, v3, vcc_lo
	flat_load_dwordx2 v[4:5], v[4:5]
	s_waitcnt vmcnt(0) lgkmcnt(0)
	v_mul_f64 v[4:5], s[38:39], v[4:5]
	s_branch .LBB151_335
.LBB151_334:
	v_mov_b32_e32 v4, 0
	v_mov_b32_e32 v5, 0
.LBB151_335:
	s_waitcnt vmcnt(0)
	v_add_f64 v[0:1], v[0:1], v[4:5]
	v_add_co_u32 v2, vcc_lo, v68, v2
	v_add_co_ci_u32_e64 v3, null, v69, v3, vcc_lo
	flat_store_dwordx2 v[2:3], v[0:1]
	s_or_b32 exec_lo, exec_lo, s4
	s_and_b32 s5, s16, s26
	s_and_saveexec_b32 s4, s5
	s_cbranch_execz .LBB151_241
.LBB151_336:
	s_clause 0x1
	buffer_load_dword v0, off, s[0:3], 0 offset:424
	buffer_load_dword v1, off, s[0:3], 0 offset:428
	v_cmp_ne_u32_e32 vcc_lo, 1, v70
	v_lshlrev_b64 v[2:3], 3, v[42:43]
	s_cbranch_vccnz .LBB151_338
; %bb.337:
	v_add_co_u32 v4, vcc_lo, v71, v2
	v_add_co_ci_u32_e64 v5, null, v72, v3, vcc_lo
	flat_load_dwordx2 v[4:5], v[4:5]
	s_waitcnt vmcnt(0) lgkmcnt(0)
	v_mul_f64 v[4:5], s[38:39], v[4:5]
	s_branch .LBB151_339
.LBB151_338:
	v_mov_b32_e32 v4, 0
	v_mov_b32_e32 v5, 0
.LBB151_339:
	s_waitcnt vmcnt(0)
	v_add_f64 v[0:1], v[0:1], v[4:5]
	v_add_co_u32 v2, vcc_lo, v68, v2
	v_add_co_ci_u32_e64 v3, null, v69, v3, vcc_lo
	flat_store_dwordx2 v[2:3], v[0:1]
	s_or_b32 exec_lo, exec_lo, s4
	s_and_b32 s5, s16, s27
	s_and_saveexec_b32 s4, s5
	s_cbranch_execz .LBB151_242
.LBB151_340:
	s_clause 0x1
	buffer_load_dword v0, off, s[0:3], 0 offset:432
	buffer_load_dword v1, off, s[0:3], 0 offset:436
	v_cmp_ne_u32_e32 vcc_lo, 1, v70
	v_lshlrev_b64 v[2:3], 3, v[44:45]
	s_cbranch_vccnz .LBB151_342
; %bb.341:
	v_add_co_u32 v4, vcc_lo, v71, v2
	v_add_co_ci_u32_e64 v5, null, v72, v3, vcc_lo
	flat_load_dwordx2 v[4:5], v[4:5]
	s_waitcnt vmcnt(0) lgkmcnt(0)
	v_mul_f64 v[4:5], s[38:39], v[4:5]
	s_branch .LBB151_343
.LBB151_342:
	v_mov_b32_e32 v4, 0
	v_mov_b32_e32 v5, 0
.LBB151_343:
	s_waitcnt vmcnt(0)
	v_add_f64 v[0:1], v[0:1], v[4:5]
	v_add_co_u32 v2, vcc_lo, v68, v2
	v_add_co_ci_u32_e64 v3, null, v69, v3, vcc_lo
	flat_store_dwordx2 v[2:3], v[0:1]
	s_or_b32 exec_lo, exec_lo, s4
	s_and_b32 s5, s16, s28
	s_and_saveexec_b32 s4, s5
	s_cbranch_execz .LBB151_243
.LBB151_344:
	s_clause 0x1
	buffer_load_dword v0, off, s[0:3], 0 offset:440
	buffer_load_dword v1, off, s[0:3], 0 offset:444
	v_cmp_ne_u32_e32 vcc_lo, 1, v70
	v_lshlrev_b64 v[2:3], 3, v[46:47]
	s_cbranch_vccnz .LBB151_346
; %bb.345:
	v_add_co_u32 v4, vcc_lo, v71, v2
	v_add_co_ci_u32_e64 v5, null, v72, v3, vcc_lo
	flat_load_dwordx2 v[4:5], v[4:5]
	s_waitcnt vmcnt(0) lgkmcnt(0)
	v_mul_f64 v[4:5], s[38:39], v[4:5]
	s_branch .LBB151_347
.LBB151_346:
	v_mov_b32_e32 v4, 0
	v_mov_b32_e32 v5, 0
.LBB151_347:
	s_waitcnt vmcnt(0)
	v_add_f64 v[0:1], v[0:1], v[4:5]
	v_add_co_u32 v2, vcc_lo, v68, v2
	v_add_co_ci_u32_e64 v3, null, v69, v3, vcc_lo
	flat_store_dwordx2 v[2:3], v[0:1]
	s_or_b32 exec_lo, exec_lo, s4
	s_and_b32 s5, s16, s29
	s_and_saveexec_b32 s4, s5
	s_cbranch_execz .LBB151_244
.LBB151_348:
	s_clause 0x1
	buffer_load_dword v0, off, s[0:3], 0 offset:448
	buffer_load_dword v1, off, s[0:3], 0 offset:452
	v_cmp_ne_u32_e32 vcc_lo, 1, v70
	v_lshlrev_b64 v[2:3], 3, v[48:49]
	s_cbranch_vccnz .LBB151_350
; %bb.349:
	v_add_co_u32 v4, vcc_lo, v71, v2
	v_add_co_ci_u32_e64 v5, null, v72, v3, vcc_lo
	flat_load_dwordx2 v[4:5], v[4:5]
	s_waitcnt vmcnt(0) lgkmcnt(0)
	v_mul_f64 v[4:5], s[38:39], v[4:5]
	s_branch .LBB151_351
.LBB151_350:
	v_mov_b32_e32 v4, 0
	v_mov_b32_e32 v5, 0
.LBB151_351:
	s_waitcnt vmcnt(0)
	v_add_f64 v[0:1], v[0:1], v[4:5]
	v_add_co_u32 v2, vcc_lo, v68, v2
	v_add_co_ci_u32_e64 v3, null, v69, v3, vcc_lo
	flat_store_dwordx2 v[2:3], v[0:1]
	s_or_b32 exec_lo, exec_lo, s4
	s_and_b32 s5, s16, s30
	s_and_saveexec_b32 s4, s5
	s_cbranch_execz .LBB151_245
.LBB151_352:
	s_clause 0x1
	buffer_load_dword v0, off, s[0:3], 0 offset:456
	buffer_load_dword v1, off, s[0:3], 0 offset:460
	v_cmp_ne_u32_e32 vcc_lo, 1, v70
	v_lshlrev_b64 v[2:3], 3, v[50:51]
	s_cbranch_vccnz .LBB151_354
; %bb.353:
	v_add_co_u32 v4, vcc_lo, v71, v2
	v_add_co_ci_u32_e64 v5, null, v72, v3, vcc_lo
	flat_load_dwordx2 v[4:5], v[4:5]
	s_waitcnt vmcnt(0) lgkmcnt(0)
	v_mul_f64 v[4:5], s[38:39], v[4:5]
	s_branch .LBB151_355
.LBB151_354:
	v_mov_b32_e32 v4, 0
	v_mov_b32_e32 v5, 0
.LBB151_355:
	s_waitcnt vmcnt(0)
	v_add_f64 v[0:1], v[0:1], v[4:5]
	v_add_co_u32 v2, vcc_lo, v68, v2
	v_add_co_ci_u32_e64 v3, null, v69, v3, vcc_lo
	flat_store_dwordx2 v[2:3], v[0:1]
	s_or_b32 exec_lo, exec_lo, s4
	s_and_b32 s5, s16, s31
	s_and_saveexec_b32 s4, s5
	s_cbranch_execz .LBB151_246
.LBB151_356:
	s_clause 0x1
	buffer_load_dword v0, off, s[0:3], 0 offset:464
	buffer_load_dword v1, off, s[0:3], 0 offset:468
	v_cmp_ne_u32_e32 vcc_lo, 1, v70
	v_lshlrev_b64 v[2:3], 3, v[52:53]
	s_cbranch_vccnz .LBB151_358
; %bb.357:
	v_add_co_u32 v4, vcc_lo, v71, v2
	v_add_co_ci_u32_e64 v5, null, v72, v3, vcc_lo
	flat_load_dwordx2 v[4:5], v[4:5]
	s_waitcnt vmcnt(0) lgkmcnt(0)
	v_mul_f64 v[4:5], s[38:39], v[4:5]
	s_branch .LBB151_359
.LBB151_358:
	v_mov_b32_e32 v4, 0
	v_mov_b32_e32 v5, 0
.LBB151_359:
	s_waitcnt vmcnt(0)
	v_add_f64 v[0:1], v[0:1], v[4:5]
	v_add_co_u32 v2, vcc_lo, v68, v2
	v_add_co_ci_u32_e64 v3, null, v69, v3, vcc_lo
	flat_store_dwordx2 v[2:3], v[0:1]
	s_or_b32 exec_lo, exec_lo, s4
	s_and_b32 s5, s16, s33
	s_and_saveexec_b32 s4, s5
	s_cbranch_execz .LBB151_247
.LBB151_360:
	s_clause 0x1
	buffer_load_dword v0, off, s[0:3], 0 offset:472
	buffer_load_dword v1, off, s[0:3], 0 offset:476
	v_cmp_ne_u32_e32 vcc_lo, 1, v70
	v_lshlrev_b64 v[2:3], 3, v[54:55]
	s_cbranch_vccnz .LBB151_362
; %bb.361:
	v_add_co_u32 v4, vcc_lo, v71, v2
	v_add_co_ci_u32_e64 v5, null, v72, v3, vcc_lo
	flat_load_dwordx2 v[4:5], v[4:5]
	s_waitcnt vmcnt(0) lgkmcnt(0)
	v_mul_f64 v[4:5], s[38:39], v[4:5]
	s_branch .LBB151_363
.LBB151_362:
	v_mov_b32_e32 v4, 0
	v_mov_b32_e32 v5, 0
.LBB151_363:
	s_waitcnt vmcnt(0)
	v_add_f64 v[0:1], v[0:1], v[4:5]
	v_add_co_u32 v2, vcc_lo, v68, v2
	v_add_co_ci_u32_e64 v3, null, v69, v3, vcc_lo
	flat_store_dwordx2 v[2:3], v[0:1]
	s_or_b32 exec_lo, exec_lo, s4
	s_and_b32 s5, s16, s34
	s_and_saveexec_b32 s4, s5
	s_cbranch_execz .LBB151_248
.LBB151_364:
	s_clause 0x1
	buffer_load_dword v0, off, s[0:3], 0 offset:480
	buffer_load_dword v1, off, s[0:3], 0 offset:484
	v_cmp_ne_u32_e32 vcc_lo, 1, v70
	v_lshlrev_b64 v[2:3], 3, v[56:57]
	s_cbranch_vccnz .LBB151_366
; %bb.365:
	v_add_co_u32 v4, vcc_lo, v71, v2
	v_add_co_ci_u32_e64 v5, null, v72, v3, vcc_lo
	flat_load_dwordx2 v[4:5], v[4:5]
	s_waitcnt vmcnt(0) lgkmcnt(0)
	v_mul_f64 v[4:5], s[38:39], v[4:5]
	s_branch .LBB151_367
.LBB151_366:
	v_mov_b32_e32 v4, 0
	v_mov_b32_e32 v5, 0
.LBB151_367:
	s_waitcnt vmcnt(0)
	v_add_f64 v[0:1], v[0:1], v[4:5]
	v_add_co_u32 v2, vcc_lo, v68, v2
	v_add_co_ci_u32_e64 v3, null, v69, v3, vcc_lo
	flat_store_dwordx2 v[2:3], v[0:1]
	s_or_b32 exec_lo, exec_lo, s4
	s_and_b32 s5, s16, s35
	s_and_saveexec_b32 s4, s5
	s_cbranch_execz .LBB151_249
.LBB151_368:
	s_clause 0x1
	buffer_load_dword v0, off, s[0:3], 0 offset:488
	buffer_load_dword v1, off, s[0:3], 0 offset:492
	v_cmp_ne_u32_e32 vcc_lo, 1, v70
	v_lshlrev_b64 v[2:3], 3, v[58:59]
	s_cbranch_vccnz .LBB151_370
; %bb.369:
	v_add_co_u32 v4, vcc_lo, v71, v2
	v_add_co_ci_u32_e64 v5, null, v72, v3, vcc_lo
	flat_load_dwordx2 v[4:5], v[4:5]
	s_waitcnt vmcnt(0) lgkmcnt(0)
	v_mul_f64 v[4:5], s[38:39], v[4:5]
	s_branch .LBB151_371
.LBB151_370:
	v_mov_b32_e32 v4, 0
	v_mov_b32_e32 v5, 0
.LBB151_371:
	s_waitcnt vmcnt(0)
	v_add_f64 v[0:1], v[0:1], v[4:5]
	v_add_co_u32 v2, vcc_lo, v68, v2
	v_add_co_ci_u32_e64 v3, null, v69, v3, vcc_lo
	flat_store_dwordx2 v[2:3], v[0:1]
	s_or_b32 exec_lo, exec_lo, s4
	s_and_b32 s5, s16, s36
	s_and_saveexec_b32 s4, s5
	s_cbranch_execz .LBB151_250
.LBB151_372:
	s_clause 0x1
	buffer_load_dword v0, off, s[0:3], 0 offset:496
	buffer_load_dword v1, off, s[0:3], 0 offset:500
	v_cmp_ne_u32_e32 vcc_lo, 1, v70
	v_lshlrev_b64 v[2:3], 3, v[60:61]
	s_cbranch_vccnz .LBB151_374
; %bb.373:
	v_add_co_u32 v4, vcc_lo, v71, v2
	v_add_co_ci_u32_e64 v5, null, v72, v3, vcc_lo
	flat_load_dwordx2 v[4:5], v[4:5]
	s_waitcnt vmcnt(0) lgkmcnt(0)
	v_mul_f64 v[4:5], s[38:39], v[4:5]
	s_branch .LBB151_375
.LBB151_374:
	v_mov_b32_e32 v4, 0
	v_mov_b32_e32 v5, 0
.LBB151_375:
	s_waitcnt vmcnt(0)
	v_add_f64 v[0:1], v[0:1], v[4:5]
	v_add_co_u32 v2, vcc_lo, v68, v2
	v_add_co_ci_u32_e64 v3, null, v69, v3, vcc_lo
	flat_store_dwordx2 v[2:3], v[0:1]
	s_or_b32 exec_lo, exec_lo, s4
	s_and_b32 s4, s16, s37
	s_and_saveexec_b32 s5, s4
	s_cbranch_execz .LBB151_251
.LBB151_376:
	s_clause 0x1
	buffer_load_dword v0, off, s[0:3], 0 offset:504
	buffer_load_dword v1, off, s[0:3], 0 offset:508
	v_cmp_ne_u32_e32 vcc_lo, 1, v70
	v_lshlrev_b64 v[2:3], 3, v[62:63]
	s_cbranch_vccnz .LBB151_378
; %bb.377:
	v_add_co_u32 v4, vcc_lo, v71, v2
	v_add_co_ci_u32_e64 v5, null, v72, v3, vcc_lo
	flat_load_dwordx2 v[4:5], v[4:5]
	s_waitcnt vmcnt(0) lgkmcnt(0)
	v_mul_f64 v[4:5], s[38:39], v[4:5]
	s_branch .LBB151_379
.LBB151_378:
	v_mov_b32_e32 v4, 0
	v_mov_b32_e32 v5, 0
.LBB151_379:
	s_waitcnt vmcnt(0)
	v_add_f64 v[0:1], v[0:1], v[4:5]
	v_add_co_u32 v2, vcc_lo, v68, v2
	v_add_co_ci_u32_e64 v3, null, v69, v3, vcc_lo
	flat_store_dwordx2 v[2:3], v[0:1]
	s_endpgm
	.section	.rodata,"a",@progbits
	.p2align	6, 0x0
	.amdhsa_kernel _ZN12_GLOBAL__N_120geam_min_plus_kernelIdddLi4ELi64ELi128ELi128ELi4ELi4ELi64ELi64ELi4ELc84ELc84ELb1ELb1ELb0EdKPKdKPdEEviiiT16_PT17_ilS8_ilS6_S8_ilPT18_ili26rocblas_geam_ex_operation_
		.amdhsa_group_segment_fixed_size 16384
		.amdhsa_private_segment_fixed_size 528
		.amdhsa_kernarg_size 136
		.amdhsa_user_sgpr_count 6
		.amdhsa_user_sgpr_private_segment_buffer 1
		.amdhsa_user_sgpr_dispatch_ptr 0
		.amdhsa_user_sgpr_queue_ptr 0
		.amdhsa_user_sgpr_kernarg_segment_ptr 1
		.amdhsa_user_sgpr_dispatch_id 0
		.amdhsa_user_sgpr_flat_scratch_init 0
		.amdhsa_user_sgpr_private_segment_size 0
		.amdhsa_wavefront_size32 1
		.amdhsa_uses_dynamic_stack 0
		.amdhsa_system_sgpr_private_segment_wavefront_offset 1
		.amdhsa_system_sgpr_workgroup_id_x 1
		.amdhsa_system_sgpr_workgroup_id_y 0
		.amdhsa_system_sgpr_workgroup_id_z 1
		.amdhsa_system_sgpr_workgroup_info 0
		.amdhsa_system_vgpr_workitem_id 1
		.amdhsa_next_free_vgpr 227
		.amdhsa_next_free_sgpr 50
		.amdhsa_reserve_vcc 1
		.amdhsa_reserve_flat_scratch 0
		.amdhsa_float_round_mode_32 0
		.amdhsa_float_round_mode_16_64 0
		.amdhsa_float_denorm_mode_32 3
		.amdhsa_float_denorm_mode_16_64 3
		.amdhsa_dx10_clamp 1
		.amdhsa_ieee_mode 1
		.amdhsa_fp16_overflow 0
		.amdhsa_workgroup_processor_mode 1
		.amdhsa_memory_ordered 1
		.amdhsa_forward_progress 1
		.amdhsa_shared_vgpr_count 0
		.amdhsa_exception_fp_ieee_invalid_op 0
		.amdhsa_exception_fp_denorm_src 0
		.amdhsa_exception_fp_ieee_div_zero 0
		.amdhsa_exception_fp_ieee_overflow 0
		.amdhsa_exception_fp_ieee_underflow 0
		.amdhsa_exception_fp_ieee_inexact 0
		.amdhsa_exception_int_div_zero 0
	.end_amdhsa_kernel
	.section	.text._ZN12_GLOBAL__N_120geam_min_plus_kernelIdddLi4ELi64ELi128ELi128ELi4ELi4ELi64ELi64ELi4ELc84ELc84ELb1ELb1ELb0EdKPKdKPdEEviiiT16_PT17_ilS8_ilS6_S8_ilPT18_ili26rocblas_geam_ex_operation_,"axG",@progbits,_ZN12_GLOBAL__N_120geam_min_plus_kernelIdddLi4ELi64ELi128ELi128ELi4ELi4ELi64ELi64ELi4ELc84ELc84ELb1ELb1ELb0EdKPKdKPdEEviiiT16_PT17_ilS8_ilS6_S8_ilPT18_ili26rocblas_geam_ex_operation_,comdat
.Lfunc_end151:
	.size	_ZN12_GLOBAL__N_120geam_min_plus_kernelIdddLi4ELi64ELi128ELi128ELi4ELi4ELi64ELi64ELi4ELc84ELc84ELb1ELb1ELb0EdKPKdKPdEEviiiT16_PT17_ilS8_ilS6_S8_ilPT18_ili26rocblas_geam_ex_operation_, .Lfunc_end151-_ZN12_GLOBAL__N_120geam_min_plus_kernelIdddLi4ELi64ELi128ELi128ELi4ELi4ELi64ELi64ELi4ELc84ELc84ELb1ELb1ELb0EdKPKdKPdEEviiiT16_PT17_ilS8_ilS6_S8_ilPT18_ili26rocblas_geam_ex_operation_
                                        ; -- End function
	.set _ZN12_GLOBAL__N_120geam_min_plus_kernelIdddLi4ELi64ELi128ELi128ELi4ELi4ELi64ELi64ELi4ELc84ELc84ELb1ELb1ELb0EdKPKdKPdEEviiiT16_PT17_ilS8_ilS6_S8_ilPT18_ili26rocblas_geam_ex_operation_.num_vgpr, 227
	.set _ZN12_GLOBAL__N_120geam_min_plus_kernelIdddLi4ELi64ELi128ELi128ELi4ELi4ELi64ELi64ELi4ELc84ELc84ELb1ELb1ELb0EdKPKdKPdEEviiiT16_PT17_ilS8_ilS6_S8_ilPT18_ili26rocblas_geam_ex_operation_.num_agpr, 0
	.set _ZN12_GLOBAL__N_120geam_min_plus_kernelIdddLi4ELi64ELi128ELi128ELi4ELi4ELi64ELi64ELi4ELc84ELc84ELb1ELb1ELb0EdKPKdKPdEEviiiT16_PT17_ilS8_ilS6_S8_ilPT18_ili26rocblas_geam_ex_operation_.numbered_sgpr, 50
	.set _ZN12_GLOBAL__N_120geam_min_plus_kernelIdddLi4ELi64ELi128ELi128ELi4ELi4ELi64ELi64ELi4ELc84ELc84ELb1ELb1ELb0EdKPKdKPdEEviiiT16_PT17_ilS8_ilS6_S8_ilPT18_ili26rocblas_geam_ex_operation_.num_named_barrier, 0
	.set _ZN12_GLOBAL__N_120geam_min_plus_kernelIdddLi4ELi64ELi128ELi128ELi4ELi4ELi64ELi64ELi4ELc84ELc84ELb1ELb1ELb0EdKPKdKPdEEviiiT16_PT17_ilS8_ilS6_S8_ilPT18_ili26rocblas_geam_ex_operation_.private_seg_size, 528
	.set _ZN12_GLOBAL__N_120geam_min_plus_kernelIdddLi4ELi64ELi128ELi128ELi4ELi4ELi64ELi64ELi4ELc84ELc84ELb1ELb1ELb0EdKPKdKPdEEviiiT16_PT17_ilS8_ilS6_S8_ilPT18_ili26rocblas_geam_ex_operation_.uses_vcc, 1
	.set _ZN12_GLOBAL__N_120geam_min_plus_kernelIdddLi4ELi64ELi128ELi128ELi4ELi4ELi64ELi64ELi4ELc84ELc84ELb1ELb1ELb0EdKPKdKPdEEviiiT16_PT17_ilS8_ilS6_S8_ilPT18_ili26rocblas_geam_ex_operation_.uses_flat_scratch, 0
	.set _ZN12_GLOBAL__N_120geam_min_plus_kernelIdddLi4ELi64ELi128ELi128ELi4ELi4ELi64ELi64ELi4ELc84ELc84ELb1ELb1ELb0EdKPKdKPdEEviiiT16_PT17_ilS8_ilS6_S8_ilPT18_ili26rocblas_geam_ex_operation_.has_dyn_sized_stack, 0
	.set _ZN12_GLOBAL__N_120geam_min_plus_kernelIdddLi4ELi64ELi128ELi128ELi4ELi4ELi64ELi64ELi4ELc84ELc84ELb1ELb1ELb0EdKPKdKPdEEviiiT16_PT17_ilS8_ilS6_S8_ilPT18_ili26rocblas_geam_ex_operation_.has_recursion, 0
	.set _ZN12_GLOBAL__N_120geam_min_plus_kernelIdddLi4ELi64ELi128ELi128ELi4ELi4ELi64ELi64ELi4ELc84ELc84ELb1ELb1ELb0EdKPKdKPdEEviiiT16_PT17_ilS8_ilS6_S8_ilPT18_ili26rocblas_geam_ex_operation_.has_indirect_call, 0
	.section	.AMDGPU.csdata,"",@progbits
; Kernel info:
; codeLenInByte = 21724
; TotalNumSgprs: 52
; NumVgprs: 227
; ScratchSize: 528
; MemoryBound: 0
; FloatMode: 240
; IeeeMode: 1
; LDSByteSize: 16384 bytes/workgroup (compile time only)
; SGPRBlocks: 0
; VGPRBlocks: 28
; NumSGPRsForWavesPerEU: 52
; NumVGPRsForWavesPerEU: 227
; Occupancy: 4
; WaveLimiterHint : 1
; COMPUTE_PGM_RSRC2:SCRATCH_EN: 1
; COMPUTE_PGM_RSRC2:USER_SGPR: 6
; COMPUTE_PGM_RSRC2:TRAP_HANDLER: 0
; COMPUTE_PGM_RSRC2:TGID_X_EN: 1
; COMPUTE_PGM_RSRC2:TGID_Y_EN: 0
; COMPUTE_PGM_RSRC2:TGID_Z_EN: 1
; COMPUTE_PGM_RSRC2:TIDIG_COMP_CNT: 1
	.section	.text._ZN12_GLOBAL__N_120geam_min_plus_kernelIdddLi4ELi64ELi128ELi128ELi4ELi4ELi64ELi64ELi4ELc84ELc84ELb0ELb1ELb0EdKPKdKPdEEviiiT16_PT17_ilS8_ilS6_S8_ilPT18_ili26rocblas_geam_ex_operation_,"axG",@progbits,_ZN12_GLOBAL__N_120geam_min_plus_kernelIdddLi4ELi64ELi128ELi128ELi4ELi4ELi64ELi64ELi4ELc84ELc84ELb0ELb1ELb0EdKPKdKPdEEviiiT16_PT17_ilS8_ilS6_S8_ilPT18_ili26rocblas_geam_ex_operation_,comdat
	.globl	_ZN12_GLOBAL__N_120geam_min_plus_kernelIdddLi4ELi64ELi128ELi128ELi4ELi4ELi64ELi64ELi4ELc84ELc84ELb0ELb1ELb0EdKPKdKPdEEviiiT16_PT17_ilS8_ilS6_S8_ilPT18_ili26rocblas_geam_ex_operation_ ; -- Begin function _ZN12_GLOBAL__N_120geam_min_plus_kernelIdddLi4ELi64ELi128ELi128ELi4ELi4ELi64ELi64ELi4ELc84ELc84ELb0ELb1ELb0EdKPKdKPdEEviiiT16_PT17_ilS8_ilS6_S8_ilPT18_ili26rocblas_geam_ex_operation_
	.p2align	8
	.type	_ZN12_GLOBAL__N_120geam_min_plus_kernelIdddLi4ELi64ELi128ELi128ELi4ELi4ELi64ELi64ELi4ELc84ELc84ELb0ELb1ELb0EdKPKdKPdEEviiiT16_PT17_ilS8_ilS6_S8_ilPT18_ili26rocblas_geam_ex_operation_,@function
_ZN12_GLOBAL__N_120geam_min_plus_kernelIdddLi4ELi64ELi128ELi128ELi4ELi4ELi64ELi64ELi4ELc84ELc84ELb0ELb1ELb0EdKPKdKPdEEviiiT16_PT17_ilS8_ilS6_S8_ilPT18_ili26rocblas_geam_ex_operation_: ; @_ZN12_GLOBAL__N_120geam_min_plus_kernelIdddLi4ELi64ELi128ELi128ELi4ELi4ELi64ELi64ELi4ELc84ELc84ELb0ELb1ELb0EdKPKdKPdEEviiiT16_PT17_ilS8_ilS6_S8_ilPT18_ili26rocblas_geam_ex_operation_
; %bb.0:
	s_add_u32 s0, s0, s8
	s_clause 0x1
	s_load_dwordx4 s[12:15], s[4:5], 0x10
	s_load_dwordx4 s[8:11], s[4:5], 0x28
	s_mov_b32 s20, s7
	s_addc_u32 s1, s1, 0
	s_mov_b64 s[16:17], 0
	s_waitcnt lgkmcnt(0)
	v_cmp_eq_f64_e64 s7, s[12:13], 0
	s_and_b32 vcc_lo, exec_lo, s7
	s_cbranch_vccnz .LBB152_2
; %bb.1:
	s_mov_b32 s21, 0
	s_lshl_b64 s[16:17], s[20:21], 3
	s_add_u32 s14, s14, s16
	s_addc_u32 s15, s15, s17
	s_lshl_b64 s[8:9], s[8:9], 3
	s_load_dwordx2 s[14:15], s[14:15], 0x0
	s_waitcnt lgkmcnt(0)
	s_add_u32 s16, s14, s8
	s_addc_u32 s17, s15, s9
.LBB152_2:
	s_clause 0x1
	s_load_dwordx4 s[36:39], s[4:5], 0x40
	s_load_dwordx2 s[14:15], s[4:5], 0x50
	s_andn2_b32 vcc_lo, exec_lo, s7
	s_mov_b32 s21, 0
	s_cbranch_vccnz .LBB152_4
; %bb.3:
	s_mov_b32 s7, s21
	s_mov_b64 s[44:45], 0
	s_andn2_b32 vcc_lo, exec_lo, s7
	s_mov_b64 s[18:19], 0
	s_cbranch_vccz .LBB152_5
	s_branch .LBB152_6
.LBB152_4:
	s_mov_b64 s[44:45], 0
	s_mov_b64 s[18:19], 0
.LBB152_5:
	s_lshl_b64 s[8:9], s[20:21], 3
	s_add_u32 s8, s10, s8
	s_addc_u32 s9, s11, s9
	s_waitcnt lgkmcnt(0)
	s_lshl_b64 s[10:11], s[36:37], 3
	s_load_dwordx2 s[8:9], s[8:9], 0x0
	s_waitcnt lgkmcnt(0)
	s_add_u32 s18, s8, s10
	s_addc_u32 s19, s9, s11
.LBB152_6:
	s_waitcnt lgkmcnt(0)
	v_cmp_eq_f64_e64 s7, s[38:39], 0
	v_cmp_neq_f64_e64 s46, s[38:39], 0
	s_load_dwordx4 s[8:11], s[4:5], 0x60
	s_and_b32 vcc_lo, exec_lo, s7
	s_cbranch_vccnz .LBB152_8
; %bb.7:
	s_lshl_b64 s[22:23], s[20:21], 3
	s_add_u32 s14, s14, s22
	s_addc_u32 s15, s15, s23
	s_waitcnt lgkmcnt(0)
	s_lshl_b64 s[8:9], s[8:9], 3
	s_load_dwordx2 s[14:15], s[14:15], 0x0
	s_waitcnt lgkmcnt(0)
	s_add_u32 s44, s14, s8
	s_addc_u32 s45, s15, s9
.LBB152_8:
	s_clause 0x1
	s_load_dwordx4 s[40:43], s[4:5], 0x0
	s_load_dword s24, s[4:5], 0x20
	s_waitcnt lgkmcnt(0)
	s_lshl_b64 s[8:9], s[20:21], 3
	v_and_b32_e32 v84, 3, v0
	s_add_u32 s8, s10, s8
	s_addc_u32 s9, s11, s9
	v_lshl_add_u32 v6, v1, 2, v0
	s_load_dwordx2 s[14:15], s[8:9], 0x0
	v_cmp_eq_f64_e64 s22, s[12:13], 0
	v_mov_b32_e32 v4, 0
	v_mov_b32_e32 v9, 0
	v_lshrrev_b32_e32 v80, 2, v6
	v_mov_b32_e32 v5, 0
	buffer_store_dword v9, off, s[0:3], 0 offset:4
	buffer_store_dword v9, off, s[0:3], 0
	buffer_store_dword v9, off, s[0:3], 0 offset:12
	buffer_store_dword v9, off, s[0:3], 0 offset:8
	;; [unrolled: 1-line block ×12, first 2 shown]
	s_add_i32 s7, s40, -1
	v_cmp_le_i32_e32 vcc_lo, s42, v84
	s_ashr_i32 s8, s7, 31
	buffer_store_dword v9, off, s[0:3], 0 offset:60
	s_lshr_b32 s8, s8, 25
	buffer_store_dword v9, off, s[0:3], 0 offset:56
	s_add_i32 s7, s7, s8
	buffer_store_dword v9, off, s[0:3], 0 offset:68
	buffer_store_dword v9, off, s[0:3], 0 offset:64
	;; [unrolled: 1-line block ×4, first 2 shown]
	s_ashr_i32 s7, s7, 7
	buffer_store_dword v9, off, s[0:3], 0 offset:84
	buffer_store_dword v9, off, s[0:3], 0 offset:80
	;; [unrolled: 1-line block ×9, first 2 shown]
	s_add_i32 s8, s7, 1
	s_not_b32 s7, s7
	v_cvt_f32_u32_e32 v2, s8
	buffer_store_dword v9, off, s[0:3], 0 offset:112
	buffer_store_dword v9, off, s[0:3], 0 offset:124
	;; [unrolled: 1-line block ×11, first 2 shown]
	v_rcp_iflag_f32_e32 v2, v2
	buffer_store_dword v9, off, s[0:3], 0 offset:164
	buffer_store_dword v9, off, s[0:3], 0 offset:160
	;; [unrolled: 1-line block ×9, first 2 shown]
	v_mul_f32_e32 v2, 0x4f7ffffe, v2
	buffer_store_dword v9, off, s[0:3], 0 offset:192
	buffer_store_dword v9, off, s[0:3], 0 offset:204
	;; [unrolled: 1-line block ×76, first 2 shown]
	v_cvt_u32_f32_e32 v2, v2
	buffer_store_dword v9, off, s[0:3], 0 offset:496
	buffer_store_dword v9, off, s[0:3], 0 offset:508
	;; [unrolled: 1-line block ×3, first 2 shown]
	v_readfirstlane_b32 s9, v2
	s_mul_i32 s7, s7, s9
	s_mul_hi_u32 s7, s9, s7
	s_add_i32 s9, s9, s7
	s_mul_hi_u32 s7, s6, s9
	s_mul_i32 s9, s7, s8
	s_add_i32 s10, s7, 1
	s_sub_i32 s9, s6, s9
	s_sub_i32 s11, s9, s8
	s_cmp_ge_u32 s9, s8
	s_cselect_b32 s7, s10, s7
	s_cselect_b32 s9, s11, s9
	s_add_i32 s10, s7, 1
	s_cmp_ge_u32 s9, s8
	s_cselect_b32 s7, s10, s7
	s_add_i32 s21, s42, -1
	s_mul_i32 s8, s7, s8
	v_min_i32_e32 v2, s21, v84
	s_sub_i32 s6, s6, s8
	s_lshl_b32 s11, s6, 7
	v_ashrrev_i32_e32 v3, 31, v2
	v_add_nc_u32_e32 v81, s11, v80
	v_lshlrev_b64 v[7:8], 3, v[2:3]
	v_cmp_le_i32_e64 s8, s40, v81
	v_mov_b32_e32 v2, 0
	v_mov_b32_e32 v3, 0
	v_add_co_u32 v7, s6, s16, v7
	v_add_co_ci_u32_e64 v8, null, s17, v8, s6
	s_or_b32 s6, vcc_lo, s8
	s_nor_b32 s6, s22, s6
	s_and_saveexec_b32 s9, s6
	s_cbranch_execz .LBB152_10
; %bb.9:
	v_mad_i64_i32 v[4:5], null, v81, s24, 0
	v_lshlrev_b64 v[4:5], 3, v[4:5]
	v_add_co_u32 v4, s6, v7, v4
	v_add_co_ci_u32_e64 v5, null, v8, v5, s6
	flat_load_dwordx2 v[4:5], v[4:5]
	s_waitcnt vmcnt(0) lgkmcnt(0)
	v_mul_f64 v[4:5], s[12:13], v[4:5]
.LBB152_10:
	s_or_b32 exec_lo, exec_lo, s9
	v_add_nc_u32_e32 v82, 64, v81
	v_cmp_le_i32_e64 s9, s40, v82
	s_or_b32 s6, vcc_lo, s9
	s_nor_b32 s10, s22, s6
	s_and_saveexec_b32 s6, s10
	s_cbranch_execz .LBB152_12
; %bb.11:
	v_mad_i64_i32 v[2:3], null, v82, s24, 0
	v_lshlrev_b64 v[2:3], 3, v[2:3]
	v_add_co_u32 v2, vcc_lo, v7, v2
	v_add_co_ci_u32_e64 v3, null, v8, v3, vcc_lo
	flat_load_dwordx2 v[2:3], v[2:3]
	s_waitcnt vmcnt(0) lgkmcnt(0)
	v_mul_f64 v[2:3], s[12:13], v[2:3]
.LBB152_12:
	s_or_b32 exec_lo, exec_lo, s6
	s_load_dword s23, s[4:5], 0x38
	v_lshrrev_b32_e32 v85, 6, v6
	v_and_b32_e32 v20, 63, v6
	s_lshl_b32 s20, s7, 7
	v_mov_b32_e32 v16, 0
	v_mov_b32_e32 v18, 0
	v_min_i32_e32 v7, s21, v85
	v_or_b32_e32 v6, s20, v20
	v_cmp_le_i32_e32 vcc_lo, s42, v85
	v_mov_b32_e32 v17, 0
	v_mov_b32_e32 v19, 0
	v_cmp_le_i32_e64 s6, s41, v6
	s_waitcnt lgkmcnt(0)
	v_mad_i64_i32 v[7:8], null, s23, v7, 0
	v_lshlrev_b64 v[8:9], 3, v[7:8]
	v_ashrrev_i32_e32 v7, 31, v6
	v_add_co_u32 v8, s7, s18, v8
	v_add_co_ci_u32_e64 v9, null, s19, v9, s7
	s_or_b32 s7, s6, vcc_lo
	s_nor_b32 s7, s22, s7
	s_and_saveexec_b32 s10, s7
	s_cbranch_execz .LBB152_14
; %bb.13:
	v_lshlrev_b64 v[10:11], 3, v[6:7]
	v_add_co_u32 v10, s7, v8, v10
	v_add_co_ci_u32_e64 v11, null, v9, v11, s7
	flat_load_dwordx2 v[10:11], v[10:11]
	s_waitcnt vmcnt(0) lgkmcnt(0)
	v_mul_f64 v[18:19], s[12:13], v[10:11]
.LBB152_14:
	s_or_b32 exec_lo, exec_lo, s10
	v_or_b32_e32 v10, 64, v6
	v_cmp_le_i32_e64 s7, s41, v10
	s_or_b32 s10, s7, vcc_lo
	s_nor_b32 s25, s22, s10
	s_and_saveexec_b32 s10, s25
	s_cbranch_execz .LBB152_16
; %bb.15:
	v_lshlrev_b64 v[10:11], 3, v[6:7]
	v_add_co_u32 v8, vcc_lo, v8, v10
	v_add_co_ci_u32_e64 v9, null, v9, v11, vcc_lo
	flat_load_dwordx2 v[8:9], v[8:9] offset:512
	s_waitcnt vmcnt(0) lgkmcnt(0)
	v_mul_f64 v[16:17], s[12:13], v[8:9]
.LBB152_16:
	s_or_b32 exec_lo, exec_lo, s10
	v_or_b32_e32 v14, 4, v84
	v_mov_b32_e32 v10, 0
	v_mov_b32_e32 v11, 0
	v_min_i32_e32 v8, s21, v14
	v_cmp_le_i32_e32 vcc_lo, s42, v14
	v_ashrrev_i32_e32 v9, 31, v8
	v_lshlrev_b64 v[12:13], 3, v[8:9]
	v_mov_b32_e32 v8, 0
	v_mov_b32_e32 v9, 0
	v_add_co_u32 v12, s10, s16, v12
	v_add_co_ci_u32_e64 v13, null, s17, v13, s10
	s_or_b32 s10, vcc_lo, s8
	s_nor_b32 s10, s22, s10
	s_and_saveexec_b32 s25, s10
	s_cbranch_execz .LBB152_18
; %bb.17:
	v_mad_i64_i32 v[10:11], null, v81, s24, 0
	v_lshlrev_b64 v[10:11], 3, v[10:11]
	v_add_co_u32 v10, s10, v12, v10
	v_add_co_ci_u32_e64 v11, null, v13, v11, s10
	flat_load_dwordx2 v[10:11], v[10:11]
	s_waitcnt vmcnt(0) lgkmcnt(0)
	v_mul_f64 v[10:11], s[12:13], v[10:11]
.LBB152_18:
	s_or_b32 exec_lo, exec_lo, s25
	s_or_b32 s10, vcc_lo, s9
	s_nor_b32 s25, s22, s10
	s_and_saveexec_b32 s10, s25
	s_cbranch_execz .LBB152_20
; %bb.19:
	v_mad_i64_i32 v[8:9], null, v82, s24, 0
	v_lshlrev_b64 v[8:9], 3, v[8:9]
	v_add_co_u32 v8, vcc_lo, v12, v8
	v_add_co_ci_u32_e64 v9, null, v13, v9, vcc_lo
	flat_load_dwordx2 v[8:9], v[8:9]
	s_waitcnt vmcnt(0) lgkmcnt(0)
	v_mul_f64 v[8:9], s[12:13], v[8:9]
.LBB152_20:
	s_or_b32 exec_lo, exec_lo, s10
	v_add_nc_u32_e32 v23, 4, v85
	v_mov_b32_e32 v14, 0
	v_mov_b32_e32 v15, 0
	v_min_i32_e32 v12, s21, v23
	v_cmp_le_i32_e32 vcc_lo, s42, v23
	v_mad_i64_i32 v[12:13], null, s23, v12, 0
	v_lshlrev_b64 v[21:22], 3, v[12:13]
	v_mov_b32_e32 v12, 0
	v_mov_b32_e32 v13, 0
	v_add_co_u32 v21, s10, s18, v21
	v_add_co_ci_u32_e64 v22, null, s19, v22, s10
	s_or_b32 s10, s6, vcc_lo
	s_nor_b32 s10, s22, s10
	s_and_saveexec_b32 s25, s10
	s_cbranch_execz .LBB152_22
; %bb.21:
	v_lshlrev_b64 v[14:15], 3, v[6:7]
	v_add_co_u32 v14, s10, v21, v14
	v_add_co_ci_u32_e64 v15, null, v22, v15, s10
	flat_load_dwordx2 v[14:15], v[14:15]
	s_waitcnt vmcnt(0) lgkmcnt(0)
	v_mul_f64 v[14:15], s[12:13], v[14:15]
.LBB152_22:
	s_or_b32 exec_lo, exec_lo, s25
	s_or_b32 s10, s7, vcc_lo
	s_nor_b32 s25, s22, s10
	s_and_saveexec_b32 s10, s25
	s_cbranch_execz .LBB152_24
; %bb.23:
	v_lshlrev_b64 v[12:13], 3, v[6:7]
	v_add_co_u32 v12, vcc_lo, v21, v12
	v_add_co_ci_u32_e64 v13, null, v22, v13, vcc_lo
	flat_load_dwordx2 v[12:13], v[12:13] offset:512
	s_waitcnt vmcnt(0) lgkmcnt(0)
	v_mul_f64 v[12:13], s[12:13], v[12:13]
.LBB152_24:
	s_or_b32 exec_lo, exec_lo, s10
	v_lshlrev_b32_e32 v20, 5, v20
	v_lshlrev_b32_e32 v21, 5, v80
	;; [unrolled: 1-line block ×3, first 2 shown]
	v_lshl_or_b32 v89, v1, 5, 0x2000
	s_mov_b32 s10, 0
	v_lshl_add_u32 v83, v85, 3, v20
	v_lshl_or_b32 v86, v84, 3, v21
	s_addk_i32 s10, 0x100
	s_mov_b32 s25, 0
	v_add_nc_u32_e32 v88, 0x2000, v83
	ds_write2st64_b64 v86, v[4:5], v[2:3] offset1:4
	ds_write2st64_b64 v83, v[18:19], v[16:17] offset0:16 offset1:20
	s_waitcnt lgkmcnt(0)
	s_waitcnt_vscnt null, 0x0
	s_barrier
	buffer_gl0_inv
.LBB152_25:                             ; =>This Loop Header: Depth=1
                                        ;     Child Loop BB152_26 Depth 2
	s_lshl_b32 s26, s25, 3
	s_mov_b32 s27, 0
	v_add_nc_u32_e32 v16, s26, v87
	v_add_nc_u32_e32 v90, s26, v89
	s_mov_b32 s26, -1
	ds_read2_b64 v[2:5], v16 offset1:16
	ds_read2_b64 v[20:23], v16 offset0:32 offset1:48
	ds_read2_b64 v[24:27], v16 offset0:64 offset1:80
	;; [unrolled: 1-line block ×4, first 2 shown]
	v_add_nc_u32_e32 v76, 0x800, v16
	ds_read2_b64 v[36:39], v16 offset0:160 offset1:176
	ds_read2_b64 v[40:43], v16 offset0:192 offset1:208
	;; [unrolled: 1-line block ×3, first 2 shown]
	ds_read2_b64 v[48:51], v76 offset1:16
	ds_read2_b64 v[52:55], v76 offset0:32 offset1:48
	ds_read2_b64 v[56:59], v76 offset0:64 offset1:80
	;; [unrolled: 1-line block ×6, first 2 shown]
	s_waitcnt lgkmcnt(9)
	v_max_f64 v[36:37], v[36:37], v[36:37]
	v_max_f64 v[38:39], v[38:39], v[38:39]
	;; [unrolled: 1-line block ×4, first 2 shown]
	ds_read2_b64 v[2:5], v76 offset0:224 offset1:240
	v_max_f64 v[20:21], v[20:21], v[20:21]
	v_max_f64 v[22:23], v[22:23], v[22:23]
	;; [unrolled: 1-line block ×8, first 2 shown]
	s_waitcnt lgkmcnt(9)
	v_max_f64 v[40:41], v[40:41], v[40:41]
	v_max_f64 v[42:43], v[42:43], v[42:43]
	s_waitcnt lgkmcnt(8)
	v_max_f64 v[44:45], v[44:45], v[44:45]
	v_max_f64 v[46:47], v[46:47], v[46:47]
	;; [unrolled: 3-line block ×10, first 2 shown]
	ds_read2st64_b64 v[2:5], v90 offset1:4
.LBB152_26:                             ;   Parent Loop BB152_25 Depth=1
                                        ; =>  This Inner Loop Header: Depth=2
	v_mov_b32_e32 v218, s27
	s_waitcnt lgkmcnt(0)
	v_max_f64 v[154:155], v[2:3], v[2:3]
	v_mov_b32_e32 v2, v4
	v_mov_b32_e32 v3, v5
	s_and_b32 vcc_lo, exec_lo, s26
	s_clause 0x3e
	buffer_load_dword v90, v218, s[0:3], 0 offen
	buffer_load_dword v91, v218, s[0:3], 0 offen offset:4
	buffer_load_dword v92, v218, s[0:3], 0 offen offset:8
	;; [unrolled: 1-line block ×63, first 2 shown]
	s_mov_b32 s26, 0
	s_mov_b32 s27, s10
	v_min_f64 v[156:157], v[16:17], v[154:155]
	v_min_f64 v[158:159], v[18:19], v[154:155]
	;; [unrolled: 1-line block ×32, first 2 shown]
	s_waitcnt vmcnt(62)
	v_add_f64 v[90:91], v[156:157], v[90:91]
	s_waitcnt vmcnt(60)
	v_add_f64 v[92:93], v[158:159], v[92:93]
	;; [unrolled: 2-line block ×32, first 2 shown]
	buffer_store_dword v90, v218, s[0:3], 0 offen
	buffer_store_dword v91, v218, s[0:3], 0 offen offset:4
	buffer_store_dword v92, v218, s[0:3], 0 offen offset:8
	;; [unrolled: 1-line block ×63, first 2 shown]
	s_cbranch_vccnz .LBB152_26
; %bb.27:                               ;   in Loop: Header=BB152_25 Depth=1
	s_add_i32 s25, s25, 1
	s_cmp_eq_u32 s25, 4
	s_cbranch_scc0 .LBB152_25
; %bb.28:
	v_lshlrev_b32_e32 v2, 3, v84
	v_lshl_add_u32 v90, v0, 5, 0x1000
	v_lshl_add_u32 v91, v1, 5, 0x3000
	s_cmp_lt_i32 s42, 9
	ds_write2st64_b64 v83, v[14:15], v[12:13] offset0:24 offset1:28
	v_lshl_or_b32 v2, v80, 5, v2
	ds_write2st64_b64 v2, v[10:11], v[8:9] offset0:8 offset1:12
	s_waitcnt lgkmcnt(0)
	s_waitcnt_vscnt null, 0x0
	s_barrier
	buffer_gl0_inv
	s_cbranch_scc1 .LBB152_55
; %bb.29:
	v_mad_i64_i32 v[3:4], null, v81, s24, 0
	v_mad_i64_i32 v[8:9], null, v82, s24, 0
	v_lshlrev_b64 v[74:75], 3, v[6:7]
	v_add_nc_u32_e32 v92, 0x1000, v2
	v_add_nc_u32_e32 v93, 0x3000, v83
	s_add_i32 s24, s42, -8
	v_lshlrev_b64 v[70:71], 3, v[3:4]
	s_or_b32 s25, s8, s22
	v_lshlrev_b64 v[72:73], 3, v[8:9]
	s_or_b32 s9, s9, s22
	s_mov_b32 s26, 8
	s_mov_b32 s27, 0
.LBB152_30:                             ; =>This Loop Header: Depth=1
                                        ;     Child Loop BB152_39 Depth 2
                                        ;       Child Loop BB152_40 Depth 3
                                        ;     Child Loop BB152_51 Depth 2
                                        ;       Child Loop BB152_52 Depth 3
	v_or_b32_e32 v94, s26, v84
	v_mov_b32_e32 v6, 0
	v_mov_b32_e32 v8, 0
	;; [unrolled: 1-line block ×4, first 2 shown]
	v_min_i32_e32 v2, s21, v94
	v_cmp_le_i32_e32 vcc_lo, s42, v94
	v_ashrrev_i32_e32 v3, 31, v2
	v_lshlrev_b64 v[2:3], 3, v[2:3]
	v_add_co_u32 v2, s8, s16, v2
	v_add_co_ci_u32_e64 v3, null, s17, v3, s8
	s_nor_b32 s8, vcc_lo, s25
	s_and_saveexec_b32 s28, s8
	s_cbranch_execz .LBB152_32
; %bb.31:                               ;   in Loop: Header=BB152_30 Depth=1
	v_add_co_u32 v4, s8, v2, v70
	v_add_co_ci_u32_e64 v5, null, v3, v71, s8
	flat_load_dwordx2 v[4:5], v[4:5]
	s_waitcnt vmcnt(0) lgkmcnt(0)
	v_mul_f64 v[8:9], s[12:13], v[4:5]
.LBB152_32:                             ;   in Loop: Header=BB152_30 Depth=1
	s_or_b32 exec_lo, exec_lo, s28
	s_nor_b32 s28, vcc_lo, s9
	s_and_saveexec_b32 s8, s28
	s_cbranch_execz .LBB152_34
; %bb.33:                               ;   in Loop: Header=BB152_30 Depth=1
	v_add_co_u32 v2, vcc_lo, v2, v72
	v_add_co_ci_u32_e64 v3, null, v3, v73, vcc_lo
	flat_load_dwordx2 v[2:3], v[2:3]
	s_waitcnt vmcnt(0) lgkmcnt(0)
	v_mul_f64 v[6:7], s[12:13], v[2:3]
.LBB152_34:                             ;   in Loop: Header=BB152_30 Depth=1
	s_or_b32 exec_lo, exec_lo, s8
	v_add_nc_u32_e32 v4, s26, v85
	v_mov_b32_e32 v10, 0
	v_mov_b32_e32 v12, 0
	;; [unrolled: 1-line block ×4, first 2 shown]
	v_min_i32_e32 v2, s21, v4
	v_cmp_le_i32_e32 vcc_lo, s42, v4
	v_mad_i64_i32 v[2:3], null, v2, s23, 0
	v_lshlrev_b64 v[2:3], 3, v[2:3]
	v_add_co_u32 v2, s8, s18, v2
	v_add_co_ci_u32_e64 v3, null, s19, v3, s8
	s_or_b32 s8, s6, vcc_lo
	s_nor_b32 s8, s22, s8
	s_and_saveexec_b32 s28, s8
	s_cbranch_execz .LBB152_36
; %bb.35:                               ;   in Loop: Header=BB152_30 Depth=1
	v_add_co_u32 v4, s8, v2, v74
	v_add_co_ci_u32_e64 v5, null, v3, v75, s8
	flat_load_dwordx2 v[4:5], v[4:5]
	s_waitcnt vmcnt(0) lgkmcnt(0)
	v_mul_f64 v[12:13], s[12:13], v[4:5]
.LBB152_36:                             ;   in Loop: Header=BB152_30 Depth=1
	s_or_b32 exec_lo, exec_lo, s28
	s_or_b32 s8, s7, vcc_lo
	s_nor_b32 s28, s22, s8
	s_and_saveexec_b32 s8, s28
	s_cbranch_execz .LBB152_38
; %bb.37:                               ;   in Loop: Header=BB152_30 Depth=1
	v_add_co_u32 v2, vcc_lo, v2, v74
	v_add_co_ci_u32_e64 v3, null, v3, v75, vcc_lo
	flat_load_dwordx2 v[2:3], v[2:3] offset:512
	s_waitcnt vmcnt(0) lgkmcnt(0)
	v_mul_f64 v[10:11], s[12:13], v[2:3]
.LBB152_38:                             ;   in Loop: Header=BB152_30 Depth=1
	s_or_b32 exec_lo, exec_lo, s8
	s_mov_b32 s8, 0
.LBB152_39:                             ;   Parent Loop BB152_30 Depth=1
                                        ; =>  This Loop Header: Depth=2
                                        ;       Child Loop BB152_40 Depth 3
	s_lshl_b32 s28, s8, 3
	s_mov_b32 s29, 0
	v_add_nc_u32_e32 v14, s28, v90
	v_add_nc_u32_e32 v95, s28, v91
	s_mov_b32 s28, -1
	ds_read2_b64 v[2:5], v14 offset1:16
	ds_read2_b64 v[18:21], v14 offset0:32 offset1:48
	ds_read2_b64 v[22:25], v14 offset0:64 offset1:80
	v_add_nc_u32_e32 v15, 0x800, v14
	ds_read2_b64 v[26:29], v14 offset0:96 offset1:112
	ds_read2_b64 v[30:33], v14 offset0:128 offset1:144
	;; [unrolled: 1-line block ×5, first 2 shown]
	ds_read2_b64 v[46:49], v15 offset1:16
	ds_read2_b64 v[50:53], v15 offset0:32 offset1:48
	ds_read2_b64 v[54:57], v15 offset0:64 offset1:80
	;; [unrolled: 1-line block ×7, first 2 shown]
	s_waitcnt lgkmcnt(11)
	v_max_f64 v[30:31], v[30:31], v[30:31]
	v_max_f64 v[32:33], v[32:33], v[32:33]
	s_waitcnt lgkmcnt(10)
	v_max_f64 v[34:35], v[34:35], v[34:35]
	v_max_f64 v[36:37], v[36:37], v[36:37]
	;; [unrolled: 3-line block ×3, first 2 shown]
	v_max_f64 v[14:15], v[2:3], v[2:3]
	v_max_f64 v[16:17], v[4:5], v[4:5]
	v_max_f64 v[18:19], v[18:19], v[18:19]
	v_max_f64 v[20:21], v[20:21], v[20:21]
	v_max_f64 v[22:23], v[22:23], v[22:23]
	v_max_f64 v[24:25], v[24:25], v[24:25]
	v_max_f64 v[26:27], v[26:27], v[26:27]
	v_max_f64 v[28:29], v[28:29], v[28:29]
	s_waitcnt lgkmcnt(8)
	v_max_f64 v[42:43], v[42:43], v[42:43]
	v_max_f64 v[44:45], v[44:45], v[44:45]
	s_waitcnt lgkmcnt(7)
	v_max_f64 v[46:47], v[46:47], v[46:47]
	v_max_f64 v[48:49], v[48:49], v[48:49]
	;; [unrolled: 3-line block ×9, first 2 shown]
	ds_read2st64_b64 v[2:5], v95 offset1:4
.LBB152_40:                             ;   Parent Loop BB152_30 Depth=1
                                        ;     Parent Loop BB152_39 Depth=2
                                        ; =>    This Inner Loop Header: Depth=3
	v_mov_b32_e32 v223, s29
	s_waitcnt lgkmcnt(0)
	v_max_f64 v[159:160], v[2:3], v[2:3]
	v_mov_b32_e32 v2, v4
	v_mov_b32_e32 v3, v5
	s_and_b32 vcc_lo, exec_lo, s28
	s_clause 0x3e
	buffer_load_dword v95, v223, s[0:3], 0 offen
	buffer_load_dword v96, v223, s[0:3], 0 offen offset:4
	buffer_load_dword v97, v223, s[0:3], 0 offen offset:8
	;; [unrolled: 1-line block ×63, first 2 shown]
	s_mov_b32 s28, 0
	s_mov_b32 s29, s10
	v_min_f64 v[161:162], v[14:15], v[159:160]
	v_min_f64 v[163:164], v[16:17], v[159:160]
	;; [unrolled: 1-line block ×32, first 2 shown]
	s_waitcnt vmcnt(62)
	v_add_f64 v[95:96], v[161:162], v[95:96]
	s_waitcnt vmcnt(60)
	v_add_f64 v[97:98], v[163:164], v[97:98]
	;; [unrolled: 2-line block ×32, first 2 shown]
	buffer_store_dword v95, v223, s[0:3], 0 offen
	buffer_store_dword v96, v223, s[0:3], 0 offen offset:4
	buffer_store_dword v97, v223, s[0:3], 0 offen offset:8
	;; [unrolled: 1-line block ×63, first 2 shown]
	s_cbranch_vccnz .LBB152_40
; %bb.41:                               ;   in Loop: Header=BB152_39 Depth=2
	s_add_i32 s8, s8, 1
	s_cmp_eq_u32 s8, 4
	s_cbranch_scc0 .LBB152_39
; %bb.42:                               ;   in Loop: Header=BB152_30 Depth=1
	v_or_b32_e32 v4, 4, v94
	v_mov_b32_e32 v76, 0
	v_mov_b32_e32 v78, 0
	;; [unrolled: 1-line block ×4, first 2 shown]
	v_min_i32_e32 v2, s21, v4
	v_cmp_le_i32_e32 vcc_lo, s42, v4
	ds_write2st64_b64 v86, v[8:9], v[6:7] offset1:4
	ds_write2st64_b64 v88, v[12:13], v[10:11] offset1:4
	s_waitcnt lgkmcnt(0)
	s_waitcnt_vscnt null, 0x0
	v_ashrrev_i32_e32 v3, 31, v2
	s_barrier
	buffer_gl0_inv
	v_lshlrev_b64 v[2:3], 3, v[2:3]
	v_add_co_u32 v2, s8, s16, v2
	v_add_co_ci_u32_e64 v3, null, s17, v3, s8
	s_nor_b32 s8, vcc_lo, s25
	s_and_saveexec_b32 s28, s8
	s_cbranch_execz .LBB152_44
; %bb.43:                               ;   in Loop: Header=BB152_30 Depth=1
	v_add_co_u32 v4, s8, v2, v70
	v_add_co_ci_u32_e64 v5, null, v3, v71, s8
	flat_load_dwordx2 v[4:5], v[4:5]
	s_waitcnt vmcnt(0) lgkmcnt(0)
	v_mul_f64 v[78:79], s[12:13], v[4:5]
.LBB152_44:                             ;   in Loop: Header=BB152_30 Depth=1
	s_or_b32 exec_lo, exec_lo, s28
	s_nor_b32 s28, vcc_lo, s9
	s_and_saveexec_b32 s8, s28
	s_cbranch_execz .LBB152_46
; %bb.45:                               ;   in Loop: Header=BB152_30 Depth=1
	v_add_co_u32 v2, vcc_lo, v2, v72
	v_add_co_ci_u32_e64 v3, null, v3, v73, vcc_lo
	flat_load_dwordx2 v[2:3], v[2:3]
	s_waitcnt vmcnt(0) lgkmcnt(0)
	v_mul_f64 v[76:77], s[12:13], v[2:3]
.LBB152_46:                             ;   in Loop: Header=BB152_30 Depth=1
	s_or_b32 exec_lo, exec_lo, s8
	v_add3_u32 v4, v85, s26, 4
	v_mov_b32_e32 v80, 0
	v_mov_b32_e32 v82, 0
	;; [unrolled: 1-line block ×4, first 2 shown]
	v_min_i32_e32 v2, s21, v4
	v_cmp_le_i32_e32 vcc_lo, s42, v4
	v_mad_i64_i32 v[2:3], null, v2, s23, 0
	v_lshlrev_b64 v[2:3], 3, v[2:3]
	v_add_co_u32 v2, s8, s18, v2
	v_add_co_ci_u32_e64 v3, null, s19, v3, s8
	s_or_b32 s8, s6, vcc_lo
	s_nor_b32 s8, s22, s8
	s_and_saveexec_b32 s28, s8
	s_cbranch_execz .LBB152_48
; %bb.47:                               ;   in Loop: Header=BB152_30 Depth=1
	v_add_co_u32 v4, s8, v2, v74
	v_add_co_ci_u32_e64 v5, null, v3, v75, s8
	flat_load_dwordx2 v[4:5], v[4:5]
	s_waitcnt vmcnt(0) lgkmcnt(0)
	v_mul_f64 v[82:83], s[12:13], v[4:5]
.LBB152_48:                             ;   in Loop: Header=BB152_30 Depth=1
	s_or_b32 exec_lo, exec_lo, s28
	s_or_b32 s8, s7, vcc_lo
	s_nor_b32 s28, s22, s8
	s_and_saveexec_b32 s8, s28
	s_cbranch_execz .LBB152_50
; %bb.49:                               ;   in Loop: Header=BB152_30 Depth=1
	v_add_co_u32 v2, vcc_lo, v2, v74
	v_add_co_ci_u32_e64 v3, null, v3, v75, vcc_lo
	flat_load_dwordx2 v[2:3], v[2:3] offset:512
	s_waitcnt vmcnt(0) lgkmcnt(0)
	v_mul_f64 v[80:81], s[12:13], v[2:3]
.LBB152_50:                             ;   in Loop: Header=BB152_30 Depth=1
	s_or_b32 exec_lo, exec_lo, s8
	s_mov_b32 s8, 0
.LBB152_51:                             ;   Parent Loop BB152_30 Depth=1
                                        ; =>  This Loop Header: Depth=2
                                        ;       Child Loop BB152_52 Depth 3
	s_lshl_b32 s28, s8, 3
	s_mov_b32 s29, 0
	v_add_nc_u32_e32 v30, s28, v87
	v_add_nc_u32_e32 v66, s28, v89
	s_mov_b32 s28, -1
	ds_read2_b64 v[2:5], v30 offset1:16
	ds_read2_b64 v[6:9], v30 offset0:32 offset1:48
	ds_read2_b64 v[10:13], v30 offset0:64 offset1:80
	;; [unrolled: 1-line block ×3, first 2 shown]
	v_add_nc_u32_e32 v62, 0x800, v30
	ds_read2_b64 v[18:21], v30 offset0:128 offset1:144
	ds_read2_b64 v[22:25], v30 offset0:160 offset1:176
	;; [unrolled: 1-line block ×4, first 2 shown]
	ds_read2_b64 v[34:37], v62 offset1:16
	ds_read2_b64 v[38:41], v62 offset0:32 offset1:48
	ds_read2_b64 v[42:45], v62 offset0:64 offset1:80
	;; [unrolled: 1-line block ×7, first 2 shown]
	ds_read2st64_b64 v[66:69], v66 offset1:4
.LBB152_52:                             ;   Parent Loop BB152_30 Depth=1
                                        ;     Parent Loop BB152_51 Depth=2
                                        ; =>    This Inner Loop Header: Depth=3
	v_mov_b32_e32 v94, s29
	s_waitcnt lgkmcnt(16)
	v_max_f64 v[159:160], v[2:3], v[2:3]
	s_waitcnt lgkmcnt(0)
	v_max_f64 v[161:162], v[66:67], v[66:67]
	v_max_f64 v[163:164], v[4:5], v[4:5]
	;; [unrolled: 1-line block ×3, first 2 shown]
	s_clause 0x3e
	buffer_load_dword v95, v94, s[0:3], 0 offen
	buffer_load_dword v96, v94, s[0:3], 0 offen offset:4
	buffer_load_dword v97, v94, s[0:3], 0 offen offset:8
	;; [unrolled: 1-line block ×63, first 2 shown]
	v_max_f64 v[167:168], v[8:9], v[8:9]
	v_max_f64 v[169:170], v[10:11], v[10:11]
	;; [unrolled: 1-line block ×29, first 2 shown]
	v_min_f64 v[159:160], v[159:160], v[161:162]
	v_min_f64 v[163:164], v[163:164], v[161:162]
	;; [unrolled: 1-line block ×32, first 2 shown]
	v_mov_b32_e32 v66, v68
	v_mov_b32_e32 v67, v69
	s_and_b32 vcc_lo, exec_lo, s28
	s_mov_b32 s28, 0
	s_mov_b32 s29, s10
	s_waitcnt vmcnt(62)
	v_add_f64 v[95:96], v[159:160], v[95:96]
	s_waitcnt vmcnt(60)
	v_add_f64 v[97:98], v[163:164], v[97:98]
	;; [unrolled: 2-line block ×32, first 2 shown]
	buffer_store_dword v95, v94, s[0:3], 0 offen
	buffer_store_dword v96, v94, s[0:3], 0 offen offset:4
	buffer_store_dword v97, v94, s[0:3], 0 offen offset:8
	;; [unrolled: 1-line block ×63, first 2 shown]
	s_cbranch_vccnz .LBB152_52
; %bb.53:                               ;   in Loop: Header=BB152_51 Depth=2
	s_add_i32 s8, s8, 1
	s_cmp_eq_u32 s8, 4
	s_cbranch_scc0 .LBB152_51
; %bb.54:                               ;   in Loop: Header=BB152_30 Depth=1
	s_add_i32 s27, s27, 8
	s_add_i32 s26, s26, 8
	s_cmp_ge_i32 s27, s24
	ds_write2st64_b64 v92, v[78:79], v[76:77] offset1:4
	ds_write2st64_b64 v93, v[82:83], v[80:81] offset1:4
	s_waitcnt lgkmcnt(0)
	s_waitcnt_vscnt null, 0x0
	s_barrier
	buffer_gl0_inv
	s_cbranch_scc0 .LBB152_30
.LBB152_55:
	s_mov_b32 s6, 0
.LBB152_56:                             ; =>This Loop Header: Depth=1
                                        ;     Child Loop BB152_57 Depth 2
	s_lshl_b32 s7, s6, 3
	s_mov_b32 s8, 0
	v_add_nc_u32_e32 v6, s7, v90
	v_add_nc_u32_e32 v70, s7, v91
	s_mov_b32 s7, -1
	ds_read2_b64 v[2:5], v6 offset1:16
	ds_read2_b64 v[10:13], v6 offset0:32 offset1:48
	ds_read2_b64 v[14:17], v6 offset0:64 offset1:80
	v_add_nc_u32_e32 v7, 0x800, v6
	ds_read2_b64 v[18:21], v6 offset0:96 offset1:112
	ds_read2_b64 v[22:25], v6 offset0:128 offset1:144
	;; [unrolled: 1-line block ×5, first 2 shown]
	ds_read2_b64 v[38:41], v7 offset1:16
	ds_read2_b64 v[42:45], v7 offset0:32 offset1:48
	ds_read2_b64 v[46:49], v7 offset0:64 offset1:80
	;; [unrolled: 1-line block ×7, first 2 shown]
	s_waitcnt lgkmcnt(11)
	v_max_f64 v[22:23], v[22:23], v[22:23]
	v_max_f64 v[24:25], v[24:25], v[24:25]
	s_waitcnt lgkmcnt(10)
	v_max_f64 v[26:27], v[26:27], v[26:27]
	v_max_f64 v[28:29], v[28:29], v[28:29]
	;; [unrolled: 3-line block ×3, first 2 shown]
	v_max_f64 v[6:7], v[2:3], v[2:3]
	v_max_f64 v[8:9], v[4:5], v[4:5]
	;; [unrolled: 1-line block ×8, first 2 shown]
	s_waitcnt lgkmcnt(8)
	v_max_f64 v[34:35], v[34:35], v[34:35]
	v_max_f64 v[36:37], v[36:37], v[36:37]
	s_waitcnt lgkmcnt(7)
	v_max_f64 v[38:39], v[38:39], v[38:39]
	v_max_f64 v[40:41], v[40:41], v[40:41]
	;; [unrolled: 3-line block ×9, first 2 shown]
	ds_read2st64_b64 v[2:5], v70 offset1:4
.LBB152_57:                             ;   Parent Loop BB152_56 Depth=1
                                        ; =>  This Inner Loop Header: Depth=2
	v_mov_b32_e32 v200, s8
	s_waitcnt lgkmcnt(0)
	v_max_f64 v[136:137], v[2:3], v[2:3]
	v_mov_b32_e32 v2, v4
	v_mov_b32_e32 v3, v5
	s_and_b32 vcc_lo, exec_lo, s7
	s_clause 0x3e
	buffer_load_dword v70, v200, s[0:3], 0 offen
	buffer_load_dword v71, v200, s[0:3], 0 offen offset:4
	buffer_load_dword v72, v200, s[0:3], 0 offen offset:8
	;; [unrolled: 1-line block ×63, first 2 shown]
	s_mov_b32 s7, 0
	s_mov_b32 s8, s10
	v_min_f64 v[138:139], v[6:7], v[136:137]
	v_min_f64 v[140:141], v[8:9], v[136:137]
	;; [unrolled: 1-line block ×32, first 2 shown]
	s_waitcnt vmcnt(62)
	v_add_f64 v[70:71], v[138:139], v[70:71]
	s_waitcnt vmcnt(60)
	v_add_f64 v[72:73], v[140:141], v[72:73]
	;; [unrolled: 2-line block ×32, first 2 shown]
	buffer_store_dword v70, v200, s[0:3], 0 offen
	buffer_store_dword v71, v200, s[0:3], 0 offen offset:4
	buffer_store_dword v72, v200, s[0:3], 0 offen offset:8
	;; [unrolled: 1-line block ×63, first 2 shown]
	s_cbranch_vccnz .LBB152_57
; %bb.58:                               ;   in Loop: Header=BB152_56 Depth=1
	s_add_i32 s6, s6, 1
	s_cmp_eq_u32 s6, 4
	s_cbranch_scc0 .LBB152_56
; %bb.59:
	s_clause 0x2
	s_load_dword s43, s[4:5], 0x58
	s_load_dword s42, s[4:5], 0x70
	s_load_dwordx2 s[6:7], s[4:5], 0x78
	v_add_nc_u32_e32 v71, s20, v1
	v_add_nc_u32_e32 v0, s11, v0
	v_cndmask_b32_e64 v70, 0, 1, s46
	v_cmp_gt_i32_e64 s16, s41, v71
	v_cmp_gt_i32_e64 s4, s40, v0
	s_waitcnt lgkmcnt(0)
	v_mad_i64_i32 v[1:2], null, v71, s43, 0
	v_mad_i64_i32 v[3:4], null, v71, s42, 0
	s_lshl_b64 s[6:7], s[6:7], 3
	s_add_u32 s47, s14, s6
	s_addc_u32 s48, s15, s7
	v_lshlrev_b64 v[5:6], 3, v[1:2]
	v_ashrrev_i32_e32 v1, 31, v0
	v_lshlrev_b64 v[2:3], 3, v[3:4]
	s_and_b32 s6, s16, s4
	v_add_co_u32 v68, vcc_lo, s44, v5
	v_add_co_ci_u32_e64 v69, null, s45, v6, vcc_lo
	v_add_co_u32 v72, vcc_lo, s47, v2
	v_add_co_ci_u32_e64 v73, null, s48, v3, vcc_lo
	s_and_saveexec_b32 s5, s6
	s_cbranch_execz .LBB152_64
; %bb.60:
	s_clause 0x1
	buffer_load_dword v2, off, s[0:3], 0
	buffer_load_dword v3, off, s[0:3], 0 offset:4
	v_lshlrev_b64 v[4:5], 3, v[0:1]
	s_andn2_b32 vcc_lo, exec_lo, s46
	s_cbranch_vccnz .LBB152_62
; %bb.61:
	v_add_co_u32 v6, vcc_lo, v68, v4
	v_add_co_ci_u32_e64 v7, null, v69, v5, vcc_lo
	flat_load_dwordx2 v[6:7], v[6:7]
	s_waitcnt vmcnt(0) lgkmcnt(0)
	v_mul_f64 v[6:7], s[38:39], v[6:7]
	s_branch .LBB152_63
.LBB152_62:
	v_mov_b32_e32 v6, 0
	v_mov_b32_e32 v7, 0
.LBB152_63:
	s_waitcnt vmcnt(0)
	v_add_f64 v[2:3], v[2:3], v[6:7]
	v_add_co_u32 v4, vcc_lo, v72, v4
	v_add_co_ci_u32_e64 v5, null, v73, v5, vcc_lo
	flat_store_dwordx2 v[4:5], v[2:3]
.LBB152_64:
	s_or_b32 exec_lo, exec_lo, s5
	v_add_nc_u32_e32 v2, 4, v0
	v_cmp_gt_i32_e64 s5, s40, v2
	v_ashrrev_i32_e32 v3, 31, v2
	s_and_b32 s7, s16, s5
	s_and_saveexec_b32 s6, s7
	s_cbranch_execz .LBB152_69
; %bb.65:
	s_clause 0x1
	buffer_load_dword v4, off, s[0:3], 0 offset:8
	buffer_load_dword v5, off, s[0:3], 0 offset:12
	v_lshlrev_b64 v[6:7], 3, v[2:3]
	s_andn2_b32 vcc_lo, exec_lo, s46
	s_cbranch_vccnz .LBB152_67
; %bb.66:
	v_add_co_u32 v8, vcc_lo, v68, v6
	v_add_co_ci_u32_e64 v9, null, v69, v7, vcc_lo
	flat_load_dwordx2 v[8:9], v[8:9]
	s_waitcnt vmcnt(0) lgkmcnt(0)
	v_mul_f64 v[8:9], s[38:39], v[8:9]
	s_branch .LBB152_68
.LBB152_67:
	v_mov_b32_e32 v8, 0
	v_mov_b32_e32 v9, 0
.LBB152_68:
	s_waitcnt vmcnt(0)
	v_add_f64 v[4:5], v[4:5], v[8:9]
	v_add_co_u32 v6, vcc_lo, v72, v6
	v_add_co_ci_u32_e64 v7, null, v73, v7, vcc_lo
	flat_store_dwordx2 v[6:7], v[4:5]
.LBB152_69:
	s_or_b32 exec_lo, exec_lo, s6
	v_add_nc_u32_e32 v4, 8, v0
	v_cmp_gt_i32_e64 s6, s40, v4
	v_ashrrev_i32_e32 v5, 31, v4
	s_and_b32 s8, s16, s6
	s_and_saveexec_b32 s7, s8
	s_cbranch_execz .LBB152_74
; %bb.70:
	s_clause 0x1
	buffer_load_dword v6, off, s[0:3], 0 offset:16
	buffer_load_dword v7, off, s[0:3], 0 offset:20
	v_lshlrev_b64 v[8:9], 3, v[4:5]
	s_andn2_b32 vcc_lo, exec_lo, s46
	s_cbranch_vccnz .LBB152_72
; %bb.71:
	v_add_co_u32 v10, vcc_lo, v68, v8
	v_add_co_ci_u32_e64 v11, null, v69, v9, vcc_lo
	flat_load_dwordx2 v[10:11], v[10:11]
	s_waitcnt vmcnt(0) lgkmcnt(0)
	v_mul_f64 v[10:11], s[38:39], v[10:11]
	s_branch .LBB152_73
.LBB152_72:
	v_mov_b32_e32 v10, 0
	v_mov_b32_e32 v11, 0
.LBB152_73:
	s_waitcnt vmcnt(0)
	v_add_f64 v[6:7], v[6:7], v[10:11]
	v_add_co_u32 v8, vcc_lo, v72, v8
	v_add_co_ci_u32_e64 v9, null, v73, v9, vcc_lo
	flat_store_dwordx2 v[8:9], v[6:7]
.LBB152_74:
	;; [unrolled: 31-line block ×31, first 2 shown]
	s_or_b32 exec_lo, exec_lo, s16
	v_add_nc_u32_e32 v68, 64, v71
	v_mad_i64_i32 v[64:65], null, v68, s43, 0
	v_mad_i64_i32 v[66:67], null, v68, s42, 0
	v_cmp_gt_i32_e64 s16, s41, v68
	v_lshlrev_b64 v[64:65], 3, v[64:65]
	s_and_b32 s4, s16, s4
	v_lshlrev_b64 v[66:67], 3, v[66:67]
	v_add_co_u32 v71, vcc_lo, s44, v64
	v_add_co_ci_u32_e64 v72, null, s45, v65, vcc_lo
	v_add_co_u32 v68, vcc_lo, s47, v66
	v_add_co_ci_u32_e64 v69, null, s48, v67, vcc_lo
	s_and_saveexec_b32 s40, s4
	s_xor_b32 s4, exec_lo, s40
	s_cbranch_execnz .LBB152_252
; %bb.220:
	s_or_b32 exec_lo, exec_lo, s4
	s_and_b32 s5, s16, s5
	s_and_saveexec_b32 s4, s5
	s_cbranch_execnz .LBB152_256
.LBB152_221:
	s_or_b32 exec_lo, exec_lo, s4
	s_and_b32 s5, s16, s6
	s_and_saveexec_b32 s4, s5
	s_cbranch_execnz .LBB152_260
.LBB152_222:
	s_or_b32 exec_lo, exec_lo, s4
	s_and_b32 s5, s16, s7
	s_and_saveexec_b32 s4, s5
	s_cbranch_execnz .LBB152_264
.LBB152_223:
	s_or_b32 exec_lo, exec_lo, s4
	s_and_b32 s5, s16, s8
	s_and_saveexec_b32 s4, s5
	s_cbranch_execnz .LBB152_268
.LBB152_224:
	s_or_b32 exec_lo, exec_lo, s4
	s_and_b32 s5, s16, s9
	s_and_saveexec_b32 s4, s5
	s_cbranch_execnz .LBB152_272
.LBB152_225:
	s_or_b32 exec_lo, exec_lo, s4
	s_and_b32 s5, s16, s10
	s_and_saveexec_b32 s4, s5
	s_cbranch_execnz .LBB152_276
.LBB152_226:
	s_or_b32 exec_lo, exec_lo, s4
	s_and_b32 s5, s16, s11
	s_and_saveexec_b32 s4, s5
	s_cbranch_execnz .LBB152_280
.LBB152_227:
	s_or_b32 exec_lo, exec_lo, s4
	s_and_b32 s5, s16, s12
	s_and_saveexec_b32 s4, s5
	s_cbranch_execnz .LBB152_284
.LBB152_228:
	s_or_b32 exec_lo, exec_lo, s4
	s_and_b32 s5, s16, s13
	s_and_saveexec_b32 s4, s5
	s_cbranch_execnz .LBB152_288
.LBB152_229:
	s_or_b32 exec_lo, exec_lo, s4
	s_and_b32 s5, s16, s14
	s_and_saveexec_b32 s4, s5
	s_cbranch_execnz .LBB152_292
.LBB152_230:
	s_or_b32 exec_lo, exec_lo, s4
	s_and_b32 s5, s16, s15
	s_and_saveexec_b32 s4, s5
	s_cbranch_execnz .LBB152_296
.LBB152_231:
	s_or_b32 exec_lo, exec_lo, s4
	s_and_b32 s5, s16, s17
	s_and_saveexec_b32 s4, s5
	s_cbranch_execnz .LBB152_300
.LBB152_232:
	s_or_b32 exec_lo, exec_lo, s4
	s_and_b32 s5, s16, s18
	s_and_saveexec_b32 s4, s5
	s_cbranch_execnz .LBB152_304
.LBB152_233:
	s_or_b32 exec_lo, exec_lo, s4
	s_and_b32 s5, s16, s19
	s_and_saveexec_b32 s4, s5
	s_cbranch_execnz .LBB152_308
.LBB152_234:
	s_or_b32 exec_lo, exec_lo, s4
	s_and_b32 s5, s16, s20
	s_and_saveexec_b32 s4, s5
	s_cbranch_execnz .LBB152_312
.LBB152_235:
	s_or_b32 exec_lo, exec_lo, s4
	s_and_b32 s5, s16, s21
	s_and_saveexec_b32 s4, s5
	s_cbranch_execnz .LBB152_316
.LBB152_236:
	s_or_b32 exec_lo, exec_lo, s4
	s_and_b32 s5, s16, s22
	s_and_saveexec_b32 s4, s5
	s_cbranch_execnz .LBB152_320
.LBB152_237:
	s_or_b32 exec_lo, exec_lo, s4
	s_and_b32 s5, s16, s23
	s_and_saveexec_b32 s4, s5
	s_cbranch_execnz .LBB152_324
.LBB152_238:
	s_or_b32 exec_lo, exec_lo, s4
	s_and_b32 s5, s16, s24
	s_and_saveexec_b32 s4, s5
	s_cbranch_execnz .LBB152_328
.LBB152_239:
	s_or_b32 exec_lo, exec_lo, s4
	s_and_b32 s5, s16, s25
	s_and_saveexec_b32 s4, s5
	s_cbranch_execnz .LBB152_332
.LBB152_240:
	s_or_b32 exec_lo, exec_lo, s4
	s_and_b32 s5, s16, s26
	s_and_saveexec_b32 s4, s5
	s_cbranch_execnz .LBB152_336
.LBB152_241:
	s_or_b32 exec_lo, exec_lo, s4
	s_and_b32 s5, s16, s27
	s_and_saveexec_b32 s4, s5
	s_cbranch_execnz .LBB152_340
.LBB152_242:
	s_or_b32 exec_lo, exec_lo, s4
	s_and_b32 s5, s16, s28
	s_and_saveexec_b32 s4, s5
	s_cbranch_execnz .LBB152_344
.LBB152_243:
	s_or_b32 exec_lo, exec_lo, s4
	s_and_b32 s5, s16, s29
	s_and_saveexec_b32 s4, s5
	s_cbranch_execnz .LBB152_348
.LBB152_244:
	s_or_b32 exec_lo, exec_lo, s4
	s_and_b32 s5, s16, s30
	s_and_saveexec_b32 s4, s5
	s_cbranch_execnz .LBB152_352
.LBB152_245:
	s_or_b32 exec_lo, exec_lo, s4
	s_and_b32 s5, s16, s31
	s_and_saveexec_b32 s4, s5
	s_cbranch_execnz .LBB152_356
.LBB152_246:
	s_or_b32 exec_lo, exec_lo, s4
	s_and_b32 s5, s16, s33
	s_and_saveexec_b32 s4, s5
	s_cbranch_execnz .LBB152_360
.LBB152_247:
	s_or_b32 exec_lo, exec_lo, s4
	s_and_b32 s5, s16, s34
	s_and_saveexec_b32 s4, s5
	s_cbranch_execnz .LBB152_364
.LBB152_248:
	s_or_b32 exec_lo, exec_lo, s4
	s_and_b32 s5, s16, s35
	s_and_saveexec_b32 s4, s5
	s_cbranch_execnz .LBB152_368
.LBB152_249:
	s_or_b32 exec_lo, exec_lo, s4
	s_and_b32 s5, s16, s36
	s_and_saveexec_b32 s4, s5
	s_cbranch_execnz .LBB152_372
.LBB152_250:
	s_or_b32 exec_lo, exec_lo, s4
	s_and_b32 s4, s16, s37
	s_and_saveexec_b32 s5, s4
	s_cbranch_execnz .LBB152_376
.LBB152_251:
	s_endpgm
.LBB152_252:
	s_clause 0x1
	buffer_load_dword v64, off, s[0:3], 0 offset:256
	buffer_load_dword v65, off, s[0:3], 0 offset:260
	v_lshlrev_b64 v[0:1], 3, v[0:1]
	s_andn2_b32 vcc_lo, exec_lo, s46
	s_cbranch_vccnz .LBB152_254
; %bb.253:
	v_add_co_u32 v66, vcc_lo, v71, v0
	v_add_co_ci_u32_e64 v67, null, v72, v1, vcc_lo
	flat_load_dwordx2 v[66:67], v[66:67]
	s_waitcnt vmcnt(0) lgkmcnt(0)
	v_mul_f64 v[66:67], s[38:39], v[66:67]
	s_branch .LBB152_255
.LBB152_254:
	v_mov_b32_e32 v66, 0
	v_mov_b32_e32 v67, 0
.LBB152_255:
	s_waitcnt vmcnt(0)
	v_add_f64 v[64:65], v[64:65], v[66:67]
	v_add_co_u32 v0, vcc_lo, v68, v0
	v_add_co_ci_u32_e64 v1, null, v69, v1, vcc_lo
	flat_store_dwordx2 v[0:1], v[64:65]
	s_or_b32 exec_lo, exec_lo, s4
	s_and_b32 s5, s16, s5
	s_and_saveexec_b32 s4, s5
	s_cbranch_execz .LBB152_221
.LBB152_256:
	s_clause 0x1
	buffer_load_dword v0, off, s[0:3], 0 offset:264
	buffer_load_dword v1, off, s[0:3], 0 offset:268
	v_cmp_ne_u32_e32 vcc_lo, 1, v70
	v_lshlrev_b64 v[2:3], 3, v[2:3]
	s_cbranch_vccnz .LBB152_258
; %bb.257:
	v_add_co_u32 v64, vcc_lo, v71, v2
	v_add_co_ci_u32_e64 v65, null, v72, v3, vcc_lo
	flat_load_dwordx2 v[64:65], v[64:65]
	s_waitcnt vmcnt(0) lgkmcnt(0)
	v_mul_f64 v[64:65], s[38:39], v[64:65]
	s_branch .LBB152_259
.LBB152_258:
	v_mov_b32_e32 v64, 0
	v_mov_b32_e32 v65, 0
.LBB152_259:
	s_waitcnt vmcnt(0)
	v_add_f64 v[0:1], v[0:1], v[64:65]
	v_add_co_u32 v2, vcc_lo, v68, v2
	v_add_co_ci_u32_e64 v3, null, v69, v3, vcc_lo
	flat_store_dwordx2 v[2:3], v[0:1]
	s_or_b32 exec_lo, exec_lo, s4
	s_and_b32 s5, s16, s6
	s_and_saveexec_b32 s4, s5
	s_cbranch_execz .LBB152_222
.LBB152_260:
	s_clause 0x1
	buffer_load_dword v0, off, s[0:3], 0 offset:272
	buffer_load_dword v1, off, s[0:3], 0 offset:276
	v_cmp_ne_u32_e32 vcc_lo, 1, v70
	v_lshlrev_b64 v[2:3], 3, v[4:5]
	s_cbranch_vccnz .LBB152_262
; %bb.261:
	v_add_co_u32 v4, vcc_lo, v71, v2
	v_add_co_ci_u32_e64 v5, null, v72, v3, vcc_lo
	flat_load_dwordx2 v[4:5], v[4:5]
	s_waitcnt vmcnt(0) lgkmcnt(0)
	v_mul_f64 v[4:5], s[38:39], v[4:5]
	s_branch .LBB152_263
.LBB152_262:
	v_mov_b32_e32 v4, 0
	v_mov_b32_e32 v5, 0
.LBB152_263:
	s_waitcnt vmcnt(0)
	v_add_f64 v[0:1], v[0:1], v[4:5]
	v_add_co_u32 v2, vcc_lo, v68, v2
	v_add_co_ci_u32_e64 v3, null, v69, v3, vcc_lo
	flat_store_dwordx2 v[2:3], v[0:1]
	s_or_b32 exec_lo, exec_lo, s4
	s_and_b32 s5, s16, s7
	s_and_saveexec_b32 s4, s5
	s_cbranch_execz .LBB152_223
.LBB152_264:
	s_clause 0x1
	buffer_load_dword v0, off, s[0:3], 0 offset:280
	buffer_load_dword v1, off, s[0:3], 0 offset:284
	v_cmp_ne_u32_e32 vcc_lo, 1, v70
	v_lshlrev_b64 v[2:3], 3, v[6:7]
	s_cbranch_vccnz .LBB152_266
; %bb.265:
	v_add_co_u32 v4, vcc_lo, v71, v2
	v_add_co_ci_u32_e64 v5, null, v72, v3, vcc_lo
	flat_load_dwordx2 v[4:5], v[4:5]
	s_waitcnt vmcnt(0) lgkmcnt(0)
	v_mul_f64 v[4:5], s[38:39], v[4:5]
	s_branch .LBB152_267
.LBB152_266:
	v_mov_b32_e32 v4, 0
	v_mov_b32_e32 v5, 0
.LBB152_267:
	s_waitcnt vmcnt(0)
	v_add_f64 v[0:1], v[0:1], v[4:5]
	v_add_co_u32 v2, vcc_lo, v68, v2
	v_add_co_ci_u32_e64 v3, null, v69, v3, vcc_lo
	flat_store_dwordx2 v[2:3], v[0:1]
	s_or_b32 exec_lo, exec_lo, s4
	s_and_b32 s5, s16, s8
	s_and_saveexec_b32 s4, s5
	s_cbranch_execz .LBB152_224
.LBB152_268:
	s_clause 0x1
	buffer_load_dword v0, off, s[0:3], 0 offset:288
	buffer_load_dword v1, off, s[0:3], 0 offset:292
	v_cmp_ne_u32_e32 vcc_lo, 1, v70
	v_lshlrev_b64 v[2:3], 3, v[8:9]
	s_cbranch_vccnz .LBB152_270
; %bb.269:
	v_add_co_u32 v4, vcc_lo, v71, v2
	v_add_co_ci_u32_e64 v5, null, v72, v3, vcc_lo
	flat_load_dwordx2 v[4:5], v[4:5]
	s_waitcnt vmcnt(0) lgkmcnt(0)
	v_mul_f64 v[4:5], s[38:39], v[4:5]
	s_branch .LBB152_271
.LBB152_270:
	v_mov_b32_e32 v4, 0
	v_mov_b32_e32 v5, 0
.LBB152_271:
	s_waitcnt vmcnt(0)
	v_add_f64 v[0:1], v[0:1], v[4:5]
	v_add_co_u32 v2, vcc_lo, v68, v2
	v_add_co_ci_u32_e64 v3, null, v69, v3, vcc_lo
	flat_store_dwordx2 v[2:3], v[0:1]
	s_or_b32 exec_lo, exec_lo, s4
	s_and_b32 s5, s16, s9
	s_and_saveexec_b32 s4, s5
	s_cbranch_execz .LBB152_225
.LBB152_272:
	s_clause 0x1
	buffer_load_dword v0, off, s[0:3], 0 offset:296
	buffer_load_dword v1, off, s[0:3], 0 offset:300
	v_cmp_ne_u32_e32 vcc_lo, 1, v70
	v_lshlrev_b64 v[2:3], 3, v[10:11]
	s_cbranch_vccnz .LBB152_274
; %bb.273:
	v_add_co_u32 v4, vcc_lo, v71, v2
	v_add_co_ci_u32_e64 v5, null, v72, v3, vcc_lo
	flat_load_dwordx2 v[4:5], v[4:5]
	s_waitcnt vmcnt(0) lgkmcnt(0)
	v_mul_f64 v[4:5], s[38:39], v[4:5]
	s_branch .LBB152_275
.LBB152_274:
	v_mov_b32_e32 v4, 0
	v_mov_b32_e32 v5, 0
.LBB152_275:
	s_waitcnt vmcnt(0)
	v_add_f64 v[0:1], v[0:1], v[4:5]
	v_add_co_u32 v2, vcc_lo, v68, v2
	v_add_co_ci_u32_e64 v3, null, v69, v3, vcc_lo
	flat_store_dwordx2 v[2:3], v[0:1]
	s_or_b32 exec_lo, exec_lo, s4
	s_and_b32 s5, s16, s10
	s_and_saveexec_b32 s4, s5
	s_cbranch_execz .LBB152_226
.LBB152_276:
	s_clause 0x1
	buffer_load_dword v0, off, s[0:3], 0 offset:304
	buffer_load_dword v1, off, s[0:3], 0 offset:308
	v_cmp_ne_u32_e32 vcc_lo, 1, v70
	v_lshlrev_b64 v[2:3], 3, v[12:13]
	s_cbranch_vccnz .LBB152_278
; %bb.277:
	v_add_co_u32 v4, vcc_lo, v71, v2
	v_add_co_ci_u32_e64 v5, null, v72, v3, vcc_lo
	flat_load_dwordx2 v[4:5], v[4:5]
	s_waitcnt vmcnt(0) lgkmcnt(0)
	v_mul_f64 v[4:5], s[38:39], v[4:5]
	s_branch .LBB152_279
.LBB152_278:
	v_mov_b32_e32 v4, 0
	v_mov_b32_e32 v5, 0
.LBB152_279:
	s_waitcnt vmcnt(0)
	v_add_f64 v[0:1], v[0:1], v[4:5]
	v_add_co_u32 v2, vcc_lo, v68, v2
	v_add_co_ci_u32_e64 v3, null, v69, v3, vcc_lo
	flat_store_dwordx2 v[2:3], v[0:1]
	s_or_b32 exec_lo, exec_lo, s4
	s_and_b32 s5, s16, s11
	s_and_saveexec_b32 s4, s5
	s_cbranch_execz .LBB152_227
.LBB152_280:
	s_clause 0x1
	buffer_load_dword v0, off, s[0:3], 0 offset:312
	buffer_load_dword v1, off, s[0:3], 0 offset:316
	v_cmp_ne_u32_e32 vcc_lo, 1, v70
	v_lshlrev_b64 v[2:3], 3, v[14:15]
	s_cbranch_vccnz .LBB152_282
; %bb.281:
	v_add_co_u32 v4, vcc_lo, v71, v2
	v_add_co_ci_u32_e64 v5, null, v72, v3, vcc_lo
	flat_load_dwordx2 v[4:5], v[4:5]
	s_waitcnt vmcnt(0) lgkmcnt(0)
	v_mul_f64 v[4:5], s[38:39], v[4:5]
	s_branch .LBB152_283
.LBB152_282:
	v_mov_b32_e32 v4, 0
	v_mov_b32_e32 v5, 0
.LBB152_283:
	s_waitcnt vmcnt(0)
	v_add_f64 v[0:1], v[0:1], v[4:5]
	v_add_co_u32 v2, vcc_lo, v68, v2
	v_add_co_ci_u32_e64 v3, null, v69, v3, vcc_lo
	flat_store_dwordx2 v[2:3], v[0:1]
	s_or_b32 exec_lo, exec_lo, s4
	s_and_b32 s5, s16, s12
	s_and_saveexec_b32 s4, s5
	s_cbranch_execz .LBB152_228
.LBB152_284:
	s_clause 0x1
	buffer_load_dword v0, off, s[0:3], 0 offset:320
	buffer_load_dword v1, off, s[0:3], 0 offset:324
	v_cmp_ne_u32_e32 vcc_lo, 1, v70
	v_lshlrev_b64 v[2:3], 3, v[16:17]
	s_cbranch_vccnz .LBB152_286
; %bb.285:
	v_add_co_u32 v4, vcc_lo, v71, v2
	v_add_co_ci_u32_e64 v5, null, v72, v3, vcc_lo
	flat_load_dwordx2 v[4:5], v[4:5]
	s_waitcnt vmcnt(0) lgkmcnt(0)
	v_mul_f64 v[4:5], s[38:39], v[4:5]
	s_branch .LBB152_287
.LBB152_286:
	v_mov_b32_e32 v4, 0
	v_mov_b32_e32 v5, 0
.LBB152_287:
	s_waitcnt vmcnt(0)
	v_add_f64 v[0:1], v[0:1], v[4:5]
	v_add_co_u32 v2, vcc_lo, v68, v2
	v_add_co_ci_u32_e64 v3, null, v69, v3, vcc_lo
	flat_store_dwordx2 v[2:3], v[0:1]
	s_or_b32 exec_lo, exec_lo, s4
	s_and_b32 s5, s16, s13
	s_and_saveexec_b32 s4, s5
	s_cbranch_execz .LBB152_229
.LBB152_288:
	s_clause 0x1
	buffer_load_dword v0, off, s[0:3], 0 offset:328
	buffer_load_dword v1, off, s[0:3], 0 offset:332
	v_cmp_ne_u32_e32 vcc_lo, 1, v70
	v_lshlrev_b64 v[2:3], 3, v[18:19]
	s_cbranch_vccnz .LBB152_290
; %bb.289:
	v_add_co_u32 v4, vcc_lo, v71, v2
	v_add_co_ci_u32_e64 v5, null, v72, v3, vcc_lo
	flat_load_dwordx2 v[4:5], v[4:5]
	s_waitcnt vmcnt(0) lgkmcnt(0)
	v_mul_f64 v[4:5], s[38:39], v[4:5]
	s_branch .LBB152_291
.LBB152_290:
	v_mov_b32_e32 v4, 0
	v_mov_b32_e32 v5, 0
.LBB152_291:
	s_waitcnt vmcnt(0)
	v_add_f64 v[0:1], v[0:1], v[4:5]
	v_add_co_u32 v2, vcc_lo, v68, v2
	v_add_co_ci_u32_e64 v3, null, v69, v3, vcc_lo
	flat_store_dwordx2 v[2:3], v[0:1]
	s_or_b32 exec_lo, exec_lo, s4
	s_and_b32 s5, s16, s14
	s_and_saveexec_b32 s4, s5
	s_cbranch_execz .LBB152_230
.LBB152_292:
	s_clause 0x1
	buffer_load_dword v0, off, s[0:3], 0 offset:336
	buffer_load_dword v1, off, s[0:3], 0 offset:340
	v_cmp_ne_u32_e32 vcc_lo, 1, v70
	v_lshlrev_b64 v[2:3], 3, v[20:21]
	s_cbranch_vccnz .LBB152_294
; %bb.293:
	v_add_co_u32 v4, vcc_lo, v71, v2
	v_add_co_ci_u32_e64 v5, null, v72, v3, vcc_lo
	flat_load_dwordx2 v[4:5], v[4:5]
	s_waitcnt vmcnt(0) lgkmcnt(0)
	v_mul_f64 v[4:5], s[38:39], v[4:5]
	s_branch .LBB152_295
.LBB152_294:
	v_mov_b32_e32 v4, 0
	v_mov_b32_e32 v5, 0
.LBB152_295:
	s_waitcnt vmcnt(0)
	v_add_f64 v[0:1], v[0:1], v[4:5]
	v_add_co_u32 v2, vcc_lo, v68, v2
	v_add_co_ci_u32_e64 v3, null, v69, v3, vcc_lo
	flat_store_dwordx2 v[2:3], v[0:1]
	s_or_b32 exec_lo, exec_lo, s4
	s_and_b32 s5, s16, s15
	s_and_saveexec_b32 s4, s5
	s_cbranch_execz .LBB152_231
.LBB152_296:
	s_clause 0x1
	buffer_load_dword v0, off, s[0:3], 0 offset:344
	buffer_load_dword v1, off, s[0:3], 0 offset:348
	v_cmp_ne_u32_e32 vcc_lo, 1, v70
	v_lshlrev_b64 v[2:3], 3, v[22:23]
	s_cbranch_vccnz .LBB152_298
; %bb.297:
	v_add_co_u32 v4, vcc_lo, v71, v2
	v_add_co_ci_u32_e64 v5, null, v72, v3, vcc_lo
	flat_load_dwordx2 v[4:5], v[4:5]
	s_waitcnt vmcnt(0) lgkmcnt(0)
	v_mul_f64 v[4:5], s[38:39], v[4:5]
	s_branch .LBB152_299
.LBB152_298:
	v_mov_b32_e32 v4, 0
	v_mov_b32_e32 v5, 0
.LBB152_299:
	s_waitcnt vmcnt(0)
	v_add_f64 v[0:1], v[0:1], v[4:5]
	v_add_co_u32 v2, vcc_lo, v68, v2
	v_add_co_ci_u32_e64 v3, null, v69, v3, vcc_lo
	flat_store_dwordx2 v[2:3], v[0:1]
	s_or_b32 exec_lo, exec_lo, s4
	s_and_b32 s5, s16, s17
	s_and_saveexec_b32 s4, s5
	s_cbranch_execz .LBB152_232
.LBB152_300:
	s_clause 0x1
	buffer_load_dword v0, off, s[0:3], 0 offset:352
	buffer_load_dword v1, off, s[0:3], 0 offset:356
	v_cmp_ne_u32_e32 vcc_lo, 1, v70
	v_lshlrev_b64 v[2:3], 3, v[24:25]
	s_cbranch_vccnz .LBB152_302
; %bb.301:
	v_add_co_u32 v4, vcc_lo, v71, v2
	v_add_co_ci_u32_e64 v5, null, v72, v3, vcc_lo
	flat_load_dwordx2 v[4:5], v[4:5]
	s_waitcnt vmcnt(0) lgkmcnt(0)
	v_mul_f64 v[4:5], s[38:39], v[4:5]
	s_branch .LBB152_303
.LBB152_302:
	v_mov_b32_e32 v4, 0
	v_mov_b32_e32 v5, 0
.LBB152_303:
	s_waitcnt vmcnt(0)
	v_add_f64 v[0:1], v[0:1], v[4:5]
	v_add_co_u32 v2, vcc_lo, v68, v2
	v_add_co_ci_u32_e64 v3, null, v69, v3, vcc_lo
	flat_store_dwordx2 v[2:3], v[0:1]
	s_or_b32 exec_lo, exec_lo, s4
	s_and_b32 s5, s16, s18
	s_and_saveexec_b32 s4, s5
	s_cbranch_execz .LBB152_233
.LBB152_304:
	s_clause 0x1
	buffer_load_dword v0, off, s[0:3], 0 offset:360
	buffer_load_dword v1, off, s[0:3], 0 offset:364
	v_cmp_ne_u32_e32 vcc_lo, 1, v70
	v_lshlrev_b64 v[2:3], 3, v[26:27]
	s_cbranch_vccnz .LBB152_306
; %bb.305:
	v_add_co_u32 v4, vcc_lo, v71, v2
	v_add_co_ci_u32_e64 v5, null, v72, v3, vcc_lo
	flat_load_dwordx2 v[4:5], v[4:5]
	s_waitcnt vmcnt(0) lgkmcnt(0)
	v_mul_f64 v[4:5], s[38:39], v[4:5]
	s_branch .LBB152_307
.LBB152_306:
	v_mov_b32_e32 v4, 0
	v_mov_b32_e32 v5, 0
.LBB152_307:
	s_waitcnt vmcnt(0)
	v_add_f64 v[0:1], v[0:1], v[4:5]
	v_add_co_u32 v2, vcc_lo, v68, v2
	v_add_co_ci_u32_e64 v3, null, v69, v3, vcc_lo
	flat_store_dwordx2 v[2:3], v[0:1]
	s_or_b32 exec_lo, exec_lo, s4
	s_and_b32 s5, s16, s19
	s_and_saveexec_b32 s4, s5
	s_cbranch_execz .LBB152_234
.LBB152_308:
	s_clause 0x1
	buffer_load_dword v0, off, s[0:3], 0 offset:368
	buffer_load_dword v1, off, s[0:3], 0 offset:372
	v_cmp_ne_u32_e32 vcc_lo, 1, v70
	v_lshlrev_b64 v[2:3], 3, v[28:29]
	s_cbranch_vccnz .LBB152_310
; %bb.309:
	v_add_co_u32 v4, vcc_lo, v71, v2
	v_add_co_ci_u32_e64 v5, null, v72, v3, vcc_lo
	flat_load_dwordx2 v[4:5], v[4:5]
	s_waitcnt vmcnt(0) lgkmcnt(0)
	v_mul_f64 v[4:5], s[38:39], v[4:5]
	s_branch .LBB152_311
.LBB152_310:
	v_mov_b32_e32 v4, 0
	v_mov_b32_e32 v5, 0
.LBB152_311:
	s_waitcnt vmcnt(0)
	v_add_f64 v[0:1], v[0:1], v[4:5]
	v_add_co_u32 v2, vcc_lo, v68, v2
	v_add_co_ci_u32_e64 v3, null, v69, v3, vcc_lo
	flat_store_dwordx2 v[2:3], v[0:1]
	s_or_b32 exec_lo, exec_lo, s4
	s_and_b32 s5, s16, s20
	s_and_saveexec_b32 s4, s5
	s_cbranch_execz .LBB152_235
.LBB152_312:
	s_clause 0x1
	buffer_load_dword v0, off, s[0:3], 0 offset:376
	buffer_load_dword v1, off, s[0:3], 0 offset:380
	v_cmp_ne_u32_e32 vcc_lo, 1, v70
	v_lshlrev_b64 v[2:3], 3, v[30:31]
	s_cbranch_vccnz .LBB152_314
; %bb.313:
	v_add_co_u32 v4, vcc_lo, v71, v2
	v_add_co_ci_u32_e64 v5, null, v72, v3, vcc_lo
	flat_load_dwordx2 v[4:5], v[4:5]
	s_waitcnt vmcnt(0) lgkmcnt(0)
	v_mul_f64 v[4:5], s[38:39], v[4:5]
	s_branch .LBB152_315
.LBB152_314:
	v_mov_b32_e32 v4, 0
	v_mov_b32_e32 v5, 0
.LBB152_315:
	s_waitcnt vmcnt(0)
	v_add_f64 v[0:1], v[0:1], v[4:5]
	v_add_co_u32 v2, vcc_lo, v68, v2
	v_add_co_ci_u32_e64 v3, null, v69, v3, vcc_lo
	flat_store_dwordx2 v[2:3], v[0:1]
	s_or_b32 exec_lo, exec_lo, s4
	s_and_b32 s5, s16, s21
	s_and_saveexec_b32 s4, s5
	s_cbranch_execz .LBB152_236
.LBB152_316:
	s_clause 0x1
	buffer_load_dword v0, off, s[0:3], 0 offset:384
	buffer_load_dword v1, off, s[0:3], 0 offset:388
	v_cmp_ne_u32_e32 vcc_lo, 1, v70
	v_lshlrev_b64 v[2:3], 3, v[32:33]
	s_cbranch_vccnz .LBB152_318
; %bb.317:
	v_add_co_u32 v4, vcc_lo, v71, v2
	v_add_co_ci_u32_e64 v5, null, v72, v3, vcc_lo
	flat_load_dwordx2 v[4:5], v[4:5]
	s_waitcnt vmcnt(0) lgkmcnt(0)
	v_mul_f64 v[4:5], s[38:39], v[4:5]
	s_branch .LBB152_319
.LBB152_318:
	v_mov_b32_e32 v4, 0
	v_mov_b32_e32 v5, 0
.LBB152_319:
	s_waitcnt vmcnt(0)
	v_add_f64 v[0:1], v[0:1], v[4:5]
	v_add_co_u32 v2, vcc_lo, v68, v2
	v_add_co_ci_u32_e64 v3, null, v69, v3, vcc_lo
	flat_store_dwordx2 v[2:3], v[0:1]
	s_or_b32 exec_lo, exec_lo, s4
	s_and_b32 s5, s16, s22
	s_and_saveexec_b32 s4, s5
	s_cbranch_execz .LBB152_237
.LBB152_320:
	s_clause 0x1
	buffer_load_dword v0, off, s[0:3], 0 offset:392
	buffer_load_dword v1, off, s[0:3], 0 offset:396
	v_cmp_ne_u32_e32 vcc_lo, 1, v70
	v_lshlrev_b64 v[2:3], 3, v[34:35]
	s_cbranch_vccnz .LBB152_322
; %bb.321:
	v_add_co_u32 v4, vcc_lo, v71, v2
	v_add_co_ci_u32_e64 v5, null, v72, v3, vcc_lo
	flat_load_dwordx2 v[4:5], v[4:5]
	s_waitcnt vmcnt(0) lgkmcnt(0)
	v_mul_f64 v[4:5], s[38:39], v[4:5]
	s_branch .LBB152_323
.LBB152_322:
	v_mov_b32_e32 v4, 0
	v_mov_b32_e32 v5, 0
.LBB152_323:
	s_waitcnt vmcnt(0)
	v_add_f64 v[0:1], v[0:1], v[4:5]
	v_add_co_u32 v2, vcc_lo, v68, v2
	v_add_co_ci_u32_e64 v3, null, v69, v3, vcc_lo
	flat_store_dwordx2 v[2:3], v[0:1]
	s_or_b32 exec_lo, exec_lo, s4
	s_and_b32 s5, s16, s23
	s_and_saveexec_b32 s4, s5
	s_cbranch_execz .LBB152_238
.LBB152_324:
	s_clause 0x1
	buffer_load_dword v0, off, s[0:3], 0 offset:400
	buffer_load_dword v1, off, s[0:3], 0 offset:404
	v_cmp_ne_u32_e32 vcc_lo, 1, v70
	v_lshlrev_b64 v[2:3], 3, v[36:37]
	s_cbranch_vccnz .LBB152_326
; %bb.325:
	v_add_co_u32 v4, vcc_lo, v71, v2
	v_add_co_ci_u32_e64 v5, null, v72, v3, vcc_lo
	flat_load_dwordx2 v[4:5], v[4:5]
	s_waitcnt vmcnt(0) lgkmcnt(0)
	v_mul_f64 v[4:5], s[38:39], v[4:5]
	s_branch .LBB152_327
.LBB152_326:
	v_mov_b32_e32 v4, 0
	v_mov_b32_e32 v5, 0
.LBB152_327:
	s_waitcnt vmcnt(0)
	v_add_f64 v[0:1], v[0:1], v[4:5]
	v_add_co_u32 v2, vcc_lo, v68, v2
	v_add_co_ci_u32_e64 v3, null, v69, v3, vcc_lo
	flat_store_dwordx2 v[2:3], v[0:1]
	s_or_b32 exec_lo, exec_lo, s4
	s_and_b32 s5, s16, s24
	s_and_saveexec_b32 s4, s5
	s_cbranch_execz .LBB152_239
.LBB152_328:
	s_clause 0x1
	buffer_load_dword v0, off, s[0:3], 0 offset:408
	buffer_load_dword v1, off, s[0:3], 0 offset:412
	v_cmp_ne_u32_e32 vcc_lo, 1, v70
	v_lshlrev_b64 v[2:3], 3, v[38:39]
	s_cbranch_vccnz .LBB152_330
; %bb.329:
	v_add_co_u32 v4, vcc_lo, v71, v2
	v_add_co_ci_u32_e64 v5, null, v72, v3, vcc_lo
	flat_load_dwordx2 v[4:5], v[4:5]
	s_waitcnt vmcnt(0) lgkmcnt(0)
	v_mul_f64 v[4:5], s[38:39], v[4:5]
	s_branch .LBB152_331
.LBB152_330:
	v_mov_b32_e32 v4, 0
	v_mov_b32_e32 v5, 0
.LBB152_331:
	s_waitcnt vmcnt(0)
	v_add_f64 v[0:1], v[0:1], v[4:5]
	v_add_co_u32 v2, vcc_lo, v68, v2
	v_add_co_ci_u32_e64 v3, null, v69, v3, vcc_lo
	flat_store_dwordx2 v[2:3], v[0:1]
	s_or_b32 exec_lo, exec_lo, s4
	s_and_b32 s5, s16, s25
	s_and_saveexec_b32 s4, s5
	s_cbranch_execz .LBB152_240
.LBB152_332:
	s_clause 0x1
	buffer_load_dword v0, off, s[0:3], 0 offset:416
	buffer_load_dword v1, off, s[0:3], 0 offset:420
	v_cmp_ne_u32_e32 vcc_lo, 1, v70
	v_lshlrev_b64 v[2:3], 3, v[40:41]
	s_cbranch_vccnz .LBB152_334
; %bb.333:
	v_add_co_u32 v4, vcc_lo, v71, v2
	v_add_co_ci_u32_e64 v5, null, v72, v3, vcc_lo
	flat_load_dwordx2 v[4:5], v[4:5]
	s_waitcnt vmcnt(0) lgkmcnt(0)
	v_mul_f64 v[4:5], s[38:39], v[4:5]
	s_branch .LBB152_335
.LBB152_334:
	v_mov_b32_e32 v4, 0
	v_mov_b32_e32 v5, 0
.LBB152_335:
	s_waitcnt vmcnt(0)
	v_add_f64 v[0:1], v[0:1], v[4:5]
	v_add_co_u32 v2, vcc_lo, v68, v2
	v_add_co_ci_u32_e64 v3, null, v69, v3, vcc_lo
	flat_store_dwordx2 v[2:3], v[0:1]
	s_or_b32 exec_lo, exec_lo, s4
	s_and_b32 s5, s16, s26
	s_and_saveexec_b32 s4, s5
	s_cbranch_execz .LBB152_241
.LBB152_336:
	s_clause 0x1
	buffer_load_dword v0, off, s[0:3], 0 offset:424
	buffer_load_dword v1, off, s[0:3], 0 offset:428
	v_cmp_ne_u32_e32 vcc_lo, 1, v70
	v_lshlrev_b64 v[2:3], 3, v[42:43]
	s_cbranch_vccnz .LBB152_338
; %bb.337:
	v_add_co_u32 v4, vcc_lo, v71, v2
	v_add_co_ci_u32_e64 v5, null, v72, v3, vcc_lo
	flat_load_dwordx2 v[4:5], v[4:5]
	s_waitcnt vmcnt(0) lgkmcnt(0)
	v_mul_f64 v[4:5], s[38:39], v[4:5]
	s_branch .LBB152_339
.LBB152_338:
	v_mov_b32_e32 v4, 0
	v_mov_b32_e32 v5, 0
.LBB152_339:
	s_waitcnt vmcnt(0)
	v_add_f64 v[0:1], v[0:1], v[4:5]
	v_add_co_u32 v2, vcc_lo, v68, v2
	v_add_co_ci_u32_e64 v3, null, v69, v3, vcc_lo
	flat_store_dwordx2 v[2:3], v[0:1]
	s_or_b32 exec_lo, exec_lo, s4
	s_and_b32 s5, s16, s27
	s_and_saveexec_b32 s4, s5
	s_cbranch_execz .LBB152_242
.LBB152_340:
	s_clause 0x1
	buffer_load_dword v0, off, s[0:3], 0 offset:432
	buffer_load_dword v1, off, s[0:3], 0 offset:436
	v_cmp_ne_u32_e32 vcc_lo, 1, v70
	v_lshlrev_b64 v[2:3], 3, v[44:45]
	s_cbranch_vccnz .LBB152_342
; %bb.341:
	v_add_co_u32 v4, vcc_lo, v71, v2
	v_add_co_ci_u32_e64 v5, null, v72, v3, vcc_lo
	flat_load_dwordx2 v[4:5], v[4:5]
	s_waitcnt vmcnt(0) lgkmcnt(0)
	v_mul_f64 v[4:5], s[38:39], v[4:5]
	s_branch .LBB152_343
.LBB152_342:
	v_mov_b32_e32 v4, 0
	v_mov_b32_e32 v5, 0
.LBB152_343:
	s_waitcnt vmcnt(0)
	v_add_f64 v[0:1], v[0:1], v[4:5]
	v_add_co_u32 v2, vcc_lo, v68, v2
	v_add_co_ci_u32_e64 v3, null, v69, v3, vcc_lo
	flat_store_dwordx2 v[2:3], v[0:1]
	s_or_b32 exec_lo, exec_lo, s4
	s_and_b32 s5, s16, s28
	s_and_saveexec_b32 s4, s5
	s_cbranch_execz .LBB152_243
.LBB152_344:
	s_clause 0x1
	buffer_load_dword v0, off, s[0:3], 0 offset:440
	buffer_load_dword v1, off, s[0:3], 0 offset:444
	v_cmp_ne_u32_e32 vcc_lo, 1, v70
	v_lshlrev_b64 v[2:3], 3, v[46:47]
	s_cbranch_vccnz .LBB152_346
; %bb.345:
	v_add_co_u32 v4, vcc_lo, v71, v2
	v_add_co_ci_u32_e64 v5, null, v72, v3, vcc_lo
	flat_load_dwordx2 v[4:5], v[4:5]
	s_waitcnt vmcnt(0) lgkmcnt(0)
	v_mul_f64 v[4:5], s[38:39], v[4:5]
	s_branch .LBB152_347
.LBB152_346:
	v_mov_b32_e32 v4, 0
	v_mov_b32_e32 v5, 0
.LBB152_347:
	s_waitcnt vmcnt(0)
	v_add_f64 v[0:1], v[0:1], v[4:5]
	v_add_co_u32 v2, vcc_lo, v68, v2
	v_add_co_ci_u32_e64 v3, null, v69, v3, vcc_lo
	flat_store_dwordx2 v[2:3], v[0:1]
	s_or_b32 exec_lo, exec_lo, s4
	s_and_b32 s5, s16, s29
	s_and_saveexec_b32 s4, s5
	s_cbranch_execz .LBB152_244
.LBB152_348:
	s_clause 0x1
	buffer_load_dword v0, off, s[0:3], 0 offset:448
	buffer_load_dword v1, off, s[0:3], 0 offset:452
	v_cmp_ne_u32_e32 vcc_lo, 1, v70
	v_lshlrev_b64 v[2:3], 3, v[48:49]
	s_cbranch_vccnz .LBB152_350
; %bb.349:
	v_add_co_u32 v4, vcc_lo, v71, v2
	v_add_co_ci_u32_e64 v5, null, v72, v3, vcc_lo
	flat_load_dwordx2 v[4:5], v[4:5]
	s_waitcnt vmcnt(0) lgkmcnt(0)
	v_mul_f64 v[4:5], s[38:39], v[4:5]
	s_branch .LBB152_351
.LBB152_350:
	v_mov_b32_e32 v4, 0
	v_mov_b32_e32 v5, 0
.LBB152_351:
	s_waitcnt vmcnt(0)
	v_add_f64 v[0:1], v[0:1], v[4:5]
	v_add_co_u32 v2, vcc_lo, v68, v2
	v_add_co_ci_u32_e64 v3, null, v69, v3, vcc_lo
	flat_store_dwordx2 v[2:3], v[0:1]
	s_or_b32 exec_lo, exec_lo, s4
	s_and_b32 s5, s16, s30
	s_and_saveexec_b32 s4, s5
	s_cbranch_execz .LBB152_245
.LBB152_352:
	s_clause 0x1
	buffer_load_dword v0, off, s[0:3], 0 offset:456
	buffer_load_dword v1, off, s[0:3], 0 offset:460
	v_cmp_ne_u32_e32 vcc_lo, 1, v70
	v_lshlrev_b64 v[2:3], 3, v[50:51]
	s_cbranch_vccnz .LBB152_354
; %bb.353:
	v_add_co_u32 v4, vcc_lo, v71, v2
	v_add_co_ci_u32_e64 v5, null, v72, v3, vcc_lo
	flat_load_dwordx2 v[4:5], v[4:5]
	s_waitcnt vmcnt(0) lgkmcnt(0)
	v_mul_f64 v[4:5], s[38:39], v[4:5]
	s_branch .LBB152_355
.LBB152_354:
	v_mov_b32_e32 v4, 0
	v_mov_b32_e32 v5, 0
.LBB152_355:
	s_waitcnt vmcnt(0)
	v_add_f64 v[0:1], v[0:1], v[4:5]
	v_add_co_u32 v2, vcc_lo, v68, v2
	v_add_co_ci_u32_e64 v3, null, v69, v3, vcc_lo
	flat_store_dwordx2 v[2:3], v[0:1]
	s_or_b32 exec_lo, exec_lo, s4
	s_and_b32 s5, s16, s31
	s_and_saveexec_b32 s4, s5
	s_cbranch_execz .LBB152_246
.LBB152_356:
	s_clause 0x1
	buffer_load_dword v0, off, s[0:3], 0 offset:464
	buffer_load_dword v1, off, s[0:3], 0 offset:468
	v_cmp_ne_u32_e32 vcc_lo, 1, v70
	v_lshlrev_b64 v[2:3], 3, v[52:53]
	s_cbranch_vccnz .LBB152_358
; %bb.357:
	v_add_co_u32 v4, vcc_lo, v71, v2
	v_add_co_ci_u32_e64 v5, null, v72, v3, vcc_lo
	flat_load_dwordx2 v[4:5], v[4:5]
	s_waitcnt vmcnt(0) lgkmcnt(0)
	v_mul_f64 v[4:5], s[38:39], v[4:5]
	s_branch .LBB152_359
.LBB152_358:
	v_mov_b32_e32 v4, 0
	v_mov_b32_e32 v5, 0
.LBB152_359:
	s_waitcnt vmcnt(0)
	v_add_f64 v[0:1], v[0:1], v[4:5]
	v_add_co_u32 v2, vcc_lo, v68, v2
	v_add_co_ci_u32_e64 v3, null, v69, v3, vcc_lo
	flat_store_dwordx2 v[2:3], v[0:1]
	s_or_b32 exec_lo, exec_lo, s4
	s_and_b32 s5, s16, s33
	s_and_saveexec_b32 s4, s5
	s_cbranch_execz .LBB152_247
.LBB152_360:
	s_clause 0x1
	buffer_load_dword v0, off, s[0:3], 0 offset:472
	buffer_load_dword v1, off, s[0:3], 0 offset:476
	v_cmp_ne_u32_e32 vcc_lo, 1, v70
	v_lshlrev_b64 v[2:3], 3, v[54:55]
	s_cbranch_vccnz .LBB152_362
; %bb.361:
	v_add_co_u32 v4, vcc_lo, v71, v2
	v_add_co_ci_u32_e64 v5, null, v72, v3, vcc_lo
	flat_load_dwordx2 v[4:5], v[4:5]
	s_waitcnt vmcnt(0) lgkmcnt(0)
	v_mul_f64 v[4:5], s[38:39], v[4:5]
	s_branch .LBB152_363
.LBB152_362:
	v_mov_b32_e32 v4, 0
	v_mov_b32_e32 v5, 0
.LBB152_363:
	s_waitcnt vmcnt(0)
	v_add_f64 v[0:1], v[0:1], v[4:5]
	v_add_co_u32 v2, vcc_lo, v68, v2
	v_add_co_ci_u32_e64 v3, null, v69, v3, vcc_lo
	flat_store_dwordx2 v[2:3], v[0:1]
	s_or_b32 exec_lo, exec_lo, s4
	s_and_b32 s5, s16, s34
	s_and_saveexec_b32 s4, s5
	s_cbranch_execz .LBB152_248
.LBB152_364:
	s_clause 0x1
	buffer_load_dword v0, off, s[0:3], 0 offset:480
	buffer_load_dword v1, off, s[0:3], 0 offset:484
	v_cmp_ne_u32_e32 vcc_lo, 1, v70
	v_lshlrev_b64 v[2:3], 3, v[56:57]
	s_cbranch_vccnz .LBB152_366
; %bb.365:
	v_add_co_u32 v4, vcc_lo, v71, v2
	v_add_co_ci_u32_e64 v5, null, v72, v3, vcc_lo
	flat_load_dwordx2 v[4:5], v[4:5]
	s_waitcnt vmcnt(0) lgkmcnt(0)
	v_mul_f64 v[4:5], s[38:39], v[4:5]
	s_branch .LBB152_367
.LBB152_366:
	v_mov_b32_e32 v4, 0
	v_mov_b32_e32 v5, 0
.LBB152_367:
	s_waitcnt vmcnt(0)
	v_add_f64 v[0:1], v[0:1], v[4:5]
	v_add_co_u32 v2, vcc_lo, v68, v2
	v_add_co_ci_u32_e64 v3, null, v69, v3, vcc_lo
	flat_store_dwordx2 v[2:3], v[0:1]
	s_or_b32 exec_lo, exec_lo, s4
	s_and_b32 s5, s16, s35
	s_and_saveexec_b32 s4, s5
	s_cbranch_execz .LBB152_249
.LBB152_368:
	s_clause 0x1
	buffer_load_dword v0, off, s[0:3], 0 offset:488
	buffer_load_dword v1, off, s[0:3], 0 offset:492
	v_cmp_ne_u32_e32 vcc_lo, 1, v70
	v_lshlrev_b64 v[2:3], 3, v[58:59]
	s_cbranch_vccnz .LBB152_370
; %bb.369:
	v_add_co_u32 v4, vcc_lo, v71, v2
	v_add_co_ci_u32_e64 v5, null, v72, v3, vcc_lo
	flat_load_dwordx2 v[4:5], v[4:5]
	s_waitcnt vmcnt(0) lgkmcnt(0)
	v_mul_f64 v[4:5], s[38:39], v[4:5]
	s_branch .LBB152_371
.LBB152_370:
	v_mov_b32_e32 v4, 0
	v_mov_b32_e32 v5, 0
.LBB152_371:
	s_waitcnt vmcnt(0)
	v_add_f64 v[0:1], v[0:1], v[4:5]
	v_add_co_u32 v2, vcc_lo, v68, v2
	v_add_co_ci_u32_e64 v3, null, v69, v3, vcc_lo
	flat_store_dwordx2 v[2:3], v[0:1]
	s_or_b32 exec_lo, exec_lo, s4
	s_and_b32 s5, s16, s36
	s_and_saveexec_b32 s4, s5
	s_cbranch_execz .LBB152_250
.LBB152_372:
	s_clause 0x1
	buffer_load_dword v0, off, s[0:3], 0 offset:496
	buffer_load_dword v1, off, s[0:3], 0 offset:500
	v_cmp_ne_u32_e32 vcc_lo, 1, v70
	v_lshlrev_b64 v[2:3], 3, v[60:61]
	s_cbranch_vccnz .LBB152_374
; %bb.373:
	v_add_co_u32 v4, vcc_lo, v71, v2
	v_add_co_ci_u32_e64 v5, null, v72, v3, vcc_lo
	flat_load_dwordx2 v[4:5], v[4:5]
	s_waitcnt vmcnt(0) lgkmcnt(0)
	v_mul_f64 v[4:5], s[38:39], v[4:5]
	s_branch .LBB152_375
.LBB152_374:
	v_mov_b32_e32 v4, 0
	v_mov_b32_e32 v5, 0
.LBB152_375:
	s_waitcnt vmcnt(0)
	v_add_f64 v[0:1], v[0:1], v[4:5]
	v_add_co_u32 v2, vcc_lo, v68, v2
	v_add_co_ci_u32_e64 v3, null, v69, v3, vcc_lo
	flat_store_dwordx2 v[2:3], v[0:1]
	s_or_b32 exec_lo, exec_lo, s4
	s_and_b32 s4, s16, s37
	s_and_saveexec_b32 s5, s4
	s_cbranch_execz .LBB152_251
.LBB152_376:
	s_clause 0x1
	buffer_load_dword v0, off, s[0:3], 0 offset:504
	buffer_load_dword v1, off, s[0:3], 0 offset:508
	v_cmp_ne_u32_e32 vcc_lo, 1, v70
	v_lshlrev_b64 v[2:3], 3, v[62:63]
	s_cbranch_vccnz .LBB152_378
; %bb.377:
	v_add_co_u32 v4, vcc_lo, v71, v2
	v_add_co_ci_u32_e64 v5, null, v72, v3, vcc_lo
	flat_load_dwordx2 v[4:5], v[4:5]
	s_waitcnt vmcnt(0) lgkmcnt(0)
	v_mul_f64 v[4:5], s[38:39], v[4:5]
	s_branch .LBB152_379
.LBB152_378:
	v_mov_b32_e32 v4, 0
	v_mov_b32_e32 v5, 0
.LBB152_379:
	s_waitcnt vmcnt(0)
	v_add_f64 v[0:1], v[0:1], v[4:5]
	v_add_co_u32 v2, vcc_lo, v68, v2
	v_add_co_ci_u32_e64 v3, null, v69, v3, vcc_lo
	flat_store_dwordx2 v[2:3], v[0:1]
	s_endpgm
	.section	.rodata,"a",@progbits
	.p2align	6, 0x0
	.amdhsa_kernel _ZN12_GLOBAL__N_120geam_min_plus_kernelIdddLi4ELi64ELi128ELi128ELi4ELi4ELi64ELi64ELi4ELc84ELc84ELb0ELb1ELb0EdKPKdKPdEEviiiT16_PT17_ilS8_ilS6_S8_ilPT18_ili26rocblas_geam_ex_operation_
		.amdhsa_group_segment_fixed_size 16384
		.amdhsa_private_segment_fixed_size 528
		.amdhsa_kernarg_size 136
		.amdhsa_user_sgpr_count 6
		.amdhsa_user_sgpr_private_segment_buffer 1
		.amdhsa_user_sgpr_dispatch_ptr 0
		.amdhsa_user_sgpr_queue_ptr 0
		.amdhsa_user_sgpr_kernarg_segment_ptr 1
		.amdhsa_user_sgpr_dispatch_id 0
		.amdhsa_user_sgpr_flat_scratch_init 0
		.amdhsa_user_sgpr_private_segment_size 0
		.amdhsa_wavefront_size32 1
		.amdhsa_uses_dynamic_stack 0
		.amdhsa_system_sgpr_private_segment_wavefront_offset 1
		.amdhsa_system_sgpr_workgroup_id_x 1
		.amdhsa_system_sgpr_workgroup_id_y 0
		.amdhsa_system_sgpr_workgroup_id_z 1
		.amdhsa_system_sgpr_workgroup_info 0
		.amdhsa_system_vgpr_workitem_id 1
		.amdhsa_next_free_vgpr 225
		.amdhsa_next_free_sgpr 50
		.amdhsa_reserve_vcc 1
		.amdhsa_reserve_flat_scratch 0
		.amdhsa_float_round_mode_32 0
		.amdhsa_float_round_mode_16_64 0
		.amdhsa_float_denorm_mode_32 3
		.amdhsa_float_denorm_mode_16_64 3
		.amdhsa_dx10_clamp 1
		.amdhsa_ieee_mode 1
		.amdhsa_fp16_overflow 0
		.amdhsa_workgroup_processor_mode 1
		.amdhsa_memory_ordered 1
		.amdhsa_forward_progress 1
		.amdhsa_shared_vgpr_count 0
		.amdhsa_exception_fp_ieee_invalid_op 0
		.amdhsa_exception_fp_denorm_src 0
		.amdhsa_exception_fp_ieee_div_zero 0
		.amdhsa_exception_fp_ieee_overflow 0
		.amdhsa_exception_fp_ieee_underflow 0
		.amdhsa_exception_fp_ieee_inexact 0
		.amdhsa_exception_int_div_zero 0
	.end_amdhsa_kernel
	.section	.text._ZN12_GLOBAL__N_120geam_min_plus_kernelIdddLi4ELi64ELi128ELi128ELi4ELi4ELi64ELi64ELi4ELc84ELc84ELb0ELb1ELb0EdKPKdKPdEEviiiT16_PT17_ilS8_ilS6_S8_ilPT18_ili26rocblas_geam_ex_operation_,"axG",@progbits,_ZN12_GLOBAL__N_120geam_min_plus_kernelIdddLi4ELi64ELi128ELi128ELi4ELi4ELi64ELi64ELi4ELc84ELc84ELb0ELb1ELb0EdKPKdKPdEEviiiT16_PT17_ilS8_ilS6_S8_ilPT18_ili26rocblas_geam_ex_operation_,comdat
.Lfunc_end152:
	.size	_ZN12_GLOBAL__N_120geam_min_plus_kernelIdddLi4ELi64ELi128ELi128ELi4ELi4ELi64ELi64ELi4ELc84ELc84ELb0ELb1ELb0EdKPKdKPdEEviiiT16_PT17_ilS8_ilS6_S8_ilPT18_ili26rocblas_geam_ex_operation_, .Lfunc_end152-_ZN12_GLOBAL__N_120geam_min_plus_kernelIdddLi4ELi64ELi128ELi128ELi4ELi4ELi64ELi64ELi4ELc84ELc84ELb0ELb1ELb0EdKPKdKPdEEviiiT16_PT17_ilS8_ilS6_S8_ilPT18_ili26rocblas_geam_ex_operation_
                                        ; -- End function
	.set _ZN12_GLOBAL__N_120geam_min_plus_kernelIdddLi4ELi64ELi128ELi128ELi4ELi4ELi64ELi64ELi4ELc84ELc84ELb0ELb1ELb0EdKPKdKPdEEviiiT16_PT17_ilS8_ilS6_S8_ilPT18_ili26rocblas_geam_ex_operation_.num_vgpr, 225
	.set _ZN12_GLOBAL__N_120geam_min_plus_kernelIdddLi4ELi64ELi128ELi128ELi4ELi4ELi64ELi64ELi4ELc84ELc84ELb0ELb1ELb0EdKPKdKPdEEviiiT16_PT17_ilS8_ilS6_S8_ilPT18_ili26rocblas_geam_ex_operation_.num_agpr, 0
	.set _ZN12_GLOBAL__N_120geam_min_plus_kernelIdddLi4ELi64ELi128ELi128ELi4ELi4ELi64ELi64ELi4ELc84ELc84ELb0ELb1ELb0EdKPKdKPdEEviiiT16_PT17_ilS8_ilS6_S8_ilPT18_ili26rocblas_geam_ex_operation_.numbered_sgpr, 50
	.set _ZN12_GLOBAL__N_120geam_min_plus_kernelIdddLi4ELi64ELi128ELi128ELi4ELi4ELi64ELi64ELi4ELc84ELc84ELb0ELb1ELb0EdKPKdKPdEEviiiT16_PT17_ilS8_ilS6_S8_ilPT18_ili26rocblas_geam_ex_operation_.num_named_barrier, 0
	.set _ZN12_GLOBAL__N_120geam_min_plus_kernelIdddLi4ELi64ELi128ELi128ELi4ELi4ELi64ELi64ELi4ELc84ELc84ELb0ELb1ELb0EdKPKdKPdEEviiiT16_PT17_ilS8_ilS6_S8_ilPT18_ili26rocblas_geam_ex_operation_.private_seg_size, 528
	.set _ZN12_GLOBAL__N_120geam_min_plus_kernelIdddLi4ELi64ELi128ELi128ELi4ELi4ELi64ELi64ELi4ELc84ELc84ELb0ELb1ELb0EdKPKdKPdEEviiiT16_PT17_ilS8_ilS6_S8_ilPT18_ili26rocblas_geam_ex_operation_.uses_vcc, 1
	.set _ZN12_GLOBAL__N_120geam_min_plus_kernelIdddLi4ELi64ELi128ELi128ELi4ELi4ELi64ELi64ELi4ELc84ELc84ELb0ELb1ELb0EdKPKdKPdEEviiiT16_PT17_ilS8_ilS6_S8_ilPT18_ili26rocblas_geam_ex_operation_.uses_flat_scratch, 0
	.set _ZN12_GLOBAL__N_120geam_min_plus_kernelIdddLi4ELi64ELi128ELi128ELi4ELi4ELi64ELi64ELi4ELc84ELc84ELb0ELb1ELb0EdKPKdKPdEEviiiT16_PT17_ilS8_ilS6_S8_ilPT18_ili26rocblas_geam_ex_operation_.has_dyn_sized_stack, 0
	.set _ZN12_GLOBAL__N_120geam_min_plus_kernelIdddLi4ELi64ELi128ELi128ELi4ELi4ELi64ELi64ELi4ELc84ELc84ELb0ELb1ELb0EdKPKdKPdEEviiiT16_PT17_ilS8_ilS6_S8_ilPT18_ili26rocblas_geam_ex_operation_.has_recursion, 0
	.set _ZN12_GLOBAL__N_120geam_min_plus_kernelIdddLi4ELi64ELi128ELi128ELi4ELi4ELi64ELi64ELi4ELc84ELc84ELb0ELb1ELb0EdKPKdKPdEEviiiT16_PT17_ilS8_ilS6_S8_ilPT18_ili26rocblas_geam_ex_operation_.has_indirect_call, 0
	.section	.AMDGPU.csdata,"",@progbits
; Kernel info:
; codeLenInByte = 22048
; TotalNumSgprs: 52
; NumVgprs: 225
; ScratchSize: 528
; MemoryBound: 0
; FloatMode: 240
; IeeeMode: 1
; LDSByteSize: 16384 bytes/workgroup (compile time only)
; SGPRBlocks: 0
; VGPRBlocks: 28
; NumSGPRsForWavesPerEU: 52
; NumVGPRsForWavesPerEU: 225
; Occupancy: 4
; WaveLimiterHint : 1
; COMPUTE_PGM_RSRC2:SCRATCH_EN: 1
; COMPUTE_PGM_RSRC2:USER_SGPR: 6
; COMPUTE_PGM_RSRC2:TRAP_HANDLER: 0
; COMPUTE_PGM_RSRC2:TGID_X_EN: 1
; COMPUTE_PGM_RSRC2:TGID_Y_EN: 0
; COMPUTE_PGM_RSRC2:TGID_Z_EN: 1
; COMPUTE_PGM_RSRC2:TIDIG_COMP_CNT: 1
	.section	.text._ZN12_GLOBAL__N_120geam_ex_scale_kernelILi32ELi32EddPKdPdEEviiT2_T3_lilT4_lil,"axG",@progbits,_ZN12_GLOBAL__N_120geam_ex_scale_kernelILi32ELi32EddPKdPdEEviiT2_T3_lilT4_lil,comdat
	.globl	_ZN12_GLOBAL__N_120geam_ex_scale_kernelILi32ELi32EddPKdPdEEviiT2_T3_lilT4_lil ; -- Begin function _ZN12_GLOBAL__N_120geam_ex_scale_kernelILi32ELi32EddPKdPdEEviiT2_T3_lilT4_lil
	.p2align	8
	.type	_ZN12_GLOBAL__N_120geam_ex_scale_kernelILi32ELi32EddPKdPdEEviiT2_T3_lilT4_lil,@function
_ZN12_GLOBAL__N_120geam_ex_scale_kernelILi32ELi32EddPKdPdEEviiT2_T3_lilT4_lil: ; @_ZN12_GLOBAL__N_120geam_ex_scale_kernelILi32ELi32EddPKdPdEEviiT2_T3_lilT4_lil
; %bb.0:
	s_clause 0x2
	s_load_dwordx4 s[8:11], s[4:5], 0x8
	s_load_dwordx4 s[0:3], s[4:5], 0x28
	s_load_dwordx2 s[12:13], s[4:5], 0x38
	s_mov_b64 s[14:15], 0
	s_waitcnt lgkmcnt(0)
	v_cmp_eq_f64_e64 s16, s[8:9], 0
	s_and_b32 vcc_lo, exec_lo, s16
	s_cbranch_vccnz .LBB153_2
; %bb.1:
	s_load_dwordx2 s[14:15], s[4:5], 0x18
	s_mul_i32 s1, s1, s7
	s_mul_hi_u32 s17, s0, s7
	s_mul_i32 s0, s0, s7
	s_add_i32 s1, s17, s1
	s_lshl_b64 s[0:1], s[0:1], 3
	s_add_u32 s10, s10, s0
	s_addc_u32 s11, s11, s1
	s_waitcnt lgkmcnt(0)
	s_lshl_b64 s[0:1], s[14:15], 3
	s_add_u32 s14, s10, s0
	s_addc_u32 s15, s11, s1
.LBB153_2:
	s_load_dwordx2 s[0:1], s[4:5], 0x0
	s_waitcnt lgkmcnt(0)
	s_add_i32 s10, s0, -1
	s_ashr_i32 s11, s10, 31
	s_lshr_b32 s11, s11, 27
	s_add_i32 s10, s10, s11
	s_ashr_i32 s10, s10, 5
	s_add_i32 s11, s10, 1
	s_not_b32 s10, s10
	v_cvt_f32_u32_e32 v2, s11
	v_rcp_iflag_f32_e32 v2, v2
	v_mul_f32_e32 v2, 0x4f7ffffe, v2
	v_cvt_u32_f32_e32 v2, v2
	v_readfirstlane_b32 s17, v2
	s_mul_i32 s10, s10, s17
	s_mul_hi_u32 s10, s17, s10
	s_add_i32 s17, s17, s10
	s_mul_hi_u32 s10, s6, s17
	s_mul_i32 s17, s10, s11
	s_add_i32 s18, s10, 1
	s_sub_i32 s17, s6, s17
	s_sub_i32 s19, s17, s11
	s_cmp_ge_u32 s17, s11
	s_cselect_b32 s10, s18, s10
	s_cselect_b32 s17, s19, s17
	s_add_i32 s18, s10, 1
	s_cmp_ge_u32 s17, s11
	s_cselect_b32 s10, s18, s10
	s_mul_i32 s11, s10, s11
	v_lshl_add_u32 v4, s10, 5, v1
	s_sub_i32 s6, s6, s11
	v_lshl_add_u32 v0, s6, 5, v0
	v_cmp_gt_u32_e32 vcc_lo, s0, v0
	v_cmp_gt_u32_e64 s0, s1, v4
	s_mov_b32 s1, -1
	s_and_b32 s0, vcc_lo, s0
	s_and_saveexec_b32 s6, s0
	s_cbranch_execz .LBB153_8
; %bb.3:
	v_mov_b32_e32 v1, 0
	s_andn2_b32 vcc_lo, exec_lo, s16
	s_cbranch_vccnz .LBB153_5
; %bb.4:
	s_mov_b32 s1, 0
.LBB153_5:
	v_mov_b32_e32 v2, 0
	v_mov_b32_e32 v3, 0
	s_andn2_b32 vcc_lo, exec_lo, s1
	s_cbranch_vccnz .LBB153_7
; %bb.6:
	s_load_dword s0, s[4:5], 0x20
	s_waitcnt lgkmcnt(0)
	v_mad_u64_u32 v[2:3], null, v4, s0, 0
	s_ashr_i32 s0, s0, 31
	v_mad_u64_u32 v[5:6], null, v4, s0, v[3:4]
	v_mov_b32_e32 v3, v5
	v_lshlrev_b64 v[5:6], 3, v[0:1]
	v_lshlrev_b64 v[2:3], 3, v[2:3]
	v_add_co_u32 v2, vcc_lo, s14, v2
	v_add_co_ci_u32_e64 v3, null, s15, v3, vcc_lo
	v_add_co_u32 v2, vcc_lo, v2, v5
	v_add_co_ci_u32_e64 v3, null, v3, v6, vcc_lo
	global_load_dwordx2 v[2:3], v[2:3], off
	s_waitcnt vmcnt(0)
	v_mul_f64 v[2:3], s[8:9], v[2:3]
.LBB153_7:
	s_clause 0x1
	s_load_dwordx2 s[0:1], s[4:5], 0x48
	s_load_dword s4, s[4:5], 0x40
	v_lshlrev_b64 v[0:1], 3, v[0:1]
	s_waitcnt lgkmcnt(0)
	s_mul_i32 s1, s1, s7
	s_mul_hi_u32 s5, s0, s7
	s_mul_i32 s0, s0, s7
	s_add_i32 s1, s5, s1
	v_mad_u64_u32 v[5:6], null, v4, s4, 0
	s_lshl_b64 s[0:1], s[0:1], 3
	s_add_u32 s2, s2, s0
	s_addc_u32 s3, s3, s1
	s_lshl_b64 s[0:1], s[12:13], 3
	s_add_u32 s0, s2, s0
	s_addc_u32 s1, s3, s1
	s_ashr_i32 s2, s4, 31
	v_mad_u64_u32 v[6:7], null, v4, s2, v[6:7]
	v_lshlrev_b64 v[4:5], 3, v[5:6]
	v_add_co_u32 v4, vcc_lo, s0, v4
	v_add_co_ci_u32_e64 v5, null, s1, v5, vcc_lo
	v_add_co_u32 v0, vcc_lo, v4, v0
	v_add_co_ci_u32_e64 v1, null, v5, v1, vcc_lo
	global_store_dwordx2 v[0:1], v[2:3], off
.LBB153_8:
	s_endpgm
	.section	.rodata,"a",@progbits
	.p2align	6, 0x0
	.amdhsa_kernel _ZN12_GLOBAL__N_120geam_ex_scale_kernelILi32ELi32EddPKdPdEEviiT2_T3_lilT4_lil
		.amdhsa_group_segment_fixed_size 0
		.amdhsa_private_segment_fixed_size 0
		.amdhsa_kernarg_size 80
		.amdhsa_user_sgpr_count 6
		.amdhsa_user_sgpr_private_segment_buffer 1
		.amdhsa_user_sgpr_dispatch_ptr 0
		.amdhsa_user_sgpr_queue_ptr 0
		.amdhsa_user_sgpr_kernarg_segment_ptr 1
		.amdhsa_user_sgpr_dispatch_id 0
		.amdhsa_user_sgpr_flat_scratch_init 0
		.amdhsa_user_sgpr_private_segment_size 0
		.amdhsa_wavefront_size32 1
		.amdhsa_uses_dynamic_stack 0
		.amdhsa_system_sgpr_private_segment_wavefront_offset 0
		.amdhsa_system_sgpr_workgroup_id_x 1
		.amdhsa_system_sgpr_workgroup_id_y 0
		.amdhsa_system_sgpr_workgroup_id_z 1
		.amdhsa_system_sgpr_workgroup_info 0
		.amdhsa_system_vgpr_workitem_id 1
		.amdhsa_next_free_vgpr 8
		.amdhsa_next_free_sgpr 20
		.amdhsa_reserve_vcc 1
		.amdhsa_reserve_flat_scratch 0
		.amdhsa_float_round_mode_32 0
		.amdhsa_float_round_mode_16_64 0
		.amdhsa_float_denorm_mode_32 3
		.amdhsa_float_denorm_mode_16_64 3
		.amdhsa_dx10_clamp 1
		.amdhsa_ieee_mode 1
		.amdhsa_fp16_overflow 0
		.amdhsa_workgroup_processor_mode 1
		.amdhsa_memory_ordered 1
		.amdhsa_forward_progress 1
		.amdhsa_shared_vgpr_count 0
		.amdhsa_exception_fp_ieee_invalid_op 0
		.amdhsa_exception_fp_denorm_src 0
		.amdhsa_exception_fp_ieee_div_zero 0
		.amdhsa_exception_fp_ieee_overflow 0
		.amdhsa_exception_fp_ieee_underflow 0
		.amdhsa_exception_fp_ieee_inexact 0
		.amdhsa_exception_int_div_zero 0
	.end_amdhsa_kernel
	.section	.text._ZN12_GLOBAL__N_120geam_ex_scale_kernelILi32ELi32EddPKdPdEEviiT2_T3_lilT4_lil,"axG",@progbits,_ZN12_GLOBAL__N_120geam_ex_scale_kernelILi32ELi32EddPKdPdEEviiT2_T3_lilT4_lil,comdat
.Lfunc_end153:
	.size	_ZN12_GLOBAL__N_120geam_ex_scale_kernelILi32ELi32EddPKdPdEEviiT2_T3_lilT4_lil, .Lfunc_end153-_ZN12_GLOBAL__N_120geam_ex_scale_kernelILi32ELi32EddPKdPdEEviiT2_T3_lilT4_lil
                                        ; -- End function
	.set _ZN12_GLOBAL__N_120geam_ex_scale_kernelILi32ELi32EddPKdPdEEviiT2_T3_lilT4_lil.num_vgpr, 8
	.set _ZN12_GLOBAL__N_120geam_ex_scale_kernelILi32ELi32EddPKdPdEEviiT2_T3_lilT4_lil.num_agpr, 0
	.set _ZN12_GLOBAL__N_120geam_ex_scale_kernelILi32ELi32EddPKdPdEEviiT2_T3_lilT4_lil.numbered_sgpr, 20
	.set _ZN12_GLOBAL__N_120geam_ex_scale_kernelILi32ELi32EddPKdPdEEviiT2_T3_lilT4_lil.num_named_barrier, 0
	.set _ZN12_GLOBAL__N_120geam_ex_scale_kernelILi32ELi32EddPKdPdEEviiT2_T3_lilT4_lil.private_seg_size, 0
	.set _ZN12_GLOBAL__N_120geam_ex_scale_kernelILi32ELi32EddPKdPdEEviiT2_T3_lilT4_lil.uses_vcc, 1
	.set _ZN12_GLOBAL__N_120geam_ex_scale_kernelILi32ELi32EddPKdPdEEviiT2_T3_lilT4_lil.uses_flat_scratch, 0
	.set _ZN12_GLOBAL__N_120geam_ex_scale_kernelILi32ELi32EddPKdPdEEviiT2_T3_lilT4_lil.has_dyn_sized_stack, 0
	.set _ZN12_GLOBAL__N_120geam_ex_scale_kernelILi32ELi32EddPKdPdEEviiT2_T3_lilT4_lil.has_recursion, 0
	.set _ZN12_GLOBAL__N_120geam_ex_scale_kernelILi32ELi32EddPKdPdEEviiT2_T3_lilT4_lil.has_indirect_call, 0
	.section	.AMDGPU.csdata,"",@progbits
; Kernel info:
; codeLenInByte = 556
; TotalNumSgprs: 22
; NumVgprs: 8
; ScratchSize: 0
; MemoryBound: 0
; FloatMode: 240
; IeeeMode: 1
; LDSByteSize: 0 bytes/workgroup (compile time only)
; SGPRBlocks: 0
; VGPRBlocks: 0
; NumSGPRsForWavesPerEU: 22
; NumVGPRsForWavesPerEU: 8
; Occupancy: 16
; WaveLimiterHint : 0
; COMPUTE_PGM_RSRC2:SCRATCH_EN: 0
; COMPUTE_PGM_RSRC2:USER_SGPR: 6
; COMPUTE_PGM_RSRC2:TRAP_HANDLER: 0
; COMPUTE_PGM_RSRC2:TGID_X_EN: 1
; COMPUTE_PGM_RSRC2:TGID_Y_EN: 0
; COMPUTE_PGM_RSRC2:TGID_Z_EN: 1
; COMPUTE_PGM_RSRC2:TIDIG_COMP_CNT: 1
	.section	.text._ZN12_GLOBAL__N_120geam_ex_scale_kernelILi32ELi32EdPKdS2_PdEEviiT2_T3_lilT4_lil,"axG",@progbits,_ZN12_GLOBAL__N_120geam_ex_scale_kernelILi32ELi32EdPKdS2_PdEEviiT2_T3_lilT4_lil,comdat
	.globl	_ZN12_GLOBAL__N_120geam_ex_scale_kernelILi32ELi32EdPKdS2_PdEEviiT2_T3_lilT4_lil ; -- Begin function _ZN12_GLOBAL__N_120geam_ex_scale_kernelILi32ELi32EdPKdS2_PdEEviiT2_T3_lilT4_lil
	.p2align	8
	.type	_ZN12_GLOBAL__N_120geam_ex_scale_kernelILi32ELi32EdPKdS2_PdEEviiT2_T3_lilT4_lil,@function
_ZN12_GLOBAL__N_120geam_ex_scale_kernelILi32ELi32EdPKdS2_PdEEviiT2_T3_lilT4_lil: ; @_ZN12_GLOBAL__N_120geam_ex_scale_kernelILi32ELi32EdPKdS2_PdEEviiT2_T3_lilT4_lil
; %bb.0:
	s_clause 0x1
	s_load_dwordx4 s[8:11], s[4:5], 0x8
	s_load_dwordx4 s[0:3], s[4:5], 0x28
	s_mov_b64 s[14:15], 0
	s_waitcnt lgkmcnt(0)
	s_load_dwordx2 s[12:13], s[8:9], 0x0
	s_load_dwordx2 s[8:9], s[4:5], 0x38
	s_waitcnt lgkmcnt(0)
	v_cmp_eq_f64_e64 s16, s[12:13], 0
	s_and_b32 vcc_lo, exec_lo, s16
	s_cbranch_vccnz .LBB154_2
; %bb.1:
	s_load_dwordx2 s[14:15], s[4:5], 0x18
	s_mul_i32 s1, s1, s7
	s_mul_hi_u32 s17, s0, s7
	s_mul_i32 s0, s0, s7
	s_add_i32 s1, s17, s1
	s_lshl_b64 s[0:1], s[0:1], 3
	s_add_u32 s10, s10, s0
	s_addc_u32 s11, s11, s1
	s_waitcnt lgkmcnt(0)
	s_lshl_b64 s[0:1], s[14:15], 3
	s_add_u32 s14, s10, s0
	s_addc_u32 s15, s11, s1
.LBB154_2:
	s_load_dwordx2 s[0:1], s[4:5], 0x0
	s_waitcnt lgkmcnt(0)
	s_add_i32 s10, s0, -1
	s_ashr_i32 s11, s10, 31
	s_lshr_b32 s11, s11, 27
	s_add_i32 s10, s10, s11
	s_ashr_i32 s10, s10, 5
	s_add_i32 s11, s10, 1
	s_not_b32 s10, s10
	v_cvt_f32_u32_e32 v2, s11
	v_rcp_iflag_f32_e32 v2, v2
	v_mul_f32_e32 v2, 0x4f7ffffe, v2
	v_cvt_u32_f32_e32 v2, v2
	v_readfirstlane_b32 s17, v2
	s_mul_i32 s10, s10, s17
	s_mul_hi_u32 s10, s17, s10
	s_add_i32 s17, s17, s10
	s_mul_hi_u32 s10, s6, s17
	s_mul_i32 s17, s10, s11
	s_add_i32 s18, s10, 1
	s_sub_i32 s17, s6, s17
	s_sub_i32 s19, s17, s11
	s_cmp_ge_u32 s17, s11
	s_cselect_b32 s10, s18, s10
	s_cselect_b32 s17, s19, s17
	s_add_i32 s18, s10, 1
	s_cmp_ge_u32 s17, s11
	s_cselect_b32 s10, s18, s10
	s_mul_i32 s11, s10, s11
	v_lshl_add_u32 v4, s10, 5, v1
	s_sub_i32 s6, s6, s11
	v_lshl_add_u32 v0, s6, 5, v0
	v_cmp_gt_u32_e32 vcc_lo, s0, v0
	v_cmp_gt_u32_e64 s0, s1, v4
	s_mov_b32 s1, -1
	s_and_b32 s0, vcc_lo, s0
	s_and_saveexec_b32 s6, s0
	s_cbranch_execz .LBB154_8
; %bb.3:
	v_mov_b32_e32 v1, 0
	s_andn2_b32 vcc_lo, exec_lo, s16
	s_cbranch_vccnz .LBB154_5
; %bb.4:
	s_mov_b32 s1, 0
.LBB154_5:
	v_mov_b32_e32 v2, 0
	v_mov_b32_e32 v3, 0
	s_andn2_b32 vcc_lo, exec_lo, s1
	s_cbranch_vccnz .LBB154_7
; %bb.6:
	s_load_dword s0, s[4:5], 0x20
	s_waitcnt lgkmcnt(0)
	v_mad_u64_u32 v[2:3], null, v4, s0, 0
	s_ashr_i32 s0, s0, 31
	v_mad_u64_u32 v[5:6], null, v4, s0, v[3:4]
	v_mov_b32_e32 v3, v5
	v_lshlrev_b64 v[5:6], 3, v[0:1]
	v_lshlrev_b64 v[2:3], 3, v[2:3]
	v_add_co_u32 v2, vcc_lo, s14, v2
	v_add_co_ci_u32_e64 v3, null, s15, v3, vcc_lo
	v_add_co_u32 v2, vcc_lo, v2, v5
	v_add_co_ci_u32_e64 v3, null, v3, v6, vcc_lo
	global_load_dwordx2 v[2:3], v[2:3], off
	s_waitcnt vmcnt(0)
	v_mul_f64 v[2:3], s[12:13], v[2:3]
.LBB154_7:
	s_clause 0x1
	s_load_dwordx2 s[0:1], s[4:5], 0x48
	s_load_dword s4, s[4:5], 0x40
	v_lshlrev_b64 v[0:1], 3, v[0:1]
	s_waitcnt lgkmcnt(0)
	s_mul_i32 s1, s1, s7
	s_mul_hi_u32 s5, s0, s7
	s_mul_i32 s0, s0, s7
	s_add_i32 s1, s5, s1
	v_mad_u64_u32 v[5:6], null, v4, s4, 0
	s_lshl_b64 s[0:1], s[0:1], 3
	s_add_u32 s2, s2, s0
	s_addc_u32 s3, s3, s1
	s_lshl_b64 s[0:1], s[8:9], 3
	s_add_u32 s0, s2, s0
	s_addc_u32 s1, s3, s1
	s_ashr_i32 s2, s4, 31
	v_mad_u64_u32 v[6:7], null, v4, s2, v[6:7]
	v_lshlrev_b64 v[4:5], 3, v[5:6]
	v_add_co_u32 v4, vcc_lo, s0, v4
	v_add_co_ci_u32_e64 v5, null, s1, v5, vcc_lo
	v_add_co_u32 v0, vcc_lo, v4, v0
	v_add_co_ci_u32_e64 v1, null, v5, v1, vcc_lo
	global_store_dwordx2 v[0:1], v[2:3], off
.LBB154_8:
	s_endpgm
	.section	.rodata,"a",@progbits
	.p2align	6, 0x0
	.amdhsa_kernel _ZN12_GLOBAL__N_120geam_ex_scale_kernelILi32ELi32EdPKdS2_PdEEviiT2_T3_lilT4_lil
		.amdhsa_group_segment_fixed_size 0
		.amdhsa_private_segment_fixed_size 0
		.amdhsa_kernarg_size 80
		.amdhsa_user_sgpr_count 6
		.amdhsa_user_sgpr_private_segment_buffer 1
		.amdhsa_user_sgpr_dispatch_ptr 0
		.amdhsa_user_sgpr_queue_ptr 0
		.amdhsa_user_sgpr_kernarg_segment_ptr 1
		.amdhsa_user_sgpr_dispatch_id 0
		.amdhsa_user_sgpr_flat_scratch_init 0
		.amdhsa_user_sgpr_private_segment_size 0
		.amdhsa_wavefront_size32 1
		.amdhsa_uses_dynamic_stack 0
		.amdhsa_system_sgpr_private_segment_wavefront_offset 0
		.amdhsa_system_sgpr_workgroup_id_x 1
		.amdhsa_system_sgpr_workgroup_id_y 0
		.amdhsa_system_sgpr_workgroup_id_z 1
		.amdhsa_system_sgpr_workgroup_info 0
		.amdhsa_system_vgpr_workitem_id 1
		.amdhsa_next_free_vgpr 8
		.amdhsa_next_free_sgpr 20
		.amdhsa_reserve_vcc 1
		.amdhsa_reserve_flat_scratch 0
		.amdhsa_float_round_mode_32 0
		.amdhsa_float_round_mode_16_64 0
		.amdhsa_float_denorm_mode_32 3
		.amdhsa_float_denorm_mode_16_64 3
		.amdhsa_dx10_clamp 1
		.amdhsa_ieee_mode 1
		.amdhsa_fp16_overflow 0
		.amdhsa_workgroup_processor_mode 1
		.amdhsa_memory_ordered 1
		.amdhsa_forward_progress 1
		.amdhsa_shared_vgpr_count 0
		.amdhsa_exception_fp_ieee_invalid_op 0
		.amdhsa_exception_fp_denorm_src 0
		.amdhsa_exception_fp_ieee_div_zero 0
		.amdhsa_exception_fp_ieee_overflow 0
		.amdhsa_exception_fp_ieee_underflow 0
		.amdhsa_exception_fp_ieee_inexact 0
		.amdhsa_exception_int_div_zero 0
	.end_amdhsa_kernel
	.section	.text._ZN12_GLOBAL__N_120geam_ex_scale_kernelILi32ELi32EdPKdS2_PdEEviiT2_T3_lilT4_lil,"axG",@progbits,_ZN12_GLOBAL__N_120geam_ex_scale_kernelILi32ELi32EdPKdS2_PdEEviiT2_T3_lilT4_lil,comdat
.Lfunc_end154:
	.size	_ZN12_GLOBAL__N_120geam_ex_scale_kernelILi32ELi32EdPKdS2_PdEEviiT2_T3_lilT4_lil, .Lfunc_end154-_ZN12_GLOBAL__N_120geam_ex_scale_kernelILi32ELi32EdPKdS2_PdEEviiT2_T3_lilT4_lil
                                        ; -- End function
	.set _ZN12_GLOBAL__N_120geam_ex_scale_kernelILi32ELi32EdPKdS2_PdEEviiT2_T3_lilT4_lil.num_vgpr, 8
	.set _ZN12_GLOBAL__N_120geam_ex_scale_kernelILi32ELi32EdPKdS2_PdEEviiT2_T3_lilT4_lil.num_agpr, 0
	.set _ZN12_GLOBAL__N_120geam_ex_scale_kernelILi32ELi32EdPKdS2_PdEEviiT2_T3_lilT4_lil.numbered_sgpr, 20
	.set _ZN12_GLOBAL__N_120geam_ex_scale_kernelILi32ELi32EdPKdS2_PdEEviiT2_T3_lilT4_lil.num_named_barrier, 0
	.set _ZN12_GLOBAL__N_120geam_ex_scale_kernelILi32ELi32EdPKdS2_PdEEviiT2_T3_lilT4_lil.private_seg_size, 0
	.set _ZN12_GLOBAL__N_120geam_ex_scale_kernelILi32ELi32EdPKdS2_PdEEviiT2_T3_lilT4_lil.uses_vcc, 1
	.set _ZN12_GLOBAL__N_120geam_ex_scale_kernelILi32ELi32EdPKdS2_PdEEviiT2_T3_lilT4_lil.uses_flat_scratch, 0
	.set _ZN12_GLOBAL__N_120geam_ex_scale_kernelILi32ELi32EdPKdS2_PdEEviiT2_T3_lilT4_lil.has_dyn_sized_stack, 0
	.set _ZN12_GLOBAL__N_120geam_ex_scale_kernelILi32ELi32EdPKdS2_PdEEviiT2_T3_lilT4_lil.has_recursion, 0
	.set _ZN12_GLOBAL__N_120geam_ex_scale_kernelILi32ELi32EdPKdS2_PdEEviiT2_T3_lilT4_lil.has_indirect_call, 0
	.section	.AMDGPU.csdata,"",@progbits
; Kernel info:
; codeLenInByte = 568
; TotalNumSgprs: 22
; NumVgprs: 8
; ScratchSize: 0
; MemoryBound: 0
; FloatMode: 240
; IeeeMode: 1
; LDSByteSize: 0 bytes/workgroup (compile time only)
; SGPRBlocks: 0
; VGPRBlocks: 0
; NumSGPRsForWavesPerEU: 22
; NumVGPRsForWavesPerEU: 8
; Occupancy: 16
; WaveLimiterHint : 0
; COMPUTE_PGM_RSRC2:SCRATCH_EN: 0
; COMPUTE_PGM_RSRC2:USER_SGPR: 6
; COMPUTE_PGM_RSRC2:TRAP_HANDLER: 0
; COMPUTE_PGM_RSRC2:TGID_X_EN: 1
; COMPUTE_PGM_RSRC2:TGID_Y_EN: 0
; COMPUTE_PGM_RSRC2:TGID_Z_EN: 1
; COMPUTE_PGM_RSRC2:TIDIG_COMP_CNT: 1
	.section	.text._ZN12_GLOBAL__N_120geam_ex_round_kernelILi32ELi32EddPKdPdEEviiT2_T3_lilT4_lil,"axG",@progbits,_ZN12_GLOBAL__N_120geam_ex_round_kernelILi32ELi32EddPKdPdEEviiT2_T3_lilT4_lil,comdat
	.globl	_ZN12_GLOBAL__N_120geam_ex_round_kernelILi32ELi32EddPKdPdEEviiT2_T3_lilT4_lil ; -- Begin function _ZN12_GLOBAL__N_120geam_ex_round_kernelILi32ELi32EddPKdPdEEviiT2_T3_lilT4_lil
	.p2align	8
	.type	_ZN12_GLOBAL__N_120geam_ex_round_kernelILi32ELi32EddPKdPdEEviiT2_T3_lilT4_lil,@function
_ZN12_GLOBAL__N_120geam_ex_round_kernelILi32ELi32EddPKdPdEEviiT2_T3_lilT4_lil: ; @_ZN12_GLOBAL__N_120geam_ex_round_kernelILi32ELi32EddPKdPdEEviiT2_T3_lilT4_lil
; %bb.0:
	s_clause 0x2
	s_load_dwordx4 s[8:11], s[4:5], 0x8
	s_load_dwordx4 s[0:3], s[4:5], 0x28
	s_load_dwordx2 s[12:13], s[4:5], 0x38
	s_mov_b64 s[14:15], 0
	s_waitcnt lgkmcnt(0)
	v_cmp_eq_f64_e64 s16, s[8:9], 0
	s_and_b32 vcc_lo, exec_lo, s16
	s_cbranch_vccnz .LBB155_2
; %bb.1:
	s_load_dwordx2 s[14:15], s[4:5], 0x18
	s_mul_i32 s1, s1, s7
	s_mul_hi_u32 s17, s0, s7
	s_mul_i32 s0, s0, s7
	s_add_i32 s1, s17, s1
	s_lshl_b64 s[0:1], s[0:1], 3
	s_add_u32 s10, s10, s0
	s_addc_u32 s11, s11, s1
	s_waitcnt lgkmcnt(0)
	s_lshl_b64 s[0:1], s[14:15], 3
	s_add_u32 s14, s10, s0
	s_addc_u32 s15, s11, s1
.LBB155_2:
	s_load_dwordx2 s[0:1], s[4:5], 0x0
	s_waitcnt lgkmcnt(0)
	s_add_i32 s10, s0, -1
	s_ashr_i32 s11, s10, 31
	s_lshr_b32 s11, s11, 27
	s_add_i32 s10, s10, s11
	s_ashr_i32 s10, s10, 5
	s_add_i32 s11, s10, 1
	s_not_b32 s10, s10
	v_cvt_f32_u32_e32 v2, s11
	v_rcp_iflag_f32_e32 v2, v2
	v_mul_f32_e32 v2, 0x4f7ffffe, v2
	v_cvt_u32_f32_e32 v2, v2
	v_readfirstlane_b32 s17, v2
	s_mul_i32 s10, s10, s17
	s_mul_hi_u32 s10, s17, s10
	s_add_i32 s17, s17, s10
	s_mul_hi_u32 s10, s6, s17
	s_mul_i32 s17, s10, s11
	s_add_i32 s18, s10, 1
	s_sub_i32 s17, s6, s17
	s_sub_i32 s19, s17, s11
	s_cmp_ge_u32 s17, s11
	s_cselect_b32 s10, s18, s10
	s_cselect_b32 s17, s19, s17
	s_add_i32 s18, s10, 1
	s_cmp_ge_u32 s17, s11
	s_cselect_b32 s10, s18, s10
	s_mul_i32 s11, s10, s11
	v_lshl_add_u32 v4, s10, 5, v1
	s_sub_i32 s6, s6, s11
	v_lshl_add_u32 v0, s6, 5, v0
	v_cmp_gt_u32_e32 vcc_lo, s0, v0
	v_cmp_gt_u32_e64 s0, s1, v4
	s_mov_b32 s1, -1
	s_and_b32 s0, vcc_lo, s0
	s_and_saveexec_b32 s6, s0
	s_cbranch_execz .LBB155_8
; %bb.3:
	v_mov_b32_e32 v1, 0
	s_andn2_b32 vcc_lo, exec_lo, s16
	s_cbranch_vccnz .LBB155_5
; %bb.4:
	s_mov_b32 s1, 0
.LBB155_5:
	v_mov_b32_e32 v2, 0
	v_mov_b32_e32 v3, 0
	s_andn2_b32 vcc_lo, exec_lo, s1
	s_cbranch_vccnz .LBB155_7
; %bb.6:
	s_load_dword s0, s[4:5], 0x20
	s_waitcnt lgkmcnt(0)
	v_mad_u64_u32 v[2:3], null, v4, s0, 0
	s_ashr_i32 s0, s0, 31
	v_mad_u64_u32 v[5:6], null, v4, s0, v[3:4]
	v_mov_b32_e32 v3, v5
	v_lshlrev_b64 v[5:6], 3, v[0:1]
	v_lshlrev_b64 v[2:3], 3, v[2:3]
	v_add_co_u32 v2, vcc_lo, s14, v2
	v_add_co_ci_u32_e64 v3, null, s15, v3, vcc_lo
	v_add_co_u32 v2, vcc_lo, v2, v5
	v_add_co_ci_u32_e64 v3, null, v3, v6, vcc_lo
	global_load_dwordx2 v[2:3], v[2:3], off
	s_waitcnt vmcnt(0)
	v_mul_f64 v[2:3], s[8:9], v[2:3]
.LBB155_7:
	s_clause 0x1
	s_load_dwordx2 s[0:1], s[4:5], 0x48
	s_load_dword s4, s[4:5], 0x40
	v_cmp_nlt_f64_e32 vcc_lo, 0, v[2:3]
	v_lshlrev_b64 v[0:1], 3, v[0:1]
	s_waitcnt lgkmcnt(0)
	s_mul_i32 s1, s1, s7
	s_mul_hi_u32 s5, s0, s7
	s_mul_i32 s0, s0, s7
	s_add_i32 s1, s5, s1
	v_mad_u64_u32 v[5:6], null, v4, s4, 0
	s_lshl_b64 s[0:1], s[0:1], 3
	v_cndmask_b32_e32 v3, 0, v3, vcc_lo
	s_add_u32 s2, s2, s0
	s_addc_u32 s3, s3, s1
	s_lshl_b64 s[0:1], s[12:13], 3
	v_cndmask_b32_e32 v2, 0, v2, vcc_lo
	s_add_u32 s0, s2, s0
	s_addc_u32 s1, s3, s1
	s_ashr_i32 s2, s4, 31
	v_mad_u64_u32 v[6:7], null, v4, s2, v[6:7]
	v_lshlrev_b64 v[4:5], 3, v[5:6]
	v_add_co_u32 v4, s0, s0, v4
	v_add_co_ci_u32_e64 v5, null, s1, v5, s0
	v_add_co_u32 v0, s0, v4, v0
	v_add_co_ci_u32_e64 v1, null, v5, v1, s0
	global_store_dwordx2 v[0:1], v[2:3], off
.LBB155_8:
	s_endpgm
	.section	.rodata,"a",@progbits
	.p2align	6, 0x0
	.amdhsa_kernel _ZN12_GLOBAL__N_120geam_ex_round_kernelILi32ELi32EddPKdPdEEviiT2_T3_lilT4_lil
		.amdhsa_group_segment_fixed_size 0
		.amdhsa_private_segment_fixed_size 0
		.amdhsa_kernarg_size 80
		.amdhsa_user_sgpr_count 6
		.amdhsa_user_sgpr_private_segment_buffer 1
		.amdhsa_user_sgpr_dispatch_ptr 0
		.amdhsa_user_sgpr_queue_ptr 0
		.amdhsa_user_sgpr_kernarg_segment_ptr 1
		.amdhsa_user_sgpr_dispatch_id 0
		.amdhsa_user_sgpr_flat_scratch_init 0
		.amdhsa_user_sgpr_private_segment_size 0
		.amdhsa_wavefront_size32 1
		.amdhsa_uses_dynamic_stack 0
		.amdhsa_system_sgpr_private_segment_wavefront_offset 0
		.amdhsa_system_sgpr_workgroup_id_x 1
		.amdhsa_system_sgpr_workgroup_id_y 0
		.amdhsa_system_sgpr_workgroup_id_z 1
		.amdhsa_system_sgpr_workgroup_info 0
		.amdhsa_system_vgpr_workitem_id 1
		.amdhsa_next_free_vgpr 8
		.amdhsa_next_free_sgpr 20
		.amdhsa_reserve_vcc 1
		.amdhsa_reserve_flat_scratch 0
		.amdhsa_float_round_mode_32 0
		.amdhsa_float_round_mode_16_64 0
		.amdhsa_float_denorm_mode_32 3
		.amdhsa_float_denorm_mode_16_64 3
		.amdhsa_dx10_clamp 1
		.amdhsa_ieee_mode 1
		.amdhsa_fp16_overflow 0
		.amdhsa_workgroup_processor_mode 1
		.amdhsa_memory_ordered 1
		.amdhsa_forward_progress 1
		.amdhsa_shared_vgpr_count 0
		.amdhsa_exception_fp_ieee_invalid_op 0
		.amdhsa_exception_fp_denorm_src 0
		.amdhsa_exception_fp_ieee_div_zero 0
		.amdhsa_exception_fp_ieee_overflow 0
		.amdhsa_exception_fp_ieee_underflow 0
		.amdhsa_exception_fp_ieee_inexact 0
		.amdhsa_exception_int_div_zero 0
	.end_amdhsa_kernel
	.section	.text._ZN12_GLOBAL__N_120geam_ex_round_kernelILi32ELi32EddPKdPdEEviiT2_T3_lilT4_lil,"axG",@progbits,_ZN12_GLOBAL__N_120geam_ex_round_kernelILi32ELi32EddPKdPdEEviiT2_T3_lilT4_lil,comdat
.Lfunc_end155:
	.size	_ZN12_GLOBAL__N_120geam_ex_round_kernelILi32ELi32EddPKdPdEEviiT2_T3_lilT4_lil, .Lfunc_end155-_ZN12_GLOBAL__N_120geam_ex_round_kernelILi32ELi32EddPKdPdEEviiT2_T3_lilT4_lil
                                        ; -- End function
	.set _ZN12_GLOBAL__N_120geam_ex_round_kernelILi32ELi32EddPKdPdEEviiT2_T3_lilT4_lil.num_vgpr, 8
	.set _ZN12_GLOBAL__N_120geam_ex_round_kernelILi32ELi32EddPKdPdEEviiT2_T3_lilT4_lil.num_agpr, 0
	.set _ZN12_GLOBAL__N_120geam_ex_round_kernelILi32ELi32EddPKdPdEEviiT2_T3_lilT4_lil.numbered_sgpr, 20
	.set _ZN12_GLOBAL__N_120geam_ex_round_kernelILi32ELi32EddPKdPdEEviiT2_T3_lilT4_lil.num_named_barrier, 0
	.set _ZN12_GLOBAL__N_120geam_ex_round_kernelILi32ELi32EddPKdPdEEviiT2_T3_lilT4_lil.private_seg_size, 0
	.set _ZN12_GLOBAL__N_120geam_ex_round_kernelILi32ELi32EddPKdPdEEviiT2_T3_lilT4_lil.uses_vcc, 1
	.set _ZN12_GLOBAL__N_120geam_ex_round_kernelILi32ELi32EddPKdPdEEviiT2_T3_lilT4_lil.uses_flat_scratch, 0
	.set _ZN12_GLOBAL__N_120geam_ex_round_kernelILi32ELi32EddPKdPdEEviiT2_T3_lilT4_lil.has_dyn_sized_stack, 0
	.set _ZN12_GLOBAL__N_120geam_ex_round_kernelILi32ELi32EddPKdPdEEviiT2_T3_lilT4_lil.has_recursion, 0
	.set _ZN12_GLOBAL__N_120geam_ex_round_kernelILi32ELi32EddPKdPdEEviiT2_T3_lilT4_lil.has_indirect_call, 0
	.section	.AMDGPU.csdata,"",@progbits
; Kernel info:
; codeLenInByte = 568
; TotalNumSgprs: 22
; NumVgprs: 8
; ScratchSize: 0
; MemoryBound: 0
; FloatMode: 240
; IeeeMode: 1
; LDSByteSize: 0 bytes/workgroup (compile time only)
; SGPRBlocks: 0
; VGPRBlocks: 0
; NumSGPRsForWavesPerEU: 22
; NumVGPRsForWavesPerEU: 8
; Occupancy: 16
; WaveLimiterHint : 0
; COMPUTE_PGM_RSRC2:SCRATCH_EN: 0
; COMPUTE_PGM_RSRC2:USER_SGPR: 6
; COMPUTE_PGM_RSRC2:TRAP_HANDLER: 0
; COMPUTE_PGM_RSRC2:TGID_X_EN: 1
; COMPUTE_PGM_RSRC2:TGID_Y_EN: 0
; COMPUTE_PGM_RSRC2:TGID_Z_EN: 1
; COMPUTE_PGM_RSRC2:TIDIG_COMP_CNT: 1
	.section	.text._ZN12_GLOBAL__N_120geam_min_plus_kernelId15HIP_vector_typeIdLj2EEdLi32ELi8ELi256ELi64ELi4ELi64ELi4ELi4ELi64ELc78ELc78ELb0ELb0ELb1EPKdS3_dEEviiiT16_PT17_ilS7_ilS5_S7_ilPT18_ili26rocblas_geam_ex_operation_,"axG",@progbits,_ZN12_GLOBAL__N_120geam_min_plus_kernelId15HIP_vector_typeIdLj2EEdLi32ELi8ELi256ELi64ELi4ELi64ELi4ELi4ELi64ELc78ELc78ELb0ELb0ELb1EPKdS3_dEEviiiT16_PT17_ilS7_ilS5_S7_ilPT18_ili26rocblas_geam_ex_operation_,comdat
	.globl	_ZN12_GLOBAL__N_120geam_min_plus_kernelId15HIP_vector_typeIdLj2EEdLi32ELi8ELi256ELi64ELi4ELi64ELi4ELi4ELi64ELc78ELc78ELb0ELb0ELb1EPKdS3_dEEviiiT16_PT17_ilS7_ilS5_S7_ilPT18_ili26rocblas_geam_ex_operation_ ; -- Begin function _ZN12_GLOBAL__N_120geam_min_plus_kernelId15HIP_vector_typeIdLj2EEdLi32ELi8ELi256ELi64ELi4ELi64ELi4ELi4ELi64ELc78ELc78ELb0ELb0ELb1EPKdS3_dEEviiiT16_PT17_ilS7_ilS5_S7_ilPT18_ili26rocblas_geam_ex_operation_
	.p2align	8
	.type	_ZN12_GLOBAL__N_120geam_min_plus_kernelId15HIP_vector_typeIdLj2EEdLi32ELi8ELi256ELi64ELi4ELi64ELi4ELi4ELi64ELc78ELc78ELb0ELb0ELb1EPKdS3_dEEviiiT16_PT17_ilS7_ilS5_S7_ilPT18_ili26rocblas_geam_ex_operation_,@function
_ZN12_GLOBAL__N_120geam_min_plus_kernelId15HIP_vector_typeIdLj2EEdLi32ELi8ELi256ELi64ELi4ELi64ELi4ELi4ELi64ELc78ELc78ELb0ELb0ELb1EPKdS3_dEEviiiT16_PT17_ilS7_ilS5_S7_ilPT18_ili26rocblas_geam_ex_operation_: ; @_ZN12_GLOBAL__N_120geam_min_plus_kernelId15HIP_vector_typeIdLj2EEdLi32ELi8ELi256ELi64ELi4ELi64ELi4ELi4ELi64ELc78ELc78ELb0ELb0ELb1EPKdS3_dEEviiiT16_PT17_ilS7_ilS5_S7_ilPT18_ili26rocblas_geam_ex_operation_
; %bb.0:
	s_clause 0x1
	s_load_dwordx4 s[12:15], s[4:5], 0x10
	s_load_dwordx4 s[0:3], s[4:5], 0x28
	s_mov_b32 s16, s7
	s_mov_b32 s17, 0
	s_load_dwordx2 s[24:25], s[4:5], 0x50
	s_lshl_b64 s[20:21], s[16:17], 3
	s_mov_b64 s[22:23], 0
	s_waitcnt lgkmcnt(0)
	s_add_u32 s8, s12, s20
	s_addc_u32 s9, s13, s21
	s_load_dwordx2 s[18:19], s[8:9], 0x0
	s_load_dwordx4 s[8:11], s[4:5], 0x40
	s_waitcnt lgkmcnt(0)
	v_cmp_eq_f64_e64 s12, s[18:19], 0
	v_cmp_neq_f64_e64 s7, s[18:19], 0
	s_add_u32 s10, s10, s20
	s_addc_u32 s11, s11, s21
	s_mov_b64 s[20:21], 0
	s_and_b32 vcc_lo, exec_lo, s12
	s_cbranch_vccnz .LBB156_2
; %bb.1:
	s_mul_i32 s1, s1, s16
	s_mul_hi_u32 s12, s0, s16
	s_mul_i32 s0, s0, s16
	s_add_i32 s1, s12, s1
	s_lshl_b64 s[0:1], s[0:1], 3
	s_add_u32 s20, s14, s0
	s_addc_u32 s21, s15, s1
.LBB156_2:
	s_load_dwordx2 s[12:13], s[10:11], 0x0
	v_cndmask_b32_e64 v2, 0, 1, s7
	s_andn2_b32 vcc_lo, exec_lo, s7
	v_cmp_ne_u32_e64 s1, 1, v2
	s_cbranch_vccnz .LBB156_4
; %bb.3:
	s_mul_i32 s0, s9, s16
	s_mul_hi_u32 s7, s8, s16
	s_mul_i32 s8, s8, s16
	s_add_i32 s9, s7, s0
	s_lshl_b64 s[8:9], s[8:9], 3
	s_add_u32 s22, s2, s8
	s_addc_u32 s23, s3, s9
.LBB156_4:
	s_waitcnt lgkmcnt(0)
	v_cmp_eq_f64_e64 s0, s[12:13], 0
	s_load_dwordx4 s[8:11], s[4:5], 0x60
	s_mov_b64 s[2:3], 0
	s_and_b32 s0, exec_lo, s0
	s_mov_b32 vcc_lo, s0
	s_cbranch_vccnz .LBB156_6
; %bb.5:
	s_waitcnt lgkmcnt(0)
	s_mul_i32 s2, s9, s16
	s_mul_hi_u32 s3, s8, s16
	s_add_i32 s3, s3, s2
	s_mul_i32 s2, s8, s16
	s_lshl_b64 s[2:3], s[2:3], 3
	s_add_u32 s2, s24, s2
	s_addc_u32 s3, s25, s3
.LBB156_6:
	s_load_dword s7, s[4:5], 0x0
	s_waitcnt lgkmcnt(0)
	s_load_dword s8, s[4:5], 0x20
	v_lshl_add_u32 v12, v1, 5, v0
	v_mov_b32_e32 v4, 0
	v_mov_b32_e32 v6, 0
	;; [unrolled: 1-line block ×4, first 2 shown]
	v_lshrrev_b32_e32 v76, 6, v12
	v_and_b32_e32 v77, 63, v12
	s_add_i32 s7, s7, -1
	s_ashr_i32 s9, s7, 31
	s_lshr_b32 s9, s9, 24
	s_add_i32 s7, s7, s9
	s_ashr_i32 s7, s7, 8
	s_add_i32 s14, s7, 1
	s_not_b32 s7, s7
	v_cvt_f32_u32_e32 v2, s14
	v_rcp_iflag_f32_e32 v2, v2
	v_mul_f32_e32 v2, 0x4f7ffffe, v2
	v_cvt_u32_f32_e32 v2, v2
	v_readfirstlane_b32 s9, v2
	s_waitcnt lgkmcnt(0)
	v_mad_i64_i32 v[2:3], null, s8, v76, 0
	s_mul_i32 s7, s7, s9
	s_mul_hi_u32 s7, s9, s7
	v_lshlrev_b64 v[2:3], 3, v[2:3]
	s_add_i32 s9, s9, s7
	s_mul_hi_u32 s7, s6, s9
	s_ashr_i32 s9, s8, 31
	s_mul_i32 s15, s7, s14
	s_add_i32 s17, s7, 1
	s_sub_i32 s15, s6, s15
	v_add_co_u32 v13, vcc_lo, s20, v2
	s_sub_i32 s24, s15, s14
	s_cmp_ge_u32 s15, s14
	v_add_co_ci_u32_e64 v14, null, s21, v3, vcc_lo
	s_cselect_b32 s7, s17, s7
	s_cselect_b32 s15, s24, s15
	s_add_i32 s17, s7, 1
	s_cmp_ge_u32 s15, s14
	v_mov_b32_e32 v2, 0
	s_cselect_b32 s15, s17, s7
	v_mov_b32_e32 v3, 0
	s_mul_i32 s7, s15, s14
	s_and_b32 vcc_lo, exec_lo, s1
	s_sub_i32 s14, s6, s7
	s_lshl_b32 s14, s14, 8
	v_or_b32_e32 v8, s14, v77
	v_ashrrev_i32_e32 v9, 31, v8
	s_cbranch_vccnz .LBB156_8
; %bb.7:
	v_lshlrev_b64 v[4:5], 3, v[8:9]
	v_add_co_u32 v4, vcc_lo, v13, v4
	v_add_co_ci_u32_e64 v5, null, v14, v5, vcc_lo
	s_clause 0x1
	global_load_dwordx2 v[6:7], v[4:5], off
	global_load_dwordx2 v[10:11], v[4:5], off offset:512
	s_waitcnt vmcnt(1)
	v_mul_f64 v[4:5], s[18:19], v[6:7]
	s_waitcnt vmcnt(0)
	v_mul_f64 v[6:7], s[18:19], v[10:11]
.LBB156_8:
	v_mov_b32_e32 v10, 0
	v_mov_b32_e32 v11, 0
	s_and_b32 vcc_lo, exec_lo, s1
	s_cbranch_vccnz .LBB156_10
; %bb.9:
	v_lshlrev_b64 v[2:3], 3, v[8:9]
	v_add_co_u32 v2, vcc_lo, v13, v2
	v_add_co_ci_u32_e64 v3, null, v14, v3, vcc_lo
	s_clause 0x1
	global_load_dwordx2 v[10:11], v[2:3], off offset:1024
	global_load_dwordx2 v[13:14], v[2:3], off offset:1536
	s_waitcnt vmcnt(1)
	v_mul_f64 v[2:3], s[18:19], v[10:11]
	s_waitcnt vmcnt(0)
	v_mul_f64 v[10:11], s[18:19], v[13:14]
.LBB156_10:
	s_load_dword s17, s[4:5], 0x38
	v_lshrrev_b32_e32 v14, 2, v12
	v_and_b32_e32 v15, 3, v0
	s_lshl_b32 s15, s15, 6
	v_mov_b32_e32 v68, 0
	v_mov_b32_e32 v12, 0
	;; [unrolled: 1-line block ×3, first 2 shown]
	v_add_nc_u32_e32 v79, s15, v14
	v_mov_b32_e32 v13, 0
	v_lshlrev_b32_e32 v78, 3, v15
	s_and_b32 vcc_lo, exec_lo, s1
	s_cbranch_vccnz .LBB156_12
; %bb.11:
	s_waitcnt lgkmcnt(0)
	v_mad_i64_i32 v[12:13], null, v79, s17, 0
	v_lshlrev_b64 v[12:13], 3, v[12:13]
	v_add_co_u32 v12, vcc_lo, s22, v12
	v_add_co_ci_u32_e64 v13, null, s23, v13, vcc_lo
	v_add_co_u32 v12, vcc_lo, v12, v78
	v_add_co_ci_u32_e64 v13, null, 0, v13, vcc_lo
	global_load_dwordx2 v[12:13], v[12:13], off
	s_waitcnt vmcnt(0)
	v_mul_f64 v[12:13], s[18:19], v[12:13]
.LBB156_12:
	v_add_nc_u32_e32 v15, 4, v76
	v_mov_b32_e32 v70, 0
	v_mov_b32_e32 v71, 0
	v_mad_i64_i32 v[15:16], null, s8, v15, 0
	v_lshlrev_b64 v[15:16], 3, v[15:16]
	v_add_co_u32 v15, vcc_lo, s20, v15
	v_add_co_ci_u32_e64 v16, null, s21, v16, vcc_lo
	s_and_b32 vcc_lo, exec_lo, s1
	s_cbranch_vccnz .LBB156_14
; %bb.13:
	v_lshlrev_b64 v[17:18], 3, v[8:9]
	v_add_co_u32 v17, vcc_lo, v15, v17
	v_add_co_ci_u32_e64 v18, null, v16, v18, vcc_lo
	s_clause 0x1
	global_load_dwordx2 v[19:20], v[17:18], off
	global_load_dwordx2 v[17:18], v[17:18], off offset:512
	s_waitcnt vmcnt(1)
	v_mul_f64 v[68:69], s[18:19], v[19:20]
	s_waitcnt vmcnt(0)
	v_mul_f64 v[70:71], s[18:19], v[17:18]
.LBB156_14:
	v_mov_b32_e32 v66, 0
	v_mov_b32_e32 v72, 0
	;; [unrolled: 1-line block ×6, first 2 shown]
	s_and_b32 vcc_lo, exec_lo, s1
	s_cbranch_vccnz .LBB156_16
; %bb.15:
	v_lshlrev_b64 v[8:9], 3, v[8:9]
	v_add_co_u32 v8, vcc_lo, v15, v8
	v_add_co_ci_u32_e64 v9, null, v16, v9, vcc_lo
	s_clause 0x1
	global_load_dwordx2 v[15:16], v[8:9], off offset:1024
	global_load_dwordx2 v[8:9], v[8:9], off offset:1536
	s_waitcnt vmcnt(1)
	v_mul_f64 v[72:73], s[18:19], v[15:16]
	s_waitcnt vmcnt(0)
	v_mul_f64 v[74:75], s[18:19], v[8:9]
.LBB156_16:
	s_and_b32 vcc_lo, exec_lo, s1
	s_cbranch_vccnz .LBB156_18
; %bb.17:
	s_waitcnt lgkmcnt(0)
	v_mad_i64_i32 v[8:9], null, v79, s17, 0
	v_lshlrev_b64 v[8:9], 3, v[8:9]
	v_add_co_u32 v8, vcc_lo, s22, v8
	v_add_co_ci_u32_e64 v9, null, s23, v9, vcc_lo
	v_add_co_u32 v8, vcc_lo, v8, v78
	v_add_co_ci_u32_e64 v9, null, 0, v9, vcc_lo
	global_load_dwordx2 v[8:9], v[8:9], off offset:32
	s_waitcnt vmcnt(0)
	v_mul_f64 v[66:67], s[18:19], v[8:9]
.LBB156_18:
	v_lshlrev_b32_e32 v8, 5, v77
	v_lshl_or_b32 v80, v14, 5, v78
	v_lshlrev_b32_e32 v147, 5, v0
	v_lshlrev_b32_e32 v146, 5, v1
	s_load_dword s24, s[4:5], 0x8
	v_lshl_add_u32 v148, v76, 3, v8
	ds_write2st64_b64 v148, v[4:5], v[6:7] offset1:4
	ds_write2st64_b64 v148, v[2:3], v[10:11] offset0:8 offset1:12
	ds_write_b64 v80, v[12:13] offset:16384
	s_waitcnt lgkmcnt(0)
	s_barrier
	buffer_gl0_inv
	ds_read_b128 v[10:13], v147 offset:1024
	ds_read_b128 v[14:17], v147 offset:2048
	;; [unrolled: 1-line block ×14, first 2 shown]
	ds_read_b128 v[81:84], v147
	ds_read_b128 v[2:5], v147 offset:16
	ds_read_b128 v[85:88], v146 offset:16384
	;; [unrolled: 1-line block ×3, first 2 shown]
	s_cmp_lt_i32 s24, 9
	s_waitcnt lgkmcnt(1)
	v_add_f64 v[89:90], v[83:84], v[87:88]
	v_add_f64 v[91:92], v[81:82], v[85:86]
	s_waitcnt lgkmcnt(0)
	v_add_f64 v[149:150], v[4:5], v[8:9]
	v_add_f64 v[151:152], v[2:3], v[6:7]
	v_cvt_f32_f64_e32 v89, v[89:90]
	v_cvt_f32_f64_e32 v91, v[91:92]
	;; [unrolled: 1-line block ×4, first 2 shown]
	v_min3_f32 v144, v91, v89, 0x7f800000
	v_add_f64 v[89:90], v[12:13], v[87:88]
	v_add_f64 v[91:92], v[10:11], v[85:86]
	v_min3_f32 v222, v145, v149, v144
	v_cvt_f32_f64_e32 v89, v[89:90]
	v_cvt_f32_f64_e32 v91, v[91:92]
	v_min3_f32 v143, v91, v89, 0x7f800000
	v_add_f64 v[89:90], v[16:17], v[87:88]
	v_add_f64 v[91:92], v[14:15], v[85:86]
	v_cvt_f32_f64_e32 v89, v[89:90]
	v_cvt_f32_f64_e32 v91, v[91:92]
	v_min3_f32 v142, v91, v89, 0x7f800000
	v_add_f64 v[89:90], v[20:21], v[87:88]
	v_add_f64 v[91:92], v[18:19], v[85:86]
	;; [unrolled: 5-line block ×5, first 2 shown]
	v_add_f64 v[87:88], v[36:37], v[87:88]
	v_add_f64 v[85:86], v[34:35], v[85:86]
	v_cvt_f32_f64_e32 v89, v[89:90]
	v_cvt_f32_f64_e32 v91, v[91:92]
	;; [unrolled: 1-line block ×4, first 2 shown]
	v_add_f64 v[87:88], v[81:82], v[38:39]
	v_min3_f32 v138, v91, v89, 0x7f800000
	v_min3_f32 v137, v85, v86, 0x7f800000
	v_add_f64 v[85:86], v[83:84], v[40:41]
	v_cvt_f32_f64_e32 v87, v[87:88]
	v_cvt_f32_f64_e32 v85, v[85:86]
	v_min3_f32 v136, v87, v85, 0x7f800000
	v_add_f64 v[85:86], v[12:13], v[40:41]
	v_add_f64 v[87:88], v[10:11], v[38:39]
	v_cvt_f32_f64_e32 v85, v[85:86]
	v_cvt_f32_f64_e32 v87, v[87:88]
	v_min3_f32 v135, v87, v85, 0x7f800000
	v_add_f64 v[85:86], v[16:17], v[40:41]
	;; [unrolled: 5-line block ×6, first 2 shown]
	v_add_f64 v[87:88], v[30:31], v[38:39]
	v_add_f64 v[40:41], v[36:37], v[40:41]
	;; [unrolled: 1-line block ×3, first 2 shown]
	v_cvt_f32_f64_e32 v85, v[85:86]
	v_cvt_f32_f64_e32 v87, v[87:88]
	;; [unrolled: 1-line block ×4, first 2 shown]
	v_add_f64 v[40:41], v[81:82], v[42:43]
	v_min3_f32 v130, v87, v85, 0x7f800000
	v_min3_f32 v129, v38, v39, 0x7f800000
	v_add_f64 v[38:39], v[83:84], v[44:45]
	v_cvt_f32_f64_e32 v40, v[40:41]
	v_cvt_f32_f64_e32 v38, v[38:39]
	v_min3_f32 v128, v40, v38, 0x7f800000
	v_add_f64 v[38:39], v[12:13], v[44:45]
	v_add_f64 v[40:41], v[10:11], v[42:43]
	v_cvt_f32_f64_e32 v38, v[38:39]
	v_cvt_f32_f64_e32 v40, v[40:41]
	v_min3_f32 v127, v40, v38, 0x7f800000
	v_add_f64 v[38:39], v[16:17], v[44:45]
	;; [unrolled: 5-line block ×33, first 2 shown]
	v_add_f64 v[40:41], v[10:11], v[58:59]
	v_add_f64 v[12:13], v[12:13], v[64:65]
	;; [unrolled: 1-line block ×3, first 2 shown]
	v_cvt_f32_f64_e32 v38, v[38:39]
	v_cvt_f32_f64_e32 v40, v[40:41]
	;; [unrolled: 1-line block ×4, first 2 shown]
	v_add_f64 v[12:13], v[14:15], v[62:63]
	v_min3_f32 v95, v40, v38, 0x7f800000
	v_add_f64 v[38:39], v[16:17], v[60:61]
	v_add_f64 v[40:41], v[14:15], v[58:59]
	v_min3_f32 v87, v10, v11, 0x7f800000
	v_add_f64 v[10:11], v[16:17], v[64:65]
	v_cvt_f32_f64_e32 v12, v[12:13]
	v_cvt_f32_f64_e32 v38, v[38:39]
	;; [unrolled: 1-line block ×4, first 2 shown]
	v_min3_f32 v94, v40, v38, 0x7f800000
	v_add_f64 v[38:39], v[20:21], v[60:61]
	v_add_f64 v[40:41], v[18:19], v[58:59]
	v_min3_f32 v86, v12, v10, 0x7f800000
	v_add_f64 v[10:11], v[20:21], v[64:65]
	v_add_f64 v[12:13], v[18:19], v[62:63]
	v_cvt_f32_f64_e32 v38, v[38:39]
	v_cvt_f32_f64_e32 v40, v[40:41]
	;; [unrolled: 1-line block ×4, first 2 shown]
	v_min3_f32 v93, v40, v38, 0x7f800000
	v_add_f64 v[38:39], v[24:25], v[60:61]
	v_add_f64 v[40:41], v[22:23], v[58:59]
	v_min3_f32 v85, v12, v10, 0x7f800000
	v_add_f64 v[10:11], v[24:25], v[64:65]
	v_add_f64 v[12:13], v[22:23], v[62:63]
	v_cvt_f32_f64_e32 v38, v[38:39]
	v_cvt_f32_f64_e32 v40, v[40:41]
	;; [unrolled: 1-line block ×4, first 2 shown]
	v_min3_f32 v92, v40, v38, 0x7f800000
	v_add_f64 v[38:39], v[28:29], v[60:61]
	v_add_f64 v[40:41], v[26:27], v[58:59]
	v_cvt_f32_f64_e32 v38, v[38:39]
	v_cvt_f32_f64_e32 v40, v[40:41]
	v_min3_f32 v91, v40, v38, 0x7f800000
	v_add_f64 v[38:39], v[32:33], v[60:61]
	v_add_f64 v[40:41], v[30:31], v[58:59]
	v_cvt_f32_f64_e32 v38, v[38:39]
	v_cvt_f32_f64_e32 v40, v[40:41]
	;; [unrolled: 5-line block ×3, first 2 shown]
	v_min3_f32 v89, v40, v38, 0x7f800000
	v_add_f64 v[38:39], v[83:84], v[64:65]
	v_min3_f32 v84, v12, v10, 0x7f800000
	v_add_f64 v[10:11], v[28:29], v[64:65]
	v_add_f64 v[12:13], v[26:27], v[62:63]
	;; [unrolled: 1-line block ×3, first 2 shown]
	v_cvt_f32_f64_e32 v38, v[38:39]
	v_cvt_f32_f64_e32 v10, v[10:11]
	;; [unrolled: 1-line block ×4, first 2 shown]
	v_min3_f32 v83, v12, v10, 0x7f800000
	v_add_f64 v[10:11], v[32:33], v[64:65]
	v_add_f64 v[12:13], v[30:31], v[62:63]
	v_min3_f32 v88, v40, v38, 0x7f800000
	v_cvt_f32_f64_e32 v10, v[10:11]
	v_cvt_f32_f64_e32 v12, v[12:13]
	v_min3_f32 v82, v12, v10, 0x7f800000
	v_add_f64 v[10:11], v[36:37], v[64:65]
	v_add_f64 v[12:13], v[34:35], v[62:63]
	v_cvt_f32_f64_e32 v10, v[10:11]
	v_cvt_f32_f64_e32 v12, v[12:13]
	v_min3_f32 v81, v12, v10, 0x7f800000
	ds_read_b128 v[34:37], v147 offset:1040
	ds_read_b128 v[30:33], v147 offset:2064
	;; [unrolled: 1-line block ×14, first 2 shown]
	ds_write2st64_b64 v148, v[68:69], v[70:71] offset0:16 offset1:20
	ds_write2st64_b64 v148, v[72:73], v[74:75] offset0:24 offset1:28
	ds_write_b64 v80, v[66:67] offset:18432
	s_waitcnt lgkmcnt(0)
	s_barrier
	buffer_gl0_inv
	v_add_f64 v[144:145], v[36:37], v[8:9]
	v_add_f64 v[149:150], v[34:35], v[6:7]
	v_cvt_f32_f64_e32 v144, v[144:145]
	v_cvt_f32_f64_e32 v149, v[149:150]
	v_min3_f32 v221, v149, v144, v143
	v_add_f64 v[143:144], v[32:33], v[8:9]
	v_add_f64 v[149:150], v[30:31], v[6:7]
	v_cvt_f32_f64_e32 v143, v[143:144]
	v_cvt_f32_f64_e32 v145, v[149:150]
	v_min3_f32 v220, v145, v143, v142
	;; [unrolled: 5-line block ×5, first 2 shown]
	v_add_f64 v[139:140], v[16:17], v[8:9]
	v_add_f64 v[141:142], v[14:15], v[6:7]
	;; [unrolled: 1-line block ×4, first 2 shown]
	v_cvt_f32_f64_e32 v139, v[139:140]
	v_cvt_f32_f64_e32 v141, v[141:142]
	;; [unrolled: 1-line block ×4, first 2 shown]
	v_add_f64 v[8:9], v[2:3], v[62:63]
	v_min3_f32 v217, v141, v139, v138
	v_min3_f32 v214, v6, v7, v137
	v_add_f64 v[6:7], v[4:5], v[64:65]
	v_cvt_f32_f64_e32 v8, v[8:9]
	v_cvt_f32_f64_e32 v6, v[6:7]
	v_min3_f32 v215, v8, v6, v136
	v_add_f64 v[6:7], v[36:37], v[64:65]
	v_add_f64 v[8:9], v[34:35], v[62:63]
	v_cvt_f32_f64_e32 v6, v[6:7]
	v_cvt_f32_f64_e32 v8, v[8:9]
	v_min3_f32 v212, v8, v6, v135
	v_add_f64 v[6:7], v[32:33], v[64:65]
	;; [unrolled: 5-line block ×40, first 2 shown]
	v_add_f64 v[8:9], v[2:3], v[42:43]
	v_add_f64 v[4:5], v[4:5], v[40:41]
	;; [unrolled: 1-line block ×3, first 2 shown]
	v_cvt_f32_f64_e32 v6, v[6:7]
	v_cvt_f32_f64_e32 v8, v[8:9]
	v_cvt_f32_f64_e32 v2, v[2:3]
	v_cvt_f32_f64_e32 v3, v[4:5]
	v_add_f64 v[4:5], v[34:35], v[38:39]
	v_min3_f32 v171, v8, v6, v96
	v_add_f64 v[6:7], v[36:37], v[44:45]
	v_add_f64 v[8:9], v[34:35], v[42:43]
	v_min3_f32 v156, v2, v3, v88
	v_add_f64 v[2:3], v[36:37], v[40:41]
	v_cvt_f32_f64_e32 v4, v[4:5]
	v_cvt_f32_f64_e32 v6, v[6:7]
	v_cvt_f32_f64_e32 v8, v[8:9]
	v_cvt_f32_f64_e32 v2, v[2:3]
	v_min3_f32 v162, v8, v6, v95
	v_add_f64 v[6:7], v[32:33], v[44:45]
	v_add_f64 v[8:9], v[30:31], v[42:43]
	v_min3_f32 v155, v4, v2, v87
	v_add_f64 v[2:3], v[32:33], v[40:41]
	v_add_f64 v[4:5], v[30:31], v[38:39]
	v_cvt_f32_f64_e32 v6, v[6:7]
	v_cvt_f32_f64_e32 v8, v[8:9]
	v_cvt_f32_f64_e32 v2, v[2:3]
	v_cvt_f32_f64_e32 v4, v[4:5]
	v_min3_f32 v163, v8, v6, v94
	v_add_f64 v[6:7], v[28:29], v[44:45]
	v_add_f64 v[8:9], v[26:27], v[42:43]
	v_min3_f32 v154, v4, v2, v86
	v_add_f64 v[2:3], v[28:29], v[40:41]
	;; [unrolled: 10-line block ×6, first 2 shown]
	v_add_f64 v[4:5], v[10:11], v[38:39]
	v_cvt_f32_f64_e32 v6, v[6:7]
	v_cvt_f32_f64_e32 v8, v[8:9]
	;; [unrolled: 1-line block ×4, first 2 shown]
	v_min3_f32 v157, v8, v6, v89
	v_min3_f32 v149, v4, v2, v81
	s_cbranch_scc1 .LBB156_33
; %bb.19:
	v_mad_i64_i32 v[2:3], null, s17, v79, 0
	v_lshl_or_b32 v4, s6, 8, v77
	v_add_nc_u32_e32 v5, 12, v76
	v_add_nc_u32_e32 v7, 8, v76
	s_lshl_b32 s6, s7, 8
	v_add_nc_u32_e32 v164, 0x4000, v80
	v_or_b32_e32 v165, 0x4000, v146
	v_lshlrev_b64 v[2:3], 3, v[2:3]
	v_or_b32_e32 v166, 0x2000, v148
	v_add_nc_u32_e32 v167, 0x4800, v80
	v_lshl_or_b32 v168, v0, 5, 0x2000
	v_lshl_add_u32 v169, v1, 5, 0x4800
	s_add_i32 s17, s24, -8
	v_add_co_u32 v6, vcc_lo, v2, v78
	v_add_co_ci_u32_e64 v3, null, 0, v3, vcc_lo
	v_subrev_nc_u32_e32 v2, s6, v4
	v_mad_i64_i32 v[4:5], null, v5, s8, 0
	v_add_co_u32 v8, vcc_lo, s22, v6
	v_mad_i64_i32 v[6:7], null, v7, s8, 0
	v_add_co_ci_u32_e64 v9, null, s23, v3, vcc_lo
	v_ashrrev_i32_e32 v3, 31, v2
	v_lshlrev_b64 v[4:5], 3, v[4:5]
	v_add_co_u32 v130, vcc_lo, v8, 64
	v_add_co_ci_u32_e64 v131, null, 0, v9, vcc_lo
	v_lshlrev_b64 v[132:133], 3, v[2:3]
	v_lshlrev_b64 v[2:3], 3, v[6:7]
	v_add_co_u32 v172, vcc_lo, s20, v4
	v_add_co_ci_u32_e64 v173, null, s21, v5, vcc_lo
	s_lshl_b64 s[6:7], s[8:9], 6
	v_add_co_u32 v174, vcc_lo, s20, v2
	v_add_co_ci_u32_e64 v175, null, s21, v3, vcc_lo
	s_mov_b32 s8, 0
	s_branch .LBB156_21
.LBB156_20:                             ;   in Loop: Header=BB156_21 Depth=1
	v_add_f64 v[144:145], v[100:101], v[128:129]
	v_add_f64 v[223:224], v[98:99], v[126:127]
	;; [unrolled: 1-line block ×3, first 2 shown]
	v_add_co_u32 v130, vcc_lo, v130, 64
	v_add_co_ci_u32_e64 v131, null, 0, v131, vcc_lo
	v_add_co_u32 v172, vcc_lo, v172, s6
	v_add_co_ci_u32_e64 v173, null, s7, v173, vcc_lo
	;; [unrolled: 2-line block ×3, first 2 shown]
	s_add_i32 s8, s8, 8
	s_cmp_ge_i32 s8, s17
	v_cvt_f32_f64_e32 v144, v[144:145]
	v_cvt_f32_f64_e32 v223, v[223:224]
	v_min3_f32 v222, v223, v144, v222
	v_add_f64 v[144:145], v[96:97], v[128:129]
	v_add_f64 v[223:224], v[94:95], v[126:127]
	v_cvt_f32_f64_e32 v144, v[144:145]
	v_cvt_f32_f64_e32 v223, v[223:224]
	v_min3_f32 v221, v223, v144, v221
	v_add_f64 v[144:145], v[92:93], v[128:129]
	v_add_f64 v[223:224], v[90:91], v[126:127]
	;; [unrolled: 5-line block ×5, first 2 shown]
	v_add_f64 v[126:127], v[66:67], v[126:127]
	v_cvt_f32_f64_e32 v144, v[144:145]
	v_cvt_f32_f64_e32 v223, v[223:224]
	;; [unrolled: 1-line block ×4, first 2 shown]
	v_min3_f32 v144, v223, v144, v216
	v_add_f64 v[223:224], v[72:73], v[128:129]
	v_add_f64 v[128:129], v[68:69], v[128:129]
	v_cvt_f32_f64_e32 v216, v[223:224]
	v_cvt_f32_f64_e32 v127, v[128:129]
	v_min3_f32 v145, v145, v216, v217
	v_min3_f32 v126, v126, v127, v214
	v_add_f64 v[127:128], v[100:101], v[124:125]
	v_add_f64 v[216:217], v[98:99], v[122:123]
	v_cvt_f32_f64_e32 v127, v[127:128]
	v_cvt_f32_f64_e32 v129, v[216:217]
	v_min3_f32 v127, v129, v127, v215
	v_add_f64 v[128:129], v[96:97], v[124:125]
	v_add_f64 v[214:215], v[94:95], v[122:123]
	v_cvt_f32_f64_e32 v128, v[128:129]
	v_cvt_f32_f64_e32 v214, v[214:215]
	;; [unrolled: 5-line block ×6, first 2 shown]
	v_min3_f32 v208, v214, v128, v208
	v_add_f64 v[128:129], v[72:73], v[124:125]
	v_add_f64 v[214:215], v[70:71], v[122:123]
	;; [unrolled: 1-line block ×4, first 2 shown]
	v_cvt_f32_f64_e32 v128, v[128:129]
	v_cvt_f32_f64_e32 v214, v[214:215]
	;; [unrolled: 1-line block ×4, first 2 shown]
	v_add_f64 v[124:125], v[98:99], v[118:119]
	v_min3_f32 v209, v214, v128, v209
	v_add_f64 v[128:129], v[86:87], v[110:111]
	v_min3_f32 v214, v122, v123, v206
	v_add_f64 v[122:123], v[100:101], v[120:121]
	v_cvt_f32_f64_e32 v124, v[124:125]
	v_cvt_f32_f64_e32 v122, v[122:123]
	v_min3_f32 v206, v124, v122, v207
	v_add_f64 v[122:123], v[96:97], v[120:121]
	v_add_f64 v[124:125], v[94:95], v[118:119]
	v_cvt_f32_f64_e32 v122, v[122:123]
	v_cvt_f32_f64_e32 v124, v[124:125]
	v_min3_f32 v204, v124, v122, v204
	v_add_f64 v[122:123], v[92:93], v[120:121]
	;; [unrolled: 5-line block ×6, first 2 shown]
	v_add_f64 v[124:125], v[70:71], v[118:119]
	v_add_f64 v[120:121], v[68:69], v[120:121]
	;; [unrolled: 1-line block ×3, first 2 shown]
	v_cvt_f32_f64_e32 v122, v[122:123]
	v_cvt_f32_f64_e32 v124, v[124:125]
	;; [unrolled: 1-line block ×4, first 2 shown]
	v_add_f64 v[120:121], v[98:99], v[114:115]
	v_min3_f32 v201, v124, v122, v201
	v_min3_f32 v198, v118, v119, v198
	v_add_f64 v[118:119], v[100:101], v[116:117]
	v_cvt_f32_f64_e32 v120, v[120:121]
	v_cvt_f32_f64_e32 v118, v[118:119]
	v_min3_f32 v199, v120, v118, v199
	v_add_f64 v[118:119], v[96:97], v[116:117]
	v_add_f64 v[120:121], v[94:95], v[114:115]
	v_cvt_f32_f64_e32 v118, v[118:119]
	v_cvt_f32_f64_e32 v120, v[120:121]
	v_min3_f32 v196, v120, v118, v196
	v_add_f64 v[118:119], v[92:93], v[116:117]
	;; [unrolled: 5-line block ×3, first 2 shown]
	v_add_f64 v[120:121], v[86:87], v[114:115]
	v_cvt_f32_f64_e32 v118, v[118:119]
	v_cvt_f32_f64_e32 v120, v[120:121]
	v_add_f64 v[121:122], v[82:83], v[114:115]
	v_min3_f32 v118, v120, v118, v195
	v_add_f64 v[119:120], v[84:85], v[116:117]
	v_cvt_f32_f64_e32 v121, v[121:122]
	v_add_f64 v[122:123], v[78:79], v[114:115]
	v_cvt_f32_f64_e32 v119, v[119:120]
	v_cvt_f32_f64_e32 v122, v[122:123]
	v_add_f64 v[123:124], v[70:71], v[114:115]
	v_add_f64 v[114:115], v[66:67], v[114:115]
	v_min3_f32 v119, v121, v119, v194
	v_add_f64 v[120:121], v[80:81], v[116:117]
	v_cvt_f32_f64_e32 v123, v[123:124]
	v_cvt_f32_f64_e32 v114, v[114:115]
	v_add_f64 v[124:125], v[94:95], v[110:111]
	v_cvt_f32_f64_e32 v120, v[120:121]
	v_min3_f32 v120, v122, v120, v192
	v_add_f64 v[121:122], v[72:73], v[116:117]
	v_add_f64 v[116:117], v[68:69], v[116:117]
	v_cvt_f32_f64_e32 v121, v[121:122]
	v_cvt_f32_f64_e32 v115, v[116:117]
	v_add_f64 v[116:117], v[100:101], v[112:113]
	v_min3_f32 v121, v123, v121, v193
	v_add_f64 v[122:123], v[98:99], v[110:111]
	v_min3_f32 v115, v114, v115, v190
	v_cvt_f32_f64_e32 v116, v[116:117]
	v_cvt_f32_f64_e32 v114, v[122:123]
	v_add_f64 v[122:123], v[96:97], v[112:113]
	v_min3_f32 v116, v114, v116, v191
	v_cvt_f32_f64_e32 v114, v[124:125]
	v_cvt_f32_f64_e32 v117, v[122:123]
	v_add_f64 v[122:123], v[92:93], v[112:113]
	v_add_f64 v[124:125], v[90:91], v[110:111]
	v_min3_f32 v117, v114, v117, v188
	v_cvt_f32_f64_e32 v122, v[122:123]
	v_cvt_f32_f64_e32 v114, v[124:125]
	v_add_f64 v[123:124], v[88:89], v[112:113]
	v_min3_f32 v122, v114, v122, v189
	v_cvt_f32_f64_e32 v114, v[128:129]
	v_cvt_f32_f64_e32 v123, v[123:124]
	v_add_f64 v[124:125], v[84:85], v[112:113]
	v_add_f64 v[128:129], v[82:83], v[110:111]
	v_min3_f32 v123, v114, v123, v186
	v_cvt_f32_f64_e32 v124, v[124:125]
	v_cvt_f32_f64_e32 v114, v[128:129]
	v_add_f64 v[128:129], v[80:81], v[112:113]
	v_min3_f32 v124, v114, v124, v187
	v_add_f64 v[186:187], v[78:79], v[110:111]
	v_cvt_f32_f64_e32 v125, v[128:129]
	v_add_f64 v[128:129], v[72:73], v[112:113]
	v_add_f64 v[112:113], v[68:69], v[112:113]
	v_cvt_f32_f64_e32 v114, v[186:187]
	v_add_f64 v[186:187], v[70:71], v[110:111]
	v_add_f64 v[110:111], v[66:67], v[110:111]
	v_cvt_f32_f64_e32 v128, v[128:129]
	v_min3_f32 v125, v114, v125, v184
	v_cvt_f32_f64_e32 v114, v[186:187]
	v_cvt_f32_f64_e32 v110, v[110:111]
	v_cvt_f32_f64_e32 v111, v[112:113]
	v_min3_f32 v114, v114, v128, v185
	v_add_f64 v[128:129], v[98:99], v[106:107]
	v_min3_f32 v112, v110, v111, v182
	v_add_f64 v[110:111], v[100:101], v[108:109]
	v_cvt_f32_f64_e32 v113, v[128:129]
	v_add_f64 v[128:129], v[94:95], v[106:107]
	v_cvt_f32_f64_e32 v110, v[110:111]
	v_cvt_f32_f64_e32 v128, v[128:129]
	v_min3_f32 v113, v113, v110, v183
	v_add_f64 v[110:111], v[96:97], v[108:109]
	v_add_f64 v[182:183], v[90:91], v[106:107]
	v_cvt_f32_f64_e32 v110, v[110:111]
	v_cvt_f32_f64_e32 v129, v[182:183]
	v_min3_f32 v128, v128, v110, v180
	v_add_f64 v[110:111], v[92:93], v[108:109]
	v_cvt_f32_f64_e32 v110, v[110:111]
	v_min3_f32 v129, v129, v110, v181
	v_add_f64 v[110:111], v[88:89], v[108:109]
	v_add_f64 v[180:181], v[86:87], v[106:107]
	v_cvt_f32_f64_e32 v110, v[110:111]
	v_cvt_f32_f64_e32 v180, v[180:181]
	v_min3_f32 v178, v180, v110, v178
	v_add_f64 v[110:111], v[84:85], v[108:109]
	v_add_f64 v[180:181], v[82:83], v[106:107]
	v_cvt_f32_f64_e32 v110, v[110:111]
	v_cvt_f32_f64_e32 v180, v[180:181]
	v_min3_f32 v179, v180, v110, v179
	v_add_f64 v[110:111], v[80:81], v[108:109]
	v_add_f64 v[180:181], v[78:79], v[106:107]
	v_cvt_f32_f64_e32 v110, v[110:111]
	v_cvt_f32_f64_e32 v180, v[180:181]
	v_min3_f32 v176, v180, v110, v176
	v_add_f64 v[110:111], v[72:73], v[108:109]
	v_add_f64 v[180:181], v[70:71], v[106:107]
	;; [unrolled: 1-line block ×4, first 2 shown]
	v_cvt_f32_f64_e32 v110, v[110:111]
	v_cvt_f32_f64_e32 v180, v[180:181]
	;; [unrolled: 1-line block ×4, first 2 shown]
	v_add_f64 v[108:109], v[98:99], v[102:103]
	v_add_f64 v[98:99], v[98:99], v[74:75]
	v_min3_f32 v177, v180, v110, v177
	v_min3_f32 v170, v106, v107, v170
	v_add_f64 v[106:107], v[100:101], v[104:105]
	v_cvt_f32_f64_e32 v108, v[108:109]
	v_add_f64 v[100:101], v[100:101], v[76:77]
	v_cvt_f32_f64_e32 v98, v[98:99]
	v_cvt_f32_f64_e32 v106, v[106:107]
	;; [unrolled: 1-line block ×3, first 2 shown]
	v_min3_f32 v171, v108, v106, v171
	v_add_f64 v[106:107], v[96:97], v[104:105]
	v_add_f64 v[108:109], v[94:95], v[102:103]
	;; [unrolled: 1-line block ×4, first 2 shown]
	v_min3_f32 v98, v98, v99, v156
	v_add_f64 v[99:100], v[10:11], v[46:47]
	v_cvt_f32_f64_e32 v106, v[106:107]
	v_cvt_f32_f64_e32 v108, v[108:109]
	v_add_f64 v[109:110], v[90:91], v[102:103]
	v_add_f64 v[90:91], v[90:91], v[74:75]
	v_cvt_f32_f64_e32 v94, v[94:95]
	v_cvt_f32_f64_e32 v95, v[96:97]
	v_min3_f32 v106, v108, v106, v162
	v_add_f64 v[107:108], v[92:93], v[104:105]
	v_cvt_f32_f64_e32 v109, v[109:110]
	v_add_f64 v[110:111], v[86:87], v[102:103]
	v_add_f64 v[86:87], v[86:87], v[74:75]
	v_add_f64 v[92:93], v[92:93], v[76:77]
	v_cvt_f32_f64_e32 v90, v[90:91]
	v_min3_f32 v94, v94, v95, v155
	v_add_f64 v[95:96], v[6:7], v[50:51]
	v_cvt_f32_f64_e32 v107, v[107:108]
	v_cvt_f32_f64_e32 v110, v[110:111]
	v_cvt_f32_f64_e32 v86, v[86:87]
	v_cvt_f32_f64_e32 v91, v[92:93]
	v_min3_f32 v107, v109, v107, v163
	v_add_f64 v[108:109], v[88:89], v[104:105]
	v_add_f64 v[162:163], v[82:83], v[102:103]
	;; [unrolled: 1-line block ×4, first 2 shown]
	v_min3_f32 v90, v90, v91, v154
	v_add_f64 v[91:92], v[26:27], v[50:51]
	v_cvt_f32_f64_e32 v108, v[108:109]
	v_cvt_f32_f64_e32 v111, v[162:163]
	v_add_f64 v[162:163], v[70:71], v[102:103]
	v_add_f64 v[70:71], v[70:71], v[74:75]
	v_cvt_f32_f64_e32 v82, v[82:83]
	v_cvt_f32_f64_e32 v87, v[88:89]
	v_min3_f32 v108, v110, v108, v160
	v_add_f64 v[109:110], v[84:85], v[104:105]
	v_add_f64 v[84:85], v[84:85], v[76:77]
	v_cvt_f32_f64_e32 v70, v[70:71]
	v_min3_f32 v86, v86, v87, v152
	v_add_f64 v[87:88], v[14:15], v[54:55]
	v_cvt_f32_f64_e32 v109, v[109:110]
	v_cvt_f32_f64_e32 v83, v[84:85]
	v_min3_f32 v109, v111, v109, v161
	v_add_f64 v[110:111], v[80:81], v[104:105]
	v_add_f64 v[160:161], v[78:79], v[102:103]
	;; [unrolled: 1-line block ×7, first 2 shown]
	v_min3_f32 v82, v82, v83, v153
	v_add_f64 v[83:84], v[10:11], v[58:59]
	v_cvt_f32_f64_e32 v110, v[110:111]
	v_cvt_f32_f64_e32 v160, v[160:161]
	;; [unrolled: 1-line block ×7, first 2 shown]
	v_min3_f32 v110, v160, v110, v158
	v_add_f64 v[160:161], v[72:73], v[104:105]
	v_add_f64 v[104:105], v[68:69], v[104:105]
	;; [unrolled: 1-line block ×5, first 2 shown]
	v_min3_f32 v78, v78, v79, v150
	v_add_f64 v[79:80], v[26:27], v[58:59]
	v_cvt_f32_f64_e32 v158, v[160:161]
	v_cvt_f32_f64_e32 v103, v[104:105]
	;; [unrolled: 1-line block ×4, first 2 shown]
	v_add_f64 v[68:69], v[34:35], v[62:63]
	v_min3_f32 v111, v111, v158, v159
	v_min3_f32 v102, v102, v103, v157
	;; [unrolled: 1-line block ×3, first 2 shown]
	v_add_f64 v[66:67], v[36:37], v[64:65]
	v_cvt_f32_f64_e32 v68, v[68:69]
	v_min3_f32 v71, v70, v71, v151
	v_add_f64 v[69:70], v[30:31], v[62:63]
	v_cvt_f32_f64_e32 v66, v[66:67]
	v_cvt_f32_f64_e32 v69, v[69:70]
	;; [unrolled: 1-line block ×3, first 2 shown]
	v_add_f64 v[74:75], v[18:19], v[62:63]
	v_min3_f32 v66, v68, v66, v222
	v_add_f64 v[67:68], v[32:33], v[64:65]
	v_cvt_f32_f64_e32 v72, v[74:75]
	v_add_f64 v[74:75], v[16:17], v[64:65]
	v_cvt_f32_f64_e32 v67, v[67:68]
	v_min3_f32 v67, v69, v67, v221
	v_add_f64 v[68:69], v[28:29], v[64:65]
	v_cvt_f32_f64_e32 v68, v[68:69]
	v_min3_f32 v68, v70, v68, v220
	v_add_f64 v[69:70], v[20:21], v[64:65]
	v_cvt_f32_f64_e32 v69, v[69:70]
	v_cvt_f32_f64_e32 v70, v[76:77]
	v_add_f64 v[76:77], v[10:11], v[62:63]
	v_min3_f32 v69, v72, v69, v218
	v_cvt_f32_f64_e32 v72, v[74:75]
	v_add_f64 v[74:75], v[12:13], v[64:65]
	v_min3_f32 v70, v70, v72, v219
	v_cvt_f32_f64_e32 v72, v[76:77]
	v_cvt_f32_f64_e32 v74, v[74:75]
	v_add_f64 v[76:77], v[6:7], v[62:63]
	v_add_f64 v[62:63], v[2:3], v[62:63]
	v_min3_f32 v72, v72, v74, v144
	v_add_f64 v[74:75], v[8:9], v[64:65]
	v_add_f64 v[64:65], v[4:5], v[64:65]
	v_cvt_f32_f64_e32 v76, v[76:77]
	v_cvt_f32_f64_e32 v62, v[62:63]
	;; [unrolled: 1-line block ×4, first 2 shown]
	v_min3_f32 v74, v76, v74, v145
	v_min3_f32 v62, v62, v63, v126
	v_add_f64 v[63:64], v[36:37], v[60:61]
	v_add_f64 v[75:76], v[34:35], v[58:59]
	v_cvt_f32_f64_e32 v63, v[63:64]
	v_cvt_f32_f64_e32 v65, v[75:76]
	v_add_f64 v[75:76], v[30:31], v[58:59]
	v_min3_f32 v63, v65, v63, v127
	v_add_f64 v[64:65], v[32:33], v[60:61]
	v_cvt_f32_f64_e32 v75, v[75:76]
	v_cvt_f32_f64_e32 v64, v[64:65]
	;; [unrolled: 1-line block ×3, first 2 shown]
	v_add_f64 v[79:80], v[18:19], v[58:59]
	v_min3_f32 v64, v75, v64, v212
	v_add_f64 v[75:76], v[28:29], v[60:61]
	v_cvt_f32_f64_e32 v77, v[79:80]
	v_add_f64 v[79:80], v[14:15], v[58:59]
	v_cvt_f32_f64_e32 v75, v[75:76]
	v_cvt_f32_f64_e32 v79, v[79:80]
	v_min3_f32 v65, v65, v75, v213
	v_add_f64 v[75:76], v[20:21], v[60:61]
	v_cvt_f32_f64_e32 v75, v[75:76]
	v_min3_f32 v75, v77, v75, v210
	v_add_f64 v[76:77], v[16:17], v[60:61]
	v_cvt_f32_f64_e32 v76, v[76:77]
	v_cvt_f32_f64_e32 v77, v[83:84]
	v_add_f64 v[83:84], v[6:7], v[58:59]
	v_add_f64 v[58:59], v[2:3], v[58:59]
	v_min3_f32 v76, v79, v76, v211
	v_add_f64 v[79:80], v[12:13], v[60:61]
	v_cvt_f32_f64_e32 v81, v[83:84]
	v_cvt_f32_f64_e32 v58, v[58:59]
	v_add_f64 v[83:84], v[26:27], v[54:55]
	v_cvt_f32_f64_e32 v79, v[79:80]
	v_min3_f32 v77, v77, v79, v208
	v_add_f64 v[79:80], v[8:9], v[60:61]
	v_add_f64 v[60:61], v[4:5], v[60:61]
	v_cvt_f32_f64_e32 v79, v[79:80]
	v_cvt_f32_f64_e32 v59, v[60:61]
	v_min3_f32 v79, v81, v79, v209
	v_min3_f32 v58, v58, v59, v214
	v_add_f64 v[59:60], v[36:37], v[56:57]
	v_add_f64 v[80:81], v[34:35], v[54:55]
	v_cvt_f32_f64_e32 v59, v[59:60]
	v_cvt_f32_f64_e32 v61, v[80:81]
	v_add_f64 v[80:81], v[30:31], v[54:55]
	v_min3_f32 v59, v61, v59, v206
	v_add_f64 v[60:61], v[32:33], v[56:57]
	v_cvt_f32_f64_e32 v80, v[80:81]
	v_cvt_f32_f64_e32 v60, v[60:61]
	;; [unrolled: 1-line block ×3, first 2 shown]
	v_add_f64 v[83:84], v[18:19], v[54:55]
	v_min3_f32 v60, v80, v60, v204
	v_add_f64 v[80:81], v[28:29], v[56:57]
	v_cvt_f32_f64_e32 v83, v[83:84]
	v_cvt_f32_f64_e32 v80, v[80:81]
	v_min3_f32 v61, v61, v80, v205
	v_add_f64 v[80:81], v[20:21], v[56:57]
	v_cvt_f32_f64_e32 v80, v[80:81]
	v_cvt_f32_f64_e32 v81, v[87:88]
	v_add_f64 v[87:88], v[10:11], v[54:55]
	v_min3_f32 v80, v83, v80, v202
	v_add_f64 v[83:84], v[16:17], v[56:57]
	v_cvt_f32_f64_e32 v85, v[87:88]
	v_add_f64 v[87:88], v[6:7], v[54:55]
	v_add_f64 v[54:55], v[2:3], v[54:55]
	v_cvt_f32_f64_e32 v83, v[83:84]
	v_cvt_f32_f64_e32 v87, v[87:88]
	;; [unrolled: 1-line block ×3, first 2 shown]
	v_min3_f32 v81, v81, v83, v203
	v_add_f64 v[83:84], v[12:13], v[56:57]
	v_cvt_f32_f64_e32 v83, v[83:84]
	v_min3_f32 v83, v85, v83, v200
	v_add_f64 v[84:85], v[8:9], v[56:57]
	v_add_f64 v[56:57], v[4:5], v[56:57]
	v_cvt_f32_f64_e32 v84, v[84:85]
	v_cvt_f32_f64_e32 v55, v[56:57]
	v_min3_f32 v84, v87, v84, v201
	v_min3_f32 v54, v54, v55, v198
	v_add_f64 v[55:56], v[36:37], v[52:53]
	v_add_f64 v[87:88], v[34:35], v[50:51]
	v_cvt_f32_f64_e32 v55, v[55:56]
	v_cvt_f32_f64_e32 v57, v[87:88]
	v_add_f64 v[87:88], v[30:31], v[50:51]
	v_min3_f32 v55, v57, v55, v199
	v_add_f64 v[56:57], v[32:33], v[52:53]
	v_cvt_f32_f64_e32 v85, v[87:88]
	v_add_f64 v[87:88], v[28:29], v[52:53]
	v_cvt_f32_f64_e32 v56, v[56:57]
	v_cvt_f32_f64_e32 v57, v[91:92]
	v_add_f64 v[91:92], v[18:19], v[50:51]
	v_min3_f32 v56, v85, v56, v196
	v_cvt_f32_f64_e32 v85, v[87:88]
	v_add_f64 v[87:88], v[20:21], v[52:53]
	v_min3_f32 v57, v57, v85, v197
	v_cvt_f32_f64_e32 v85, v[91:92]
	v_cvt_f32_f64_e32 v87, v[87:88]
	v_add_f64 v[91:92], v[14:15], v[50:51]
	v_min3_f32 v85, v85, v87, v118
	v_add_f64 v[87:88], v[16:17], v[52:53]
	v_cvt_f32_f64_e32 v89, v[91:92]
	v_add_f64 v[91:92], v[10:11], v[50:51]
	v_add_f64 v[50:51], v[2:3], v[50:51]
	v_cvt_f32_f64_e32 v87, v[87:88]
	v_cvt_f32_f64_e32 v91, v[91:92]
	;; [unrolled: 1-line block ×3, first 2 shown]
	v_min3_f32 v87, v89, v87, v119
	v_add_f64 v[88:89], v[12:13], v[52:53]
	v_cvt_f32_f64_e32 v88, v[88:89]
	v_cvt_f32_f64_e32 v89, v[95:96]
	v_add_f64 v[95:96], v[26:27], v[46:47]
	v_min3_f32 v88, v91, v88, v120
	v_add_f64 v[91:92], v[8:9], v[52:53]
	v_add_f64 v[52:53], v[4:5], v[52:53]
	v_cvt_f32_f64_e32 v91, v[91:92]
	v_cvt_f32_f64_e32 v51, v[52:53]
	v_min3_f32 v89, v89, v91, v121
	v_min3_f32 v50, v50, v51, v115
	v_add_f64 v[51:52], v[36:37], v[48:49]
	v_add_f64 v[91:92], v[34:35], v[46:47]
	v_cvt_f32_f64_e32 v51, v[51:52]
	v_cvt_f32_f64_e32 v53, v[91:92]
	v_add_f64 v[91:92], v[30:31], v[46:47]
	v_min3_f32 v51, v53, v51, v116
	v_add_f64 v[52:53], v[32:33], v[48:49]
	v_cvt_f32_f64_e32 v91, v[91:92]
	v_cvt_f32_f64_e32 v52, v[52:53]
	v_cvt_f32_f64_e32 v53, v[95:96]
	v_add_f64 v[95:96], v[18:19], v[46:47]
	v_min3_f32 v52, v91, v52, v117
	v_add_f64 v[91:92], v[28:29], v[48:49]
	v_cvt_f32_f64_e32 v93, v[95:96]
	v_add_f64 v[95:96], v[14:15], v[46:47]
	v_cvt_f32_f64_e32 v91, v[91:92]
	v_cvt_f32_f64_e32 v95, v[95:96]
	v_min3_f32 v53, v53, v91, v122
	v_add_f64 v[91:92], v[20:21], v[48:49]
	v_cvt_f32_f64_e32 v91, v[91:92]
	v_min3_f32 v91, v93, v91, v123
	v_add_f64 v[92:93], v[16:17], v[48:49]
	v_cvt_f32_f64_e32 v92, v[92:93]
	v_cvt_f32_f64_e32 v93, v[99:100]
	v_add_f64 v[99:100], v[6:7], v[46:47]
	v_add_f64 v[46:47], v[2:3], v[46:47]
	v_min3_f32 v92, v95, v92, v124
	v_add_f64 v[95:96], v[12:13], v[48:49]
	v_cvt_f32_f64_e32 v46, v[46:47]
	v_cvt_f32_f64_e32 v95, v[95:96]
	v_min3_f32 v144, v93, v95, v125
	v_add_f64 v[95:96], v[8:9], v[48:49]
	v_add_f64 v[48:49], v[4:5], v[48:49]
	v_cvt_f32_f64_e32 v93, v[99:100]
	v_add_f64 v[99:100], v[26:27], v[42:43]
	v_cvt_f32_f64_e32 v95, v[95:96]
	v_cvt_f32_f64_e32 v47, v[48:49]
	v_min3_f32 v145, v93, v95, v114
	v_min3_f32 v46, v46, v47, v112
	v_add_f64 v[47:48], v[36:37], v[44:45]
	v_add_f64 v[95:96], v[34:35], v[42:43]
	v_cvt_f32_f64_e32 v47, v[47:48]
	v_cvt_f32_f64_e32 v49, v[95:96]
	v_add_f64 v[95:96], v[30:31], v[42:43]
	v_min3_f32 v47, v49, v47, v113
	v_add_f64 v[48:49], v[32:33], v[44:45]
	v_cvt_f32_f64_e32 v93, v[95:96]
	v_add_f64 v[95:96], v[28:29], v[44:45]
	v_cvt_f32_f64_e32 v48, v[48:49]
	v_cvt_f32_f64_e32 v49, v[99:100]
	v_add_f64 v[99:100], v[18:19], v[42:43]
	v_min3_f32 v48, v93, v48, v128
	v_cvt_f32_f64_e32 v93, v[95:96]
	v_add_f64 v[95:96], v[20:21], v[44:45]
	v_min3_f32 v49, v49, v93, v129
	v_cvt_f32_f64_e32 v93, v[99:100]
	v_cvt_f32_f64_e32 v95, v[95:96]
	v_add_f64 v[99:100], v[14:15], v[42:43]
	v_min3_f32 v149, v93, v95, v178
	v_add_f64 v[95:96], v[16:17], v[44:45]
	v_cvt_f32_f64_e32 v93, v[99:100]
	v_add_f64 v[99:100], v[10:11], v[42:43]
	v_cvt_f32_f64_e32 v95, v[95:96]
	v_min3_f32 v150, v93, v95, v179
	v_add_f64 v[95:96], v[12:13], v[44:45]
	v_cvt_f32_f64_e32 v93, v[99:100]
	v_add_f64 v[99:100], v[6:7], v[42:43]
	v_add_f64 v[42:43], v[2:3], v[42:43]
	v_cvt_f32_f64_e32 v95, v[95:96]
	v_cvt_f32_f64_e32 v42, v[42:43]
	v_min3_f32 v151, v93, v95, v176
	v_add_f64 v[95:96], v[8:9], v[44:45]
	v_add_f64 v[44:45], v[4:5], v[44:45]
	v_cvt_f32_f64_e32 v93, v[99:100]
	v_add_f64 v[99:100], v[26:27], v[38:39]
	v_add_f64 v[26:27], v[26:27], v[22:23]
	v_cvt_f32_f64_e32 v95, v[95:96]
	v_cvt_f32_f64_e32 v43, v[44:45]
	;; [unrolled: 1-line block ×3, first 2 shown]
	v_min3_f32 v152, v93, v95, v177
	v_min3_f32 v42, v42, v43, v170
	v_add_f64 v[43:44], v[36:37], v[40:41]
	v_add_f64 v[95:96], v[34:35], v[38:39]
	v_add_f64 v[36:37], v[36:37], v[24:25]
	v_add_f64 v[34:35], v[34:35], v[22:23]
	v_cvt_f32_f64_e32 v43, v[43:44]
	v_cvt_f32_f64_e32 v45, v[95:96]
	v_add_f64 v[95:96], v[30:31], v[38:39]
	v_add_f64 v[30:31], v[30:31], v[22:23]
	v_cvt_f32_f64_e32 v34, v[34:35]
	v_cvt_f32_f64_e32 v35, v[36:37]
	v_min3_f32 v43, v45, v43, v171
	v_add_f64 v[44:45], v[32:33], v[40:41]
	v_cvt_f32_f64_e32 v93, v[95:96]
	v_add_f64 v[95:96], v[28:29], v[40:41]
	v_add_f64 v[32:33], v[32:33], v[24:25]
	;; [unrolled: 1-line block ×3, first 2 shown]
	v_cvt_f32_f64_e32 v30, v[30:31]
	v_min3_f32 v192, v34, v35, v98
	v_cvt_f32_f64_e32 v44, v[44:45]
	v_cvt_f32_f64_e32 v45, v[99:100]
	v_add_f64 v[99:100], v[18:19], v[38:39]
	v_add_f64 v[18:19], v[18:19], v[22:23]
	v_cvt_f32_f64_e32 v31, v[32:33]
	v_cvt_f32_f64_e32 v27, v[28:29]
	v_min3_f32 v44, v93, v44, v106
	v_cvt_f32_f64_e32 v93, v[95:96]
	v_add_f64 v[95:96], v[20:21], v[40:41]
	v_add_f64 v[20:21], v[20:21], v[24:25]
	v_cvt_f32_f64_e32 v18, v[18:19]
	v_min3_f32 v193, v30, v31, v94
	v_min3_f32 v194, v26, v27, v90
	;; [unrolled: 1-line block ×3, first 2 shown]
	v_cvt_f32_f64_e32 v93, v[99:100]
	v_cvt_f32_f64_e32 v95, v[95:96]
	v_add_f64 v[99:100], v[14:15], v[38:39]
	v_add_f64 v[14:15], v[14:15], v[22:23]
	v_cvt_f32_f64_e32 v19, v[20:21]
	v_min3_f32 v153, v93, v95, v108
	v_add_f64 v[95:96], v[16:17], v[40:41]
	v_cvt_f32_f64_e32 v93, v[99:100]
	v_add_f64 v[99:100], v[10:11], v[38:39]
	v_add_f64 v[16:17], v[16:17], v[24:25]
	;; [unrolled: 1-line block ×3, first 2 shown]
	v_cvt_f32_f64_e32 v14, v[14:15]
	v_min3_f32 v195, v18, v19, v86
	v_cvt_f32_f64_e32 v95, v[95:96]
	v_cvt_f32_f64_e32 v15, v[16:17]
	;; [unrolled: 1-line block ×3, first 2 shown]
	v_min3_f32 v154, v93, v95, v109
	v_add_f64 v[95:96], v[12:13], v[40:41]
	v_cvt_f32_f64_e32 v93, v[99:100]
	v_add_f64 v[99:100], v[6:7], v[38:39]
	v_add_f64 v[38:39], v[2:3], v[38:39]
	;; [unrolled: 1-line block ×5, first 2 shown]
	v_min3_f32 v196, v14, v15, v82
	v_cvt_f32_f64_e32 v95, v[95:96]
	v_cvt_f32_f64_e32 v38, v[38:39]
	;; [unrolled: 1-line block ×5, first 2 shown]
	v_min3_f32 v155, v93, v95, v110
	v_add_f64 v[95:96], v[8:9], v[40:41]
	v_add_f64 v[40:41], v[4:5], v[40:41]
	;; [unrolled: 1-line block ×4, first 2 shown]
	v_cvt_f32_f64_e32 v93, v[99:100]
	v_min3_f32 v197, v10, v11, v78
	v_cvt_f32_f64_e32 v95, v[95:96]
	v_cvt_f32_f64_e32 v39, v[40:41]
	;; [unrolled: 1-line block ×4, first 2 shown]
	v_min3_f32 v170, v93, v95, v111
	v_min3_f32 v171, v38, v39, v102
	v_min3_f32 v198, v6, v7, v71
	v_min3_f32 v199, v2, v3, v73
	ds_read_b128 v[6:9], v147 offset:1024
	ds_read_b128 v[10:13], v147 offset:2048
	;; [unrolled: 1-line block ×14, first 2 shown]
	ds_read_b128 v[97:100], v165
	ds_read_b128 v[34:37], v165 offset:16
	ds_read_b128 v[188:191], v147
	ds_read_b128 v[2:5], v147 offset:16
	s_waitcnt lgkmcnt(1)
	v_add_f64 v[101:102], v[190:191], v[99:100]
	v_add_f64 v[103:104], v[188:189], v[97:98]
	v_cvt_f32_f64_e32 v73, v[101:102]
	v_cvt_f32_f64_e32 v71, v[103:104]
	v_add_f64 v[101:102], v[8:9], v[99:100]
	v_add_f64 v[103:104], v[6:7], v[97:98]
	v_min3_f32 v129, v71, v73, v66
	v_cvt_f32_f64_e32 v71, v[101:102]
	v_cvt_f32_f64_e32 v66, v[103:104]
	v_add_f64 v[101:102], v[10:11], v[97:98]
	v_min3_f32 v128, v66, v71, v67
	v_add_f64 v[66:67], v[12:13], v[99:100]
	v_cvt_f32_f64_e32 v71, v[101:102]
	v_add_f64 v[101:102], v[14:15], v[97:98]
	v_cvt_f32_f64_e32 v66, v[66:67]
	v_min3_f32 v127, v71, v66, v68
	v_add_f64 v[66:67], v[16:17], v[99:100]
	v_cvt_f32_f64_e32 v68, v[101:102]
	v_cvt_f32_f64_e32 v66, v[66:67]
	v_min3_f32 v126, v68, v66, v69
	v_add_f64 v[66:67], v[20:21], v[99:100]
	v_add_f64 v[68:69], v[18:19], v[97:98]
	v_cvt_f32_f64_e32 v66, v[66:67]
	v_cvt_f32_f64_e32 v68, v[68:69]
	v_min3_f32 v125, v68, v66, v70
	v_add_f64 v[66:67], v[24:25], v[99:100]
	;; [unrolled: 5-line block ×11, first 2 shown]
	v_add_f64 v[64:65], v[26:27], v[38:39]
	v_add_f64 v[40:41], v[32:33], v[40:41]
	;; [unrolled: 1-line block ×3, first 2 shown]
	v_cvt_f32_f64_e32 v62, v[62:63]
	v_cvt_f32_f64_e32 v64, v[64:65]
	;; [unrolled: 1-line block ×4, first 2 shown]
	v_add_f64 v[40:41], v[188:189], v[93:94]
	v_min3_f32 v115, v64, v62, v79
	v_min3_f32 v114, v38, v39, v58
	v_add_f64 v[38:39], v[190:191], v[95:96]
	v_cvt_f32_f64_e32 v40, v[40:41]
	v_cvt_f32_f64_e32 v38, v[38:39]
	v_min3_f32 v113, v40, v38, v59
	v_add_f64 v[38:39], v[8:9], v[95:96]
	v_add_f64 v[40:41], v[6:7], v[93:94]
	v_cvt_f32_f64_e32 v38, v[38:39]
	v_cvt_f32_f64_e32 v40, v[40:41]
	v_min3_f32 v112, v40, v38, v60
	v_add_f64 v[38:39], v[12:13], v[95:96]
	v_add_f64 v[40:41], v[10:11], v[93:94]
	v_cvt_f32_f64_e32 v38, v[38:39]
	v_cvt_f32_f64_e32 v40, v[40:41]
	v_min3_f32 v111, v40, v38, v61
	v_add_f64 v[38:39], v[16:17], v[95:96]
	v_add_f64 v[40:41], v[14:15], v[93:94]
	v_cvt_f32_f64_e32 v38, v[38:39]
	v_cvt_f32_f64_e32 v40, v[40:41]
	v_min3_f32 v110, v40, v38, v80
	v_add_f64 v[38:39], v[20:21], v[95:96]
	v_add_f64 v[40:41], v[18:19], v[93:94]
	v_cvt_f32_f64_e32 v38, v[38:39]
	v_cvt_f32_f64_e32 v40, v[40:41]
	v_min3_f32 v109, v40, v38, v81
	v_add_f64 v[38:39], v[24:25], v[95:96]
	v_add_f64 v[40:41], v[22:23], v[93:94]
	v_cvt_f32_f64_e32 v38, v[38:39]
	v_cvt_f32_f64_e32 v40, v[40:41]
	v_min3_f32 v108, v40, v38, v83
	v_add_f64 v[38:39], v[28:29], v[95:96]
	v_add_f64 v[40:41], v[26:27], v[93:94]
	v_cvt_f32_f64_e32 v38, v[38:39]
	v_cvt_f32_f64_e32 v40, v[40:41]
	v_min3_f32 v107, v40, v38, v84
	v_add_f64 v[38:39], v[32:33], v[95:96]
	v_add_f64 v[40:41], v[30:31], v[93:94]
	v_cvt_f32_f64_e32 v38, v[38:39]
	v_cvt_f32_f64_e32 v40, v[40:41]
	v_min3_f32 v106, v40, v38, v54
	v_add_f64 v[38:39], v[190:191], v[158:159]
	v_add_f64 v[40:41], v[188:189], v[156:157]
	v_cvt_f32_f64_e32 v38, v[38:39]
	v_cvt_f32_f64_e32 v40, v[40:41]
	v_min3_f32 v105, v40, v38, v55
	v_add_f64 v[38:39], v[8:9], v[158:159]
	v_add_f64 v[40:41], v[6:7], v[156:157]
	v_cvt_f32_f64_e32 v38, v[38:39]
	v_cvt_f32_f64_e32 v40, v[40:41]
	v_min3_f32 v104, v40, v38, v56
	v_add_f64 v[38:39], v[12:13], v[158:159]
	v_add_f64 v[40:41], v[10:11], v[156:157]
	v_cvt_f32_f64_e32 v38, v[38:39]
	v_cvt_f32_f64_e32 v40, v[40:41]
	v_min3_f32 v103, v40, v38, v57
	v_add_f64 v[38:39], v[16:17], v[158:159]
	v_add_f64 v[40:41], v[14:15], v[156:157]
	v_cvt_f32_f64_e32 v38, v[38:39]
	v_cvt_f32_f64_e32 v40, v[40:41]
	v_min3_f32 v102, v40, v38, v85
	v_add_f64 v[38:39], v[20:21], v[158:159]
	v_add_f64 v[40:41], v[18:19], v[156:157]
	v_cvt_f32_f64_e32 v38, v[38:39]
	v_cvt_f32_f64_e32 v40, v[40:41]
	v_min3_f32 v101, v40, v38, v87
	v_add_f64 v[38:39], v[24:25], v[158:159]
	v_add_f64 v[40:41], v[22:23], v[156:157]
	v_cvt_f32_f64_e32 v38, v[38:39]
	v_cvt_f32_f64_e32 v40, v[40:41]
	v_min3_f32 v100, v40, v38, v88
	v_add_f64 v[38:39], v[28:29], v[158:159]
	v_add_f64 v[40:41], v[26:27], v[156:157]
	v_cvt_f32_f64_e32 v38, v[38:39]
	v_cvt_f32_f64_e32 v40, v[40:41]
	v_min3_f32 v99, v40, v38, v89
	v_add_f64 v[38:39], v[32:33], v[158:159]
	v_add_f64 v[40:41], v[30:31], v[156:157]
	v_cvt_f32_f64_e32 v38, v[38:39]
	v_cvt_f32_f64_e32 v40, v[40:41]
	v_min3_f32 v98, v40, v38, v50
	v_add_f64 v[38:39], v[190:191], v[162:163]
	v_add_f64 v[40:41], v[188:189], v[160:161]
	v_cvt_f32_f64_e32 v38, v[38:39]
	v_cvt_f32_f64_e32 v40, v[40:41]
	v_min3_f32 v97, v40, v38, v51
	v_add_f64 v[38:39], v[8:9], v[162:163]
	v_add_f64 v[40:41], v[6:7], v[160:161]
	v_cvt_f32_f64_e32 v38, v[38:39]
	v_cvt_f32_f64_e32 v40, v[40:41]
	v_min3_f32 v96, v40, v38, v52
	v_add_f64 v[38:39], v[12:13], v[162:163]
	v_add_f64 v[40:41], v[10:11], v[160:161]
	v_cvt_f32_f64_e32 v38, v[38:39]
	v_cvt_f32_f64_e32 v40, v[40:41]
	v_min3_f32 v95, v40, v38, v53
	v_add_f64 v[38:39], v[16:17], v[162:163]
	v_add_f64 v[40:41], v[14:15], v[160:161]
	v_cvt_f32_f64_e32 v38, v[38:39]
	v_cvt_f32_f64_e32 v40, v[40:41]
	v_min3_f32 v94, v40, v38, v91
	v_add_f64 v[38:39], v[20:21], v[162:163]
	v_add_f64 v[40:41], v[18:19], v[160:161]
	v_cvt_f32_f64_e32 v38, v[38:39]
	v_cvt_f32_f64_e32 v40, v[40:41]
	v_min3_f32 v93, v40, v38, v92
	v_add_f64 v[38:39], v[24:25], v[162:163]
	v_add_f64 v[40:41], v[22:23], v[160:161]
	v_cvt_f32_f64_e32 v38, v[38:39]
	v_cvt_f32_f64_e32 v40, v[40:41]
	v_min3_f32 v92, v40, v38, v144
	v_add_f64 v[38:39], v[28:29], v[162:163]
	v_add_f64 v[40:41], v[26:27], v[160:161]
	v_cvt_f32_f64_e32 v38, v[38:39]
	v_cvt_f32_f64_e32 v40, v[40:41]
	v_min3_f32 v91, v40, v38, v145
	v_add_f64 v[38:39], v[32:33], v[162:163]
	v_add_f64 v[40:41], v[30:31], v[160:161]
	s_waitcnt lgkmcnt(0)
	v_add_f64 v[144:145], v[4:5], v[36:37]
	v_cvt_f32_f64_e32 v38, v[38:39]
	v_cvt_f32_f64_e32 v40, v[40:41]
	;; [unrolled: 1-line block ×3, first 2 shown]
	v_min3_f32 v90, v40, v38, v46
	v_add_f64 v[38:39], v[190:191], v[178:179]
	v_add_f64 v[40:41], v[188:189], v[176:177]
	v_cvt_f32_f64_e32 v38, v[38:39]
	v_cvt_f32_f64_e32 v40, v[40:41]
	v_min3_f32 v89, v40, v38, v47
	v_add_f64 v[38:39], v[8:9], v[178:179]
	v_add_f64 v[40:41], v[6:7], v[176:177]
	v_cvt_f32_f64_e32 v38, v[38:39]
	v_cvt_f32_f64_e32 v40, v[40:41]
	;; [unrolled: 5-line block ×5, first 2 shown]
	v_min3_f32 v85, v40, v38, v150
	v_add_f64 v[38:39], v[24:25], v[178:179]
	v_add_f64 v[40:41], v[22:23], v[176:177]
	;; [unrolled: 1-line block ×3, first 2 shown]
	v_cvt_f32_f64_e32 v38, v[38:39]
	v_cvt_f32_f64_e32 v40, v[40:41]
	;; [unrolled: 1-line block ×3, first 2 shown]
	v_min3_f32 v84, v40, v38, v151
	v_add_f64 v[38:39], v[28:29], v[178:179]
	v_add_f64 v[40:41], v[26:27], v[176:177]
	v_min3_f32 v222, v149, v144, v129
	v_cvt_f32_f64_e32 v38, v[38:39]
	v_cvt_f32_f64_e32 v40, v[40:41]
	v_min3_f32 v83, v40, v38, v152
	v_add_f64 v[38:39], v[32:33], v[178:179]
	v_add_f64 v[40:41], v[30:31], v[176:177]
	v_cvt_f32_f64_e32 v38, v[38:39]
	v_cvt_f32_f64_e32 v40, v[40:41]
	v_min3_f32 v82, v40, v38, v42
	v_add_f64 v[38:39], v[190:191], v[182:183]
	v_add_f64 v[40:41], v[188:189], v[180:181]
	;; [unrolled: 5-line block ×3, first 2 shown]
	v_add_f64 v[8:9], v[8:9], v[186:187]
	v_add_f64 v[6:7], v[6:7], v[184:185]
	v_cvt_f32_f64_e32 v38, v[38:39]
	v_cvt_f32_f64_e32 v40, v[40:41]
	;; [unrolled: 1-line block ×4, first 2 shown]
	v_add_f64 v[8:9], v[10:11], v[184:185]
	v_min3_f32 v80, v40, v38, v44
	v_add_f64 v[38:39], v[12:13], v[182:183]
	v_add_f64 v[40:41], v[10:11], v[180:181]
	v_min3_f32 v72, v6, v7, v193
	v_add_f64 v[6:7], v[12:13], v[186:187]
	v_cvt_f32_f64_e32 v8, v[8:9]
	v_cvt_f32_f64_e32 v38, v[38:39]
	v_cvt_f32_f64_e32 v40, v[40:41]
	v_cvt_f32_f64_e32 v6, v[6:7]
	v_min3_f32 v79, v40, v38, v45
	v_add_f64 v[38:39], v[16:17], v[182:183]
	v_add_f64 v[40:41], v[14:15], v[180:181]
	v_min3_f32 v71, v8, v6, v194
	v_add_f64 v[6:7], v[16:17], v[186:187]
	v_add_f64 v[8:9], v[14:15], v[184:185]
	v_cvt_f32_f64_e32 v38, v[38:39]
	v_cvt_f32_f64_e32 v40, v[40:41]
	v_cvt_f32_f64_e32 v6, v[6:7]
	v_cvt_f32_f64_e32 v8, v[8:9]
	v_min3_f32 v78, v40, v38, v153
	v_add_f64 v[38:39], v[20:21], v[182:183]
	v_add_f64 v[40:41], v[18:19], v[180:181]
	v_min3_f32 v70, v8, v6, v195
	v_add_f64 v[6:7], v[20:21], v[186:187]
	;; [unrolled: 10-line block ×5, first 2 shown]
	v_add_f64 v[8:9], v[30:31], v[184:185]
	v_cvt_f32_f64_e32 v38, v[38:39]
	v_cvt_f32_f64_e32 v40, v[40:41]
	v_cvt_f32_f64_e32 v6, v[6:7]
	v_cvt_f32_f64_e32 v8, v[8:9]
	v_min3_f32 v74, v40, v38, v171
	v_add_f64 v[38:39], v[190:191], v[186:187]
	v_add_f64 v[40:41], v[188:189], v[184:185]
	v_min3_f32 v66, v8, v6, v199
	v_cvt_f32_f64_e32 v38, v[38:39]
	v_cvt_f32_f64_e32 v40, v[40:41]
	v_min3_f32 v73, v40, v38, v192
	ds_read_b128 v[22:25], v147 offset:1040
	ds_read_b128 v[18:21], v147 offset:2064
	;; [unrolled: 1-line block ×14, first 2 shown]
	ds_write2st64_b64 v166, v[136:137], v[138:139] offset1:4
	ds_write2st64_b64 v166, v[140:141], v[142:143] offset0:8 offset1:12
	ds_write_b64 v167, v[134:135]
	s_waitcnt lgkmcnt(0)
	s_barrier
	buffer_gl0_inv
	v_add_f64 v[144:145], v[24:25], v[36:37]
	v_add_f64 v[149:150], v[22:23], v[34:35]
	v_cvt_f32_f64_e32 v144, v[144:145]
	v_cvt_f32_f64_e32 v129, v[149:150]
	v_min3_f32 v221, v129, v144, v128
	v_add_f64 v[128:129], v[20:21], v[36:37]
	v_add_f64 v[144:145], v[18:19], v[34:35]
	v_cvt_f32_f64_e32 v128, v[128:129]
	v_cvt_f32_f64_e32 v144, v[144:145]
	v_min3_f32 v220, v144, v128, v127
	;; [unrolled: 5-line block ×5, first 2 shown]
	v_add_f64 v[124:125], v[32:33], v[36:37]
	v_add_f64 v[126:127], v[30:31], v[34:35]
	;; [unrolled: 1-line block ×4, first 2 shown]
	v_cvt_f32_f64_e32 v124, v[124:125]
	v_cvt_f32_f64_e32 v126, v[126:127]
	;; [unrolled: 1-line block ×4, first 2 shown]
	v_add_f64 v[36:37], v[2:3], v[62:63]
	v_min3_f32 v217, v126, v124, v123
	v_min3_f32 v214, v34, v35, v122
	v_add_f64 v[34:35], v[4:5], v[64:65]
	v_cvt_f32_f64_e32 v36, v[36:37]
	v_cvt_f32_f64_e32 v34, v[34:35]
	v_min3_f32 v215, v36, v34, v121
	v_add_f64 v[34:35], v[24:25], v[64:65]
	v_add_f64 v[36:37], v[22:23], v[62:63]
	v_cvt_f32_f64_e32 v34, v[34:35]
	v_cvt_f32_f64_e32 v36, v[36:37]
	v_min3_f32 v212, v36, v34, v120
	v_add_f64 v[34:35], v[20:21], v[64:65]
	;; [unrolled: 5-line block ×40, first 2 shown]
	v_add_f64 v[36:37], v[2:3], v[42:43]
	v_add_f64 v[4:5], v[4:5], v[40:41]
	;; [unrolled: 1-line block ×3, first 2 shown]
	v_cvt_f32_f64_e32 v34, v[34:35]
	v_cvt_f32_f64_e32 v36, v[36:37]
	v_cvt_f32_f64_e32 v2, v[2:3]
	v_cvt_f32_f64_e32 v3, v[4:5]
	v_add_f64 v[4:5], v[22:23], v[38:39]
	v_min3_f32 v171, v36, v34, v81
	v_add_f64 v[34:35], v[24:25], v[44:45]
	v_add_f64 v[36:37], v[22:23], v[42:43]
	v_min3_f32 v156, v2, v3, v73
	v_add_f64 v[2:3], v[24:25], v[40:41]
	v_cvt_f32_f64_e32 v4, v[4:5]
	v_cvt_f32_f64_e32 v34, v[34:35]
	v_cvt_f32_f64_e32 v36, v[36:37]
	v_cvt_f32_f64_e32 v2, v[2:3]
	v_min3_f32 v162, v36, v34, v80
	v_add_f64 v[34:35], v[20:21], v[44:45]
	v_add_f64 v[36:37], v[18:19], v[42:43]
	v_min3_f32 v155, v4, v2, v72
	v_add_f64 v[2:3], v[20:21], v[40:41]
	v_add_f64 v[4:5], v[18:19], v[38:39]
	v_cvt_f32_f64_e32 v34, v[34:35]
	v_cvt_f32_f64_e32 v36, v[36:37]
	v_cvt_f32_f64_e32 v2, v[2:3]
	v_cvt_f32_f64_e32 v4, v[4:5]
	v_min3_f32 v163, v36, v34, v79
	v_add_f64 v[34:35], v[16:17], v[44:45]
	v_add_f64 v[36:37], v[14:15], v[42:43]
	v_min3_f32 v154, v4, v2, v71
	v_add_f64 v[2:3], v[16:17], v[40:41]
	;; [unrolled: 10-line block ×6, first 2 shown]
	v_add_f64 v[4:5], v[26:27], v[38:39]
	v_cvt_f32_f64_e32 v34, v[34:35]
	v_cvt_f32_f64_e32 v36, v[36:37]
	;; [unrolled: 1-line block ×4, first 2 shown]
	v_min3_f32 v157, v36, v34, v74
	v_min3_f32 v149, v4, v2, v66
	s_cbranch_scc1 .LBB156_33
.LBB156_21:                             ; =>This Inner Loop Header: Depth=1
	v_mov_b32_e32 v134, 0
	v_mov_b32_e32 v138, 0
	;; [unrolled: 1-line block ×6, first 2 shown]
	s_and_b32 vcc_lo, exec_lo, s1
	s_cbranch_vccnz .LBB156_23
; %bb.22:                               ;   in Loop: Header=BB156_21 Depth=1
	v_add_co_u32 v2, vcc_lo, v174, v132
	v_add_co_ci_u32_e64 v3, null, v175, v133, vcc_lo
	s_clause 0x1
	global_load_dwordx2 v[4:5], v[2:3], off
	global_load_dwordx2 v[2:3], v[2:3], off offset:512
	s_waitcnt vmcnt(1)
	v_mul_f64 v[138:139], s[18:19], v[4:5]
	s_waitcnt vmcnt(0)
	v_mul_f64 v[140:141], s[18:19], v[2:3]
.LBB156_23:                             ;   in Loop: Header=BB156_21 Depth=1
	v_mov_b32_e32 v142, 0
	v_mov_b32_e32 v143, 0
	s_and_b32 vcc_lo, exec_lo, s1
	s_cbranch_vccnz .LBB156_25
; %bb.24:                               ;   in Loop: Header=BB156_21 Depth=1
	v_add_co_u32 v2, vcc_lo, v174, v132
	v_add_co_ci_u32_e64 v3, null, v175, v133, vcc_lo
	s_clause 0x1
	global_load_dwordx2 v[4:5], v[2:3], off offset:1024
	global_load_dwordx2 v[2:3], v[2:3], off offset:1536
	s_waitcnt vmcnt(1)
	v_mul_f64 v[134:135], s[18:19], v[4:5]
	s_waitcnt vmcnt(0)
	v_mul_f64 v[142:143], s[18:19], v[2:3]
.LBB156_25:                             ;   in Loop: Header=BB156_21 Depth=1
	v_mov_b32_e32 v136, 0
	v_mov_b32_e32 v144, 0
	;; [unrolled: 1-line block ×4, first 2 shown]
	s_and_b32 vcc_lo, exec_lo, s1
	s_cbranch_vccnz .LBB156_27
; %bb.26:                               ;   in Loop: Header=BB156_21 Depth=1
	global_load_dwordx2 v[2:3], v[130:131], off
	s_waitcnt vmcnt(0)
	v_mul_f64 v[144:145], s[18:19], v[2:3]
.LBB156_27:                             ;   in Loop: Header=BB156_21 Depth=1
	ds_read_b128 v[126:129], v169
	ds_read_b128 v[62:65], v169 offset:16
	ds_read_b128 v[98:101], v168
	ds_read_b128 v[34:37], v168 offset:16
	ds_read_b128 v[94:97], v168 offset:1024
	;; [unrolled: 1-line block ×29, first 2 shown]
	ds_write2st64_b64 v148, v[138:139], v[140:141] offset1:4
	ds_write2st64_b64 v148, v[134:135], v[142:143] offset0:8 offset1:12
	v_mov_b32_e32 v138, 0
	v_mov_b32_e32 v139, 0
	s_and_b32 vcc_lo, exec_lo, s1
	ds_write_b64 v164, v[144:145]
	s_waitcnt lgkmcnt(0)
	s_barrier
	buffer_gl0_inv
	s_cbranch_vccnz .LBB156_29
; %bb.28:                               ;   in Loop: Header=BB156_21 Depth=1
	v_add_co_u32 v134, vcc_lo, v172, v132
	v_add_co_ci_u32_e64 v135, null, v173, v133, vcc_lo
	s_clause 0x1
	global_load_dwordx2 v[136:137], v[134:135], off
	global_load_dwordx2 v[134:135], v[134:135], off offset:512
	s_waitcnt vmcnt(1)
	v_mul_f64 v[136:137], s[18:19], v[136:137]
	s_waitcnt vmcnt(0)
	v_mul_f64 v[138:139], s[18:19], v[134:135]
.LBB156_29:                             ;   in Loop: Header=BB156_21 Depth=1
	v_mov_b32_e32 v134, 0
	v_mov_b32_e32 v140, 0
	;; [unrolled: 1-line block ×6, first 2 shown]
	s_and_b32 vcc_lo, exec_lo, s1
	s_cbranch_vccnz .LBB156_31
; %bb.30:                               ;   in Loop: Header=BB156_21 Depth=1
	v_add_co_u32 v140, vcc_lo, v172, v132
	v_add_co_ci_u32_e64 v141, null, v173, v133, vcc_lo
	s_clause 0x1
	global_load_dwordx2 v[142:143], v[140:141], off offset:1024
	global_load_dwordx2 v[144:145], v[140:141], off offset:1536
	s_waitcnt vmcnt(1)
	v_mul_f64 v[140:141], s[18:19], v[142:143]
	s_waitcnt vmcnt(0)
	v_mul_f64 v[142:143], s[18:19], v[144:145]
.LBB156_31:                             ;   in Loop: Header=BB156_21 Depth=1
	s_and_b32 vcc_lo, exec_lo, s1
	s_cbranch_vccnz .LBB156_20
; %bb.32:                               ;   in Loop: Header=BB156_21 Depth=1
	global_load_dwordx2 v[134:135], v[130:131], off offset:32
	s_waitcnt vmcnt(0)
	v_mul_f64 v[134:135], s[18:19], v[134:135]
	s_branch .LBB156_20
.LBB156_33:
	ds_read_b128 v[124:127], v146 offset:18432
	ds_read_b128 v[68:71], v147 offset:8192
	;; [unrolled: 1-line block ×4, first 2 shown]
	s_clause 0x2
	s_load_dwordx2 s[8:9], s[4:5], 0x78
	s_load_dword s6, s[4:5], 0x70
	s_load_dword s1, s[4:5], 0x58
	v_add_nc_u32_e32 v144, s15, v1
	v_add_nc_u32_e32 v138, s14, v0
	v_ashrrev_i32_e32 v139, 31, v138
	v_add_nc_u32_e32 v0, 32, v138
	v_lshlrev_b64 v[130:131], 3, v[138:139]
	v_ashrrev_i32_e32 v1, 31, v0
	s_waitcnt lgkmcnt(0)
	v_add_f64 v[2:3], v[68:69], v[124:125]
	v_add_f64 v[4:5], v[70:71], v[126:127]
	;; [unrolled: 1-line block ×4, first 2 shown]
	s_mul_i32 s5, s9, s16
	s_mul_hi_u32 s7, s8, s16
	s_mul_i32 s4, s8, s16
	s_add_i32 s5, s7, s5
	s_mov_b32 s7, -1
	s_lshl_b64 s[4:5], s[4:5], 3
	s_add_u32 s4, s10, s4
	s_addc_u32 s5, s11, s5
	v_cvt_f32_f64_e32 v10, v[2:3]
	v_cvt_f32_f64_e32 v11, v[4:5]
	;; [unrolled: 1-line block ×4, first 2 shown]
	v_mad_i64_i32 v[2:3], null, v144, s6, 0
	v_mad_i64_i32 v[4:5], null, v144, s1, 0
	v_lshlrev_b64 v[2:3], 3, v[2:3]
	v_lshlrev_b64 v[4:5], 3, v[4:5]
	v_add_co_u32 v145, vcc_lo, s4, v2
	v_add_co_ci_u32_e64 v148, null, s5, v3, vcc_lo
	v_add_co_u32 v164, vcc_lo, s2, v4
	v_min3_f32 v8, v10, v11, v222
	v_add_co_ci_u32_e64 v165, null, s3, v5, vcc_lo
	s_mov_b32 vcc_lo, s0
	v_min3_f32 v2, v6, v7, v8
	v_max_f32_e32 v2, v2, v2
	s_cbranch_vccz .LBB156_35
; %bb.34:
	v_min_f32_e32 v3, 0, v2
	v_add_co_u32 v5, vcc_lo, v145, v130
	v_add_co_ci_u32_e64 v6, null, v148, v131, vcc_lo
	v_cvt_f64_f32_e32 v[3:4], v3
	s_mov_b32 s7, 0
	global_store_dwordx2 v[5:6], v[3:4], off
.LBB156_35:
	ds_read_b128 v[60:63], v147 offset:9216
	ds_read_b128 v[52:55], v147 offset:9232
	;; [unrolled: 1-line block ×4, first 2 shown]
	v_lshlrev_b64 v[128:129], 3, v[0:1]
	v_mov_b32_e32 v8, 0
	s_andn2_b32 vcc_lo, exec_lo, s7
	s_cbranch_vccnz .LBB156_37
; %bb.36:
	v_add_co_u32 v0, vcc_lo, v164, v130
	v_add_co_ci_u32_e64 v1, null, v165, v131, vcc_lo
	global_load_dwordx2 v[0:1], v[0:1], off
	s_waitcnt vmcnt(0)
	v_mul_f64 v[0:1], s[12:13], v[0:1]
	v_cvt_f32_f64_e32 v0, v[0:1]
	v_min_f32_e32 v0, v0, v2
	v_add_co_u32 v2, vcc_lo, v145, v130
	v_add_co_ci_u32_e64 v3, null, v148, v131, vcc_lo
	v_cvt_f64_f32_e32 v[0:1], v0
	v_add_co_u32 v4, vcc_lo, v164, v128
	v_add_co_ci_u32_e64 v5, null, v165, v129, vcc_lo
	global_store_dwordx2 v[2:3], v[0:1], off
	global_load_dwordx2 v[0:1], v[4:5], off
	s_waitcnt vmcnt(0)
	v_mul_f64 v[0:1], s[12:13], v[0:1]
	v_cvt_f32_f64_e32 v8, v[0:1]
.LBB156_37:
	s_waitcnt lgkmcnt(3)
	v_add_f64 v[0:1], v[60:61], v[124:125]
	v_add_f64 v[2:3], v[62:63], v[126:127]
	s_waitcnt lgkmcnt(2)
	v_add_f64 v[4:5], v[52:53], v[120:121]
	v_add_f64 v[6:7], v[54:55], v[122:123]
	s_waitcnt lgkmcnt(1)
	v_add_f64 v[9:10], v[50:51], v[126:127]
	v_add_f64 v[11:12], v[48:49], v[124:125]
	s_waitcnt lgkmcnt(0)
	v_add_f64 v[13:14], v[38:39], v[122:123]
	v_add_f64 v[72:73], v[36:37], v[120:121]
	v_add_nc_u32_e32 v134, 64, v138
	v_add_co_u32 v141, vcc_lo, v145, v128
	v_add_co_ci_u32_e64 v142, null, v148, v129, vcc_lo
	v_ashrrev_i32_e32 v135, 31, v134
	s_mov_b32 s7, -1
	s_mov_b32 vcc_lo, s0
	v_cvt_f32_f64_e32 v15, v[0:1]
	v_cvt_f32_f64_e32 v74, v[2:3]
	;; [unrolled: 1-line block ×8, first 2 shown]
	ds_read_b128 v[56:59], v147 offset:11264
	ds_read_b128 v[44:47], v147 offset:11280
	;; [unrolled: 1-line block ×18, first 2 shown]
	v_min3_f32 v9, v15, v74, v221
	v_min_f32_e32 v10, v75, v76
	v_min3_f32 v133, v132, v133, v220
	v_add_nc_u32_e32 v132, 0x60, v138
	v_min3_f32 v8, v8, v10, v9
	v_min3_f32 v143, v136, v137, v133
	v_lshlrev_b64 v[136:137], 3, v[134:135]
	v_ashrrev_i32_e32 v133, 31, v132
	v_cvt_f64_f32_e32 v[139:140], v8
	ds_read_b128 v[84:87], v146 offset:19712
	ds_read_b128 v[80:83], v146 offset:19728
	;; [unrolled: 1-line block ×6, first 2 shown]
	v_max_f32_e32 v135, v143, v143
	global_store_dwordx2 v[141:142], v[139:140], off
	s_cbranch_vccz .LBB156_39
; %bb.38:
	v_min_f32_e32 v134, 0, v135
	v_add_co_u32 v141, vcc_lo, v145, v136
	v_add_co_ci_u32_e64 v142, null, v148, v137, vcc_lo
	v_cvt_f64_f32_e32 v[139:140], v134
	s_mov_b32 s7, 0
	global_store_dwordx2 v[141:142], v[139:140], off
.LBB156_39:
	v_lshlrev_b64 v[132:133], 3, v[132:133]
	v_mov_b32_e32 v134, 0
	s_andn2_b32 vcc_lo, exec_lo, s7
	s_cbranch_vccnz .LBB156_41
; %bb.40:
	v_add_co_u32 v139, vcc_lo, v164, v136
	v_add_co_ci_u32_e64 v140, null, v165, v137, vcc_lo
	global_load_dwordx2 v[139:140], v[139:140], off
	s_waitcnt vmcnt(0)
	v_mul_f64 v[139:140], s[12:13], v[139:140]
	v_cvt_f32_f64_e32 v134, v[139:140]
	v_add_co_u32 v139, vcc_lo, v145, v136
	v_add_co_ci_u32_e64 v140, null, v148, v137, vcc_lo
	v_add_co_u32 v141, vcc_lo, v164, v132
	v_add_co_ci_u32_e64 v142, null, v165, v133, vcc_lo
	v_min_f32_e32 v134, v134, v135
	v_cvt_f64_f32_e32 v[134:135], v134
	global_store_dwordx2 v[139:140], v[134:135], off
	global_load_dwordx2 v[134:135], v[141:142], off
	s_waitcnt vmcnt(0)
	v_mul_f64 v[134:135], s[12:13], v[134:135]
	v_cvt_f32_f64_e32 v134, v[134:135]
.LBB156_41:
	s_waitcnt lgkmcnt(23)
	v_add_f64 v[139:140], v[56:57], v[124:125]
	v_add_f64 v[141:142], v[58:59], v[126:127]
	s_waitcnt lgkmcnt(22)
	v_add_f64 v[146:147], v[44:45], v[120:121]
	v_add_f64 v[166:167], v[46:47], v[122:123]
	;; [unrolled: 3-line block ×3, first 2 shown]
	s_waitcnt lgkmcnt(20)
	v_add_f64 v[174:175], v[32:33], v[120:121]
	s_mov_b32 s7, -1
	v_cvt_f32_f64_e32 v135, v[139:140]
	v_cvt_f32_f64_e32 v141, v[141:142]
	;; [unrolled: 1-line block ×4, first 2 shown]
	v_add_f64 v[139:140], v[34:35], v[122:123]
	v_cvt_f32_f64_e32 v166, v[172:173]
	v_cvt_f32_f64_e32 v167, v[168:169]
	;; [unrolled: 1-line block ×3, first 2 shown]
	v_min3_f32 v135, v135, v141, v218
	v_min_f32_e32 v141, v142, v143
	v_cvt_f32_f64_e32 v142, v[139:140]
	v_add_nc_u32_e32 v139, 0x80, v138
	v_min3_f32 v134, v134, v141, v135
	v_min3_f32 v135, v166, v167, v219
	v_ashrrev_i32_e32 v140, 31, v139
	v_add_co_u32 v166, vcc_lo, v145, v132
	v_cvt_f64_f32_e32 v[146:147], v134
	v_add_nc_u32_e32 v134, 0xa0, v138
	v_lshlrev_b64 v[140:141], 3, v[139:140]
	v_add_co_ci_u32_e64 v167, null, v148, v133, vcc_lo
	s_mov_b32 vcc_lo, s0
	v_min3_f32 v142, v168, v142, v135
	v_ashrrev_i32_e32 v135, 31, v134
	v_max_f32_e32 v142, v142, v142
	global_store_dwordx2 v[166:167], v[146:147], off
	s_cbranch_vccz .LBB156_43
; %bb.42:
	v_min_f32_e32 v139, 0, v142
	v_add_co_u32 v166, vcc_lo, v145, v140
	v_add_co_ci_u32_e64 v167, null, v148, v141, vcc_lo
	v_cvt_f64_f32_e32 v[146:147], v139
	s_mov_b32 s7, 0
	global_store_dwordx2 v[166:167], v[146:147], off
.LBB156_43:
	v_lshlrev_b64 v[134:135], 3, v[134:135]
	v_mov_b32_e32 v139, 0
	s_andn2_b32 vcc_lo, exec_lo, s7
	s_cbranch_vccnz .LBB156_45
; %bb.44:
	v_add_co_u32 v146, vcc_lo, v164, v140
	v_add_co_ci_u32_e64 v147, null, v165, v141, vcc_lo
	global_load_dwordx2 v[146:147], v[146:147], off
	s_waitcnt vmcnt(0)
	v_mul_f64 v[146:147], s[12:13], v[146:147]
	v_cvt_f32_f64_e32 v139, v[146:147]
	v_add_co_u32 v146, vcc_lo, v145, v140
	v_add_co_ci_u32_e64 v147, null, v148, v141, vcc_lo
	v_add_co_u32 v166, vcc_lo, v164, v134
	v_add_co_ci_u32_e64 v167, null, v165, v135, vcc_lo
	v_min_f32_e32 v139, v139, v142
	v_cvt_f64_f32_e32 v[142:143], v139
	global_store_dwordx2 v[146:147], v[142:143], off
	global_load_dwordx2 v[142:143], v[166:167], off
	s_waitcnt vmcnt(0)
	v_mul_f64 v[142:143], s[12:13], v[142:143]
	v_cvt_f32_f64_e32 v139, v[142:143]
.LBB156_45:
	s_waitcnt lgkmcnt(19)
	v_add_f64 v[142:143], v[28:29], v[124:125]
	v_add_f64 v[146:147], v[30:31], v[126:127]
	s_waitcnt lgkmcnt(18)
	v_add_f64 v[166:167], v[24:25], v[120:121]
	v_add_f64 v[168:169], v[26:27], v[122:123]
	;; [unrolled: 3-line block ×3, first 2 shown]
	s_waitcnt lgkmcnt(16)
	v_add_f64 v[218:219], v[16:17], v[120:121]
	s_mov_b32 s7, -1
	v_cvt_f32_f64_e32 v220, v[142:143]
	v_cvt_f32_f64_e32 v146, v[146:147]
	;; [unrolled: 1-line block ×4, first 2 shown]
	v_add_f64 v[142:143], v[18:19], v[122:123]
	v_cvt_f32_f64_e32 v168, v[174:175]
	v_cvt_f32_f64_e32 v169, v[172:173]
	;; [unrolled: 1-line block ×3, first 2 shown]
	v_min3_f32 v146, v220, v146, v216
	v_min_f32_e32 v147, v147, v166
	v_cvt_f32_f64_e32 v173, v[142:143]
	v_add_nc_u32_e32 v142, 0xc0, v138
	v_add_nc_u32_e32 v138, 0xe0, v138
	v_min3_f32 v139, v139, v147, v146
	v_ashrrev_i32_e32 v143, 31, v142
	v_cvt_f64_f32_e32 v[166:167], v139
	v_min3_f32 v139, v168, v169, v217
	v_add_co_u32 v168, vcc_lo, v145, v134
	v_lshlrev_b64 v[142:143], 3, v[142:143]
	v_add_co_ci_u32_e64 v169, null, v148, v135, vcc_lo
	s_mov_b32 vcc_lo, s0
	v_min3_f32 v146, v172, v173, v139
	v_ashrrev_i32_e32 v139, 31, v138
	v_max_f32_e32 v147, v146, v146
	global_store_dwordx2 v[168:169], v[166:167], off
	s_cbranch_vccz .LBB156_47
; %bb.46:
	v_min_f32_e32 v146, 0, v147
	v_add_co_u32 v168, vcc_lo, v145, v142
	v_add_co_ci_u32_e64 v169, null, v148, v143, vcc_lo
	v_cvt_f64_f32_e32 v[166:167], v146
	s_mov_b32 s7, 0
	global_store_dwordx2 v[168:169], v[166:167], off
.LBB156_47:
	v_lshlrev_b64 v[138:139], 3, v[138:139]
	v_mov_b32_e32 v146, 0
	s_andn2_b32 vcc_lo, exec_lo, s7
	s_cbranch_vccnz .LBB156_49
; %bb.48:
	v_add_co_u32 v166, vcc_lo, v164, v142
	v_add_co_ci_u32_e64 v167, null, v165, v143, vcc_lo
	global_load_dwordx2 v[166:167], v[166:167], off
	s_waitcnt vmcnt(0)
	v_mul_f64 v[166:167], s[12:13], v[166:167]
	v_cvt_f32_f64_e32 v146, v[166:167]
	v_add_co_u32 v166, vcc_lo, v145, v142
	v_add_co_ci_u32_e64 v167, null, v148, v143, vcc_lo
	v_add_co_u32 v164, vcc_lo, v164, v138
	v_add_co_ci_u32_e64 v165, null, v165, v139, vcc_lo
	v_min_f32_e32 v146, v146, v147
	v_cvt_f64_f32_e32 v[146:147], v146
	global_store_dwordx2 v[166:167], v[146:147], off
	global_load_dwordx2 v[146:147], v[164:165], off
	s_waitcnt vmcnt(0)
	v_mul_f64 v[146:147], s[12:13], v[146:147]
	v_cvt_f32_f64_e32 v146, v[146:147]
.LBB156_49:
	s_waitcnt lgkmcnt(15)
	v_add_f64 v[124:125], v[0:1], v[124:125]
	v_add_f64 v[126:127], v[2:3], v[126:127]
	s_waitcnt lgkmcnt(14)
	v_add_f64 v[120:121], v[4:5], v[120:121]
	v_add_f64 v[122:123], v[6:7], v[122:123]
	;; [unrolled: 3-line block ×3, first 2 shown]
	v_add_co_u32 v145, vcc_lo, v145, v138
	s_mov_b32 s7, -1
	v_cvt_f32_f64_e32 v124, v[124:125]
	v_cvt_f32_f64_e32 v125, v[126:127]
	v_cvt_f32_f64_e32 v126, v[120:121]
	v_cvt_f32_f64_e32 v127, v[122:123]
	s_waitcnt lgkmcnt(12)
	v_add_f64 v[120:121], v[64:65], v[112:113]
	v_add_f64 v[122:123], v[66:67], v[114:115]
	v_cvt_f32_f64_e32 v147, v[166:167]
	v_cvt_f32_f64_e32 v164, v[164:165]
	v_add_nc_u32_e32 v165, 8, v144
	v_min3_f32 v124, v124, v125, v214
	v_min_f32_e32 v125, v126, v127
	v_cvt_f32_f64_e32 v166, v[120:121]
	v_cvt_f32_f64_e32 v167, v[122:123]
	v_mad_i64_i32 v[120:121], null, v165, s6, 0
	v_min3_f32 v122, v146, v125, v124
	v_min3_f32 v124, v147, v164, v215
	v_add_co_ci_u32_e64 v146, null, v148, v139, vcc_lo
	v_cvt_f64_f32_e32 v[126:127], v122
	v_mad_i64_i32 v[122:123], null, v165, s1, 0
	v_lshlrev_b64 v[120:121], 3, v[120:121]
	v_add_co_u32 v120, vcc_lo, s4, v120
	v_lshlrev_b64 v[122:123], 3, v[122:123]
	v_add_co_ci_u32_e64 v121, null, s5, v121, vcc_lo
	v_min3_f32 v124, v166, v167, v124
	v_add_co_u32 v122, vcc_lo, s2, v122
	v_add_co_ci_u32_e64 v123, null, s3, v123, vcc_lo
	v_max_f32_e32 v125, v124, v124
	s_mov_b32 vcc_lo, s0
	global_store_dwordx2 v[145:146], v[126:127], off
	s_cbranch_vccz .LBB156_51
; %bb.50:
	v_min_f32_e32 v124, 0, v125
	v_add_co_u32 v145, vcc_lo, v120, v130
	v_add_co_ci_u32_e64 v146, null, v121, v131, vcc_lo
	v_cvt_f64_f32_e32 v[126:127], v124
	s_mov_b32 s7, 0
	global_store_dwordx2 v[145:146], v[126:127], off
.LBB156_51:
	v_mov_b32_e32 v124, 0
	s_andn2_b32 vcc_lo, exec_lo, s7
	s_cbranch_vccnz .LBB156_53
; %bb.52:
	v_add_co_u32 v126, vcc_lo, v122, v130
	v_add_co_ci_u32_e64 v127, null, v123, v131, vcc_lo
	global_load_dwordx2 v[126:127], v[126:127], off
	s_waitcnt vmcnt(0)
	v_mul_f64 v[126:127], s[12:13], v[126:127]
	v_cvt_f32_f64_e32 v124, v[126:127]
	v_add_co_u32 v126, vcc_lo, v120, v130
	v_add_co_ci_u32_e64 v127, null, v121, v131, vcc_lo
	v_add_co_u32 v145, vcc_lo, v122, v128
	v_add_co_ci_u32_e64 v146, null, v123, v129, vcc_lo
	v_min_f32_e32 v124, v124, v125
	v_cvt_f64_f32_e32 v[124:125], v124
	global_store_dwordx2 v[126:127], v[124:125], off
	global_load_dwordx2 v[124:125], v[145:146], off
	s_waitcnt vmcnt(0)
	v_mul_f64 v[124:125], s[12:13], v[124:125]
	v_cvt_f32_f64_e32 v124, v[124:125]
.LBB156_53:
	v_add_f64 v[125:126], v[60:61], v[116:117]
	v_add_f64 v[145:146], v[62:63], v[118:119]
	v_add_f64 v[147:148], v[52:53], v[112:113]
	v_add_f64 v[164:165], v[54:55], v[114:115]
	v_add_f64 v[166:167], v[50:51], v[118:119]
	v_add_f64 v[168:169], v[48:49], v[116:117]
	v_add_f64 v[172:173], v[36:37], v[112:113]
	s_mov_b32 s7, -1
	v_cvt_f32_f64_e32 v127, v[125:126]
	v_cvt_f32_f64_e32 v145, v[145:146]
	v_cvt_f32_f64_e32 v146, v[147:148]
	v_cvt_f32_f64_e32 v147, v[164:165]
	v_add_f64 v[125:126], v[38:39], v[114:115]
	v_cvt_f32_f64_e32 v148, v[168:169]
	v_cvt_f32_f64_e32 v164, v[166:167]
	v_cvt_f32_f64_e32 v165, v[172:173]
	v_min3_f32 v127, v127, v145, v212
	v_min_f32_e32 v145, v146, v147
	v_cvt_f32_f64_e32 v125, v[125:126]
	v_min3_f32 v124, v124, v145, v127
	v_add_co_u32 v145, vcc_lo, v120, v128
	v_add_co_ci_u32_e64 v146, null, v121, v129, vcc_lo
	v_cvt_f64_f32_e32 v[126:127], v124
	v_min3_f32 v124, v148, v164, v213
	s_mov_b32 vcc_lo, s0
	v_min3_f32 v124, v165, v125, v124
	v_max_f32_e32 v125, v124, v124
	global_store_dwordx2 v[145:146], v[126:127], off
	s_cbranch_vccz .LBB156_55
; %bb.54:
	v_min_f32_e32 v124, 0, v125
	v_add_co_u32 v145, vcc_lo, v120, v136
	v_add_co_ci_u32_e64 v146, null, v121, v137, vcc_lo
	v_cvt_f64_f32_e32 v[126:127], v124
	s_mov_b32 s7, 0
	global_store_dwordx2 v[145:146], v[126:127], off
.LBB156_55:
	v_mov_b32_e32 v124, 0
	s_andn2_b32 vcc_lo, exec_lo, s7
	s_cbranch_vccnz .LBB156_57
; %bb.56:
	v_add_co_u32 v126, vcc_lo, v122, v136
	v_add_co_ci_u32_e64 v127, null, v123, v137, vcc_lo
	global_load_dwordx2 v[126:127], v[126:127], off
	s_waitcnt vmcnt(0)
	v_mul_f64 v[126:127], s[12:13], v[126:127]
	v_cvt_f32_f64_e32 v124, v[126:127]
	v_add_co_u32 v126, vcc_lo, v120, v136
	v_add_co_ci_u32_e64 v127, null, v121, v137, vcc_lo
	v_add_co_u32 v145, vcc_lo, v122, v132
	v_add_co_ci_u32_e64 v146, null, v123, v133, vcc_lo
	v_min_f32_e32 v124, v124, v125
	v_cvt_f64_f32_e32 v[124:125], v124
	global_store_dwordx2 v[126:127], v[124:125], off
	global_load_dwordx2 v[124:125], v[145:146], off
	s_waitcnt vmcnt(0)
	v_mul_f64 v[124:125], s[12:13], v[124:125]
	v_cvt_f32_f64_e32 v124, v[124:125]
.LBB156_57:
	v_add_f64 v[125:126], v[56:57], v[116:117]
	v_add_f64 v[145:146], v[58:59], v[118:119]
	v_add_f64 v[147:148], v[44:45], v[112:113]
	v_add_f64 v[164:165], v[46:47], v[114:115]
	v_add_f64 v[166:167], v[42:43], v[118:119]
	v_add_f64 v[168:169], v[40:41], v[116:117]
	v_add_f64 v[172:173], v[32:33], v[112:113]
	s_mov_b32 s7, -1
	v_cvt_f32_f64_e32 v127, v[125:126]
	v_cvt_f32_f64_e32 v145, v[145:146]
	v_cvt_f32_f64_e32 v146, v[147:148]
	v_cvt_f32_f64_e32 v147, v[164:165]
	v_add_f64 v[125:126], v[34:35], v[114:115]
	v_cvt_f32_f64_e32 v148, v[168:169]
	v_cvt_f32_f64_e32 v164, v[166:167]
	v_cvt_f32_f64_e32 v165, v[172:173]
	v_min3_f32 v127, v127, v145, v210
	v_min_f32_e32 v145, v146, v147
	v_cvt_f32_f64_e32 v125, v[125:126]
	v_min3_f32 v124, v124, v145, v127
	v_add_co_u32 v145, vcc_lo, v120, v132
	v_add_co_ci_u32_e64 v146, null, v121, v133, vcc_lo
	v_cvt_f64_f32_e32 v[126:127], v124
	v_min3_f32 v124, v148, v164, v211
	s_mov_b32 vcc_lo, s0
	v_min3_f32 v124, v165, v125, v124
	v_max_f32_e32 v125, v124, v124
	;; [unrolled: 59-line block ×3, first 2 shown]
	global_store_dwordx2 v[145:146], v[126:127], off
	s_cbranch_vccz .LBB156_63
; %bb.62:
	v_min_f32_e32 v124, 0, v125
	v_add_co_u32 v145, vcc_lo, v120, v142
	v_add_co_ci_u32_e64 v146, null, v121, v143, vcc_lo
	v_cvt_f64_f32_e32 v[126:127], v124
	s_mov_b32 s7, 0
	global_store_dwordx2 v[145:146], v[126:127], off
.LBB156_63:
	v_mov_b32_e32 v124, 0
	s_andn2_b32 vcc_lo, exec_lo, s7
	s_cbranch_vccnz .LBB156_65
; %bb.64:
	v_add_co_u32 v126, vcc_lo, v122, v142
	v_add_co_ci_u32_e64 v127, null, v123, v143, vcc_lo
	global_load_dwordx2 v[126:127], v[126:127], off
	s_waitcnt vmcnt(0)
	v_mul_f64 v[126:127], s[12:13], v[126:127]
	v_cvt_f32_f64_e32 v124, v[126:127]
	v_add_co_u32 v126, vcc_lo, v120, v142
	v_add_co_ci_u32_e64 v127, null, v121, v143, vcc_lo
	v_add_co_u32 v122, vcc_lo, v122, v138
	v_add_co_ci_u32_e64 v123, null, v123, v139, vcc_lo
	v_min_f32_e32 v124, v124, v125
	v_cvt_f64_f32_e32 v[124:125], v124
	global_store_dwordx2 v[126:127], v[124:125], off
	global_load_dwordx2 v[122:123], v[122:123], off
	s_waitcnt vmcnt(0)
	v_mul_f64 v[122:123], s[12:13], v[122:123]
	v_cvt_f32_f64_e32 v124, v[122:123]
.LBB156_65:
	v_add_f64 v[116:117], v[0:1], v[116:117]
	v_add_f64 v[118:119], v[2:3], v[118:119]
	;; [unrolled: 1-line block ×4, first 2 shown]
	s_waitcnt lgkmcnt(11)
	v_add_f64 v[122:123], v[70:71], v[110:111]
	v_add_f64 v[125:126], v[68:69], v[108:109]
	v_add_co_u32 v120, vcc_lo, v120, v138
	v_add_co_ci_u32_e64 v121, null, v121, v139, vcc_lo
	s_mov_b32 s7, -1
	v_cvt_f32_f64_e32 v116, v[116:117]
	v_cvt_f32_f64_e32 v117, v[118:119]
	;; [unrolled: 1-line block ×4, first 2 shown]
	s_waitcnt lgkmcnt(10)
	v_add_f64 v[112:113], v[64:65], v[104:105]
	v_add_f64 v[114:115], v[66:67], v[106:107]
	v_cvt_f32_f64_e32 v125, v[125:126]
	v_cvt_f32_f64_e32 v122, v[122:123]
	v_add_nc_u32_e32 v123, 16, v144
	v_min3_f32 v116, v116, v117, v206
	v_min_f32_e32 v117, v118, v119
	v_cvt_f32_f64_e32 v126, v[112:113]
	v_cvt_f32_f64_e32 v127, v[114:115]
	v_mad_i64_i32 v[112:113], null, v123, s6, 0
	v_min3_f32 v114, v124, v117, v116
	v_min3_f32 v116, v125, v122, v207
	v_cvt_f64_f32_e32 v[118:119], v114
	v_mad_i64_i32 v[114:115], null, v123, s1, 0
	v_lshlrev_b64 v[112:113], 3, v[112:113]
	v_add_co_u32 v112, vcc_lo, s4, v112
	v_lshlrev_b64 v[114:115], 3, v[114:115]
	v_add_co_ci_u32_e64 v113, null, s5, v113, vcc_lo
	v_min3_f32 v116, v126, v127, v116
	v_add_co_u32 v114, vcc_lo, s2, v114
	v_add_co_ci_u32_e64 v115, null, s3, v115, vcc_lo
	v_max_f32_e32 v117, v116, v116
	s_mov_b32 vcc_lo, s0
	global_store_dwordx2 v[120:121], v[118:119], off
	s_cbranch_vccz .LBB156_67
; %bb.66:
	v_min_f32_e32 v116, 0, v117
	v_add_co_u32 v120, vcc_lo, v112, v130
	v_add_co_ci_u32_e64 v121, null, v113, v131, vcc_lo
	v_cvt_f64_f32_e32 v[118:119], v116
	s_mov_b32 s7, 0
	global_store_dwordx2 v[120:121], v[118:119], off
.LBB156_67:
	v_mov_b32_e32 v116, 0
	s_andn2_b32 vcc_lo, exec_lo, s7
	s_cbranch_vccnz .LBB156_69
; %bb.68:
	v_add_co_u32 v118, vcc_lo, v114, v130
	v_add_co_ci_u32_e64 v119, null, v115, v131, vcc_lo
	global_load_dwordx2 v[118:119], v[118:119], off
	s_waitcnt vmcnt(0)
	v_mul_f64 v[118:119], s[12:13], v[118:119]
	v_cvt_f32_f64_e32 v116, v[118:119]
	v_add_co_u32 v118, vcc_lo, v112, v130
	v_add_co_ci_u32_e64 v119, null, v113, v131, vcc_lo
	v_add_co_u32 v120, vcc_lo, v114, v128
	v_add_co_ci_u32_e64 v121, null, v115, v129, vcc_lo
	v_min_f32_e32 v116, v116, v117
	v_cvt_f64_f32_e32 v[116:117], v116
	global_store_dwordx2 v[118:119], v[116:117], off
	global_load_dwordx2 v[116:117], v[120:121], off
	s_waitcnt vmcnt(0)
	v_mul_f64 v[116:117], s[12:13], v[116:117]
	v_cvt_f32_f64_e32 v116, v[116:117]
.LBB156_69:
	v_add_f64 v[117:118], v[60:61], v[108:109]
	v_add_f64 v[119:120], v[62:63], v[110:111]
	v_add_f64 v[121:122], v[52:53], v[104:105]
	v_add_f64 v[123:124], v[54:55], v[106:107]
	v_add_f64 v[125:126], v[50:51], v[110:111]
	v_add_f64 v[145:146], v[48:49], v[108:109]
	v_add_f64 v[147:148], v[36:37], v[104:105]
	s_mov_b32 s7, -1
	v_cvt_f32_f64_e32 v127, v[117:118]
	v_cvt_f32_f64_e32 v119, v[119:120]
	v_cvt_f32_f64_e32 v120, v[121:122]
	v_cvt_f32_f64_e32 v121, v[123:124]
	v_add_f64 v[117:118], v[38:39], v[106:107]
	v_cvt_f32_f64_e32 v122, v[145:146]
	v_cvt_f32_f64_e32 v123, v[125:126]
	v_cvt_f32_f64_e32 v124, v[147:148]
	v_min3_f32 v119, v127, v119, v204
	v_min_f32_e32 v120, v120, v121
	v_cvt_f32_f64_e32 v117, v[117:118]
	v_min3_f32 v116, v116, v120, v119
	v_add_co_u32 v120, vcc_lo, v112, v128
	v_add_co_ci_u32_e64 v121, null, v113, v129, vcc_lo
	v_cvt_f64_f32_e32 v[118:119], v116
	v_min3_f32 v116, v122, v123, v205
	s_mov_b32 vcc_lo, s0
	v_min3_f32 v116, v124, v117, v116
	v_max_f32_e32 v117, v116, v116
	global_store_dwordx2 v[120:121], v[118:119], off
	s_cbranch_vccz .LBB156_71
; %bb.70:
	v_min_f32_e32 v116, 0, v117
	v_add_co_u32 v120, vcc_lo, v112, v136
	v_add_co_ci_u32_e64 v121, null, v113, v137, vcc_lo
	v_cvt_f64_f32_e32 v[118:119], v116
	s_mov_b32 s7, 0
	global_store_dwordx2 v[120:121], v[118:119], off
.LBB156_71:
	v_mov_b32_e32 v116, 0
	s_andn2_b32 vcc_lo, exec_lo, s7
	s_cbranch_vccnz .LBB156_73
; %bb.72:
	v_add_co_u32 v118, vcc_lo, v114, v136
	v_add_co_ci_u32_e64 v119, null, v115, v137, vcc_lo
	global_load_dwordx2 v[118:119], v[118:119], off
	s_waitcnt vmcnt(0)
	v_mul_f64 v[118:119], s[12:13], v[118:119]
	v_cvt_f32_f64_e32 v116, v[118:119]
	v_add_co_u32 v118, vcc_lo, v112, v136
	v_add_co_ci_u32_e64 v119, null, v113, v137, vcc_lo
	v_add_co_u32 v120, vcc_lo, v114, v132
	v_add_co_ci_u32_e64 v121, null, v115, v133, vcc_lo
	v_min_f32_e32 v116, v116, v117
	v_cvt_f64_f32_e32 v[116:117], v116
	global_store_dwordx2 v[118:119], v[116:117], off
	global_load_dwordx2 v[116:117], v[120:121], off
	s_waitcnt vmcnt(0)
	v_mul_f64 v[116:117], s[12:13], v[116:117]
	v_cvt_f32_f64_e32 v116, v[116:117]
.LBB156_73:
	v_add_f64 v[117:118], v[56:57], v[108:109]
	v_add_f64 v[119:120], v[58:59], v[110:111]
	v_add_f64 v[121:122], v[44:45], v[104:105]
	v_add_f64 v[123:124], v[46:47], v[106:107]
	v_add_f64 v[125:126], v[42:43], v[110:111]
	v_add_f64 v[145:146], v[40:41], v[108:109]
	v_add_f64 v[147:148], v[32:33], v[104:105]
	s_mov_b32 s7, -1
	v_cvt_f32_f64_e32 v127, v[117:118]
	v_cvt_f32_f64_e32 v119, v[119:120]
	v_cvt_f32_f64_e32 v120, v[121:122]
	v_cvt_f32_f64_e32 v121, v[123:124]
	v_add_f64 v[117:118], v[34:35], v[106:107]
	v_cvt_f32_f64_e32 v122, v[145:146]
	v_cvt_f32_f64_e32 v123, v[125:126]
	v_cvt_f32_f64_e32 v124, v[147:148]
	v_min3_f32 v119, v127, v119, v202
	v_min_f32_e32 v120, v120, v121
	v_cvt_f32_f64_e32 v117, v[117:118]
	v_min3_f32 v116, v116, v120, v119
	v_add_co_u32 v120, vcc_lo, v112, v132
	v_add_co_ci_u32_e64 v121, null, v113, v133, vcc_lo
	v_cvt_f64_f32_e32 v[118:119], v116
	v_min3_f32 v116, v122, v123, v203
	s_mov_b32 vcc_lo, s0
	v_min3_f32 v116, v124, v117, v116
	v_max_f32_e32 v117, v116, v116
	;; [unrolled: 59-line block ×3, first 2 shown]
	global_store_dwordx2 v[120:121], v[118:119], off
	s_cbranch_vccz .LBB156_79
; %bb.78:
	v_min_f32_e32 v116, 0, v117
	v_add_co_u32 v120, vcc_lo, v112, v142
	v_add_co_ci_u32_e64 v121, null, v113, v143, vcc_lo
	v_cvt_f64_f32_e32 v[118:119], v116
	s_mov_b32 s7, 0
	global_store_dwordx2 v[120:121], v[118:119], off
.LBB156_79:
	v_mov_b32_e32 v116, 0
	s_andn2_b32 vcc_lo, exec_lo, s7
	s_cbranch_vccnz .LBB156_81
; %bb.80:
	v_add_co_u32 v118, vcc_lo, v114, v142
	v_add_co_ci_u32_e64 v119, null, v115, v143, vcc_lo
	global_load_dwordx2 v[118:119], v[118:119], off
	s_waitcnt vmcnt(0)
	v_mul_f64 v[118:119], s[12:13], v[118:119]
	v_cvt_f32_f64_e32 v116, v[118:119]
	v_add_co_u32 v118, vcc_lo, v112, v142
	v_add_co_ci_u32_e64 v119, null, v113, v143, vcc_lo
	v_add_co_u32 v114, vcc_lo, v114, v138
	v_add_co_ci_u32_e64 v115, null, v115, v139, vcc_lo
	v_min_f32_e32 v116, v116, v117
	v_cvt_f64_f32_e32 v[116:117], v116
	global_store_dwordx2 v[118:119], v[116:117], off
	global_load_dwordx2 v[114:115], v[114:115], off
	s_waitcnt vmcnt(0)
	v_mul_f64 v[114:115], s[12:13], v[114:115]
	v_cvt_f32_f64_e32 v116, v[114:115]
.LBB156_81:
	v_add_f64 v[108:109], v[0:1], v[108:109]
	v_add_f64 v[110:111], v[2:3], v[110:111]
	;; [unrolled: 1-line block ×4, first 2 shown]
	s_waitcnt lgkmcnt(9)
	v_add_f64 v[114:115], v[70:71], v[102:103]
	v_add_f64 v[117:118], v[68:69], v[100:101]
	v_add_co_u32 v112, vcc_lo, v112, v138
	v_add_co_ci_u32_e64 v113, null, v113, v139, vcc_lo
	s_mov_b32 s7, -1
	v_cvt_f32_f64_e32 v108, v[108:109]
	v_cvt_f32_f64_e32 v109, v[110:111]
	v_cvt_f32_f64_e32 v110, v[104:105]
	v_cvt_f32_f64_e32 v111, v[106:107]
	s_waitcnt lgkmcnt(8)
	v_add_f64 v[104:105], v[64:65], v[96:97]
	v_add_f64 v[106:107], v[66:67], v[98:99]
	v_cvt_f32_f64_e32 v117, v[117:118]
	v_cvt_f32_f64_e32 v114, v[114:115]
	v_add_nc_u32_e32 v115, 24, v144
	v_min3_f32 v108, v108, v109, v198
	v_min_f32_e32 v109, v110, v111
	v_cvt_f32_f64_e32 v118, v[104:105]
	v_cvt_f32_f64_e32 v119, v[106:107]
	v_mad_i64_i32 v[104:105], null, v115, s6, 0
	v_min3_f32 v106, v116, v109, v108
	v_min3_f32 v108, v117, v114, v199
	v_cvt_f64_f32_e32 v[110:111], v106
	v_mad_i64_i32 v[106:107], null, v115, s1, 0
	v_lshlrev_b64 v[104:105], 3, v[104:105]
	v_add_co_u32 v104, vcc_lo, s4, v104
	v_lshlrev_b64 v[106:107], 3, v[106:107]
	v_add_co_ci_u32_e64 v105, null, s5, v105, vcc_lo
	v_min3_f32 v108, v118, v119, v108
	v_add_co_u32 v106, vcc_lo, s2, v106
	v_add_co_ci_u32_e64 v107, null, s3, v107, vcc_lo
	v_max_f32_e32 v109, v108, v108
	s_mov_b32 vcc_lo, s0
	global_store_dwordx2 v[112:113], v[110:111], off
	s_cbranch_vccz .LBB156_83
; %bb.82:
	v_min_f32_e32 v108, 0, v109
	v_add_co_u32 v112, vcc_lo, v104, v130
	v_add_co_ci_u32_e64 v113, null, v105, v131, vcc_lo
	v_cvt_f64_f32_e32 v[110:111], v108
	s_mov_b32 s7, 0
	global_store_dwordx2 v[112:113], v[110:111], off
.LBB156_83:
	v_mov_b32_e32 v108, 0
	s_andn2_b32 vcc_lo, exec_lo, s7
	s_cbranch_vccnz .LBB156_85
; %bb.84:
	v_add_co_u32 v110, vcc_lo, v106, v130
	v_add_co_ci_u32_e64 v111, null, v107, v131, vcc_lo
	global_load_dwordx2 v[110:111], v[110:111], off
	s_waitcnt vmcnt(0)
	v_mul_f64 v[110:111], s[12:13], v[110:111]
	v_cvt_f32_f64_e32 v108, v[110:111]
	v_add_co_u32 v110, vcc_lo, v104, v130
	v_add_co_ci_u32_e64 v111, null, v105, v131, vcc_lo
	v_add_co_u32 v112, vcc_lo, v106, v128
	v_add_co_ci_u32_e64 v113, null, v107, v129, vcc_lo
	v_min_f32_e32 v108, v108, v109
	v_cvt_f64_f32_e32 v[108:109], v108
	global_store_dwordx2 v[110:111], v[108:109], off
	global_load_dwordx2 v[108:109], v[112:113], off
	s_waitcnt vmcnt(0)
	v_mul_f64 v[108:109], s[12:13], v[108:109]
	v_cvt_f32_f64_e32 v108, v[108:109]
.LBB156_85:
	v_add_f64 v[109:110], v[60:61], v[100:101]
	v_add_f64 v[111:112], v[62:63], v[102:103]
	v_add_f64 v[113:114], v[52:53], v[96:97]
	v_add_f64 v[115:116], v[54:55], v[98:99]
	v_add_f64 v[117:118], v[50:51], v[102:103]
	v_add_f64 v[119:120], v[48:49], v[100:101]
	v_add_f64 v[121:122], v[36:37], v[96:97]
	s_mov_b32 s7, -1
	v_cvt_f32_f64_e32 v123, v[109:110]
	v_cvt_f32_f64_e32 v111, v[111:112]
	v_cvt_f32_f64_e32 v112, v[113:114]
	v_cvt_f32_f64_e32 v113, v[115:116]
	v_add_f64 v[109:110], v[38:39], v[98:99]
	v_cvt_f32_f64_e32 v114, v[119:120]
	v_cvt_f32_f64_e32 v115, v[117:118]
	v_cvt_f32_f64_e32 v116, v[121:122]
	v_min3_f32 v111, v123, v111, v196
	v_min_f32_e32 v112, v112, v113
	v_cvt_f32_f64_e32 v109, v[109:110]
	v_min3_f32 v108, v108, v112, v111
	v_add_co_u32 v112, vcc_lo, v104, v128
	v_add_co_ci_u32_e64 v113, null, v105, v129, vcc_lo
	v_cvt_f64_f32_e32 v[110:111], v108
	v_min3_f32 v108, v114, v115, v197
	s_mov_b32 vcc_lo, s0
	v_min3_f32 v108, v116, v109, v108
	v_max_f32_e32 v109, v108, v108
	global_store_dwordx2 v[112:113], v[110:111], off
	s_cbranch_vccz .LBB156_87
; %bb.86:
	v_min_f32_e32 v108, 0, v109
	v_add_co_u32 v112, vcc_lo, v104, v136
	v_add_co_ci_u32_e64 v113, null, v105, v137, vcc_lo
	v_cvt_f64_f32_e32 v[110:111], v108
	s_mov_b32 s7, 0
	global_store_dwordx2 v[112:113], v[110:111], off
.LBB156_87:
	v_mov_b32_e32 v108, 0
	s_andn2_b32 vcc_lo, exec_lo, s7
	s_cbranch_vccnz .LBB156_89
; %bb.88:
	v_add_co_u32 v110, vcc_lo, v106, v136
	v_add_co_ci_u32_e64 v111, null, v107, v137, vcc_lo
	global_load_dwordx2 v[110:111], v[110:111], off
	s_waitcnt vmcnt(0)
	v_mul_f64 v[110:111], s[12:13], v[110:111]
	v_cvt_f32_f64_e32 v108, v[110:111]
	v_add_co_u32 v110, vcc_lo, v104, v136
	v_add_co_ci_u32_e64 v111, null, v105, v137, vcc_lo
	v_add_co_u32 v112, vcc_lo, v106, v132
	v_add_co_ci_u32_e64 v113, null, v107, v133, vcc_lo
	v_min_f32_e32 v108, v108, v109
	v_cvt_f64_f32_e32 v[108:109], v108
	global_store_dwordx2 v[110:111], v[108:109], off
	global_load_dwordx2 v[108:109], v[112:113], off
	s_waitcnt vmcnt(0)
	v_mul_f64 v[108:109], s[12:13], v[108:109]
	v_cvt_f32_f64_e32 v108, v[108:109]
.LBB156_89:
	v_add_f64 v[109:110], v[56:57], v[100:101]
	v_add_f64 v[111:112], v[58:59], v[102:103]
	v_add_f64 v[113:114], v[44:45], v[96:97]
	v_add_f64 v[115:116], v[46:47], v[98:99]
	v_add_f64 v[117:118], v[42:43], v[102:103]
	v_add_f64 v[119:120], v[40:41], v[100:101]
	v_add_f64 v[121:122], v[32:33], v[96:97]
	s_mov_b32 s7, -1
	v_cvt_f32_f64_e32 v123, v[109:110]
	v_cvt_f32_f64_e32 v111, v[111:112]
	v_cvt_f32_f64_e32 v112, v[113:114]
	v_cvt_f32_f64_e32 v113, v[115:116]
	v_add_f64 v[109:110], v[34:35], v[98:99]
	v_cvt_f32_f64_e32 v114, v[119:120]
	v_cvt_f32_f64_e32 v115, v[117:118]
	v_cvt_f32_f64_e32 v116, v[121:122]
	v_min3_f32 v111, v123, v111, v195
	v_min_f32_e32 v112, v112, v113
	v_cvt_f32_f64_e32 v109, v[109:110]
	v_min3_f32 v108, v108, v112, v111
	v_add_co_u32 v112, vcc_lo, v104, v132
	v_add_co_ci_u32_e64 v113, null, v105, v133, vcc_lo
	v_cvt_f64_f32_e32 v[110:111], v108
	v_min3_f32 v108, v114, v115, v194
	s_mov_b32 vcc_lo, s0
	v_min3_f32 v108, v116, v109, v108
	v_max_f32_e32 v109, v108, v108
	;; [unrolled: 59-line block ×3, first 2 shown]
	global_store_dwordx2 v[112:113], v[110:111], off
	s_cbranch_vccz .LBB156_95
; %bb.94:
	v_min_f32_e32 v108, 0, v109
	v_add_co_u32 v112, vcc_lo, v104, v142
	v_add_co_ci_u32_e64 v113, null, v105, v143, vcc_lo
	v_cvt_f64_f32_e32 v[110:111], v108
	s_mov_b32 s7, 0
	global_store_dwordx2 v[112:113], v[110:111], off
.LBB156_95:
	v_mov_b32_e32 v108, 0
	s_andn2_b32 vcc_lo, exec_lo, s7
	s_cbranch_vccnz .LBB156_97
; %bb.96:
	v_add_co_u32 v110, vcc_lo, v106, v142
	v_add_co_ci_u32_e64 v111, null, v107, v143, vcc_lo
	global_load_dwordx2 v[110:111], v[110:111], off
	s_waitcnt vmcnt(0)
	v_mul_f64 v[110:111], s[12:13], v[110:111]
	v_cvt_f32_f64_e32 v108, v[110:111]
	v_add_co_u32 v110, vcc_lo, v104, v142
	v_add_co_ci_u32_e64 v111, null, v105, v143, vcc_lo
	v_add_co_u32 v106, vcc_lo, v106, v138
	v_add_co_ci_u32_e64 v107, null, v107, v139, vcc_lo
	v_min_f32_e32 v108, v108, v109
	v_cvt_f64_f32_e32 v[108:109], v108
	global_store_dwordx2 v[110:111], v[108:109], off
	global_load_dwordx2 v[106:107], v[106:107], off
	s_waitcnt vmcnt(0)
	v_mul_f64 v[106:107], s[12:13], v[106:107]
	v_cvt_f32_f64_e32 v108, v[106:107]
.LBB156_97:
	v_add_f64 v[100:101], v[0:1], v[100:101]
	v_add_f64 v[102:103], v[2:3], v[102:103]
	;; [unrolled: 1-line block ×4, first 2 shown]
	s_waitcnt lgkmcnt(7)
	v_add_f64 v[106:107], v[70:71], v[94:95]
	v_add_f64 v[109:110], v[68:69], v[92:93]
	v_add_co_u32 v104, vcc_lo, v104, v138
	v_add_co_ci_u32_e64 v105, null, v105, v139, vcc_lo
	s_mov_b32 s7, -1
	v_cvt_f32_f64_e32 v100, v[100:101]
	v_cvt_f32_f64_e32 v101, v[102:103]
	;; [unrolled: 1-line block ×4, first 2 shown]
	s_waitcnt lgkmcnt(6)
	v_add_f64 v[96:97], v[64:65], v[88:89]
	v_add_f64 v[98:99], v[66:67], v[90:91]
	v_cvt_f32_f64_e32 v109, v[109:110]
	v_cvt_f32_f64_e32 v106, v[106:107]
	v_add_nc_u32_e32 v107, 32, v144
	v_min3_f32 v100, v100, v101, v190
	v_min_f32_e32 v101, v102, v103
	v_cvt_f32_f64_e32 v110, v[96:97]
	v_cvt_f32_f64_e32 v111, v[98:99]
	v_mad_i64_i32 v[96:97], null, v107, s6, 0
	v_min3_f32 v98, v108, v101, v100
	v_min3_f32 v100, v109, v106, v191
	v_cvt_f64_f32_e32 v[102:103], v98
	v_mad_i64_i32 v[98:99], null, v107, s1, 0
	v_lshlrev_b64 v[96:97], 3, v[96:97]
	v_add_co_u32 v96, vcc_lo, s4, v96
	v_lshlrev_b64 v[98:99], 3, v[98:99]
	v_add_co_ci_u32_e64 v97, null, s5, v97, vcc_lo
	v_min3_f32 v100, v110, v111, v100
	v_add_co_u32 v98, vcc_lo, s2, v98
	v_add_co_ci_u32_e64 v99, null, s3, v99, vcc_lo
	v_max_f32_e32 v101, v100, v100
	s_mov_b32 vcc_lo, s0
	global_store_dwordx2 v[104:105], v[102:103], off
	s_cbranch_vccz .LBB156_99
; %bb.98:
	v_min_f32_e32 v100, 0, v101
	v_add_co_u32 v104, vcc_lo, v96, v130
	v_add_co_ci_u32_e64 v105, null, v97, v131, vcc_lo
	v_cvt_f64_f32_e32 v[102:103], v100
	s_mov_b32 s7, 0
	global_store_dwordx2 v[104:105], v[102:103], off
.LBB156_99:
	v_mov_b32_e32 v100, 0
	s_andn2_b32 vcc_lo, exec_lo, s7
	s_cbranch_vccnz .LBB156_101
; %bb.100:
	v_add_co_u32 v102, vcc_lo, v98, v130
	v_add_co_ci_u32_e64 v103, null, v99, v131, vcc_lo
	global_load_dwordx2 v[102:103], v[102:103], off
	s_waitcnt vmcnt(0)
	v_mul_f64 v[102:103], s[12:13], v[102:103]
	v_cvt_f32_f64_e32 v100, v[102:103]
	v_add_co_u32 v102, vcc_lo, v96, v130
	v_add_co_ci_u32_e64 v103, null, v97, v131, vcc_lo
	v_add_co_u32 v104, vcc_lo, v98, v128
	v_add_co_ci_u32_e64 v105, null, v99, v129, vcc_lo
	v_min_f32_e32 v100, v100, v101
	v_cvt_f64_f32_e32 v[100:101], v100
	global_store_dwordx2 v[102:103], v[100:101], off
	global_load_dwordx2 v[100:101], v[104:105], off
	s_waitcnt vmcnt(0)
	v_mul_f64 v[100:101], s[12:13], v[100:101]
	v_cvt_f32_f64_e32 v100, v[100:101]
.LBB156_101:
	v_add_f64 v[101:102], v[60:61], v[92:93]
	v_add_f64 v[103:104], v[62:63], v[94:95]
	v_add_f64 v[105:106], v[52:53], v[88:89]
	v_add_f64 v[107:108], v[54:55], v[90:91]
	v_add_f64 v[109:110], v[50:51], v[94:95]
	v_add_f64 v[111:112], v[48:49], v[92:93]
	v_add_f64 v[113:114], v[36:37], v[88:89]
	s_mov_b32 s7, -1
	v_cvt_f32_f64_e32 v115, v[101:102]
	v_cvt_f32_f64_e32 v103, v[103:104]
	v_cvt_f32_f64_e32 v104, v[105:106]
	v_cvt_f32_f64_e32 v105, v[107:108]
	v_add_f64 v[101:102], v[38:39], v[90:91]
	v_cvt_f32_f64_e32 v106, v[111:112]
	v_cvt_f32_f64_e32 v107, v[109:110]
	v_cvt_f32_f64_e32 v108, v[113:114]
	v_min3_f32 v103, v115, v103, v188
	v_min_f32_e32 v104, v104, v105
	v_cvt_f32_f64_e32 v101, v[101:102]
	v_min3_f32 v100, v100, v104, v103
	v_add_co_u32 v104, vcc_lo, v96, v128
	v_add_co_ci_u32_e64 v105, null, v97, v129, vcc_lo
	v_cvt_f64_f32_e32 v[102:103], v100
	v_min3_f32 v100, v106, v107, v189
	s_mov_b32 vcc_lo, s0
	v_min3_f32 v100, v108, v101, v100
	v_max_f32_e32 v101, v100, v100
	global_store_dwordx2 v[104:105], v[102:103], off
	s_cbranch_vccz .LBB156_103
; %bb.102:
	v_min_f32_e32 v100, 0, v101
	v_add_co_u32 v104, vcc_lo, v96, v136
	v_add_co_ci_u32_e64 v105, null, v97, v137, vcc_lo
	v_cvt_f64_f32_e32 v[102:103], v100
	s_mov_b32 s7, 0
	global_store_dwordx2 v[104:105], v[102:103], off
.LBB156_103:
	v_mov_b32_e32 v100, 0
	s_andn2_b32 vcc_lo, exec_lo, s7
	s_cbranch_vccnz .LBB156_105
; %bb.104:
	v_add_co_u32 v102, vcc_lo, v98, v136
	v_add_co_ci_u32_e64 v103, null, v99, v137, vcc_lo
	global_load_dwordx2 v[102:103], v[102:103], off
	s_waitcnt vmcnt(0)
	v_mul_f64 v[102:103], s[12:13], v[102:103]
	v_cvt_f32_f64_e32 v100, v[102:103]
	v_add_co_u32 v102, vcc_lo, v96, v136
	v_add_co_ci_u32_e64 v103, null, v97, v137, vcc_lo
	v_add_co_u32 v104, vcc_lo, v98, v132
	v_add_co_ci_u32_e64 v105, null, v99, v133, vcc_lo
	v_min_f32_e32 v100, v100, v101
	v_cvt_f64_f32_e32 v[100:101], v100
	global_store_dwordx2 v[102:103], v[100:101], off
	global_load_dwordx2 v[100:101], v[104:105], off
	s_waitcnt vmcnt(0)
	v_mul_f64 v[100:101], s[12:13], v[100:101]
	v_cvt_f32_f64_e32 v100, v[100:101]
.LBB156_105:
	v_add_f64 v[101:102], v[56:57], v[92:93]
	v_add_f64 v[103:104], v[58:59], v[94:95]
	v_add_f64 v[105:106], v[44:45], v[88:89]
	v_add_f64 v[107:108], v[46:47], v[90:91]
	v_add_f64 v[109:110], v[42:43], v[94:95]
	v_add_f64 v[111:112], v[40:41], v[92:93]
	v_add_f64 v[113:114], v[32:33], v[88:89]
	s_mov_b32 s7, -1
	v_cvt_f32_f64_e32 v115, v[101:102]
	v_cvt_f32_f64_e32 v103, v[103:104]
	v_cvt_f32_f64_e32 v104, v[105:106]
	v_cvt_f32_f64_e32 v105, v[107:108]
	v_add_f64 v[101:102], v[34:35], v[90:91]
	v_cvt_f32_f64_e32 v106, v[111:112]
	v_cvt_f32_f64_e32 v107, v[109:110]
	v_cvt_f32_f64_e32 v108, v[113:114]
	v_min3_f32 v103, v115, v103, v186
	v_min_f32_e32 v104, v104, v105
	v_cvt_f32_f64_e32 v101, v[101:102]
	v_min3_f32 v100, v100, v104, v103
	v_add_co_u32 v104, vcc_lo, v96, v132
	v_add_co_ci_u32_e64 v105, null, v97, v133, vcc_lo
	v_cvt_f64_f32_e32 v[102:103], v100
	v_min3_f32 v100, v106, v107, v187
	s_mov_b32 vcc_lo, s0
	v_min3_f32 v100, v108, v101, v100
	v_max_f32_e32 v101, v100, v100
	;; [unrolled: 59-line block ×3, first 2 shown]
	global_store_dwordx2 v[104:105], v[102:103], off
	s_cbranch_vccz .LBB156_111
; %bb.110:
	v_min_f32_e32 v100, 0, v101
	v_add_co_u32 v104, vcc_lo, v96, v142
	v_add_co_ci_u32_e64 v105, null, v97, v143, vcc_lo
	v_cvt_f64_f32_e32 v[102:103], v100
	s_mov_b32 s7, 0
	global_store_dwordx2 v[104:105], v[102:103], off
.LBB156_111:
	v_mov_b32_e32 v100, 0
	s_andn2_b32 vcc_lo, exec_lo, s7
	s_cbranch_vccnz .LBB156_113
; %bb.112:
	v_add_co_u32 v102, vcc_lo, v98, v142
	v_add_co_ci_u32_e64 v103, null, v99, v143, vcc_lo
	global_load_dwordx2 v[102:103], v[102:103], off
	s_waitcnt vmcnt(0)
	v_mul_f64 v[102:103], s[12:13], v[102:103]
	v_cvt_f32_f64_e32 v100, v[102:103]
	v_add_co_u32 v102, vcc_lo, v96, v142
	v_add_co_ci_u32_e64 v103, null, v97, v143, vcc_lo
	v_add_co_u32 v98, vcc_lo, v98, v138
	v_add_co_ci_u32_e64 v99, null, v99, v139, vcc_lo
	v_min_f32_e32 v100, v100, v101
	v_cvt_f64_f32_e32 v[100:101], v100
	global_store_dwordx2 v[102:103], v[100:101], off
	global_load_dwordx2 v[98:99], v[98:99], off
	s_waitcnt vmcnt(0)
	v_mul_f64 v[98:99], s[12:13], v[98:99]
	v_cvt_f32_f64_e32 v100, v[98:99]
.LBB156_113:
	v_add_f64 v[92:93], v[0:1], v[92:93]
	v_add_f64 v[94:95], v[2:3], v[94:95]
	;; [unrolled: 1-line block ×4, first 2 shown]
	s_waitcnt lgkmcnt(5)
	v_add_f64 v[98:99], v[70:71], v[86:87]
	v_add_f64 v[101:102], v[68:69], v[84:85]
	v_add_co_u32 v96, vcc_lo, v96, v138
	v_add_co_ci_u32_e64 v97, null, v97, v139, vcc_lo
	s_mov_b32 s7, -1
	v_cvt_f32_f64_e32 v92, v[92:93]
	v_cvt_f32_f64_e32 v93, v[94:95]
	;; [unrolled: 1-line block ×4, first 2 shown]
	s_waitcnt lgkmcnt(4)
	v_add_f64 v[88:89], v[64:65], v[80:81]
	v_add_f64 v[90:91], v[66:67], v[82:83]
	v_cvt_f32_f64_e32 v101, v[101:102]
	v_cvt_f32_f64_e32 v98, v[98:99]
	v_add_nc_u32_e32 v99, 40, v144
	v_min3_f32 v92, v92, v93, v182
	v_min_f32_e32 v93, v94, v95
	v_cvt_f32_f64_e32 v102, v[88:89]
	v_cvt_f32_f64_e32 v103, v[90:91]
	v_mad_i64_i32 v[88:89], null, v99, s6, 0
	v_min3_f32 v90, v100, v93, v92
	v_min3_f32 v92, v101, v98, v183
	v_cvt_f64_f32_e32 v[94:95], v90
	v_mad_i64_i32 v[90:91], null, v99, s1, 0
	v_lshlrev_b64 v[88:89], 3, v[88:89]
	v_add_co_u32 v88, vcc_lo, s4, v88
	v_lshlrev_b64 v[90:91], 3, v[90:91]
	v_add_co_ci_u32_e64 v89, null, s5, v89, vcc_lo
	v_min3_f32 v92, v102, v103, v92
	v_add_co_u32 v90, vcc_lo, s2, v90
	v_add_co_ci_u32_e64 v91, null, s3, v91, vcc_lo
	v_max_f32_e32 v93, v92, v92
	s_mov_b32 vcc_lo, s0
	global_store_dwordx2 v[96:97], v[94:95], off
	s_cbranch_vccz .LBB156_115
; %bb.114:
	v_min_f32_e32 v92, 0, v93
	v_add_co_u32 v96, vcc_lo, v88, v130
	v_add_co_ci_u32_e64 v97, null, v89, v131, vcc_lo
	v_cvt_f64_f32_e32 v[94:95], v92
	s_mov_b32 s7, 0
	global_store_dwordx2 v[96:97], v[94:95], off
.LBB156_115:
	v_mov_b32_e32 v92, 0
	s_andn2_b32 vcc_lo, exec_lo, s7
	s_cbranch_vccnz .LBB156_117
; %bb.116:
	v_add_co_u32 v94, vcc_lo, v90, v130
	v_add_co_ci_u32_e64 v95, null, v91, v131, vcc_lo
	global_load_dwordx2 v[94:95], v[94:95], off
	s_waitcnt vmcnt(0)
	v_mul_f64 v[94:95], s[12:13], v[94:95]
	v_cvt_f32_f64_e32 v92, v[94:95]
	v_add_co_u32 v94, vcc_lo, v88, v130
	v_add_co_ci_u32_e64 v95, null, v89, v131, vcc_lo
	v_add_co_u32 v96, vcc_lo, v90, v128
	v_add_co_ci_u32_e64 v97, null, v91, v129, vcc_lo
	v_min_f32_e32 v92, v92, v93
	v_cvt_f64_f32_e32 v[92:93], v92
	global_store_dwordx2 v[94:95], v[92:93], off
	global_load_dwordx2 v[92:93], v[96:97], off
	s_waitcnt vmcnt(0)
	v_mul_f64 v[92:93], s[12:13], v[92:93]
	v_cvt_f32_f64_e32 v92, v[92:93]
.LBB156_117:
	v_add_f64 v[93:94], v[60:61], v[84:85]
	v_add_f64 v[95:96], v[62:63], v[86:87]
	v_add_f64 v[97:98], v[52:53], v[80:81]
	v_add_f64 v[99:100], v[54:55], v[82:83]
	v_add_f64 v[101:102], v[50:51], v[86:87]
	v_add_f64 v[103:104], v[48:49], v[84:85]
	v_add_f64 v[105:106], v[36:37], v[80:81]
	s_mov_b32 s7, -1
	v_cvt_f32_f64_e32 v107, v[93:94]
	v_cvt_f32_f64_e32 v95, v[95:96]
	v_cvt_f32_f64_e32 v96, v[97:98]
	v_cvt_f32_f64_e32 v97, v[99:100]
	v_add_f64 v[93:94], v[38:39], v[82:83]
	v_cvt_f32_f64_e32 v98, v[103:104]
	v_cvt_f32_f64_e32 v99, v[101:102]
	v_cvt_f32_f64_e32 v100, v[105:106]
	v_min3_f32 v95, v107, v95, v180
	v_min_f32_e32 v96, v96, v97
	v_cvt_f32_f64_e32 v93, v[93:94]
	v_min3_f32 v92, v92, v96, v95
	v_add_co_u32 v96, vcc_lo, v88, v128
	v_add_co_ci_u32_e64 v97, null, v89, v129, vcc_lo
	v_cvt_f64_f32_e32 v[94:95], v92
	v_min3_f32 v92, v98, v99, v181
	s_mov_b32 vcc_lo, s0
	v_min3_f32 v92, v100, v93, v92
	v_max_f32_e32 v93, v92, v92
	global_store_dwordx2 v[96:97], v[94:95], off
	s_cbranch_vccz .LBB156_119
; %bb.118:
	v_min_f32_e32 v92, 0, v93
	v_add_co_u32 v96, vcc_lo, v88, v136
	v_add_co_ci_u32_e64 v97, null, v89, v137, vcc_lo
	v_cvt_f64_f32_e32 v[94:95], v92
	s_mov_b32 s7, 0
	global_store_dwordx2 v[96:97], v[94:95], off
.LBB156_119:
	v_mov_b32_e32 v92, 0
	s_andn2_b32 vcc_lo, exec_lo, s7
	s_cbranch_vccnz .LBB156_121
; %bb.120:
	v_add_co_u32 v94, vcc_lo, v90, v136
	v_add_co_ci_u32_e64 v95, null, v91, v137, vcc_lo
	global_load_dwordx2 v[94:95], v[94:95], off
	s_waitcnt vmcnt(0)
	v_mul_f64 v[94:95], s[12:13], v[94:95]
	v_cvt_f32_f64_e32 v92, v[94:95]
	v_add_co_u32 v94, vcc_lo, v88, v136
	v_add_co_ci_u32_e64 v95, null, v89, v137, vcc_lo
	v_add_co_u32 v96, vcc_lo, v90, v132
	v_add_co_ci_u32_e64 v97, null, v91, v133, vcc_lo
	v_min_f32_e32 v92, v92, v93
	v_cvt_f64_f32_e32 v[92:93], v92
	global_store_dwordx2 v[94:95], v[92:93], off
	global_load_dwordx2 v[92:93], v[96:97], off
	s_waitcnt vmcnt(0)
	v_mul_f64 v[92:93], s[12:13], v[92:93]
	v_cvt_f32_f64_e32 v92, v[92:93]
.LBB156_121:
	v_add_f64 v[93:94], v[56:57], v[84:85]
	v_add_f64 v[95:96], v[58:59], v[86:87]
	v_add_f64 v[97:98], v[44:45], v[80:81]
	v_add_f64 v[99:100], v[46:47], v[82:83]
	v_add_f64 v[101:102], v[42:43], v[86:87]
	v_add_f64 v[103:104], v[40:41], v[84:85]
	v_add_f64 v[105:106], v[32:33], v[80:81]
	s_mov_b32 s7, -1
	v_cvt_f32_f64_e32 v107, v[93:94]
	v_cvt_f32_f64_e32 v95, v[95:96]
	v_cvt_f32_f64_e32 v96, v[97:98]
	v_cvt_f32_f64_e32 v97, v[99:100]
	v_add_f64 v[93:94], v[34:35], v[82:83]
	v_cvt_f32_f64_e32 v98, v[103:104]
	v_cvt_f32_f64_e32 v99, v[101:102]
	v_cvt_f32_f64_e32 v100, v[105:106]
	v_min3_f32 v95, v107, v95, v178
	v_min_f32_e32 v96, v96, v97
	v_cvt_f32_f64_e32 v93, v[93:94]
	v_min3_f32 v92, v92, v96, v95
	v_add_co_u32 v96, vcc_lo, v88, v132
	v_add_co_ci_u32_e64 v97, null, v89, v133, vcc_lo
	v_cvt_f64_f32_e32 v[94:95], v92
	v_min3_f32 v92, v98, v99, v179
	s_mov_b32 vcc_lo, s0
	v_min3_f32 v92, v100, v93, v92
	v_max_f32_e32 v93, v92, v92
	;; [unrolled: 59-line block ×3, first 2 shown]
	global_store_dwordx2 v[96:97], v[94:95], off
	s_cbranch_vccz .LBB156_127
; %bb.126:
	v_min_f32_e32 v92, 0, v93
	v_add_co_u32 v96, vcc_lo, v88, v142
	v_add_co_ci_u32_e64 v97, null, v89, v143, vcc_lo
	v_cvt_f64_f32_e32 v[94:95], v92
	s_mov_b32 s7, 0
	global_store_dwordx2 v[96:97], v[94:95], off
.LBB156_127:
	v_mov_b32_e32 v92, 0
	s_andn2_b32 vcc_lo, exec_lo, s7
	s_cbranch_vccnz .LBB156_129
; %bb.128:
	v_add_co_u32 v94, vcc_lo, v90, v142
	v_add_co_ci_u32_e64 v95, null, v91, v143, vcc_lo
	global_load_dwordx2 v[94:95], v[94:95], off
	s_waitcnt vmcnt(0)
	v_mul_f64 v[94:95], s[12:13], v[94:95]
	v_cvt_f32_f64_e32 v92, v[94:95]
	v_add_co_u32 v94, vcc_lo, v88, v142
	v_add_co_ci_u32_e64 v95, null, v89, v143, vcc_lo
	v_add_co_u32 v90, vcc_lo, v90, v138
	v_add_co_ci_u32_e64 v91, null, v91, v139, vcc_lo
	v_min_f32_e32 v92, v92, v93
	v_cvt_f64_f32_e32 v[92:93], v92
	global_store_dwordx2 v[94:95], v[92:93], off
	global_load_dwordx2 v[90:91], v[90:91], off
	s_waitcnt vmcnt(0)
	v_mul_f64 v[90:91], s[12:13], v[90:91]
	v_cvt_f32_f64_e32 v92, v[90:91]
.LBB156_129:
	v_add_f64 v[84:85], v[0:1], v[84:85]
	v_add_f64 v[86:87], v[2:3], v[86:87]
	v_add_f64 v[80:81], v[4:5], v[80:81]
	v_add_f64 v[82:83], v[6:7], v[82:83]
	s_waitcnt lgkmcnt(3)
	v_add_f64 v[90:91], v[70:71], v[78:79]
	v_add_f64 v[93:94], v[68:69], v[76:77]
	v_add_co_u32 v88, vcc_lo, v88, v138
	v_add_co_ci_u32_e64 v89, null, v89, v139, vcc_lo
	s_mov_b32 s7, -1
	v_cvt_f32_f64_e32 v84, v[84:85]
	v_cvt_f32_f64_e32 v85, v[86:87]
	;; [unrolled: 1-line block ×4, first 2 shown]
	s_waitcnt lgkmcnt(2)
	v_add_f64 v[80:81], v[64:65], v[72:73]
	v_add_f64 v[82:83], v[66:67], v[74:75]
	v_cvt_f32_f64_e32 v93, v[93:94]
	v_cvt_f32_f64_e32 v90, v[90:91]
	v_add_nc_u32_e32 v91, 48, v144
	v_min3_f32 v84, v84, v85, v170
	v_min_f32_e32 v85, v86, v87
	v_cvt_f32_f64_e32 v94, v[80:81]
	v_cvt_f32_f64_e32 v95, v[82:83]
	v_mad_i64_i32 v[80:81], null, v91, s6, 0
	v_min3_f32 v82, v92, v85, v84
	v_min3_f32 v84, v93, v90, v171
	v_cvt_f64_f32_e32 v[86:87], v82
	v_mad_i64_i32 v[82:83], null, v91, s1, 0
	v_lshlrev_b64 v[80:81], 3, v[80:81]
	v_add_co_u32 v80, vcc_lo, s4, v80
	v_lshlrev_b64 v[82:83], 3, v[82:83]
	v_add_co_ci_u32_e64 v81, null, s5, v81, vcc_lo
	v_min3_f32 v84, v94, v95, v84
	v_add_co_u32 v82, vcc_lo, s2, v82
	v_add_co_ci_u32_e64 v83, null, s3, v83, vcc_lo
	v_max_f32_e32 v85, v84, v84
	s_mov_b32 vcc_lo, s0
	global_store_dwordx2 v[88:89], v[86:87], off
	s_cbranch_vccz .LBB156_131
; %bb.130:
	v_min_f32_e32 v84, 0, v85
	v_add_co_u32 v88, vcc_lo, v80, v130
	v_add_co_ci_u32_e64 v89, null, v81, v131, vcc_lo
	v_cvt_f64_f32_e32 v[86:87], v84
	s_mov_b32 s7, 0
	global_store_dwordx2 v[88:89], v[86:87], off
.LBB156_131:
	v_mov_b32_e32 v84, 0
	s_andn2_b32 vcc_lo, exec_lo, s7
	s_cbranch_vccnz .LBB156_133
; %bb.132:
	v_add_co_u32 v86, vcc_lo, v82, v130
	v_add_co_ci_u32_e64 v87, null, v83, v131, vcc_lo
	global_load_dwordx2 v[86:87], v[86:87], off
	s_waitcnt vmcnt(0)
	v_mul_f64 v[86:87], s[12:13], v[86:87]
	v_cvt_f32_f64_e32 v84, v[86:87]
	v_add_co_u32 v86, vcc_lo, v80, v130
	v_add_co_ci_u32_e64 v87, null, v81, v131, vcc_lo
	v_add_co_u32 v88, vcc_lo, v82, v128
	v_add_co_ci_u32_e64 v89, null, v83, v129, vcc_lo
	v_min_f32_e32 v84, v84, v85
	v_cvt_f64_f32_e32 v[84:85], v84
	global_store_dwordx2 v[86:87], v[84:85], off
	global_load_dwordx2 v[84:85], v[88:89], off
	s_waitcnt vmcnt(0)
	v_mul_f64 v[84:85], s[12:13], v[84:85]
	v_cvt_f32_f64_e32 v84, v[84:85]
.LBB156_133:
	v_add_f64 v[85:86], v[60:61], v[76:77]
	v_add_f64 v[87:88], v[62:63], v[78:79]
	v_add_f64 v[89:90], v[52:53], v[72:73]
	v_add_f64 v[91:92], v[54:55], v[74:75]
	v_add_f64 v[93:94], v[50:51], v[78:79]
	v_add_f64 v[95:96], v[48:49], v[76:77]
	v_add_f64 v[97:98], v[36:37], v[72:73]
	s_mov_b32 s7, -1
	v_cvt_f32_f64_e32 v99, v[85:86]
	v_cvt_f32_f64_e32 v87, v[87:88]
	v_cvt_f32_f64_e32 v88, v[89:90]
	v_cvt_f32_f64_e32 v89, v[91:92]
	v_add_f64 v[85:86], v[38:39], v[74:75]
	v_cvt_f32_f64_e32 v90, v[95:96]
	v_cvt_f32_f64_e32 v91, v[93:94]
	v_cvt_f32_f64_e32 v92, v[97:98]
	v_min3_f32 v87, v99, v87, v162
	v_min_f32_e32 v88, v88, v89
	v_cvt_f32_f64_e32 v85, v[85:86]
	v_min3_f32 v84, v84, v88, v87
	v_add_co_u32 v88, vcc_lo, v80, v128
	v_add_co_ci_u32_e64 v89, null, v81, v129, vcc_lo
	v_cvt_f64_f32_e32 v[86:87], v84
	v_min3_f32 v84, v90, v91, v163
	s_mov_b32 vcc_lo, s0
	v_min3_f32 v84, v92, v85, v84
	v_max_f32_e32 v85, v84, v84
	global_store_dwordx2 v[88:89], v[86:87], off
	s_cbranch_vccz .LBB156_135
; %bb.134:
	v_min_f32_e32 v84, 0, v85
	v_add_co_u32 v88, vcc_lo, v80, v136
	v_add_co_ci_u32_e64 v89, null, v81, v137, vcc_lo
	v_cvt_f64_f32_e32 v[86:87], v84
	s_mov_b32 s7, 0
	global_store_dwordx2 v[88:89], v[86:87], off
.LBB156_135:
	v_mov_b32_e32 v84, 0
	s_andn2_b32 vcc_lo, exec_lo, s7
	s_cbranch_vccnz .LBB156_137
; %bb.136:
	v_add_co_u32 v86, vcc_lo, v82, v136
	v_add_co_ci_u32_e64 v87, null, v83, v137, vcc_lo
	global_load_dwordx2 v[86:87], v[86:87], off
	s_waitcnt vmcnt(0)
	v_mul_f64 v[86:87], s[12:13], v[86:87]
	v_cvt_f32_f64_e32 v84, v[86:87]
	v_add_co_u32 v86, vcc_lo, v80, v136
	v_add_co_ci_u32_e64 v87, null, v81, v137, vcc_lo
	v_add_co_u32 v88, vcc_lo, v82, v132
	v_add_co_ci_u32_e64 v89, null, v83, v133, vcc_lo
	v_min_f32_e32 v84, v84, v85
	v_cvt_f64_f32_e32 v[84:85], v84
	global_store_dwordx2 v[86:87], v[84:85], off
	global_load_dwordx2 v[84:85], v[88:89], off
	s_waitcnt vmcnt(0)
	v_mul_f64 v[84:85], s[12:13], v[84:85]
	v_cvt_f32_f64_e32 v84, v[84:85]
.LBB156_137:
	v_add_f64 v[85:86], v[56:57], v[76:77]
	v_add_f64 v[87:88], v[58:59], v[78:79]
	v_add_f64 v[89:90], v[44:45], v[72:73]
	v_add_f64 v[91:92], v[46:47], v[74:75]
	v_add_f64 v[93:94], v[42:43], v[78:79]
	v_add_f64 v[95:96], v[40:41], v[76:77]
	v_add_f64 v[97:98], v[32:33], v[72:73]
	s_mov_b32 s7, -1
	v_cvt_f32_f64_e32 v99, v[85:86]
	v_cvt_f32_f64_e32 v87, v[87:88]
	v_cvt_f32_f64_e32 v88, v[89:90]
	v_cvt_f32_f64_e32 v89, v[91:92]
	v_add_f64 v[85:86], v[34:35], v[74:75]
	v_cvt_f32_f64_e32 v90, v[95:96]
	v_cvt_f32_f64_e32 v91, v[93:94]
	v_cvt_f32_f64_e32 v92, v[97:98]
	v_min3_f32 v87, v99, v87, v160
	v_min_f32_e32 v88, v88, v89
	v_cvt_f32_f64_e32 v85, v[85:86]
	v_min3_f32 v84, v84, v88, v87
	v_add_co_u32 v88, vcc_lo, v80, v132
	v_add_co_ci_u32_e64 v89, null, v81, v133, vcc_lo
	v_cvt_f64_f32_e32 v[86:87], v84
	v_min3_f32 v84, v90, v91, v161
	s_mov_b32 vcc_lo, s0
	v_min3_f32 v84, v92, v85, v84
	v_max_f32_e32 v85, v84, v84
	;; [unrolled: 59-line block ×3, first 2 shown]
	global_store_dwordx2 v[88:89], v[86:87], off
	s_cbranch_vccz .LBB156_143
; %bb.142:
	v_min_f32_e32 v84, 0, v85
	v_add_co_u32 v88, vcc_lo, v80, v142
	v_add_co_ci_u32_e64 v89, null, v81, v143, vcc_lo
	v_cvt_f64_f32_e32 v[86:87], v84
	s_mov_b32 s7, 0
	global_store_dwordx2 v[88:89], v[86:87], off
.LBB156_143:
	v_mov_b32_e32 v84, 0
	s_andn2_b32 vcc_lo, exec_lo, s7
	s_cbranch_vccnz .LBB156_145
; %bb.144:
	v_add_co_u32 v86, vcc_lo, v82, v142
	v_add_co_ci_u32_e64 v87, null, v83, v143, vcc_lo
	global_load_dwordx2 v[86:87], v[86:87], off
	s_waitcnt vmcnt(0)
	v_mul_f64 v[86:87], s[12:13], v[86:87]
	v_cvt_f32_f64_e32 v84, v[86:87]
	v_add_co_u32 v86, vcc_lo, v80, v142
	v_add_co_ci_u32_e64 v87, null, v81, v143, vcc_lo
	v_add_co_u32 v82, vcc_lo, v82, v138
	v_add_co_ci_u32_e64 v83, null, v83, v139, vcc_lo
	v_min_f32_e32 v84, v84, v85
	v_cvt_f64_f32_e32 v[84:85], v84
	global_store_dwordx2 v[86:87], v[84:85], off
	global_load_dwordx2 v[82:83], v[82:83], off
	s_waitcnt vmcnt(0)
	v_mul_f64 v[82:83], s[12:13], v[82:83]
	v_cvt_f32_f64_e32 v84, v[82:83]
.LBB156_145:
	v_add_f64 v[76:77], v[0:1], v[76:77]
	v_add_f64 v[78:79], v[2:3], v[78:79]
	;; [unrolled: 1-line block ×4, first 2 shown]
	s_waitcnt lgkmcnt(1)
	v_add_f64 v[70:71], v[70:71], v[10:11]
	v_add_f64 v[68:69], v[68:69], v[8:9]
	s_waitcnt lgkmcnt(0)
	v_add_f64 v[64:65], v[64:65], v[12:13]
	v_add_f64 v[66:67], v[66:67], v[14:15]
	v_cvt_f32_f64_e32 v76, v[76:77]
	v_cvt_f32_f64_e32 v77, v[78:79]
	;; [unrolled: 1-line block ×8, first 2 shown]
	v_min3_f32 v70, v76, v77, v157
	v_min_f32_e32 v71, v72, v73
	v_add_nc_u32_e32 v72, 56, v144
	v_min3_f32 v68, v68, v69, v156
	v_min3_f32 v66, v84, v71, v70
	v_mad_i64_i32 v[64:65], null, v72, s6, 0
	v_min3_f32 v68, v74, v75, v68
	v_cvt_f64_f32_e32 v[70:71], v66
	v_mad_i64_i32 v[66:67], null, v72, s1, 0
	v_add_co_u32 v72, vcc_lo, v80, v138
	v_lshlrev_b64 v[64:65], 3, v[64:65]
	v_add_co_ci_u32_e64 v73, null, v81, v139, vcc_lo
	v_max_f32_e32 v69, v68, v68
	v_lshlrev_b64 v[66:67], 3, v[66:67]
	s_mov_b32 s1, -1
	v_add_co_u32 v64, vcc_lo, s4, v64
	v_add_co_ci_u32_e64 v65, null, s5, v65, vcc_lo
	v_add_co_u32 v66, vcc_lo, s2, v66
	v_add_co_ci_u32_e64 v67, null, s3, v67, vcc_lo
	s_mov_b32 vcc_lo, s0
	global_store_dwordx2 v[72:73], v[70:71], off
	s_cbranch_vccz .LBB156_147
; %bb.146:
	v_min_f32_e32 v68, 0, v69
	v_add_co_u32 v72, vcc_lo, v64, v130
	v_add_co_ci_u32_e64 v73, null, v65, v131, vcc_lo
	v_cvt_f64_f32_e32 v[70:71], v68
	s_mov_b32 s1, 0
	global_store_dwordx2 v[72:73], v[70:71], off
.LBB156_147:
	v_mov_b32_e32 v68, 0
	s_andn2_b32 vcc_lo, exec_lo, s1
	s_cbranch_vccnz .LBB156_149
; %bb.148:
	v_add_co_u32 v70, vcc_lo, v66, v130
	v_add_co_ci_u32_e64 v71, null, v67, v131, vcc_lo
	global_load_dwordx2 v[70:71], v[70:71], off
	s_waitcnt vmcnt(0)
	v_mul_f64 v[70:71], s[12:13], v[70:71]
	v_cvt_f32_f64_e32 v68, v[70:71]
	v_add_co_u32 v70, vcc_lo, v64, v130
	v_add_co_ci_u32_e64 v71, null, v65, v131, vcc_lo
	v_add_co_u32 v72, vcc_lo, v66, v128
	v_add_co_ci_u32_e64 v73, null, v67, v129, vcc_lo
	v_min_f32_e32 v68, v68, v69
	v_cvt_f64_f32_e32 v[68:69], v68
	global_store_dwordx2 v[70:71], v[68:69], off
	global_load_dwordx2 v[68:69], v[72:73], off
	s_waitcnt vmcnt(0)
	v_mul_f64 v[68:69], s[12:13], v[68:69]
	v_cvt_f32_f64_e32 v68, v[68:69]
.LBB156_149:
	v_add_f64 v[60:61], v[60:61], v[8:9]
	v_add_f64 v[62:63], v[62:63], v[10:11]
	;; [unrolled: 1-line block ×8, first 2 shown]
	s_mov_b32 s1, -1
	v_cvt_f32_f64_e32 v60, v[60:61]
	v_cvt_f32_f64_e32 v61, v[62:63]
	v_cvt_f32_f64_e32 v52, v[52:53]
	v_cvt_f32_f64_e32 v53, v[54:55]
	v_cvt_f32_f64_e32 v48, v[48:49]
	v_cvt_f32_f64_e32 v49, v[50:51]
	v_cvt_f32_f64_e32 v36, v[36:37]
	v_cvt_f32_f64_e32 v51, v[38:39]
	v_min3_f32 v37, v60, v61, v155
	v_min_f32_e32 v50, v52, v53
	v_min3_f32 v37, v68, v50, v37
	v_cvt_f64_f32_e32 v[38:39], v37
	v_min3_f32 v37, v48, v49, v154
	v_add_co_u32 v48, vcc_lo, v64, v128
	v_add_co_ci_u32_e64 v49, null, v65, v129, vcc_lo
	v_min3_f32 v36, v36, v51, v37
	s_mov_b32 vcc_lo, s0
	v_max_f32_e32 v37, v36, v36
	global_store_dwordx2 v[48:49], v[38:39], off
	s_cbranch_vccz .LBB156_151
; %bb.150:
	v_min_f32_e32 v36, 0, v37
	v_add_co_u32 v48, vcc_lo, v64, v136
	v_add_co_ci_u32_e64 v49, null, v65, v137, vcc_lo
	v_cvt_f64_f32_e32 v[38:39], v36
	s_mov_b32 s1, 0
	global_store_dwordx2 v[48:49], v[38:39], off
.LBB156_151:
	v_mov_b32_e32 v36, 0
	s_andn2_b32 vcc_lo, exec_lo, s1
	s_cbranch_vccnz .LBB156_153
; %bb.152:
	v_add_co_u32 v38, vcc_lo, v66, v136
	v_add_co_ci_u32_e64 v39, null, v67, v137, vcc_lo
	global_load_dwordx2 v[38:39], v[38:39], off
	s_waitcnt vmcnt(0)
	v_mul_f64 v[38:39], s[12:13], v[38:39]
	v_cvt_f32_f64_e32 v36, v[38:39]
	v_add_co_u32 v38, vcc_lo, v64, v136
	v_add_co_ci_u32_e64 v39, null, v65, v137, vcc_lo
	v_add_co_u32 v48, vcc_lo, v66, v132
	v_add_co_ci_u32_e64 v49, null, v67, v133, vcc_lo
	v_min_f32_e32 v36, v36, v37
	v_cvt_f64_f32_e32 v[36:37], v36
	global_store_dwordx2 v[38:39], v[36:37], off
	global_load_dwordx2 v[36:37], v[48:49], off
	s_waitcnt vmcnt(0)
	v_mul_f64 v[36:37], s[12:13], v[36:37]
	v_cvt_f32_f64_e32 v36, v[36:37]
.LBB156_153:
	v_add_f64 v[37:38], v[56:57], v[8:9]
	v_add_f64 v[48:49], v[58:59], v[10:11]
	;; [unrolled: 1-line block ×8, first 2 shown]
	s_mov_b32 s1, -1
	v_cvt_f32_f64_e32 v37, v[37:38]
	v_cvt_f32_f64_e32 v38, v[48:49]
	;; [unrolled: 1-line block ×7, first 2 shown]
	v_min3_f32 v33, v37, v38, v152
	v_cvt_f32_f64_e32 v38, v[34:35]
	v_min_f32_e32 v37, v41, v44
	v_min3_f32 v33, v36, v37, v33
	v_add_co_u32 v36, vcc_lo, v64, v132
	v_add_co_ci_u32_e64 v37, null, v65, v133, vcc_lo
	v_cvt_f64_f32_e32 v[34:35], v33
	v_min3_f32 v33, v39, v40, v153
	s_mov_b32 vcc_lo, s0
	v_min3_f32 v32, v32, v38, v33
	v_max_f32_e32 v33, v32, v32
	global_store_dwordx2 v[36:37], v[34:35], off
	s_cbranch_vccz .LBB156_155
; %bb.154:
	v_min_f32_e32 v32, 0, v33
	v_add_co_u32 v36, vcc_lo, v64, v140
	v_add_co_ci_u32_e64 v37, null, v65, v141, vcc_lo
	v_cvt_f64_f32_e32 v[34:35], v32
	s_mov_b32 s1, 0
	global_store_dwordx2 v[36:37], v[34:35], off
.LBB156_155:
	v_mov_b32_e32 v32, 0
	s_andn2_b32 vcc_lo, exec_lo, s1
	s_cbranch_vccnz .LBB156_157
; %bb.156:
	v_add_co_u32 v34, vcc_lo, v66, v140
	v_add_co_ci_u32_e64 v35, null, v67, v141, vcc_lo
	global_load_dwordx2 v[34:35], v[34:35], off
	s_waitcnt vmcnt(0)
	v_mul_f64 v[34:35], s[12:13], v[34:35]
	v_cvt_f32_f64_e32 v32, v[34:35]
	v_add_co_u32 v34, vcc_lo, v64, v140
	v_add_co_ci_u32_e64 v35, null, v65, v141, vcc_lo
	v_add_co_u32 v36, vcc_lo, v66, v134
	v_add_co_ci_u32_e64 v37, null, v67, v135, vcc_lo
	v_min_f32_e32 v32, v32, v33
	v_cvt_f64_f32_e32 v[32:33], v32
	global_store_dwordx2 v[34:35], v[32:33], off
	global_load_dwordx2 v[32:33], v[36:37], off
	s_waitcnt vmcnt(0)
	v_mul_f64 v[32:33], s[12:13], v[32:33]
	v_cvt_f32_f64_e32 v32, v[32:33]
.LBB156_157:
	v_add_f64 v[28:29], v[28:29], v[8:9]
	v_add_f64 v[30:31], v[30:31], v[10:11]
	;; [unrolled: 1-line block ×8, first 2 shown]
	s_mov_b32 s1, -1
	v_cvt_f32_f64_e32 v28, v[28:29]
	v_cvt_f32_f64_e32 v29, v[30:31]
	;; [unrolled: 1-line block ×8, first 2 shown]
	v_min3_f32 v17, v28, v29, v150
	v_min_f32_e32 v22, v24, v25
	v_min3_f32 v17, v32, v22, v17
	v_cvt_f64_f32_e32 v[18:19], v17
	v_min3_f32 v17, v20, v21, v151
	v_add_co_u32 v20, vcc_lo, v64, v134
	v_add_co_ci_u32_e64 v21, null, v65, v135, vcc_lo
	v_min3_f32 v16, v16, v23, v17
	s_mov_b32 vcc_lo, s0
	v_max_f32_e32 v17, v16, v16
	global_store_dwordx2 v[20:21], v[18:19], off
	s_cbranch_vccz .LBB156_159
; %bb.158:
	v_min_f32_e32 v16, 0, v17
	v_add_co_u32 v20, vcc_lo, v64, v142
	v_add_co_ci_u32_e64 v21, null, v65, v143, vcc_lo
	v_cvt_f64_f32_e32 v[18:19], v16
	s_mov_b32 s1, 0
	global_store_dwordx2 v[20:21], v[18:19], off
.LBB156_159:
	v_mov_b32_e32 v16, 0
	s_andn2_b32 vcc_lo, exec_lo, s1
	s_cbranch_vccnz .LBB156_161
; %bb.160:
	v_add_co_u32 v18, vcc_lo, v66, v142
	v_add_co_ci_u32_e64 v19, null, v67, v143, vcc_lo
	global_load_dwordx2 v[18:19], v[18:19], off
	s_waitcnt vmcnt(0)
	v_mul_f64 v[18:19], s[12:13], v[18:19]
	v_cvt_f32_f64_e32 v16, v[18:19]
	v_add_co_u32 v18, vcc_lo, v64, v142
	v_add_co_ci_u32_e64 v19, null, v65, v143, vcc_lo
	v_add_co_u32 v20, vcc_lo, v66, v138
	v_add_co_ci_u32_e64 v21, null, v67, v139, vcc_lo
	v_min_f32_e32 v16, v16, v17
	v_cvt_f64_f32_e32 v[16:17], v16
	global_store_dwordx2 v[18:19], v[16:17], off
	global_load_dwordx2 v[16:17], v[20:21], off
	s_waitcnt vmcnt(0)
	v_mul_f64 v[16:17], s[12:13], v[16:17]
	v_cvt_f32_f64_e32 v16, v[16:17]
.LBB156_161:
	v_add_f64 v[4:5], v[4:5], v[12:13]
	v_add_f64 v[6:7], v[6:7], v[14:15]
	;; [unrolled: 1-line block ×4, first 2 shown]
	v_cvt_f32_f64_e32 v4, v[4:5]
	v_cvt_f32_f64_e32 v5, v[6:7]
	;; [unrolled: 1-line block ×4, first 2 shown]
	v_min_f32_e32 v2, v4, v5
	v_min3_f32 v0, v0, v1, v149
	v_min3_f32 v0, v16, v2, v0
	v_add_co_u32 v2, vcc_lo, v64, v138
	v_add_co_ci_u32_e64 v3, null, v65, v139, vcc_lo
	v_cvt_f64_f32_e32 v[0:1], v0
	global_store_dwordx2 v[2:3], v[0:1], off
	s_endpgm
	.section	.rodata,"a",@progbits
	.p2align	6, 0x0
	.amdhsa_kernel _ZN12_GLOBAL__N_120geam_min_plus_kernelId15HIP_vector_typeIdLj2EEdLi32ELi8ELi256ELi64ELi4ELi64ELi4ELi4ELi64ELc78ELc78ELb0ELb0ELb1EPKdS3_dEEviiiT16_PT17_ilS7_ilS5_S7_ilPT18_ili26rocblas_geam_ex_operation_
		.amdhsa_group_segment_fixed_size 20480
		.amdhsa_private_segment_fixed_size 0
		.amdhsa_kernarg_size 136
		.amdhsa_user_sgpr_count 6
		.amdhsa_user_sgpr_private_segment_buffer 1
		.amdhsa_user_sgpr_dispatch_ptr 0
		.amdhsa_user_sgpr_queue_ptr 0
		.amdhsa_user_sgpr_kernarg_segment_ptr 1
		.amdhsa_user_sgpr_dispatch_id 0
		.amdhsa_user_sgpr_flat_scratch_init 0
		.amdhsa_user_sgpr_private_segment_size 0
		.amdhsa_wavefront_size32 1
		.amdhsa_uses_dynamic_stack 0
		.amdhsa_system_sgpr_private_segment_wavefront_offset 0
		.amdhsa_system_sgpr_workgroup_id_x 1
		.amdhsa_system_sgpr_workgroup_id_y 0
		.amdhsa_system_sgpr_workgroup_id_z 1
		.amdhsa_system_sgpr_workgroup_info 0
		.amdhsa_system_vgpr_workitem_id 1
		.amdhsa_next_free_vgpr 227
		.amdhsa_next_free_sgpr 26
		.amdhsa_reserve_vcc 1
		.amdhsa_reserve_flat_scratch 0
		.amdhsa_float_round_mode_32 0
		.amdhsa_float_round_mode_16_64 0
		.amdhsa_float_denorm_mode_32 3
		.amdhsa_float_denorm_mode_16_64 3
		.amdhsa_dx10_clamp 1
		.amdhsa_ieee_mode 1
		.amdhsa_fp16_overflow 0
		.amdhsa_workgroup_processor_mode 1
		.amdhsa_memory_ordered 1
		.amdhsa_forward_progress 1
		.amdhsa_shared_vgpr_count 0
		.amdhsa_exception_fp_ieee_invalid_op 0
		.amdhsa_exception_fp_denorm_src 0
		.amdhsa_exception_fp_ieee_div_zero 0
		.amdhsa_exception_fp_ieee_overflow 0
		.amdhsa_exception_fp_ieee_underflow 0
		.amdhsa_exception_fp_ieee_inexact 0
		.amdhsa_exception_int_div_zero 0
	.end_amdhsa_kernel
	.section	.text._ZN12_GLOBAL__N_120geam_min_plus_kernelId15HIP_vector_typeIdLj2EEdLi32ELi8ELi256ELi64ELi4ELi64ELi4ELi4ELi64ELc78ELc78ELb0ELb0ELb1EPKdS3_dEEviiiT16_PT17_ilS7_ilS5_S7_ilPT18_ili26rocblas_geam_ex_operation_,"axG",@progbits,_ZN12_GLOBAL__N_120geam_min_plus_kernelId15HIP_vector_typeIdLj2EEdLi32ELi8ELi256ELi64ELi4ELi64ELi4ELi4ELi64ELc78ELc78ELb0ELb0ELb1EPKdS3_dEEviiiT16_PT17_ilS7_ilS5_S7_ilPT18_ili26rocblas_geam_ex_operation_,comdat
.Lfunc_end156:
	.size	_ZN12_GLOBAL__N_120geam_min_plus_kernelId15HIP_vector_typeIdLj2EEdLi32ELi8ELi256ELi64ELi4ELi64ELi4ELi4ELi64ELc78ELc78ELb0ELb0ELb1EPKdS3_dEEviiiT16_PT17_ilS7_ilS5_S7_ilPT18_ili26rocblas_geam_ex_operation_, .Lfunc_end156-_ZN12_GLOBAL__N_120geam_min_plus_kernelId15HIP_vector_typeIdLj2EEdLi32ELi8ELi256ELi64ELi4ELi64ELi4ELi4ELi64ELc78ELc78ELb0ELb0ELb1EPKdS3_dEEviiiT16_PT17_ilS7_ilS5_S7_ilPT18_ili26rocblas_geam_ex_operation_
                                        ; -- End function
	.set _ZN12_GLOBAL__N_120geam_min_plus_kernelId15HIP_vector_typeIdLj2EEdLi32ELi8ELi256ELi64ELi4ELi64ELi4ELi4ELi64ELc78ELc78ELb0ELb0ELb1EPKdS3_dEEviiiT16_PT17_ilS7_ilS5_S7_ilPT18_ili26rocblas_geam_ex_operation_.num_vgpr, 227
	.set _ZN12_GLOBAL__N_120geam_min_plus_kernelId15HIP_vector_typeIdLj2EEdLi32ELi8ELi256ELi64ELi4ELi64ELi4ELi4ELi64ELc78ELc78ELb0ELb0ELb1EPKdS3_dEEviiiT16_PT17_ilS7_ilS5_S7_ilPT18_ili26rocblas_geam_ex_operation_.num_agpr, 0
	.set _ZN12_GLOBAL__N_120geam_min_plus_kernelId15HIP_vector_typeIdLj2EEdLi32ELi8ELi256ELi64ELi4ELi64ELi4ELi4ELi64ELc78ELc78ELb0ELb0ELb1EPKdS3_dEEviiiT16_PT17_ilS7_ilS5_S7_ilPT18_ili26rocblas_geam_ex_operation_.numbered_sgpr, 26
	.set _ZN12_GLOBAL__N_120geam_min_plus_kernelId15HIP_vector_typeIdLj2EEdLi32ELi8ELi256ELi64ELi4ELi64ELi4ELi4ELi64ELc78ELc78ELb0ELb0ELb1EPKdS3_dEEviiiT16_PT17_ilS7_ilS5_S7_ilPT18_ili26rocblas_geam_ex_operation_.num_named_barrier, 0
	.set _ZN12_GLOBAL__N_120geam_min_plus_kernelId15HIP_vector_typeIdLj2EEdLi32ELi8ELi256ELi64ELi4ELi64ELi4ELi4ELi64ELc78ELc78ELb0ELb0ELb1EPKdS3_dEEviiiT16_PT17_ilS7_ilS5_S7_ilPT18_ili26rocblas_geam_ex_operation_.private_seg_size, 0
	.set _ZN12_GLOBAL__N_120geam_min_plus_kernelId15HIP_vector_typeIdLj2EEdLi32ELi8ELi256ELi64ELi4ELi64ELi4ELi4ELi64ELc78ELc78ELb0ELb0ELb1EPKdS3_dEEviiiT16_PT17_ilS7_ilS5_S7_ilPT18_ili26rocblas_geam_ex_operation_.uses_vcc, 1
	.set _ZN12_GLOBAL__N_120geam_min_plus_kernelId15HIP_vector_typeIdLj2EEdLi32ELi8ELi256ELi64ELi4ELi64ELi4ELi4ELi64ELc78ELc78ELb0ELb0ELb1EPKdS3_dEEviiiT16_PT17_ilS7_ilS5_S7_ilPT18_ili26rocblas_geam_ex_operation_.uses_flat_scratch, 0
	.set _ZN12_GLOBAL__N_120geam_min_plus_kernelId15HIP_vector_typeIdLj2EEdLi32ELi8ELi256ELi64ELi4ELi64ELi4ELi4ELi64ELc78ELc78ELb0ELb0ELb1EPKdS3_dEEviiiT16_PT17_ilS7_ilS5_S7_ilPT18_ili26rocblas_geam_ex_operation_.has_dyn_sized_stack, 0
	.set _ZN12_GLOBAL__N_120geam_min_plus_kernelId15HIP_vector_typeIdLj2EEdLi32ELi8ELi256ELi64ELi4ELi64ELi4ELi4ELi64ELc78ELc78ELb0ELb0ELb1EPKdS3_dEEviiiT16_PT17_ilS7_ilS5_S7_ilPT18_ili26rocblas_geam_ex_operation_.has_recursion, 0
	.set _ZN12_GLOBAL__N_120geam_min_plus_kernelId15HIP_vector_typeIdLj2EEdLi32ELi8ELi256ELi64ELi4ELi64ELi4ELi4ELi64ELc78ELc78ELb0ELb0ELb1EPKdS3_dEEviiiT16_PT17_ilS7_ilS5_S7_ilPT18_ili26rocblas_geam_ex_operation_.has_indirect_call, 0
	.section	.AMDGPU.csdata,"",@progbits
; Kernel info:
; codeLenInByte = 27196
; TotalNumSgprs: 28
; NumVgprs: 227
; ScratchSize: 0
; MemoryBound: 1
; FloatMode: 240
; IeeeMode: 1
; LDSByteSize: 20480 bytes/workgroup (compile time only)
; SGPRBlocks: 0
; VGPRBlocks: 28
; NumSGPRsForWavesPerEU: 28
; NumVGPRsForWavesPerEU: 227
; Occupancy: 4
; WaveLimiterHint : 1
; COMPUTE_PGM_RSRC2:SCRATCH_EN: 0
; COMPUTE_PGM_RSRC2:USER_SGPR: 6
; COMPUTE_PGM_RSRC2:TRAP_HANDLER: 0
; COMPUTE_PGM_RSRC2:TGID_X_EN: 1
; COMPUTE_PGM_RSRC2:TGID_Y_EN: 0
; COMPUTE_PGM_RSRC2:TGID_Z_EN: 1
; COMPUTE_PGM_RSRC2:TIDIG_COMP_CNT: 1
	.section	.text._ZN12_GLOBAL__N_120geam_min_plus_kernelId15HIP_vector_typeIdLj2EEdLi32ELi8ELi256ELi64ELi4ELi64ELi4ELi4ELi64ELc78ELc78ELb1ELb0ELb1EdKddEEviiiT16_PT17_ilS6_ilS4_S6_ilPT18_ili26rocblas_geam_ex_operation_,"axG",@progbits,_ZN12_GLOBAL__N_120geam_min_plus_kernelId15HIP_vector_typeIdLj2EEdLi32ELi8ELi256ELi64ELi4ELi64ELi4ELi4ELi64ELc78ELc78ELb1ELb0ELb1EdKddEEviiiT16_PT17_ilS6_ilS4_S6_ilPT18_ili26rocblas_geam_ex_operation_,comdat
	.globl	_ZN12_GLOBAL__N_120geam_min_plus_kernelId15HIP_vector_typeIdLj2EEdLi32ELi8ELi256ELi64ELi4ELi64ELi4ELi4ELi64ELc78ELc78ELb1ELb0ELb1EdKddEEviiiT16_PT17_ilS6_ilS4_S6_ilPT18_ili26rocblas_geam_ex_operation_ ; -- Begin function _ZN12_GLOBAL__N_120geam_min_plus_kernelId15HIP_vector_typeIdLj2EEdLi32ELi8ELi256ELi64ELi4ELi64ELi4ELi4ELi64ELc78ELc78ELb1ELb0ELb1EdKddEEviiiT16_PT17_ilS6_ilS4_S6_ilPT18_ili26rocblas_geam_ex_operation_
	.p2align	8
	.type	_ZN12_GLOBAL__N_120geam_min_plus_kernelId15HIP_vector_typeIdLj2EEdLi32ELi8ELi256ELi64ELi4ELi64ELi4ELi4ELi64ELc78ELc78ELb1ELb0ELb1EdKddEEviiiT16_PT17_ilS6_ilS4_S6_ilPT18_ili26rocblas_geam_ex_operation_,@function
_ZN12_GLOBAL__N_120geam_min_plus_kernelId15HIP_vector_typeIdLj2EEdLi32ELi8ELi256ELi64ELi4ELi64ELi4ELi4ELi64ELc78ELc78ELb1ELb0ELb1EdKddEEviiiT16_PT17_ilS6_ilS4_S6_ilPT18_ili26rocblas_geam_ex_operation_: ; @_ZN12_GLOBAL__N_120geam_min_plus_kernelId15HIP_vector_typeIdLj2EEdLi32ELi8ELi256ELi64ELi4ELi64ELi4ELi4ELi64ELc78ELc78ELb1ELb0ELb1EdKddEEviiiT16_PT17_ilS6_ilS4_S6_ilPT18_ili26rocblas_geam_ex_operation_
; %bb.0:
	s_clause 0x1
	s_load_dwordx4 s[0:3], s[4:5], 0x10
	s_load_dwordx4 s[8:11], s[4:5], 0x28
	s_mov_b64 s[14:15], 0
	s_waitcnt lgkmcnt(0)
	v_cmp_eq_f64_e64 s12, s[0:1], 0
	s_and_b32 vcc_lo, exec_lo, s12
	s_cbranch_vccnz .LBB157_2
; %bb.1:
	s_mul_i32 s0, s9, s7
	s_mul_hi_u32 s1, s8, s7
	s_add_i32 s1, s1, s0
	s_mul_i32 s0, s8, s7
	s_lshl_b64 s[0:1], s[0:1], 3
	s_add_u32 s14, s2, s0
	s_addc_u32 s15, s3, s1
.LBB157_2:
	s_clause 0x1
	s_load_dwordx4 s[0:3], s[4:5], 0x40
	s_load_dwordx2 s[18:19], s[4:5], 0x50
	s_andn2_b32 vcc_lo, exec_lo, s12
	s_mov_b32 s8, -1
	s_cbranch_vccnz .LBB157_4
; %bb.3:
	s_mov_b32 s8, 0
.LBB157_4:
	s_mov_b64 s[12:13], 0
	s_andn2_b32 vcc_lo, exec_lo, s8
	s_mov_b64 s[16:17], 0
	s_cbranch_vccnz .LBB157_6
; %bb.5:
	s_waitcnt lgkmcnt(0)
	s_mul_i32 s1, s1, s7
	s_mul_hi_u32 s8, s0, s7
	s_mul_i32 s0, s0, s7
	s_add_i32 s1, s8, s1
	s_lshl_b64 s[0:1], s[0:1], 3
	s_add_u32 s16, s10, s0
	s_addc_u32 s17, s11, s1
.LBB157_6:
	s_waitcnt lgkmcnt(0)
	v_cmp_eq_f64_e64 s0, s[2:3], 0
	s_load_dwordx4 s[8:11], s[4:5], 0x60
	s_and_b32 s0, exec_lo, s0
	s_mov_b32 vcc_lo, s0
	s_cbranch_vccnz .LBB157_8
; %bb.7:
	s_waitcnt lgkmcnt(0)
	s_mul_i32 s1, s9, s7
	s_mul_hi_u32 s9, s8, s7
	s_mul_i32 s8, s8, s7
	s_add_i32 s9, s9, s1
	s_lshl_b64 s[8:9], s[8:9], 3
	s_add_u32 s12, s18, s8
	s_addc_u32 s13, s19, s9
.LBB157_8:
	s_clause 0x1
	s_load_dword s1, s[4:5], 0x0
	s_load_dword s18, s[4:5], 0x8
	s_waitcnt lgkmcnt(0)
	s_clause 0x1
	s_load_dword s8, s[4:5], 0x20
	s_load_dword s9, s[4:5], 0x38
	v_lshlrev_b32_e32 v132, 5, v1
	v_and_b32_e32 v12, 3, v0
	v_lshlrev_b32_e32 v80, 5, v0
	v_lshlrev_b32_e32 v89, 3, v12
	s_add_i32 s1, s1, -1
	s_ashr_i32 s19, s1, 31
	s_lshr_b32 s19, s19, 24
	s_add_i32 s1, s1, s19
	s_ashr_i32 s1, s1, 8
	s_add_i32 s19, s1, 1
	s_not_b32 s1, s1
	v_cvt_f32_u32_e32 v2, s19
	v_rcp_iflag_f32_e32 v2, v2
	v_mul_f32_e32 v2, 0x4f7ffffe, v2
	v_cvt_u32_f32_e32 v2, v2
	v_readfirstlane_b32 s20, v2
	v_add_nc_u32_e32 v2, v132, v0
	s_mul_i32 s1, s1, s20
	v_lshrrev_b32_e32 v88, 6, v2
	s_mul_hi_u32 s1, s20, s1
	v_lshrrev_b32_e32 v17, 2, v2
	s_add_i32 s20, s20, s1
	v_and_b32_e32 v16, 63, v2
	s_mul_hi_u32 s1, s6, s20
	s_waitcnt lgkmcnt(0)
	v_mad_i64_i32 v[3:4], null, s8, v88, 0
	s_mul_i32 s20, s1, s19
	s_add_i32 s21, s1, 1
	s_sub_i32 s20, s6, s20
	v_add_nc_u32_e32 v14, 4, v88
	s_sub_i32 s22, s20, s19
	s_cmp_ge_u32 s20, s19
	v_lshlrev_b64 v[3:4], 3, v[3:4]
	s_cselect_b32 s1, s21, s1
	s_cselect_b32 s20, s22, s20
	s_add_i32 s21, s1, 1
	s_cmp_ge_u32 s20, s19
	v_mad_i64_i32 v[14:15], null, s8, v14, 0
	s_cselect_b32 s20, s21, s1
	v_add_co_u32 v5, vcc_lo, s14, v3
	s_mul_i32 s1, s20, s19
	v_add_co_ci_u32_e64 v4, null, s15, v4, vcc_lo
	s_sub_i32 s1, s6, s1
	s_lshl_b32 s6, s20, 6
	s_lshl_b32 s1, s1, 8
	v_add_nc_u32_e32 v10, s6, v17
	v_or_b32_e32 v2, s1, v16
	v_lshlrev_b64 v[14:15], 3, v[14:15]
	v_lshl_or_b32 v85, v17, 5, v89
	s_cmp_lt_i32 s18, 9
	v_mad_i64_i32 v[10:11], null, v10, s9, 0
	v_ashrrev_i32_e32 v3, 31, v2
	v_lshlrev_b64 v[66:67], 3, v[2:3]
	v_lshlrev_b64 v[68:69], 3, v[10:11]
	v_add_co_u32 v2, vcc_lo, v5, v66
	v_add_co_ci_u32_e64 v3, null, v4, v67, vcc_lo
	v_add_co_u32 v10, vcc_lo, s16, v68
	v_add_co_ci_u32_e64 v11, null, s17, v69, vcc_lo
	s_clause 0x3
	global_load_dwordx2 v[4:5], v[2:3], off
	global_load_dwordx2 v[6:7], v[2:3], off offset:512
	global_load_dwordx2 v[8:9], v[2:3], off offset:1024
	;; [unrolled: 1-line block ×3, first 2 shown]
	v_add_co_u32 v10, vcc_lo, v10, v89
	v_add_co_ci_u32_e64 v11, null, 0, v11, vcc_lo
	v_add_co_u32 v14, vcc_lo, s14, v14
	v_add_co_ci_u32_e64 v15, null, s15, v15, vcc_lo
	global_load_dwordx2 v[12:13], v[10:11], off
	v_add_co_u32 v14, vcc_lo, v14, v66
	v_add_co_ci_u32_e64 v15, null, v15, v67, vcc_lo
	s_clause 0x3
	global_load_dwordx2 v[76:77], v[14:15], off
	global_load_dwordx2 v[78:79], v[14:15], off offset:512
	global_load_dwordx2 v[72:73], v[14:15], off offset:1024
	;; [unrolled: 1-line block ×4, first 2 shown]
	v_lshlrev_b32_e32 v10, 5, v16
	v_lshl_add_u32 v81, v88, 3, v10
	s_waitcnt vmcnt(8)
	ds_write2st64_b64 v81, v[4:5], v[6:7] offset1:4
	s_waitcnt vmcnt(6)
	ds_write2st64_b64 v81, v[8:9], v[2:3] offset0:8 offset1:12
	s_waitcnt vmcnt(5)
	ds_write_b64 v85, v[12:13] offset:16384
	s_waitcnt vmcnt(0) lgkmcnt(0)
	s_barrier
	buffer_gl0_inv
	ds_read_b128 v[10:13], v80 offset:1024
	ds_read_b128 v[14:17], v80 offset:2048
	;; [unrolled: 1-line block ×14, first 2 shown]
	ds_read_b128 v[150:153], v80
	ds_read_b128 v[2:5], v80 offset:16
	ds_read_b128 v[94:97], v132 offset:16384
	;; [unrolled: 1-line block ×3, first 2 shown]
	s_waitcnt lgkmcnt(1)
	v_add_f64 v[82:83], v[152:153], v[96:97]
	v_add_f64 v[86:87], v[150:151], v[94:95]
	v_cvt_f32_f64_e32 v82, v[82:83]
	v_cvt_f32_f64_e32 v84, v[86:87]
	v_add_f64 v[86:87], v[10:11], v[94:95]
	v_min3_f32 v93, v84, v82, 0x7f800000
	v_add_f64 v[82:83], v[12:13], v[96:97]
	v_cvt_f32_f64_e32 v84, v[86:87]
	v_add_f64 v[86:87], v[14:15], v[94:95]
	v_cvt_f32_f64_e32 v82, v[82:83]
	v_min3_f32 v92, v84, v82, 0x7f800000
	v_add_f64 v[82:83], v[16:17], v[96:97]
	v_cvt_f32_f64_e32 v84, v[86:87]
	v_add_f64 v[86:87], v[18:19], v[94:95]
	v_cvt_f32_f64_e32 v82, v[82:83]
	;; [unrolled: 5-line block ×12, first 2 shown]
	v_min3_f32 v144, v84, v82, 0x7f800000
	v_add_f64 v[82:83], v[28:29], v[40:41]
	v_cvt_f32_f64_e32 v84, v[86:87]
	v_add_f64 v[86:87], v[30:31], v[38:39]
	v_add_f64 v[38:39], v[34:35], v[38:39]
	v_cvt_f32_f64_e32 v82, v[82:83]
	v_cvt_f32_f64_e32 v38, v[38:39]
	v_min3_f32 v141, v84, v82, 0x7f800000
	v_add_f64 v[82:83], v[32:33], v[40:41]
	v_add_f64 v[40:41], v[36:37], v[40:41]
	v_cvt_f32_f64_e32 v84, v[86:87]
	v_cvt_f32_f64_e32 v82, v[82:83]
	;; [unrolled: 1-line block ×3, first 2 shown]
	v_add_f64 v[40:41], v[150:151], v[42:43]
	v_min3_f32 v140, v84, v82, 0x7f800000
	v_min3_f32 v139, v38, v39, 0x7f800000
	v_add_f64 v[38:39], v[152:153], v[44:45]
	v_cvt_f32_f64_e32 v40, v[40:41]
	v_cvt_f32_f64_e32 v38, v[38:39]
	v_min3_f32 v138, v40, v38, 0x7f800000
	v_add_f64 v[38:39], v[12:13], v[44:45]
	v_add_f64 v[40:41], v[10:11], v[42:43]
	v_cvt_f32_f64_e32 v38, v[38:39]
	v_cvt_f32_f64_e32 v40, v[40:41]
	v_min3_f32 v137, v40, v38, 0x7f800000
	v_add_f64 v[38:39], v[16:17], v[44:45]
	;; [unrolled: 5-line block ×33, first 2 shown]
	v_add_f64 v[40:41], v[10:11], v[58:59]
	v_add_f64 v[12:13], v[12:13], v[64:65]
	;; [unrolled: 1-line block ×3, first 2 shown]
	v_cvt_f32_f64_e32 v38, v[38:39]
	v_cvt_f32_f64_e32 v40, v[40:41]
	;; [unrolled: 1-line block ×4, first 2 shown]
	v_add_f64 v[12:13], v[14:15], v[62:63]
	v_min3_f32 v101, v40, v38, 0x7f800000
	v_add_f64 v[38:39], v[16:17], v[60:61]
	v_add_f64 v[40:41], v[14:15], v[58:59]
	v_min3_f32 v91, v10, v11, 0x7f800000
	v_add_f64 v[10:11], v[16:17], v[64:65]
	v_cvt_f32_f64_e32 v12, v[12:13]
	v_cvt_f32_f64_e32 v38, v[38:39]
	v_cvt_f32_f64_e32 v40, v[40:41]
	v_cvt_f32_f64_e32 v10, v[10:11]
	v_min3_f32 v100, v40, v38, 0x7f800000
	v_add_f64 v[38:39], v[20:21], v[60:61]
	v_add_f64 v[40:41], v[18:19], v[58:59]
	v_min3_f32 v90, v12, v10, 0x7f800000
	v_add_f64 v[10:11], v[20:21], v[64:65]
	v_add_f64 v[12:13], v[18:19], v[62:63]
	v_cvt_f32_f64_e32 v38, v[38:39]
	v_cvt_f32_f64_e32 v40, v[40:41]
	v_cvt_f32_f64_e32 v10, v[10:11]
	v_cvt_f32_f64_e32 v12, v[12:13]
	v_min3_f32 v99, v40, v38, 0x7f800000
	v_add_f64 v[38:39], v[24:25], v[60:61]
	v_add_f64 v[40:41], v[22:23], v[58:59]
	v_min3_f32 v87, v12, v10, 0x7f800000
	v_add_f64 v[10:11], v[24:25], v[64:65]
	;; [unrolled: 10-line block ×5, first 2 shown]
	v_add_f64 v[12:13], v[34:35], v[62:63]
	v_cvt_f32_f64_e32 v38, v[38:39]
	v_cvt_f32_f64_e32 v40, v[40:41]
	v_cvt_f32_f64_e32 v10, v[10:11]
	v_cvt_f32_f64_e32 v12, v[12:13]
	v_min3_f32 v95, v40, v38, 0x7f800000
	v_add_f64 v[38:39], v[152:153], v[64:65]
	v_add_f64 v[40:41], v[150:151], v[62:63]
	s_waitcnt lgkmcnt(0)
	v_add_f64 v[150:151], v[4:5], v[8:9]
	v_add_f64 v[152:153], v[2:3], v[6:7]
	v_min3_f32 v82, v12, v10, 0x7f800000
	v_cvt_f32_f64_e32 v38, v[38:39]
	v_cvt_f32_f64_e32 v40, v[40:41]
	;; [unrolled: 1-line block ×4, first 2 shown]
	v_min3_f32 v94, v40, v38, 0x7f800000
	ds_read_b128 v[34:37], v80 offset:1040
	ds_read_b128 v[30:33], v80 offset:2064
	;; [unrolled: 1-line block ×14, first 2 shown]
	v_min3_f32 v93, v152, v150, v93
	ds_write2st64_b64 v81, v[76:77], v[78:79] offset0:16 offset1:20
	ds_write2st64_b64 v81, v[72:73], v[74:75] offset0:24 offset1:28
	ds_write_b64 v85, v[70:71] offset:18432
	s_waitcnt lgkmcnt(0)
	s_barrier
	buffer_gl0_inv
	v_add_f64 v[150:151], v[36:37], v[8:9]
	v_add_f64 v[152:153], v[34:35], v[6:7]
	v_cvt_f32_f64_e32 v150, v[150:151]
	v_cvt_f32_f64_e32 v152, v[152:153]
	v_min3_f32 v92, v152, v150, v92
	v_add_f64 v[150:151], v[32:33], v[8:9]
	v_add_f64 v[152:153], v[30:31], v[6:7]
	v_cvt_f32_f64_e32 v150, v[150:151]
	v_cvt_f32_f64_e32 v152, v[152:153]
	v_min3_f32 v133, v152, v150, v133
	;; [unrolled: 5-line block ×5, first 2 shown]
	v_add_f64 v[150:151], v[16:17], v[8:9]
	v_add_f64 v[152:153], v[14:15], v[6:7]
	;; [unrolled: 1-line block ×4, first 2 shown]
	v_cvt_f32_f64_e32 v150, v[150:151]
	v_cvt_f32_f64_e32 v152, v[152:153]
	v_cvt_f32_f64_e32 v6, v[6:7]
	v_cvt_f32_f64_e32 v7, v[8:9]
	v_add_f64 v[8:9], v[2:3], v[62:63]
	v_min3_f32 v143, v152, v150, v143
	v_min3_f32 v199, v6, v7, v149
	v_add_f64 v[6:7], v[4:5], v[64:65]
	v_cvt_f32_f64_e32 v8, v[8:9]
	v_cvt_f32_f64_e32 v6, v[6:7]
	v_min3_f32 v200, v8, v6, v148
	v_add_f64 v[6:7], v[36:37], v[64:65]
	v_add_f64 v[8:9], v[34:35], v[62:63]
	v_cvt_f32_f64_e32 v6, v[6:7]
	v_cvt_f32_f64_e32 v8, v[8:9]
	v_min3_f32 v197, v8, v6, v147
	v_add_f64 v[6:7], v[32:33], v[64:65]
	;; [unrolled: 5-line block ×40, first 2 shown]
	v_add_f64 v[8:9], v[2:3], v[42:43]
	v_add_f64 v[4:5], v[4:5], v[40:41]
	;; [unrolled: 1-line block ×3, first 2 shown]
	v_cvt_f32_f64_e32 v6, v[6:7]
	v_cvt_f32_f64_e32 v8, v[8:9]
	;; [unrolled: 1-line block ×4, first 2 shown]
	v_add_f64 v[4:5], v[34:35], v[38:39]
	v_min3_f32 v160, v8, v6, v102
	v_add_f64 v[6:7], v[36:37], v[44:45]
	v_add_f64 v[8:9], v[34:35], v[42:43]
	v_min3_f32 v152, v2, v3, v94
	v_add_f64 v[2:3], v[36:37], v[40:41]
	v_cvt_f32_f64_e32 v4, v[4:5]
	v_cvt_f32_f64_e32 v6, v[6:7]
	v_cvt_f32_f64_e32 v8, v[8:9]
	v_cvt_f32_f64_e32 v2, v[2:3]
	v_min3_f32 v157, v8, v6, v101
	v_add_f64 v[6:7], v[32:33], v[44:45]
	v_add_f64 v[8:9], v[30:31], v[42:43]
	v_min3_f32 v149, v4, v2, v91
	v_add_f64 v[2:3], v[32:33], v[40:41]
	v_add_f64 v[4:5], v[30:31], v[38:39]
	v_cvt_f32_f64_e32 v6, v[6:7]
	v_cvt_f32_f64_e32 v8, v[8:9]
	v_cvt_f32_f64_e32 v2, v[2:3]
	v_cvt_f32_f64_e32 v4, v[4:5]
	v_min3_f32 v158, v8, v6, v100
	v_add_f64 v[6:7], v[28:29], v[44:45]
	v_add_f64 v[8:9], v[26:27], v[42:43]
	v_min3_f32 v150, v4, v2, v90
	v_add_f64 v[2:3], v[28:29], v[40:41]
	;; [unrolled: 10-line block ×6, first 2 shown]
	v_add_f64 v[4:5], v[10:11], v[38:39]
	v_cvt_f32_f64_e32 v6, v[6:7]
	v_cvt_f32_f64_e32 v8, v[8:9]
	;; [unrolled: 1-line block ×4, first 2 shown]
	v_min3_f32 v151, v8, v6, v95
	v_min3_f32 v144, v4, v2, v82
	s_cbranch_scc1 .LBB157_11
; %bb.9:
	v_add_nc_u32_e32 v2, 12, v88
	v_add_nc_u32_e32 v4, 8, v88
	v_add_co_u32 v6, vcc_lo, v68, v89
	v_add_co_ci_u32_e64 v7, null, 0, v69, vcc_lo
	v_mad_i64_i32 v[2:3], null, v2, s8, 0
	v_mad_i64_i32 v[4:5], null, v4, s8, 0
	v_add_co_u32 v6, vcc_lo, s16, v6
	v_add_co_ci_u32_e64 v7, null, s17, v7, vcc_lo
	v_lshlrev_b64 v[2:3], 3, v[2:3]
	v_add_co_u32 v68, vcc_lo, v6, 64
	v_lshlrev_b64 v[4:5], 3, v[4:5]
	v_add_co_ci_u32_e64 v69, null, 0, v7, vcc_lo
	v_add_co_u32 v88, vcc_lo, s14, v2
	v_add_co_ci_u32_e64 v89, null, s15, v3, vcc_lo
	v_add_co_u32 v90, vcc_lo, s14, v4
	v_add_nc_u32_e32 v82, 0x4000, v85
	v_or_b32_e32 v83, 0x4000, v132
	v_add_nc_u32_e32 v84, 0x2000, v81
	v_add_nc_u32_e32 v85, 0x4800, v85
	v_lshl_or_b32 v86, v0, 5, 0x2000
	v_add_nc_u32_e32 v87, 0x4800, v132
	v_add_co_ci_u32_e64 v91, null, s15, v5, vcc_lo
	s_ashr_i32 s9, s8, 31
	s_add_i32 s14, s18, -8
	s_lshl_b64 s[8:9], s[8:9], 6
	s_mov_b32 s15, 0
.LBB157_10:                             ; =>This Inner Loop Header: Depth=1
	v_add_co_u32 v2, vcc_lo, v90, v66
	v_add_co_ci_u32_e64 v3, null, v91, v67, vcc_lo
	s_add_i32 s15, s15, 8
	s_clause 0x3
	global_load_dwordx2 v[76:77], v[2:3], off
	global_load_dwordx2 v[78:79], v[2:3], off offset:512
	global_load_dwordx2 v[72:73], v[2:3], off offset:1024
	;; [unrolled: 1-line block ×3, first 2 shown]
	global_load_dwordx2 v[70:71], v[68:69], off
	ds_read_b128 v[10:13], v86 offset:1024
	ds_read_b128 v[14:17], v86 offset:2048
	;; [unrolled: 1-line block ×14, first 2 shown]
	ds_read_b128 v[94:97], v87
	ds_read_b128 v[6:9], v87 offset:16
	ds_read_b128 v[209:212], v86
	ds_read_b128 v[2:5], v86 offset:16
	s_cmp_ge_i32 s15, s14
	s_waitcnt lgkmcnt(1)
	v_add_f64 v[98:99], v[211:212], v[96:97]
	v_add_f64 v[100:101], v[209:210], v[94:95]
	v_cvt_f32_f64_e32 v98, v[98:99]
	v_cvt_f32_f64_e32 v100, v[100:101]
	v_min3_f32 v208, v100, v98, v93
	v_add_f64 v[98:99], v[12:13], v[96:97]
	v_add_f64 v[100:101], v[10:11], v[94:95]
	v_cvt_f32_f64_e32 v98, v[98:99]
	v_cvt_f32_f64_e32 v93, v[100:101]
	v_min3_f32 v207, v93, v98, v92
	;; [unrolled: 5-line block ×6, first 2 shown]
	v_add_f64 v[92:93], v[32:33], v[96:97]
	v_add_f64 v[98:99], v[30:31], v[94:95]
	;; [unrolled: 1-line block ×3, first 2 shown]
	v_cvt_f32_f64_e32 v92, v[92:93]
	v_cvt_f32_f64_e32 v98, v[98:99]
	;; [unrolled: 1-line block ×3, first 2 shown]
	v_min3_f32 v202, v98, v92, v143
	v_add_f64 v[92:93], v[36:37], v[96:97]
	v_cvt_f32_f64_e32 v92, v[92:93]
	v_min3_f32 v201, v94, v92, v199
	v_add_f64 v[92:93], v[211:212], v[40:41]
	v_add_f64 v[94:95], v[209:210], v[38:39]
	v_cvt_f32_f64_e32 v92, v[92:93]
	v_cvt_f32_f64_e32 v94, v[94:95]
	v_min3_f32 v200, v94, v92, v200
	v_add_f64 v[92:93], v[12:13], v[40:41]
	v_add_f64 v[94:95], v[10:11], v[38:39]
	v_cvt_f32_f64_e32 v92, v[92:93]
	;; [unrolled: 5-line block ×6, first 2 shown]
	v_cvt_f32_f64_e32 v94, v[94:95]
	v_min3_f32 v143, v94, v92, v193
	v_add_f64 v[92:93], v[32:33], v[40:41]
	v_add_f64 v[94:95], v[30:31], v[38:39]
	;; [unrolled: 1-line block ×4, first 2 shown]
	v_cvt_f32_f64_e32 v92, v[92:93]
	v_cvt_f32_f64_e32 v94, v[94:95]
	;; [unrolled: 1-line block ×4, first 2 shown]
	v_add_f64 v[40:41], v[209:210], v[42:43]
	v_min3_f32 v142, v94, v92, v194
	v_min3_f32 v141, v38, v39, v191
	v_add_f64 v[38:39], v[211:212], v[44:45]
	v_cvt_f32_f64_e32 v40, v[40:41]
	v_cvt_f32_f64_e32 v38, v[38:39]
	v_min3_f32 v140, v40, v38, v192
	v_add_f64 v[38:39], v[12:13], v[44:45]
	v_add_f64 v[40:41], v[10:11], v[42:43]
	v_cvt_f32_f64_e32 v38, v[38:39]
	v_cvt_f32_f64_e32 v40, v[40:41]
	v_min3_f32 v139, v40, v38, v189
	v_add_f64 v[38:39], v[16:17], v[44:45]
	;; [unrolled: 5-line block ×33, first 2 shown]
	v_add_f64 v[40:41], v[10:11], v[58:59]
	v_add_f64 v[12:13], v[12:13], v[64:65]
	;; [unrolled: 1-line block ×3, first 2 shown]
	v_cvt_f32_f64_e32 v38, v[38:39]
	v_cvt_f32_f64_e32 v40, v[40:41]
	;; [unrolled: 1-line block ×4, first 2 shown]
	v_add_f64 v[12:13], v[14:15], v[62:63]
	v_min3_f32 v106, v40, v38, v157
	v_add_f64 v[38:39], v[16:17], v[60:61]
	v_add_f64 v[40:41], v[14:15], v[58:59]
	v_min3_f32 v98, v10, v11, v149
	v_add_f64 v[10:11], v[16:17], v[64:65]
	v_cvt_f32_f64_e32 v12, v[12:13]
	v_cvt_f32_f64_e32 v38, v[38:39]
	v_cvt_f32_f64_e32 v40, v[40:41]
	v_cvt_f32_f64_e32 v10, v[10:11]
	v_min3_f32 v105, v40, v38, v158
	v_add_f64 v[38:39], v[20:21], v[60:61]
	v_add_f64 v[40:41], v[18:19], v[58:59]
	v_min3_f32 v97, v12, v10, v150
	v_add_f64 v[10:11], v[20:21], v[64:65]
	v_add_f64 v[12:13], v[18:19], v[62:63]
	v_cvt_f32_f64_e32 v38, v[38:39]
	v_cvt_f32_f64_e32 v40, v[40:41]
	v_cvt_f32_f64_e32 v10, v[10:11]
	v_cvt_f32_f64_e32 v12, v[12:13]
	v_min3_f32 v104, v40, v38, v155
	v_add_f64 v[38:39], v[24:25], v[60:61]
	v_add_f64 v[40:41], v[22:23], v[58:59]
	v_min3_f32 v96, v12, v10, v147
	v_add_f64 v[10:11], v[24:25], v[64:65]
	;; [unrolled: 10-line block ×5, first 2 shown]
	v_add_f64 v[12:13], v[34:35], v[62:63]
	s_waitcnt lgkmcnt(0)
	v_add_f64 v[146:147], v[2:3], v[6:7]
	v_cvt_f32_f64_e32 v38, v[38:39]
	v_cvt_f32_f64_e32 v40, v[40:41]
	;; [unrolled: 1-line block ×5, first 2 shown]
	v_min3_f32 v100, v40, v38, v151
	v_add_f64 v[38:39], v[211:212], v[64:65]
	v_add_f64 v[40:41], v[209:210], v[62:63]
	v_min3_f32 v92, v12, v10, v144
	v_add_f64 v[144:145], v[4:5], v[8:9]
	v_cvt_f32_f64_e32 v38, v[38:39]
	v_cvt_f32_f64_e32 v40, v[40:41]
	;; [unrolled: 1-line block ×3, first 2 shown]
	v_min3_f32 v99, v40, v38, v152
	ds_read_b128 v[34:37], v86 offset:1040
	ds_read_b128 v[30:33], v86 offset:2064
	;; [unrolled: 1-line block ×14, first 2 shown]
	v_min3_f32 v144, v146, v144, v208
	s_waitcnt vmcnt(3)
	ds_write2st64_b64 v81, v[76:77], v[78:79] offset1:4
	s_waitcnt vmcnt(1)
	ds_write2st64_b64 v81, v[72:73], v[74:75] offset0:8 offset1:12
	s_waitcnt vmcnt(0)
	ds_write_b64 v82, v[70:71]
	s_waitcnt lgkmcnt(0)
	s_barrier
	buffer_gl0_inv
	v_add_f64 v[145:146], v[36:37], v[8:9]
	v_add_f64 v[147:148], v[34:35], v[6:7]
	v_cvt_f32_f64_e32 v145, v[145:146]
	v_cvt_f32_f64_e32 v147, v[147:148]
	v_add_f64 v[148:149], v[30:31], v[6:7]
	v_min3_f32 v145, v147, v145, v207
	v_add_f64 v[146:147], v[32:33], v[8:9]
	v_cvt_f32_f64_e32 v148, v[148:149]
	v_add_f64 v[149:150], v[26:27], v[6:7]
	v_cvt_f32_f64_e32 v146, v[146:147]
	v_cvt_f32_f64_e32 v149, v[149:150]
	v_add_f64 v[150:151], v[22:23], v[6:7]
	v_min3_f32 v146, v148, v146, v206
	v_add_f64 v[147:148], v[28:29], v[8:9]
	v_cvt_f32_f64_e32 v150, v[150:151]
	v_add_f64 v[151:152], v[18:19], v[6:7]
	v_cvt_f32_f64_e32 v147, v[147:148]
	v_cvt_f32_f64_e32 v151, v[151:152]
	v_add_f64 v[152:153], v[14:15], v[6:7]
	v_add_f64 v[6:7], v[10:11], v[6:7]
	v_min3_f32 v147, v149, v147, v205
	v_add_f64 v[148:149], v[24:25], v[8:9]
	v_cvt_f32_f64_e32 v152, v[152:153]
	v_cvt_f32_f64_e32 v6, v[6:7]
	v_add_f64 v[153:154], v[30:31], v[62:63]
	v_cvt_f32_f64_e32 v148, v[148:149]
	v_min3_f32 v148, v150, v148, v204
	v_add_f64 v[149:150], v[20:21], v[8:9]
	v_cvt_f32_f64_e32 v149, v[149:150]
	v_min3_f32 v149, v151, v149, v203
	v_add_f64 v[150:151], v[16:17], v[8:9]
	v_add_f64 v[8:9], v[12:13], v[8:9]
	v_cvt_f32_f64_e32 v150, v[150:151]
	v_cvt_f32_f64_e32 v7, v[8:9]
	v_min3_f32 v150, v152, v150, v202
	v_min3_f32 v6, v6, v7, v201
	v_add_f64 v[7:8], v[4:5], v[64:65]
	v_add_f64 v[151:152], v[2:3], v[62:63]
	v_cvt_f32_f64_e32 v7, v[7:8]
	v_cvt_f32_f64_e32 v9, v[151:152]
	v_add_f64 v[151:152], v[34:35], v[62:63]
	v_min3_f32 v7, v9, v7, v200
	v_add_f64 v[8:9], v[36:37], v[64:65]
	v_cvt_f32_f64_e32 v151, v[151:152]
	v_cvt_f32_f64_e32 v8, v[8:9]
	;; [unrolled: 1-line block ×3, first 2 shown]
	v_add_f64 v[153:154], v[26:27], v[62:63]
	v_min3_f32 v8, v151, v8, v199
	v_add_f64 v[151:152], v[32:33], v[64:65]
	v_cvt_f32_f64_e32 v153, v[153:154]
	v_add_f64 v[154:155], v[22:23], v[62:63]
	v_cvt_f32_f64_e32 v151, v[151:152]
	v_cvt_f32_f64_e32 v154, v[154:155]
	v_min3_f32 v9, v9, v151, v198
	v_add_f64 v[151:152], v[28:29], v[64:65]
	v_cvt_f32_f64_e32 v151, v[151:152]
	v_min3_f32 v151, v153, v151, v197
	v_add_f64 v[152:153], v[24:25], v[64:65]
	;; [unrolled: 3-line block ×3, first 2 shown]
	v_add_f64 v[154:155], v[18:19], v[62:63]
	v_cvt_f32_f64_e32 v152, v[152:153]
	v_cvt_f32_f64_e32 v154, v[154:155]
	v_min3_f32 v158, v154, v152, v143
	v_add_f64 v[152:153], v[16:17], v[64:65]
	v_add_f64 v[154:155], v[14:15], v[62:63]
	;; [unrolled: 1-line block ×4, first 2 shown]
	v_cvt_f32_f64_e32 v152, v[152:153]
	v_cvt_f32_f64_e32 v143, v[154:155]
	;; [unrolled: 1-line block ×4, first 2 shown]
	v_min3_f32 v159, v143, v152, v142
	v_min3_f32 v62, v62, v63, v141
	v_add_f64 v[63:64], v[4:5], v[60:61]
	v_add_f64 v[141:142], v[2:3], v[58:59]
	v_cvt_f32_f64_e32 v63, v[63:64]
	v_cvt_f32_f64_e32 v65, v[141:142]
	v_min3_f32 v63, v65, v63, v140
	v_add_f64 v[64:65], v[36:37], v[60:61]
	v_add_f64 v[140:141], v[34:35], v[58:59]
	v_cvt_f32_f64_e32 v64, v[64:65]
	v_cvt_f32_f64_e32 v140, v[140:141]
	v_add_f64 v[141:142], v[30:31], v[58:59]
	v_min3_f32 v64, v140, v64, v139
	v_add_f64 v[139:140], v[32:33], v[60:61]
	v_cvt_f32_f64_e32 v65, v[141:142]
	v_cvt_f32_f64_e32 v139, v[139:140]
	v_add_f64 v[140:141], v[26:27], v[58:59]
	v_min3_f32 v65, v65, v139, v138
	v_add_f64 v[138:139], v[28:29], v[60:61]
	v_cvt_f32_f64_e32 v140, v[140:141]
	v_cvt_f32_f64_e32 v138, v[138:139]
	v_min3_f32 v137, v140, v138, v137
	v_add_f64 v[138:139], v[24:25], v[60:61]
	v_add_f64 v[140:141], v[22:23], v[58:59]
	v_cvt_f32_f64_e32 v138, v[138:139]
	v_cvt_f32_f64_e32 v140, v[140:141]
	v_min3_f32 v136, v140, v138, v136
	v_add_f64 v[138:139], v[20:21], v[60:61]
	v_add_f64 v[140:141], v[18:19], v[58:59]
	v_cvt_f32_f64_e32 v138, v[138:139]
	v_cvt_f32_f64_e32 v140, v[140:141]
	v_add_f64 v[141:142], v[14:15], v[58:59]
	v_add_f64 v[58:59], v[10:11], v[58:59]
	v_min3_f32 v138, v140, v138, v135
	v_add_f64 v[139:140], v[16:17], v[60:61]
	v_add_f64 v[60:61], v[12:13], v[60:61]
	v_cvt_f32_f64_e32 v135, v[141:142]
	v_cvt_f32_f64_e32 v58, v[58:59]
	;; [unrolled: 1-line block ×4, first 2 shown]
	v_min3_f32 v139, v135, v139, v134
	v_min3_f32 v58, v58, v59, v133
	v_add_f64 v[59:60], v[4:5], v[56:57]
	v_add_f64 v[133:134], v[2:3], v[54:55]
	v_cvt_f32_f64_e32 v59, v[59:60]
	v_cvt_f32_f64_e32 v61, v[133:134]
	v_add_f64 v[133:134], v[34:35], v[54:55]
	v_min3_f32 v59, v61, v59, v131
	v_add_f64 v[60:61], v[36:37], v[56:57]
	v_cvt_f32_f64_e32 v131, v[133:134]
	v_add_f64 v[133:134], v[30:31], v[54:55]
	v_cvt_f32_f64_e32 v60, v[60:61]
	v_cvt_f32_f64_e32 v61, v[133:134]
	v_add_f64 v[133:134], v[26:27], v[54:55]
	v_min3_f32 v60, v131, v60, v130
	v_add_f64 v[130:131], v[32:33], v[56:57]
	v_cvt_f32_f64_e32 v130, v[130:131]
	v_cvt_f32_f64_e32 v131, v[133:134]
	v_add_f64 v[133:134], v[22:23], v[54:55]
	v_min3_f32 v61, v61, v130, v129
	v_add_f64 v[129:130], v[28:29], v[56:57]
	v_cvt_f32_f64_e32 v129, v[129:130]
	v_min3_f32 v128, v131, v129, v128
	v_add_f64 v[129:130], v[24:25], v[56:57]
	v_cvt_f32_f64_e32 v131, v[133:134]
	v_add_f64 v[133:134], v[18:19], v[54:55]
	v_cvt_f32_f64_e32 v129, v[129:130]
	v_min3_f32 v127, v131, v129, v127
	v_add_f64 v[129:130], v[20:21], v[56:57]
	v_cvt_f32_f64_e32 v131, v[133:134]
	v_add_f64 v[133:134], v[14:15], v[54:55]
	v_add_f64 v[54:55], v[10:11], v[54:55]
	v_cvt_f32_f64_e32 v129, v[129:130]
	v_cvt_f32_f64_e32 v54, v[54:55]
	v_min3_f32 v126, v131, v129, v126
	v_add_f64 v[129:130], v[16:17], v[56:57]
	v_add_f64 v[56:57], v[12:13], v[56:57]
	v_cvt_f32_f64_e32 v131, v[133:134]
	v_cvt_f32_f64_e32 v129, v[129:130]
	;; [unrolled: 1-line block ×3, first 2 shown]
	v_min3_f32 v125, v131, v129, v125
	v_min3_f32 v54, v54, v55, v124
	v_add_f64 v[55:56], v[4:5], v[52:53]
	v_add_f64 v[129:130], v[2:3], v[50:51]
	v_cvt_f32_f64_e32 v55, v[55:56]
	v_cvt_f32_f64_e32 v57, v[129:130]
	v_add_f64 v[129:130], v[30:31], v[50:51]
	v_min3_f32 v55, v57, v55, v123
	v_add_f64 v[56:57], v[36:37], v[52:53]
	v_add_f64 v[123:124], v[34:35], v[50:51]
	v_cvt_f32_f64_e32 v56, v[56:57]
	v_cvt_f32_f64_e32 v123, v[123:124]
	;; [unrolled: 1-line block ×3, first 2 shown]
	v_min3_f32 v56, v123, v56, v122
	v_add_f64 v[122:123], v[32:33], v[52:53]
	v_cvt_f32_f64_e32 v122, v[122:123]
	v_add_f64 v[123:124], v[26:27], v[50:51]
	v_min3_f32 v57, v57, v122, v121
	v_add_f64 v[121:122], v[28:29], v[52:53]
	v_cvt_f32_f64_e32 v123, v[123:124]
	v_cvt_f32_f64_e32 v121, v[121:122]
	v_min3_f32 v120, v123, v121, v120
	v_add_f64 v[121:122], v[24:25], v[52:53]
	v_add_f64 v[123:124], v[22:23], v[50:51]
	v_cvt_f32_f64_e32 v121, v[121:122]
	v_cvt_f32_f64_e32 v123, v[123:124]
	v_min3_f32 v119, v123, v121, v119
	v_add_f64 v[121:122], v[20:21], v[52:53]
	;; [unrolled: 5-line block ×3, first 2 shown]
	v_add_f64 v[123:124], v[14:15], v[50:51]
	v_add_f64 v[52:53], v[12:13], v[52:53]
	;; [unrolled: 1-line block ×3, first 2 shown]
	v_cvt_f32_f64_e32 v121, v[121:122]
	v_cvt_f32_f64_e32 v123, v[123:124]
	;; [unrolled: 1-line block ×4, first 2 shown]
	v_min3_f32 v117, v123, v121, v117
	v_add_f64 v[121:122], v[2:3], v[46:47]
	v_min3_f32 v50, v50, v51, v116
	v_add_f64 v[51:52], v[4:5], v[48:49]
	v_cvt_f32_f64_e32 v53, v[121:122]
	v_add_f64 v[121:122], v[30:31], v[46:47]
	v_cvt_f32_f64_e32 v51, v[51:52]
	v_min3_f32 v51, v53, v51, v115
	v_add_f64 v[52:53], v[36:37], v[48:49]
	v_add_f64 v[115:116], v[34:35], v[46:47]
	v_cvt_f32_f64_e32 v52, v[52:53]
	v_cvt_f32_f64_e32 v115, v[115:116]
	;; [unrolled: 1-line block ×3, first 2 shown]
	v_min3_f32 v52, v115, v52, v114
	v_add_f64 v[114:115], v[32:33], v[48:49]
	v_cvt_f32_f64_e32 v114, v[114:115]
	v_add_f64 v[115:116], v[26:27], v[46:47]
	v_min3_f32 v53, v53, v114, v113
	v_add_f64 v[113:114], v[28:29], v[48:49]
	v_cvt_f32_f64_e32 v115, v[115:116]
	v_cvt_f32_f64_e32 v113, v[113:114]
	v_min3_f32 v112, v115, v113, v112
	v_add_f64 v[113:114], v[24:25], v[48:49]
	v_add_f64 v[115:116], v[22:23], v[46:47]
	v_cvt_f32_f64_e32 v113, v[113:114]
	v_cvt_f32_f64_e32 v115, v[115:116]
	v_min3_f32 v111, v115, v113, v111
	v_add_f64 v[113:114], v[20:21], v[48:49]
	;; [unrolled: 5-line block ×3, first 2 shown]
	v_add_f64 v[115:116], v[14:15], v[46:47]
	v_add_f64 v[48:49], v[12:13], v[48:49]
	;; [unrolled: 1-line block ×3, first 2 shown]
	v_cvt_f32_f64_e32 v113, v[113:114]
	v_cvt_f32_f64_e32 v115, v[115:116]
	;; [unrolled: 1-line block ×4, first 2 shown]
	v_min3_f32 v109, v115, v113, v109
	v_add_f64 v[113:114], v[2:3], v[42:43]
	v_add_f64 v[2:3], v[2:3], v[38:39]
	v_min3_f32 v46, v46, v47, v108
	v_add_f64 v[47:48], v[4:5], v[44:45]
	v_add_f64 v[4:5], v[4:5], v[40:41]
	v_cvt_f32_f64_e32 v49, v[113:114]
	v_add_f64 v[113:114], v[30:31], v[42:43]
	v_cvt_f32_f64_e32 v2, v[2:3]
	v_cvt_f32_f64_e32 v47, v[47:48]
	;; [unrolled: 1-line block ×3, first 2 shown]
	v_add_f64 v[4:5], v[34:35], v[38:39]
	v_min3_f32 v47, v49, v47, v107
	v_add_f64 v[48:49], v[36:37], v[44:45]
	v_add_f64 v[107:108], v[34:35], v[42:43]
	v_cvt_f32_f64_e32 v4, v[4:5]
	v_cvt_f32_f64_e32 v48, v[48:49]
	;; [unrolled: 1-line block ×4, first 2 shown]
	v_min3_f32 v48, v107, v48, v106
	v_add_f64 v[106:107], v[32:33], v[44:45]
	v_cvt_f32_f64_e32 v106, v[106:107]
	v_add_f64 v[107:108], v[26:27], v[42:43]
	v_min3_f32 v49, v49, v106, v105
	v_add_f64 v[105:106], v[28:29], v[44:45]
	v_cvt_f32_f64_e32 v107, v[107:108]
	v_cvt_f32_f64_e32 v105, v[105:106]
	v_min3_f32 v104, v107, v105, v104
	v_add_f64 v[105:106], v[24:25], v[44:45]
	v_add_f64 v[107:108], v[22:23], v[42:43]
	v_cvt_f32_f64_e32 v105, v[105:106]
	v_cvt_f32_f64_e32 v107, v[107:108]
	v_min3_f32 v103, v107, v105, v103
	v_add_f64 v[105:106], v[20:21], v[44:45]
	;; [unrolled: 5-line block ×3, first 2 shown]
	v_add_f64 v[107:108], v[14:15], v[42:43]
	v_add_f64 v[44:45], v[12:13], v[44:45]
	;; [unrolled: 1-line block ×3, first 2 shown]
	v_cvt_f32_f64_e32 v105, v[105:106]
	v_cvt_f32_f64_e32 v107, v[107:108]
	;; [unrolled: 1-line block ×4, first 2 shown]
	v_min3_f32 v101, v107, v105, v101
	v_min3_f32 v42, v42, v43, v100
	;; [unrolled: 1-line block ×3, first 2 shown]
	v_add_f64 v[2:3], v[36:37], v[40:41]
	v_cvt_f32_f64_e32 v2, v[2:3]
	v_min3_f32 v44, v4, v2, v98
	v_add_f64 v[2:3], v[32:33], v[40:41]
	v_add_f64 v[4:5], v[30:31], v[38:39]
	v_cvt_f32_f64_e32 v2, v[2:3]
	v_cvt_f32_f64_e32 v4, v[4:5]
	v_min3_f32 v30, v4, v2, v97
	v_add_f64 v[2:3], v[28:29], v[40:41]
	v_add_f64 v[4:5], v[26:27], v[38:39]
	v_cvt_f32_f64_e32 v2, v[2:3]
	;; [unrolled: 5-line block ×6, first 2 shown]
	v_cvt_f32_f64_e32 v4, v[4:5]
	v_min3_f32 v10, v4, v2, v92
	v_add_co_u32 v2, vcc_lo, v88, v66
	v_add_co_ci_u32_e64 v3, null, v89, v67, vcc_lo
	s_clause 0x3
	global_load_dwordx2 v[76:77], v[2:3], off
	global_load_dwordx2 v[78:79], v[2:3], off offset:512
	global_load_dwordx2 v[72:73], v[2:3], off offset:1024
	;; [unrolled: 1-line block ×4, first 2 shown]
	ds_read_b128 v[38:41], v80 offset:1024
	ds_read_b128 v[94:97], v80 offset:2048
	;; [unrolled: 1-line block ×14, first 2 shown]
	ds_read_b128 v[196:199], v80
	ds_read_b128 v[2:5], v80 offset:16
	ds_read_b128 v[152:155], v83
	ds_read_b128 v[34:37], v83 offset:16
	v_add_co_u32 v68, vcc_lo, v68, 64
	v_add_co_ci_u32_e64 v69, null, 0, v69, vcc_lo
	v_add_co_u32 v88, vcc_lo, v88, s8
	v_add_co_ci_u32_e64 v89, null, s9, v89, vcc_lo
	;; [unrolled: 2-line block ×3, first 2 shown]
	s_waitcnt lgkmcnt(1)
	v_add_f64 v[11:12], v[198:199], v[154:155]
	v_add_f64 v[15:16], v[196:197], v[152:153]
	v_cvt_f32_f64_e32 v11, v[11:12]
	v_cvt_f32_f64_e32 v13, v[15:16]
	v_add_f64 v[15:16], v[38:39], v[152:153]
	v_min3_f32 v93, v13, v11, v144
	v_add_f64 v[11:12], v[40:41], v[154:155]
	v_cvt_f32_f64_e32 v13, v[15:16]
	v_add_f64 v[15:16], v[94:95], v[152:153]
	v_cvt_f32_f64_e32 v11, v[11:12]
	v_min3_f32 v92, v13, v11, v145
	v_add_f64 v[11:12], v[96:97], v[154:155]
	v_cvt_f32_f64_e32 v13, v[15:16]
	v_add_f64 v[15:16], v[160:161], v[152:153]
	v_cvt_f32_f64_e32 v11, v[11:12]
	;; [unrolled: 5-line block ×7, first 2 shown]
	v_min3_f32 v156, v13, v11, v6
	v_add_f64 v[11:12], v[198:199], v[107:108]
	v_cvt_f32_f64_e32 v6, v[15:16]
	v_cvt_f32_f64_e32 v11, v[11:12]
	v_min3_f32 v155, v6, v11, v7
	v_add_f64 v[6:7], v[40:41], v[107:108]
	v_add_f64 v[11:12], v[38:39], v[105:106]
	v_cvt_f32_f64_e32 v6, v[6:7]
	v_cvt_f32_f64_e32 v11, v[11:12]
	v_min3_f32 v154, v11, v6, v8
	v_add_f64 v[6:7], v[96:97], v[107:108]
	;; [unrolled: 5-line block ×6, first 2 shown]
	v_add_f64 v[8:9], v[172:173], v[105:106]
	s_waitcnt lgkmcnt(0)
	v_add_f64 v[157:158], v[4:5], v[36:37]
	v_cvt_f32_f64_e32 v6, v[6:7]
	v_cvt_f32_f64_e32 v8, v[8:9]
	;; [unrolled: 1-line block ×3, first 2 shown]
	v_min3_f32 v149, v8, v6, v159
	v_add_f64 v[6:7], v[178:179], v[107:108]
	v_add_f64 v[8:9], v[176:177], v[105:106]
	v_cvt_f32_f64_e32 v6, v[6:7]
	v_cvt_f32_f64_e32 v8, v[8:9]
	v_min3_f32 v148, v8, v6, v62
	v_add_f64 v[6:7], v[198:199], v[115:116]
	v_add_f64 v[8:9], v[196:197], v[113:114]
	v_cvt_f32_f64_e32 v6, v[6:7]
	v_cvt_f32_f64_e32 v8, v[8:9]
	;; [unrolled: 5-line block ×44, first 2 shown]
	v_min3_f32 v99, v8, v6, v30
	v_add_f64 v[6:7], v[162:163], v[194:195]
	v_add_f64 v[8:9], v[160:161], v[192:193]
	;; [unrolled: 1-line block ×3, first 2 shown]
	v_cvt_f32_f64_e32 v6, v[6:7]
	v_cvt_f32_f64_e32 v8, v[8:9]
	;; [unrolled: 1-line block ×3, first 2 shown]
	v_min3_f32 v98, v8, v6, v26
	v_add_f64 v[6:7], v[166:167], v[194:195]
	v_add_f64 v[8:9], v[164:165], v[192:193]
	v_min3_f32 v93, v159, v157, v93
	v_cvt_f32_f64_e32 v6, v[6:7]
	v_cvt_f32_f64_e32 v8, v[8:9]
	v_min3_f32 v97, v8, v6, v22
	v_add_f64 v[6:7], v[170:171], v[194:195]
	v_add_f64 v[8:9], v[168:169], v[192:193]
	v_cvt_f32_f64_e32 v6, v[6:7]
	v_cvt_f32_f64_e32 v8, v[8:9]
	v_min3_f32 v96, v8, v6, v18
	v_add_f64 v[6:7], v[174:175], v[194:195]
	v_add_f64 v[8:9], v[172:173], v[192:193]
	;; [unrolled: 5-line block ×3, first 2 shown]
	v_cvt_f32_f64_e32 v6, v[6:7]
	v_cvt_f32_f64_e32 v8, v[8:9]
	v_min3_f32 v94, v8, v6, v10
	ds_read_b128 v[30:33], v80 offset:1040
	ds_read_b128 v[26:29], v80 offset:2064
	;; [unrolled: 1-line block ×14, first 2 shown]
	s_waitcnt vmcnt(3)
	ds_write2st64_b64 v84, v[76:77], v[78:79] offset1:4
	s_waitcnt vmcnt(1)
	ds_write2st64_b64 v84, v[72:73], v[74:75] offset0:8 offset1:12
	s_waitcnt vmcnt(0)
	ds_write_b64 v85, v[70:71]
	s_waitcnt lgkmcnt(0)
	s_barrier
	buffer_gl0_inv
	v_add_f64 v[157:158], v[32:33], v[36:37]
	v_add_f64 v[159:160], v[30:31], v[34:35]
	v_cvt_f32_f64_e32 v157, v[157:158]
	v_cvt_f32_f64_e32 v159, v[159:160]
	v_min3_f32 v92, v159, v157, v92
	v_add_f64 v[157:158], v[28:29], v[36:37]
	v_add_f64 v[159:160], v[26:27], v[34:35]
	v_cvt_f32_f64_e32 v157, v[157:158]
	v_cvt_f32_f64_e32 v159, v[159:160]
	v_min3_f32 v133, v159, v157, v133
	;; [unrolled: 5-line block ×5, first 2 shown]
	v_add_f64 v[157:158], v[12:13], v[36:37]
	v_add_f64 v[159:160], v[10:11], v[34:35]
	;; [unrolled: 1-line block ×4, first 2 shown]
	v_cvt_f32_f64_e32 v157, v[157:158]
	v_cvt_f32_f64_e32 v159, v[159:160]
	;; [unrolled: 1-line block ×4, first 2 shown]
	v_add_f64 v[36:37], v[2:3], v[62:63]
	v_min3_f32 v143, v159, v157, v143
	v_min3_f32 v199, v34, v35, v156
	v_add_f64 v[34:35], v[4:5], v[64:65]
	v_cvt_f32_f64_e32 v36, v[36:37]
	v_cvt_f32_f64_e32 v34, v[34:35]
	v_min3_f32 v200, v36, v34, v155
	v_add_f64 v[34:35], v[32:33], v[64:65]
	v_add_f64 v[36:37], v[30:31], v[62:63]
	v_cvt_f32_f64_e32 v34, v[34:35]
	v_cvt_f32_f64_e32 v36, v[36:37]
	v_min3_f32 v197, v36, v34, v154
	v_add_f64 v[34:35], v[28:29], v[64:65]
	;; [unrolled: 5-line block ×40, first 2 shown]
	v_add_f64 v[36:37], v[2:3], v[42:43]
	v_add_f64 v[4:5], v[4:5], v[40:41]
	;; [unrolled: 1-line block ×3, first 2 shown]
	v_cvt_f32_f64_e32 v34, v[34:35]
	v_cvt_f32_f64_e32 v36, v[36:37]
	;; [unrolled: 1-line block ×4, first 2 shown]
	v_add_f64 v[4:5], v[30:31], v[38:39]
	v_min3_f32 v160, v36, v34, v109
	v_add_f64 v[34:35], v[32:33], v[44:45]
	v_add_f64 v[36:37], v[30:31], v[42:43]
	v_min3_f32 v152, v2, v3, v101
	v_add_f64 v[2:3], v[32:33], v[40:41]
	v_cvt_f32_f64_e32 v4, v[4:5]
	v_cvt_f32_f64_e32 v34, v[34:35]
	v_cvt_f32_f64_e32 v36, v[36:37]
	v_cvt_f32_f64_e32 v2, v[2:3]
	v_min3_f32 v157, v36, v34, v108
	v_add_f64 v[34:35], v[28:29], v[44:45]
	v_add_f64 v[36:37], v[26:27], v[42:43]
	v_min3_f32 v149, v4, v2, v100
	v_add_f64 v[2:3], v[28:29], v[40:41]
	v_add_f64 v[4:5], v[26:27], v[38:39]
	v_cvt_f32_f64_e32 v34, v[34:35]
	v_cvt_f32_f64_e32 v36, v[36:37]
	v_cvt_f32_f64_e32 v2, v[2:3]
	v_cvt_f32_f64_e32 v4, v[4:5]
	v_min3_f32 v158, v36, v34, v107
	v_add_f64 v[34:35], v[24:25], v[44:45]
	v_add_f64 v[36:37], v[22:23], v[42:43]
	v_min3_f32 v150, v4, v2, v99
	v_add_f64 v[2:3], v[24:25], v[40:41]
	;; [unrolled: 10-line block ×6, first 2 shown]
	v_add_f64 v[4:5], v[6:7], v[38:39]
	v_cvt_f32_f64_e32 v34, v[34:35]
	v_cvt_f32_f64_e32 v36, v[36:37]
	;; [unrolled: 1-line block ×4, first 2 shown]
	v_min3_f32 v151, v36, v34, v102
	v_min3_f32 v144, v4, v2, v94
	s_cbranch_scc0 .LBB157_10
.LBB157_11:
	ds_read_b128 v[124:127], v132 offset:18432
	ds_read_b128 v[68:71], v80 offset:8192
	;; [unrolled: 1-line block ×4, first 2 shown]
	s_clause 0x2
	s_load_dwordx2 s[14:15], s[4:5], 0x78
	s_load_dword s8, s[4:5], 0x70
	s_load_dword s4, s[4:5], 0x58
	v_add_nc_u32_e32 v201, s6, v1
	v_add_nc_u32_e32 v138, s1, v0
	v_ashrrev_i32_e32 v139, 31, v138
	v_add_nc_u32_e32 v0, 32, v138
	v_lshlrev_b64 v[130:131], 3, v[138:139]
	v_ashrrev_i32_e32 v1, 31, v0
	s_waitcnt lgkmcnt(0)
	v_add_f64 v[2:3], v[68:69], v[124:125]
	v_add_f64 v[4:5], v[70:71], v[126:127]
	;; [unrolled: 1-line block ×4, first 2 shown]
	s_mul_i32 s1, s15, s7
	s_mul_hi_u32 s5, s14, s7
	s_mul_i32 s6, s14, s7
	s_add_i32 s7, s5, s1
	s_lshl_b64 s[6:7], s[6:7], 3
	s_add_u32 s1, s10, s6
	s_addc_u32 s5, s11, s7
	s_mov_b32 s6, -1
	v_cvt_f32_f64_e32 v10, v[2:3]
	v_cvt_f32_f64_e32 v11, v[4:5]
	;; [unrolled: 1-line block ×4, first 2 shown]
	v_mad_i64_i32 v[2:3], null, v201, s8, 0
	v_mad_i64_i32 v[4:5], null, v201, s4, 0
	v_lshlrev_b64 v[2:3], 3, v[2:3]
	v_lshlrev_b64 v[4:5], 3, v[4:5]
	v_add_co_u32 v202, vcc_lo, s1, v2
	v_add_co_ci_u32_e64 v203, null, s5, v3, vcc_lo
	v_add_co_u32 v204, vcc_lo, s12, v4
	v_min3_f32 v8, v10, v11, v93
	v_add_co_ci_u32_e64 v205, null, s13, v5, vcc_lo
	s_mov_b32 vcc_lo, s0
	v_min3_f32 v2, v6, v7, v8
	v_max_f32_e32 v2, v2, v2
	s_cbranch_vccz .LBB157_13
; %bb.12:
	v_min_f32_e32 v3, 0, v2
	v_add_co_u32 v5, vcc_lo, v202, v130
	v_add_co_ci_u32_e64 v6, null, v203, v131, vcc_lo
	v_cvt_f64_f32_e32 v[3:4], v3
	s_mov_b32 s6, 0
	global_store_dwordx2 v[5:6], v[3:4], off
.LBB157_13:
	ds_read_b128 v[60:63], v80 offset:9216
	ds_read_b128 v[52:55], v80 offset:9232
	;; [unrolled: 1-line block ×4, first 2 shown]
	v_lshlrev_b64 v[128:129], 3, v[0:1]
	v_mov_b32_e32 v8, 0
	s_andn2_b32 vcc_lo, exec_lo, s6
	s_cbranch_vccnz .LBB157_15
; %bb.14:
	v_add_co_u32 v0, vcc_lo, v204, v130
	v_add_co_ci_u32_e64 v1, null, v205, v131, vcc_lo
	global_load_dwordx2 v[0:1], v[0:1], off
	s_waitcnt vmcnt(0)
	v_mul_f64 v[0:1], s[2:3], v[0:1]
	v_cvt_f32_f64_e32 v0, v[0:1]
	v_min_f32_e32 v0, v0, v2
	v_add_co_u32 v2, vcc_lo, v202, v130
	v_add_co_ci_u32_e64 v3, null, v203, v131, vcc_lo
	v_cvt_f64_f32_e32 v[0:1], v0
	v_add_co_u32 v4, vcc_lo, v204, v128
	v_add_co_ci_u32_e64 v5, null, v205, v129, vcc_lo
	global_store_dwordx2 v[2:3], v[0:1], off
	global_load_dwordx2 v[0:1], v[4:5], off
	s_waitcnt vmcnt(0)
	v_mul_f64 v[0:1], s[2:3], v[0:1]
	v_cvt_f32_f64_e32 v8, v[0:1]
.LBB157_15:
	s_waitcnt lgkmcnt(3)
	v_add_f64 v[0:1], v[60:61], v[124:125]
	v_add_f64 v[2:3], v[62:63], v[126:127]
	s_waitcnt lgkmcnt(2)
	v_add_f64 v[4:5], v[52:53], v[120:121]
	v_add_f64 v[6:7], v[54:55], v[122:123]
	;; [unrolled: 3-line block ×4, first 2 shown]
	v_add_nc_u32_e32 v136, 64, v138
	v_add_co_u32 v208, vcc_lo, v202, v128
	v_add_co_ci_u32_e64 v209, null, v203, v129, vcc_lo
	s_mov_b32 s6, -1
	s_mov_b32 vcc_lo, s0
	v_cvt_f32_f64_e32 v15, v[0:1]
	v_cvt_f32_f64_e32 v74, v[2:3]
	;; [unrolled: 1-line block ×8, first 2 shown]
	ds_read_b128 v[56:59], v80 offset:11264
	ds_read_b128 v[44:47], v80 offset:11280
	;; [unrolled: 1-line block ×14, first 2 shown]
	v_min3_f32 v9, v15, v74, v92
	ds_read_b128 v[100:103], v132 offset:19200
	ds_read_b128 v[96:99], v132 offset:19216
	;; [unrolled: 1-line block ×4, first 2 shown]
	v_min_f32_e32 v10, v75, v76
	v_min3_f32 v133, v137, v139, v133
	v_ashrrev_i32_e32 v137, 31, v136
	v_min3_f32 v8, v8, v10, v9
	v_min3_f32 v139, v140, v141, v133
	v_lshlrev_b64 v[136:137], 3, v[136:137]
	v_cvt_f64_f32_e32 v[206:207], v8
	ds_read_b128 v[84:87], v132 offset:19712
	ds_read_b128 v[80:83], v132 offset:19728
	ds_read_b128 v[76:79], v132 offset:19968
	ds_read_b128 v[72:75], v132 offset:19984
	ds_read_b128 v[8:11], v132 offset:20224
	ds_read_b128 v[12:15], v132 offset:20240
	v_add_nc_u32_e32 v132, 0x60, v138
	v_max_f32_e32 v140, v139, v139
	v_ashrrev_i32_e32 v133, 31, v132
	global_store_dwordx2 v[208:209], v[206:207], off
	s_cbranch_vccz .LBB157_17
; %bb.16:
	v_min_f32_e32 v139, 0, v140
	v_add_co_u32 v208, vcc_lo, v202, v136
	v_add_co_ci_u32_e64 v209, null, v203, v137, vcc_lo
	v_cvt_f64_f32_e32 v[206:207], v139
	s_mov_b32 s6, 0
	global_store_dwordx2 v[208:209], v[206:207], off
.LBB157_17:
	v_lshlrev_b64 v[132:133], 3, v[132:133]
	v_mov_b32_e32 v139, 0
	s_andn2_b32 vcc_lo, exec_lo, s6
	s_cbranch_vccnz .LBB157_19
; %bb.18:
	v_add_co_u32 v206, vcc_lo, v204, v136
	v_add_co_ci_u32_e64 v207, null, v205, v137, vcc_lo
	global_load_dwordx2 v[206:207], v[206:207], off
	s_waitcnt vmcnt(0)
	v_mul_f64 v[206:207], s[2:3], v[206:207]
	v_cvt_f32_f64_e32 v139, v[206:207]
	v_add_co_u32 v206, vcc_lo, v202, v136
	v_add_co_ci_u32_e64 v207, null, v203, v137, vcc_lo
	v_add_co_u32 v208, vcc_lo, v204, v132
	v_add_co_ci_u32_e64 v209, null, v205, v133, vcc_lo
	v_min_f32_e32 v139, v139, v140
	v_cvt_f64_f32_e32 v[139:140], v139
	global_store_dwordx2 v[206:207], v[139:140], off
	global_load_dwordx2 v[139:140], v[208:209], off
	s_waitcnt vmcnt(0)
	v_mul_f64 v[139:140], s[2:3], v[139:140]
	v_cvt_f32_f64_e32 v139, v[139:140]
.LBB157_19:
	s_waitcnt lgkmcnt(23)
	v_add_f64 v[140:141], v[56:57], v[124:125]
	v_add_f64 v[206:207], v[58:59], v[126:127]
	s_waitcnt lgkmcnt(22)
	v_add_f64 v[208:209], v[44:45], v[120:121]
	v_add_f64 v[210:211], v[46:47], v[122:123]
	;; [unrolled: 3-line block ×3, first 2 shown]
	s_waitcnt lgkmcnt(20)
	v_add_f64 v[216:217], v[32:33], v[120:121]
	s_mov_b32 s6, -1
	v_cvt_f32_f64_e32 v218, v[140:141]
	v_cvt_f32_f64_e32 v206, v[206:207]
	;; [unrolled: 1-line block ×4, first 2 shown]
	v_add_f64 v[140:141], v[34:35], v[122:123]
	v_cvt_f32_f64_e32 v209, v[214:215]
	v_cvt_f32_f64_e32 v210, v[212:213]
	;; [unrolled: 1-line block ×3, first 2 shown]
	v_min3_f32 v134, v218, v206, v134
	v_min_f32_e32 v206, v207, v208
	v_cvt_f32_f64_e32 v141, v[140:141]
	v_min3_f32 v135, v209, v210, v135
	v_add_co_u32 v209, vcc_lo, v202, v132
	v_min3_f32 v134, v139, v206, v134
	v_add_nc_u32_e32 v139, 0x80, v138
	v_add_co_ci_u32_e64 v210, null, v203, v133, vcc_lo
	s_mov_b32 vcc_lo, s0
	v_cvt_f64_f32_e32 v[207:208], v134
	v_ashrrev_i32_e32 v140, 31, v139
	v_add_nc_u32_e32 v134, 0xa0, v138
	v_min3_f32 v206, v211, v141, v135
	v_lshlrev_b64 v[140:141], 3, v[139:140]
	v_ashrrev_i32_e32 v135, 31, v134
	v_max_f32_e32 v206, v206, v206
	global_store_dwordx2 v[209:210], v[207:208], off
	s_cbranch_vccz .LBB157_21
; %bb.20:
	v_min_f32_e32 v139, 0, v206
	v_add_co_u32 v209, vcc_lo, v202, v140
	v_add_co_ci_u32_e64 v210, null, v203, v141, vcc_lo
	v_cvt_f64_f32_e32 v[207:208], v139
	s_mov_b32 s6, 0
	global_store_dwordx2 v[209:210], v[207:208], off
.LBB157_21:
	v_lshlrev_b64 v[134:135], 3, v[134:135]
	v_mov_b32_e32 v139, 0
	s_andn2_b32 vcc_lo, exec_lo, s6
	s_cbranch_vccnz .LBB157_23
; %bb.22:
	v_add_co_u32 v207, vcc_lo, v204, v140
	v_add_co_ci_u32_e64 v208, null, v205, v141, vcc_lo
	global_load_dwordx2 v[207:208], v[207:208], off
	s_waitcnt vmcnt(0)
	v_mul_f64 v[207:208], s[2:3], v[207:208]
	v_cvt_f32_f64_e32 v139, v[207:208]
	v_add_co_u32 v208, vcc_lo, v202, v140
	v_add_co_ci_u32_e64 v209, null, v203, v141, vcc_lo
	v_add_co_u32 v210, vcc_lo, v204, v134
	v_add_co_ci_u32_e64 v211, null, v205, v135, vcc_lo
	v_min_f32_e32 v139, v139, v206
	v_cvt_f64_f32_e32 v[206:207], v139
	global_store_dwordx2 v[208:209], v[206:207], off
	global_load_dwordx2 v[206:207], v[210:211], off
	s_waitcnt vmcnt(0)
	v_mul_f64 v[206:207], s[2:3], v[206:207]
	v_cvt_f32_f64_e32 v139, v[206:207]
.LBB157_23:
	s_waitcnt lgkmcnt(19)
	v_add_f64 v[206:207], v[28:29], v[124:125]
	v_add_f64 v[208:209], v[30:31], v[126:127]
	s_waitcnt lgkmcnt(18)
	v_add_f64 v[210:211], v[24:25], v[120:121]
	v_add_f64 v[212:213], v[26:27], v[122:123]
	;; [unrolled: 3-line block ×3, first 2 shown]
	s_waitcnt lgkmcnt(16)
	v_add_f64 v[218:219], v[16:17], v[120:121]
	s_mov_b32 s6, -1
	v_cvt_f32_f64_e32 v220, v[206:207]
	v_cvt_f32_f64_e32 v208, v[208:209]
	;; [unrolled: 1-line block ×4, first 2 shown]
	v_add_f64 v[206:207], v[18:19], v[122:123]
	v_cvt_f32_f64_e32 v211, v[216:217]
	v_cvt_f32_f64_e32 v212, v[214:215]
	v_cvt_f32_f64_e32 v213, v[218:219]
	v_min3_f32 v142, v220, v208, v142
	v_min_f32_e32 v208, v209, v210
	v_cvt_f32_f64_e32 v206, v[206:207]
	v_add_co_u32 v210, vcc_lo, v202, v134
	v_min3_f32 v139, v139, v208, v142
	v_add_nc_u32_e32 v142, 0xc0, v138
	v_add_nc_u32_e32 v138, 0xe0, v138
	v_cvt_f64_f32_e32 v[208:209], v139
	v_min3_f32 v139, v211, v212, v143
	v_ashrrev_i32_e32 v143, 31, v142
	v_add_co_ci_u32_e64 v211, null, v203, v135, vcc_lo
	s_mov_b32 vcc_lo, s0
	v_lshlrev_b64 v[142:143], 3, v[142:143]
	v_min3_f32 v206, v213, v206, v139
	v_ashrrev_i32_e32 v139, 31, v138
	v_max_f32_e32 v207, v206, v206
	global_store_dwordx2 v[210:211], v[208:209], off
	s_cbranch_vccz .LBB157_25
; %bb.24:
	v_min_f32_e32 v206, 0, v207
	v_add_co_u32 v210, vcc_lo, v202, v142
	v_add_co_ci_u32_e64 v211, null, v203, v143, vcc_lo
	v_cvt_f64_f32_e32 v[208:209], v206
	s_mov_b32 s6, 0
	global_store_dwordx2 v[210:211], v[208:209], off
.LBB157_25:
	v_lshlrev_b64 v[138:139], 3, v[138:139]
	v_mov_b32_e32 v206, 0
	s_andn2_b32 vcc_lo, exec_lo, s6
	s_cbranch_vccnz .LBB157_27
; %bb.26:
	v_add_co_u32 v208, vcc_lo, v204, v142
	v_add_co_ci_u32_e64 v209, null, v205, v143, vcc_lo
	global_load_dwordx2 v[208:209], v[208:209], off
	s_waitcnt vmcnt(0)
	v_mul_f64 v[208:209], s[2:3], v[208:209]
	v_cvt_f32_f64_e32 v206, v[208:209]
	v_add_co_u32 v208, vcc_lo, v202, v142
	v_add_co_ci_u32_e64 v209, null, v203, v143, vcc_lo
	v_add_co_u32 v204, vcc_lo, v204, v138
	v_add_co_ci_u32_e64 v205, null, v205, v139, vcc_lo
	v_min_f32_e32 v206, v206, v207
	v_cvt_f64_f32_e32 v[206:207], v206
	global_store_dwordx2 v[208:209], v[206:207], off
	global_load_dwordx2 v[204:205], v[204:205], off
	s_waitcnt vmcnt(0)
	v_mul_f64 v[204:205], s[2:3], v[204:205]
	v_cvt_f32_f64_e32 v206, v[204:205]
.LBB157_27:
	s_waitcnt lgkmcnt(15)
	v_add_f64 v[124:125], v[0:1], v[124:125]
	v_add_f64 v[126:127], v[2:3], v[126:127]
	s_waitcnt lgkmcnt(14)
	v_add_f64 v[120:121], v[4:5], v[120:121]
	v_add_f64 v[122:123], v[6:7], v[122:123]
	;; [unrolled: 3-line block ×3, first 2 shown]
	v_add_co_u32 v202, vcc_lo, v202, v138
	v_add_co_ci_u32_e64 v203, null, v203, v139, vcc_lo
	s_mov_b32 s6, -1
	v_cvt_f32_f64_e32 v124, v[124:125]
	v_cvt_f32_f64_e32 v125, v[126:127]
	;; [unrolled: 1-line block ×4, first 2 shown]
	s_waitcnt lgkmcnt(12)
	v_add_f64 v[120:121], v[64:65], v[112:113]
	v_add_f64 v[122:123], v[66:67], v[114:115]
	v_cvt_f32_f64_e32 v207, v[207:208]
	v_cvt_f32_f64_e32 v204, v[204:205]
	v_min3_f32 v124, v124, v125, v199
	v_add_nc_u32_e32 v199, 8, v201
	v_min_f32_e32 v125, v126, v127
	v_cvt_f32_f64_e32 v205, v[120:121]
	v_cvt_f32_f64_e32 v208, v[122:123]
	v_mad_i64_i32 v[120:121], null, v199, s8, 0
	v_min3_f32 v122, v206, v125, v124
	v_min3_f32 v124, v207, v204, v200
	v_cvt_f64_f32_e32 v[126:127], v122
	v_mad_i64_i32 v[122:123], null, v199, s4, 0
	v_lshlrev_b64 v[120:121], 3, v[120:121]
	v_lshlrev_b64 v[122:123], 3, v[122:123]
	v_add_co_u32 v120, vcc_lo, s1, v120
	v_add_co_ci_u32_e64 v121, null, s5, v121, vcc_lo
	v_min3_f32 v124, v205, v208, v124
	v_add_co_u32 v122, vcc_lo, s12, v122
	v_add_co_ci_u32_e64 v123, null, s13, v123, vcc_lo
	v_max_f32_e32 v125, v124, v124
	s_mov_b32 vcc_lo, s0
	global_store_dwordx2 v[202:203], v[126:127], off
	s_cbranch_vccz .LBB157_29
; %bb.28:
	v_min_f32_e32 v124, 0, v125
	v_add_co_u32 v199, vcc_lo, v120, v130
	v_add_co_ci_u32_e64 v200, null, v121, v131, vcc_lo
	v_cvt_f64_f32_e32 v[126:127], v124
	s_mov_b32 s6, 0
	global_store_dwordx2 v[199:200], v[126:127], off
.LBB157_29:
	v_mov_b32_e32 v124, 0
	s_andn2_b32 vcc_lo, exec_lo, s6
	s_cbranch_vccnz .LBB157_31
; %bb.30:
	v_add_co_u32 v126, vcc_lo, v122, v130
	v_add_co_ci_u32_e64 v127, null, v123, v131, vcc_lo
	global_load_dwordx2 v[126:127], v[126:127], off
	s_waitcnt vmcnt(0)
	v_mul_f64 v[126:127], s[2:3], v[126:127]
	v_cvt_f32_f64_e32 v124, v[126:127]
	v_add_co_u32 v126, vcc_lo, v120, v130
	v_add_co_ci_u32_e64 v127, null, v121, v131, vcc_lo
	v_add_co_u32 v199, vcc_lo, v122, v128
	v_add_co_ci_u32_e64 v200, null, v123, v129, vcc_lo
	v_min_f32_e32 v124, v124, v125
	v_cvt_f64_f32_e32 v[124:125], v124
	global_store_dwordx2 v[126:127], v[124:125], off
	global_load_dwordx2 v[124:125], v[199:200], off
	s_waitcnt vmcnt(0)
	v_mul_f64 v[124:125], s[2:3], v[124:125]
	v_cvt_f32_f64_e32 v124, v[124:125]
.LBB157_31:
	v_add_f64 v[125:126], v[60:61], v[116:117]
	v_add_f64 v[199:200], v[62:63], v[118:119]
	v_add_f64 v[202:203], v[52:53], v[112:113]
	v_add_f64 v[204:205], v[54:55], v[114:115]
	v_add_f64 v[206:207], v[50:51], v[118:119]
	v_add_f64 v[208:209], v[48:49], v[116:117]
	v_add_f64 v[210:211], v[36:37], v[112:113]
	s_mov_b32 s6, -1
	v_cvt_f32_f64_e32 v127, v[125:126]
	v_cvt_f32_f64_e32 v199, v[199:200]
	v_cvt_f32_f64_e32 v200, v[202:203]
	v_cvt_f32_f64_e32 v202, v[204:205]
	v_add_f64 v[125:126], v[38:39], v[114:115]
	v_cvt_f32_f64_e32 v203, v[208:209]
	v_cvt_f32_f64_e32 v204, v[206:207]
	v_cvt_f32_f64_e32 v205, v[210:211]
	v_min3_f32 v127, v127, v199, v197
	v_min_f32_e32 v197, v200, v202
	v_cvt_f32_f64_e32 v125, v[125:126]
	v_min3_f32 v124, v124, v197, v127
	v_add_co_u32 v197, vcc_lo, v120, v128
	v_cvt_f64_f32_e32 v[126:127], v124
	v_min3_f32 v124, v203, v204, v198
	v_add_co_ci_u32_e64 v198, null, v121, v129, vcc_lo
	s_mov_b32 vcc_lo, s0
	v_min3_f32 v124, v205, v125, v124
	v_max_f32_e32 v125, v124, v124
	global_store_dwordx2 v[197:198], v[126:127], off
	s_cbranch_vccz .LBB157_33
; %bb.32:
	v_min_f32_e32 v124, 0, v125
	v_add_co_u32 v197, vcc_lo, v120, v136
	v_add_co_ci_u32_e64 v198, null, v121, v137, vcc_lo
	v_cvt_f64_f32_e32 v[126:127], v124
	s_mov_b32 s6, 0
	global_store_dwordx2 v[197:198], v[126:127], off
.LBB157_33:
	v_mov_b32_e32 v124, 0
	s_andn2_b32 vcc_lo, exec_lo, s6
	s_cbranch_vccnz .LBB157_35
; %bb.34:
	v_add_co_u32 v126, vcc_lo, v122, v136
	v_add_co_ci_u32_e64 v127, null, v123, v137, vcc_lo
	global_load_dwordx2 v[126:127], v[126:127], off
	s_waitcnt vmcnt(0)
	v_mul_f64 v[126:127], s[2:3], v[126:127]
	v_cvt_f32_f64_e32 v124, v[126:127]
	v_add_co_u32 v126, vcc_lo, v120, v136
	v_add_co_ci_u32_e64 v127, null, v121, v137, vcc_lo
	v_add_co_u32 v197, vcc_lo, v122, v132
	v_add_co_ci_u32_e64 v198, null, v123, v133, vcc_lo
	v_min_f32_e32 v124, v124, v125
	v_cvt_f64_f32_e32 v[124:125], v124
	global_store_dwordx2 v[126:127], v[124:125], off
	global_load_dwordx2 v[124:125], v[197:198], off
	s_waitcnt vmcnt(0)
	v_mul_f64 v[124:125], s[2:3], v[124:125]
	v_cvt_f32_f64_e32 v124, v[124:125]
.LBB157_35:
	v_add_f64 v[125:126], v[56:57], v[116:117]
	v_add_f64 v[197:198], v[58:59], v[118:119]
	v_add_f64 v[199:200], v[44:45], v[112:113]
	v_add_f64 v[202:203], v[46:47], v[114:115]
	v_add_f64 v[204:205], v[42:43], v[118:119]
	v_add_f64 v[206:207], v[40:41], v[116:117]
	v_add_f64 v[208:209], v[32:33], v[112:113]
	s_mov_b32 s6, -1
	v_cvt_f32_f64_e32 v127, v[125:126]
	v_cvt_f32_f64_e32 v197, v[197:198]
	v_cvt_f32_f64_e32 v198, v[199:200]
	v_cvt_f32_f64_e32 v199, v[202:203]
	v_add_f64 v[125:126], v[34:35], v[114:115]
	v_cvt_f32_f64_e32 v200, v[206:207]
	v_cvt_f32_f64_e32 v202, v[204:205]
	v_cvt_f32_f64_e32 v203, v[208:209]
	v_min3_f32 v127, v127, v197, v195
	v_min_f32_e32 v195, v198, v199
	v_cvt_f32_f64_e32 v125, v[125:126]
	v_min3_f32 v124, v124, v195, v127
	v_add_co_u32 v195, vcc_lo, v120, v132
	v_cvt_f64_f32_e32 v[126:127], v124
	v_min3_f32 v124, v200, v202, v196
	v_add_co_ci_u32_e64 v196, null, v121, v133, vcc_lo
	s_mov_b32 vcc_lo, s0
	v_min3_f32 v124, v203, v125, v124
	v_max_f32_e32 v125, v124, v124
	;; [unrolled: 59-line block ×3, first 2 shown]
	global_store_dwordx2 v[193:194], v[126:127], off
	s_cbranch_vccz .LBB157_41
; %bb.40:
	v_min_f32_e32 v124, 0, v125
	v_add_co_u32 v193, vcc_lo, v120, v142
	v_add_co_ci_u32_e64 v194, null, v121, v143, vcc_lo
	v_cvt_f64_f32_e32 v[126:127], v124
	s_mov_b32 s6, 0
	global_store_dwordx2 v[193:194], v[126:127], off
.LBB157_41:
	v_mov_b32_e32 v124, 0
	s_andn2_b32 vcc_lo, exec_lo, s6
	s_cbranch_vccnz .LBB157_43
; %bb.42:
	v_add_co_u32 v126, vcc_lo, v122, v142
	v_add_co_ci_u32_e64 v127, null, v123, v143, vcc_lo
	global_load_dwordx2 v[126:127], v[126:127], off
	s_waitcnt vmcnt(0)
	v_mul_f64 v[126:127], s[2:3], v[126:127]
	v_cvt_f32_f64_e32 v124, v[126:127]
	v_add_co_u32 v126, vcc_lo, v120, v142
	v_add_co_ci_u32_e64 v127, null, v121, v143, vcc_lo
	v_add_co_u32 v122, vcc_lo, v122, v138
	v_add_co_ci_u32_e64 v123, null, v123, v139, vcc_lo
	v_min_f32_e32 v124, v124, v125
	v_cvt_f64_f32_e32 v[124:125], v124
	global_store_dwordx2 v[126:127], v[124:125], off
	global_load_dwordx2 v[122:123], v[122:123], off
	s_waitcnt vmcnt(0)
	v_mul_f64 v[122:123], s[2:3], v[122:123]
	v_cvt_f32_f64_e32 v124, v[122:123]
.LBB157_43:
	v_add_f64 v[116:117], v[0:1], v[116:117]
	v_add_f64 v[118:119], v[2:3], v[118:119]
	v_add_f64 v[112:113], v[4:5], v[112:113]
	v_add_f64 v[114:115], v[6:7], v[114:115]
	s_waitcnt lgkmcnt(11)
	v_add_f64 v[122:123], v[70:71], v[110:111]
	v_add_f64 v[125:126], v[68:69], v[108:109]
	v_add_co_u32 v120, vcc_lo, v120, v138
	v_add_co_ci_u32_e64 v121, null, v121, v139, vcc_lo
	s_mov_b32 s6, -1
	v_cvt_f32_f64_e32 v116, v[116:117]
	v_cvt_f32_f64_e32 v117, v[118:119]
	;; [unrolled: 1-line block ×4, first 2 shown]
	s_waitcnt lgkmcnt(10)
	v_add_f64 v[112:113], v[64:65], v[104:105]
	v_add_f64 v[114:115], v[66:67], v[106:107]
	v_cvt_f32_f64_e32 v125, v[125:126]
	v_cvt_f32_f64_e32 v122, v[122:123]
	v_add_nc_u32_e32 v123, 16, v201
	v_min3_f32 v116, v116, v117, v191
	v_min_f32_e32 v117, v118, v119
	v_cvt_f32_f64_e32 v126, v[112:113]
	v_cvt_f32_f64_e32 v127, v[114:115]
	v_mad_i64_i32 v[112:113], null, v123, s8, 0
	v_min3_f32 v114, v124, v117, v116
	v_min3_f32 v116, v125, v122, v192
	v_cvt_f64_f32_e32 v[118:119], v114
	v_mad_i64_i32 v[114:115], null, v123, s4, 0
	v_lshlrev_b64 v[112:113], 3, v[112:113]
	v_add_co_u32 v112, vcc_lo, s1, v112
	v_lshlrev_b64 v[114:115], 3, v[114:115]
	v_add_co_ci_u32_e64 v113, null, s5, v113, vcc_lo
	v_min3_f32 v116, v126, v127, v116
	v_add_co_u32 v114, vcc_lo, s12, v114
	v_add_co_ci_u32_e64 v115, null, s13, v115, vcc_lo
	v_max_f32_e32 v117, v116, v116
	s_mov_b32 vcc_lo, s0
	global_store_dwordx2 v[120:121], v[118:119], off
	s_cbranch_vccz .LBB157_45
; %bb.44:
	v_min_f32_e32 v116, 0, v117
	v_add_co_u32 v120, vcc_lo, v112, v130
	v_add_co_ci_u32_e64 v121, null, v113, v131, vcc_lo
	v_cvt_f64_f32_e32 v[118:119], v116
	s_mov_b32 s6, 0
	global_store_dwordx2 v[120:121], v[118:119], off
.LBB157_45:
	v_mov_b32_e32 v116, 0
	s_andn2_b32 vcc_lo, exec_lo, s6
	s_cbranch_vccnz .LBB157_47
; %bb.46:
	v_add_co_u32 v118, vcc_lo, v114, v130
	v_add_co_ci_u32_e64 v119, null, v115, v131, vcc_lo
	global_load_dwordx2 v[118:119], v[118:119], off
	s_waitcnt vmcnt(0)
	v_mul_f64 v[118:119], s[2:3], v[118:119]
	v_cvt_f32_f64_e32 v116, v[118:119]
	v_add_co_u32 v118, vcc_lo, v112, v130
	v_add_co_ci_u32_e64 v119, null, v113, v131, vcc_lo
	v_add_co_u32 v120, vcc_lo, v114, v128
	v_add_co_ci_u32_e64 v121, null, v115, v129, vcc_lo
	v_min_f32_e32 v116, v116, v117
	v_cvt_f64_f32_e32 v[116:117], v116
	global_store_dwordx2 v[118:119], v[116:117], off
	global_load_dwordx2 v[116:117], v[120:121], off
	s_waitcnt vmcnt(0)
	v_mul_f64 v[116:117], s[2:3], v[116:117]
	v_cvt_f32_f64_e32 v116, v[116:117]
.LBB157_47:
	v_add_f64 v[117:118], v[60:61], v[108:109]
	v_add_f64 v[119:120], v[62:63], v[110:111]
	v_add_f64 v[121:122], v[52:53], v[104:105]
	v_add_f64 v[123:124], v[54:55], v[106:107]
	v_add_f64 v[125:126], v[50:51], v[110:111]
	v_add_f64 v[191:192], v[48:49], v[108:109]
	v_add_f64 v[193:194], v[36:37], v[104:105]
	s_mov_b32 s6, -1
	v_cvt_f32_f64_e32 v127, v[117:118]
	v_cvt_f32_f64_e32 v119, v[119:120]
	v_cvt_f32_f64_e32 v120, v[121:122]
	v_cvt_f32_f64_e32 v121, v[123:124]
	v_add_f64 v[117:118], v[38:39], v[106:107]
	v_cvt_f32_f64_e32 v122, v[191:192]
	v_cvt_f32_f64_e32 v123, v[125:126]
	v_cvt_f32_f64_e32 v124, v[193:194]
	v_min3_f32 v119, v127, v119, v189
	v_min_f32_e32 v120, v120, v121
	v_cvt_f32_f64_e32 v117, v[117:118]
	v_min3_f32 v116, v116, v120, v119
	v_add_co_u32 v120, vcc_lo, v112, v128
	v_add_co_ci_u32_e64 v121, null, v113, v129, vcc_lo
	v_cvt_f64_f32_e32 v[118:119], v116
	v_min3_f32 v116, v122, v123, v190
	s_mov_b32 vcc_lo, s0
	v_min3_f32 v116, v124, v117, v116
	v_max_f32_e32 v117, v116, v116
	global_store_dwordx2 v[120:121], v[118:119], off
	s_cbranch_vccz .LBB157_49
; %bb.48:
	v_min_f32_e32 v116, 0, v117
	v_add_co_u32 v120, vcc_lo, v112, v136
	v_add_co_ci_u32_e64 v121, null, v113, v137, vcc_lo
	v_cvt_f64_f32_e32 v[118:119], v116
	s_mov_b32 s6, 0
	global_store_dwordx2 v[120:121], v[118:119], off
.LBB157_49:
	v_mov_b32_e32 v116, 0
	s_andn2_b32 vcc_lo, exec_lo, s6
	s_cbranch_vccnz .LBB157_51
; %bb.50:
	v_add_co_u32 v118, vcc_lo, v114, v136
	v_add_co_ci_u32_e64 v119, null, v115, v137, vcc_lo
	global_load_dwordx2 v[118:119], v[118:119], off
	s_waitcnt vmcnt(0)
	v_mul_f64 v[118:119], s[2:3], v[118:119]
	v_cvt_f32_f64_e32 v116, v[118:119]
	v_add_co_u32 v118, vcc_lo, v112, v136
	v_add_co_ci_u32_e64 v119, null, v113, v137, vcc_lo
	v_add_co_u32 v120, vcc_lo, v114, v132
	v_add_co_ci_u32_e64 v121, null, v115, v133, vcc_lo
	v_min_f32_e32 v116, v116, v117
	v_cvt_f64_f32_e32 v[116:117], v116
	global_store_dwordx2 v[118:119], v[116:117], off
	global_load_dwordx2 v[116:117], v[120:121], off
	s_waitcnt vmcnt(0)
	v_mul_f64 v[116:117], s[2:3], v[116:117]
	v_cvt_f32_f64_e32 v116, v[116:117]
.LBB157_51:
	v_add_f64 v[117:118], v[56:57], v[108:109]
	v_add_f64 v[119:120], v[58:59], v[110:111]
	v_add_f64 v[121:122], v[44:45], v[104:105]
	v_add_f64 v[123:124], v[46:47], v[106:107]
	v_add_f64 v[125:126], v[42:43], v[110:111]
	v_add_f64 v[189:190], v[40:41], v[108:109]
	v_add_f64 v[191:192], v[32:33], v[104:105]
	s_mov_b32 s6, -1
	v_cvt_f32_f64_e32 v127, v[117:118]
	v_cvt_f32_f64_e32 v119, v[119:120]
	v_cvt_f32_f64_e32 v120, v[121:122]
	v_cvt_f32_f64_e32 v121, v[123:124]
	v_add_f64 v[117:118], v[34:35], v[106:107]
	v_cvt_f32_f64_e32 v122, v[189:190]
	v_cvt_f32_f64_e32 v123, v[125:126]
	v_cvt_f32_f64_e32 v124, v[191:192]
	v_min3_f32 v119, v127, v119, v187
	v_min_f32_e32 v120, v120, v121
	v_cvt_f32_f64_e32 v117, v[117:118]
	v_min3_f32 v116, v116, v120, v119
	v_add_co_u32 v120, vcc_lo, v112, v132
	v_add_co_ci_u32_e64 v121, null, v113, v133, vcc_lo
	v_cvt_f64_f32_e32 v[118:119], v116
	v_min3_f32 v116, v122, v123, v188
	s_mov_b32 vcc_lo, s0
	v_min3_f32 v116, v124, v117, v116
	v_max_f32_e32 v117, v116, v116
	;; [unrolled: 59-line block ×3, first 2 shown]
	global_store_dwordx2 v[120:121], v[118:119], off
	s_cbranch_vccz .LBB157_57
; %bb.56:
	v_min_f32_e32 v116, 0, v117
	v_add_co_u32 v120, vcc_lo, v112, v142
	v_add_co_ci_u32_e64 v121, null, v113, v143, vcc_lo
	v_cvt_f64_f32_e32 v[118:119], v116
	s_mov_b32 s6, 0
	global_store_dwordx2 v[120:121], v[118:119], off
.LBB157_57:
	v_mov_b32_e32 v116, 0
	s_andn2_b32 vcc_lo, exec_lo, s6
	s_cbranch_vccnz .LBB157_59
; %bb.58:
	v_add_co_u32 v118, vcc_lo, v114, v142
	v_add_co_ci_u32_e64 v119, null, v115, v143, vcc_lo
	global_load_dwordx2 v[118:119], v[118:119], off
	s_waitcnt vmcnt(0)
	v_mul_f64 v[118:119], s[2:3], v[118:119]
	v_cvt_f32_f64_e32 v116, v[118:119]
	v_add_co_u32 v118, vcc_lo, v112, v142
	v_add_co_ci_u32_e64 v119, null, v113, v143, vcc_lo
	v_add_co_u32 v114, vcc_lo, v114, v138
	v_add_co_ci_u32_e64 v115, null, v115, v139, vcc_lo
	v_min_f32_e32 v116, v116, v117
	v_cvt_f64_f32_e32 v[116:117], v116
	global_store_dwordx2 v[118:119], v[116:117], off
	global_load_dwordx2 v[114:115], v[114:115], off
	s_waitcnt vmcnt(0)
	v_mul_f64 v[114:115], s[2:3], v[114:115]
	v_cvt_f32_f64_e32 v116, v[114:115]
.LBB157_59:
	v_add_f64 v[108:109], v[0:1], v[108:109]
	v_add_f64 v[110:111], v[2:3], v[110:111]
	;; [unrolled: 1-line block ×4, first 2 shown]
	s_waitcnt lgkmcnt(9)
	v_add_f64 v[114:115], v[70:71], v[102:103]
	v_add_f64 v[117:118], v[68:69], v[100:101]
	v_add_co_u32 v112, vcc_lo, v112, v138
	v_add_co_ci_u32_e64 v113, null, v113, v139, vcc_lo
	s_mov_b32 s6, -1
	v_cvt_f32_f64_e32 v108, v[108:109]
	v_cvt_f32_f64_e32 v109, v[110:111]
	;; [unrolled: 1-line block ×4, first 2 shown]
	s_waitcnt lgkmcnt(8)
	v_add_f64 v[104:105], v[64:65], v[96:97]
	v_add_f64 v[106:107], v[66:67], v[98:99]
	v_cvt_f32_f64_e32 v117, v[117:118]
	v_cvt_f32_f64_e32 v114, v[114:115]
	v_add_nc_u32_e32 v115, 24, v201
	v_min3_f32 v108, v108, v109, v183
	v_min_f32_e32 v109, v110, v111
	v_cvt_f32_f64_e32 v118, v[104:105]
	v_cvt_f32_f64_e32 v119, v[106:107]
	v_mad_i64_i32 v[104:105], null, v115, s8, 0
	v_min3_f32 v106, v116, v109, v108
	v_min3_f32 v108, v117, v114, v184
	v_cvt_f64_f32_e32 v[110:111], v106
	v_mad_i64_i32 v[106:107], null, v115, s4, 0
	v_lshlrev_b64 v[104:105], 3, v[104:105]
	v_add_co_u32 v104, vcc_lo, s1, v104
	v_lshlrev_b64 v[106:107], 3, v[106:107]
	v_add_co_ci_u32_e64 v105, null, s5, v105, vcc_lo
	v_min3_f32 v108, v118, v119, v108
	v_add_co_u32 v106, vcc_lo, s12, v106
	v_add_co_ci_u32_e64 v107, null, s13, v107, vcc_lo
	v_max_f32_e32 v109, v108, v108
	s_mov_b32 vcc_lo, s0
	global_store_dwordx2 v[112:113], v[110:111], off
	s_cbranch_vccz .LBB157_61
; %bb.60:
	v_min_f32_e32 v108, 0, v109
	v_add_co_u32 v112, vcc_lo, v104, v130
	v_add_co_ci_u32_e64 v113, null, v105, v131, vcc_lo
	v_cvt_f64_f32_e32 v[110:111], v108
	s_mov_b32 s6, 0
	global_store_dwordx2 v[112:113], v[110:111], off
.LBB157_61:
	v_mov_b32_e32 v108, 0
	s_andn2_b32 vcc_lo, exec_lo, s6
	s_cbranch_vccnz .LBB157_63
; %bb.62:
	v_add_co_u32 v110, vcc_lo, v106, v130
	v_add_co_ci_u32_e64 v111, null, v107, v131, vcc_lo
	global_load_dwordx2 v[110:111], v[110:111], off
	s_waitcnt vmcnt(0)
	v_mul_f64 v[110:111], s[2:3], v[110:111]
	v_cvt_f32_f64_e32 v108, v[110:111]
	v_add_co_u32 v110, vcc_lo, v104, v130
	v_add_co_ci_u32_e64 v111, null, v105, v131, vcc_lo
	v_add_co_u32 v112, vcc_lo, v106, v128
	v_add_co_ci_u32_e64 v113, null, v107, v129, vcc_lo
	v_min_f32_e32 v108, v108, v109
	v_cvt_f64_f32_e32 v[108:109], v108
	global_store_dwordx2 v[110:111], v[108:109], off
	global_load_dwordx2 v[108:109], v[112:113], off
	s_waitcnt vmcnt(0)
	v_mul_f64 v[108:109], s[2:3], v[108:109]
	v_cvt_f32_f64_e32 v108, v[108:109]
.LBB157_63:
	v_add_f64 v[109:110], v[60:61], v[100:101]
	v_add_f64 v[111:112], v[62:63], v[102:103]
	v_add_f64 v[113:114], v[52:53], v[96:97]
	v_add_f64 v[115:116], v[54:55], v[98:99]
	v_add_f64 v[117:118], v[50:51], v[102:103]
	v_add_f64 v[119:120], v[48:49], v[100:101]
	v_add_f64 v[121:122], v[36:37], v[96:97]
	s_mov_b32 s6, -1
	v_cvt_f32_f64_e32 v123, v[109:110]
	v_cvt_f32_f64_e32 v111, v[111:112]
	v_cvt_f32_f64_e32 v112, v[113:114]
	v_cvt_f32_f64_e32 v113, v[115:116]
	v_add_f64 v[109:110], v[38:39], v[98:99]
	v_cvt_f32_f64_e32 v114, v[119:120]
	v_cvt_f32_f64_e32 v115, v[117:118]
	v_cvt_f32_f64_e32 v116, v[121:122]
	v_min3_f32 v111, v123, v111, v181
	v_min_f32_e32 v112, v112, v113
	v_cvt_f32_f64_e32 v109, v[109:110]
	v_min3_f32 v108, v108, v112, v111
	v_add_co_u32 v112, vcc_lo, v104, v128
	v_add_co_ci_u32_e64 v113, null, v105, v129, vcc_lo
	v_cvt_f64_f32_e32 v[110:111], v108
	v_min3_f32 v108, v114, v115, v182
	s_mov_b32 vcc_lo, s0
	v_min3_f32 v108, v116, v109, v108
	v_max_f32_e32 v109, v108, v108
	global_store_dwordx2 v[112:113], v[110:111], off
	s_cbranch_vccz .LBB157_65
; %bb.64:
	v_min_f32_e32 v108, 0, v109
	v_add_co_u32 v112, vcc_lo, v104, v136
	v_add_co_ci_u32_e64 v113, null, v105, v137, vcc_lo
	v_cvt_f64_f32_e32 v[110:111], v108
	s_mov_b32 s6, 0
	global_store_dwordx2 v[112:113], v[110:111], off
.LBB157_65:
	v_mov_b32_e32 v108, 0
	s_andn2_b32 vcc_lo, exec_lo, s6
	s_cbranch_vccnz .LBB157_67
; %bb.66:
	v_add_co_u32 v110, vcc_lo, v106, v136
	v_add_co_ci_u32_e64 v111, null, v107, v137, vcc_lo
	global_load_dwordx2 v[110:111], v[110:111], off
	s_waitcnt vmcnt(0)
	v_mul_f64 v[110:111], s[2:3], v[110:111]
	v_cvt_f32_f64_e32 v108, v[110:111]
	v_add_co_u32 v110, vcc_lo, v104, v136
	v_add_co_ci_u32_e64 v111, null, v105, v137, vcc_lo
	v_add_co_u32 v112, vcc_lo, v106, v132
	v_add_co_ci_u32_e64 v113, null, v107, v133, vcc_lo
	v_min_f32_e32 v108, v108, v109
	v_cvt_f64_f32_e32 v[108:109], v108
	global_store_dwordx2 v[110:111], v[108:109], off
	global_load_dwordx2 v[108:109], v[112:113], off
	s_waitcnt vmcnt(0)
	v_mul_f64 v[108:109], s[2:3], v[108:109]
	v_cvt_f32_f64_e32 v108, v[108:109]
.LBB157_67:
	v_add_f64 v[109:110], v[56:57], v[100:101]
	v_add_f64 v[111:112], v[58:59], v[102:103]
	v_add_f64 v[113:114], v[44:45], v[96:97]
	v_add_f64 v[115:116], v[46:47], v[98:99]
	v_add_f64 v[117:118], v[42:43], v[102:103]
	v_add_f64 v[119:120], v[40:41], v[100:101]
	v_add_f64 v[121:122], v[32:33], v[96:97]
	s_mov_b32 s6, -1
	v_cvt_f32_f64_e32 v123, v[109:110]
	v_cvt_f32_f64_e32 v111, v[111:112]
	v_cvt_f32_f64_e32 v112, v[113:114]
	v_cvt_f32_f64_e32 v113, v[115:116]
	v_add_f64 v[109:110], v[34:35], v[98:99]
	v_cvt_f32_f64_e32 v114, v[119:120]
	v_cvt_f32_f64_e32 v115, v[117:118]
	v_cvt_f32_f64_e32 v116, v[121:122]
	v_min3_f32 v111, v123, v111, v179
	v_min_f32_e32 v112, v112, v113
	v_cvt_f32_f64_e32 v109, v[109:110]
	v_min3_f32 v108, v108, v112, v111
	v_add_co_u32 v112, vcc_lo, v104, v132
	v_add_co_ci_u32_e64 v113, null, v105, v133, vcc_lo
	v_cvt_f64_f32_e32 v[110:111], v108
	v_min3_f32 v108, v114, v115, v180
	s_mov_b32 vcc_lo, s0
	v_min3_f32 v108, v116, v109, v108
	v_max_f32_e32 v109, v108, v108
	;; [unrolled: 59-line block ×3, first 2 shown]
	global_store_dwordx2 v[112:113], v[110:111], off
	s_cbranch_vccz .LBB157_73
; %bb.72:
	v_min_f32_e32 v108, 0, v109
	v_add_co_u32 v112, vcc_lo, v104, v142
	v_add_co_ci_u32_e64 v113, null, v105, v143, vcc_lo
	v_cvt_f64_f32_e32 v[110:111], v108
	s_mov_b32 s6, 0
	global_store_dwordx2 v[112:113], v[110:111], off
.LBB157_73:
	v_mov_b32_e32 v108, 0
	s_andn2_b32 vcc_lo, exec_lo, s6
	s_cbranch_vccnz .LBB157_75
; %bb.74:
	v_add_co_u32 v110, vcc_lo, v106, v142
	v_add_co_ci_u32_e64 v111, null, v107, v143, vcc_lo
	global_load_dwordx2 v[110:111], v[110:111], off
	s_waitcnt vmcnt(0)
	v_mul_f64 v[110:111], s[2:3], v[110:111]
	v_cvt_f32_f64_e32 v108, v[110:111]
	v_add_co_u32 v110, vcc_lo, v104, v142
	v_add_co_ci_u32_e64 v111, null, v105, v143, vcc_lo
	v_add_co_u32 v106, vcc_lo, v106, v138
	v_add_co_ci_u32_e64 v107, null, v107, v139, vcc_lo
	v_min_f32_e32 v108, v108, v109
	v_cvt_f64_f32_e32 v[108:109], v108
	global_store_dwordx2 v[110:111], v[108:109], off
	global_load_dwordx2 v[106:107], v[106:107], off
	s_waitcnt vmcnt(0)
	v_mul_f64 v[106:107], s[2:3], v[106:107]
	v_cvt_f32_f64_e32 v108, v[106:107]
.LBB157_75:
	v_add_f64 v[100:101], v[0:1], v[100:101]
	v_add_f64 v[102:103], v[2:3], v[102:103]
	;; [unrolled: 1-line block ×4, first 2 shown]
	s_waitcnt lgkmcnt(7)
	v_add_f64 v[106:107], v[70:71], v[94:95]
	v_add_f64 v[109:110], v[68:69], v[92:93]
	v_add_co_u32 v104, vcc_lo, v104, v138
	v_add_co_ci_u32_e64 v105, null, v105, v139, vcc_lo
	s_mov_b32 s6, -1
	v_cvt_f32_f64_e32 v100, v[100:101]
	v_cvt_f32_f64_e32 v101, v[102:103]
	;; [unrolled: 1-line block ×4, first 2 shown]
	s_waitcnt lgkmcnt(6)
	v_add_f64 v[96:97], v[64:65], v[88:89]
	v_add_f64 v[98:99], v[66:67], v[90:91]
	v_cvt_f32_f64_e32 v109, v[109:110]
	v_cvt_f32_f64_e32 v106, v[106:107]
	v_add_nc_u32_e32 v107, 32, v201
	v_min3_f32 v100, v100, v101, v175
	v_min_f32_e32 v101, v102, v103
	v_cvt_f32_f64_e32 v110, v[96:97]
	v_cvt_f32_f64_e32 v111, v[98:99]
	v_mad_i64_i32 v[96:97], null, v107, s8, 0
	v_min3_f32 v98, v108, v101, v100
	v_min3_f32 v100, v109, v106, v176
	v_cvt_f64_f32_e32 v[102:103], v98
	v_mad_i64_i32 v[98:99], null, v107, s4, 0
	v_lshlrev_b64 v[96:97], 3, v[96:97]
	v_add_co_u32 v96, vcc_lo, s1, v96
	v_lshlrev_b64 v[98:99], 3, v[98:99]
	v_add_co_ci_u32_e64 v97, null, s5, v97, vcc_lo
	v_min3_f32 v100, v110, v111, v100
	v_add_co_u32 v98, vcc_lo, s12, v98
	v_add_co_ci_u32_e64 v99, null, s13, v99, vcc_lo
	v_max_f32_e32 v101, v100, v100
	s_mov_b32 vcc_lo, s0
	global_store_dwordx2 v[104:105], v[102:103], off
	s_cbranch_vccz .LBB157_77
; %bb.76:
	v_min_f32_e32 v100, 0, v101
	v_add_co_u32 v104, vcc_lo, v96, v130
	v_add_co_ci_u32_e64 v105, null, v97, v131, vcc_lo
	v_cvt_f64_f32_e32 v[102:103], v100
	s_mov_b32 s6, 0
	global_store_dwordx2 v[104:105], v[102:103], off
.LBB157_77:
	v_mov_b32_e32 v100, 0
	s_andn2_b32 vcc_lo, exec_lo, s6
	s_cbranch_vccnz .LBB157_79
; %bb.78:
	v_add_co_u32 v102, vcc_lo, v98, v130
	v_add_co_ci_u32_e64 v103, null, v99, v131, vcc_lo
	global_load_dwordx2 v[102:103], v[102:103], off
	s_waitcnt vmcnt(0)
	v_mul_f64 v[102:103], s[2:3], v[102:103]
	v_cvt_f32_f64_e32 v100, v[102:103]
	v_add_co_u32 v102, vcc_lo, v96, v130
	v_add_co_ci_u32_e64 v103, null, v97, v131, vcc_lo
	v_add_co_u32 v104, vcc_lo, v98, v128
	v_add_co_ci_u32_e64 v105, null, v99, v129, vcc_lo
	v_min_f32_e32 v100, v100, v101
	v_cvt_f64_f32_e32 v[100:101], v100
	global_store_dwordx2 v[102:103], v[100:101], off
	global_load_dwordx2 v[100:101], v[104:105], off
	s_waitcnt vmcnt(0)
	v_mul_f64 v[100:101], s[2:3], v[100:101]
	v_cvt_f32_f64_e32 v100, v[100:101]
.LBB157_79:
	v_add_f64 v[101:102], v[60:61], v[92:93]
	v_add_f64 v[103:104], v[62:63], v[94:95]
	v_add_f64 v[105:106], v[52:53], v[88:89]
	v_add_f64 v[107:108], v[54:55], v[90:91]
	v_add_f64 v[109:110], v[50:51], v[94:95]
	v_add_f64 v[111:112], v[48:49], v[92:93]
	v_add_f64 v[113:114], v[36:37], v[88:89]
	s_mov_b32 s6, -1
	v_cvt_f32_f64_e32 v115, v[101:102]
	v_cvt_f32_f64_e32 v103, v[103:104]
	v_cvt_f32_f64_e32 v104, v[105:106]
	v_cvt_f32_f64_e32 v105, v[107:108]
	v_add_f64 v[101:102], v[38:39], v[90:91]
	v_cvt_f32_f64_e32 v106, v[111:112]
	v_cvt_f32_f64_e32 v107, v[109:110]
	v_cvt_f32_f64_e32 v108, v[113:114]
	v_min3_f32 v103, v115, v103, v173
	v_min_f32_e32 v104, v104, v105
	v_cvt_f32_f64_e32 v101, v[101:102]
	v_min3_f32 v100, v100, v104, v103
	v_add_co_u32 v104, vcc_lo, v96, v128
	v_add_co_ci_u32_e64 v105, null, v97, v129, vcc_lo
	v_cvt_f64_f32_e32 v[102:103], v100
	v_min3_f32 v100, v106, v107, v174
	s_mov_b32 vcc_lo, s0
	v_min3_f32 v100, v108, v101, v100
	v_max_f32_e32 v101, v100, v100
	global_store_dwordx2 v[104:105], v[102:103], off
	s_cbranch_vccz .LBB157_81
; %bb.80:
	v_min_f32_e32 v100, 0, v101
	v_add_co_u32 v104, vcc_lo, v96, v136
	v_add_co_ci_u32_e64 v105, null, v97, v137, vcc_lo
	v_cvt_f64_f32_e32 v[102:103], v100
	s_mov_b32 s6, 0
	global_store_dwordx2 v[104:105], v[102:103], off
.LBB157_81:
	v_mov_b32_e32 v100, 0
	s_andn2_b32 vcc_lo, exec_lo, s6
	s_cbranch_vccnz .LBB157_83
; %bb.82:
	v_add_co_u32 v102, vcc_lo, v98, v136
	v_add_co_ci_u32_e64 v103, null, v99, v137, vcc_lo
	global_load_dwordx2 v[102:103], v[102:103], off
	s_waitcnt vmcnt(0)
	v_mul_f64 v[102:103], s[2:3], v[102:103]
	v_cvt_f32_f64_e32 v100, v[102:103]
	v_add_co_u32 v102, vcc_lo, v96, v136
	v_add_co_ci_u32_e64 v103, null, v97, v137, vcc_lo
	v_add_co_u32 v104, vcc_lo, v98, v132
	v_add_co_ci_u32_e64 v105, null, v99, v133, vcc_lo
	v_min_f32_e32 v100, v100, v101
	v_cvt_f64_f32_e32 v[100:101], v100
	global_store_dwordx2 v[102:103], v[100:101], off
	global_load_dwordx2 v[100:101], v[104:105], off
	s_waitcnt vmcnt(0)
	v_mul_f64 v[100:101], s[2:3], v[100:101]
	v_cvt_f32_f64_e32 v100, v[100:101]
.LBB157_83:
	v_add_f64 v[101:102], v[56:57], v[92:93]
	v_add_f64 v[103:104], v[58:59], v[94:95]
	v_add_f64 v[105:106], v[44:45], v[88:89]
	v_add_f64 v[107:108], v[46:47], v[90:91]
	v_add_f64 v[109:110], v[42:43], v[94:95]
	v_add_f64 v[111:112], v[40:41], v[92:93]
	v_add_f64 v[113:114], v[32:33], v[88:89]
	s_mov_b32 s6, -1
	v_cvt_f32_f64_e32 v115, v[101:102]
	v_cvt_f32_f64_e32 v103, v[103:104]
	v_cvt_f32_f64_e32 v104, v[105:106]
	v_cvt_f32_f64_e32 v105, v[107:108]
	v_add_f64 v[101:102], v[34:35], v[90:91]
	v_cvt_f32_f64_e32 v106, v[111:112]
	v_cvt_f32_f64_e32 v107, v[109:110]
	v_cvt_f32_f64_e32 v108, v[113:114]
	v_min3_f32 v103, v115, v103, v171
	v_min_f32_e32 v104, v104, v105
	v_cvt_f32_f64_e32 v101, v[101:102]
	v_min3_f32 v100, v100, v104, v103
	v_add_co_u32 v104, vcc_lo, v96, v132
	v_add_co_ci_u32_e64 v105, null, v97, v133, vcc_lo
	v_cvt_f64_f32_e32 v[102:103], v100
	v_min3_f32 v100, v106, v107, v172
	s_mov_b32 vcc_lo, s0
	v_min3_f32 v100, v108, v101, v100
	v_max_f32_e32 v101, v100, v100
	;; [unrolled: 59-line block ×3, first 2 shown]
	global_store_dwordx2 v[104:105], v[102:103], off
	s_cbranch_vccz .LBB157_89
; %bb.88:
	v_min_f32_e32 v100, 0, v101
	v_add_co_u32 v104, vcc_lo, v96, v142
	v_add_co_ci_u32_e64 v105, null, v97, v143, vcc_lo
	v_cvt_f64_f32_e32 v[102:103], v100
	s_mov_b32 s6, 0
	global_store_dwordx2 v[104:105], v[102:103], off
.LBB157_89:
	v_mov_b32_e32 v100, 0
	s_andn2_b32 vcc_lo, exec_lo, s6
	s_cbranch_vccnz .LBB157_91
; %bb.90:
	v_add_co_u32 v102, vcc_lo, v98, v142
	v_add_co_ci_u32_e64 v103, null, v99, v143, vcc_lo
	global_load_dwordx2 v[102:103], v[102:103], off
	s_waitcnt vmcnt(0)
	v_mul_f64 v[102:103], s[2:3], v[102:103]
	v_cvt_f32_f64_e32 v100, v[102:103]
	v_add_co_u32 v102, vcc_lo, v96, v142
	v_add_co_ci_u32_e64 v103, null, v97, v143, vcc_lo
	v_add_co_u32 v98, vcc_lo, v98, v138
	v_add_co_ci_u32_e64 v99, null, v99, v139, vcc_lo
	v_min_f32_e32 v100, v100, v101
	v_cvt_f64_f32_e32 v[100:101], v100
	global_store_dwordx2 v[102:103], v[100:101], off
	global_load_dwordx2 v[98:99], v[98:99], off
	s_waitcnt vmcnt(0)
	v_mul_f64 v[98:99], s[2:3], v[98:99]
	v_cvt_f32_f64_e32 v100, v[98:99]
.LBB157_91:
	v_add_f64 v[92:93], v[0:1], v[92:93]
	v_add_f64 v[94:95], v[2:3], v[94:95]
	;; [unrolled: 1-line block ×4, first 2 shown]
	s_waitcnt lgkmcnt(5)
	v_add_f64 v[98:99], v[70:71], v[86:87]
	v_add_f64 v[101:102], v[68:69], v[84:85]
	v_add_co_u32 v96, vcc_lo, v96, v138
	v_add_co_ci_u32_e64 v97, null, v97, v139, vcc_lo
	s_mov_b32 s6, -1
	v_cvt_f32_f64_e32 v92, v[92:93]
	v_cvt_f32_f64_e32 v93, v[94:95]
	;; [unrolled: 1-line block ×4, first 2 shown]
	s_waitcnt lgkmcnt(4)
	v_add_f64 v[88:89], v[64:65], v[80:81]
	v_add_f64 v[90:91], v[66:67], v[82:83]
	v_cvt_f32_f64_e32 v101, v[101:102]
	v_cvt_f32_f64_e32 v98, v[98:99]
	v_add_nc_u32_e32 v99, 40, v201
	v_min3_f32 v92, v92, v93, v167
	v_min_f32_e32 v93, v94, v95
	v_cvt_f32_f64_e32 v102, v[88:89]
	v_cvt_f32_f64_e32 v103, v[90:91]
	v_mad_i64_i32 v[88:89], null, v99, s8, 0
	v_min3_f32 v90, v100, v93, v92
	v_min3_f32 v92, v101, v98, v168
	v_cvt_f64_f32_e32 v[94:95], v90
	v_mad_i64_i32 v[90:91], null, v99, s4, 0
	v_lshlrev_b64 v[88:89], 3, v[88:89]
	v_add_co_u32 v88, vcc_lo, s1, v88
	v_lshlrev_b64 v[90:91], 3, v[90:91]
	v_add_co_ci_u32_e64 v89, null, s5, v89, vcc_lo
	v_min3_f32 v92, v102, v103, v92
	v_add_co_u32 v90, vcc_lo, s12, v90
	v_add_co_ci_u32_e64 v91, null, s13, v91, vcc_lo
	v_max_f32_e32 v93, v92, v92
	s_mov_b32 vcc_lo, s0
	global_store_dwordx2 v[96:97], v[94:95], off
	s_cbranch_vccz .LBB157_93
; %bb.92:
	v_min_f32_e32 v92, 0, v93
	v_add_co_u32 v96, vcc_lo, v88, v130
	v_add_co_ci_u32_e64 v97, null, v89, v131, vcc_lo
	v_cvt_f64_f32_e32 v[94:95], v92
	s_mov_b32 s6, 0
	global_store_dwordx2 v[96:97], v[94:95], off
.LBB157_93:
	v_mov_b32_e32 v92, 0
	s_andn2_b32 vcc_lo, exec_lo, s6
	s_cbranch_vccnz .LBB157_95
; %bb.94:
	v_add_co_u32 v94, vcc_lo, v90, v130
	v_add_co_ci_u32_e64 v95, null, v91, v131, vcc_lo
	global_load_dwordx2 v[94:95], v[94:95], off
	s_waitcnt vmcnt(0)
	v_mul_f64 v[94:95], s[2:3], v[94:95]
	v_cvt_f32_f64_e32 v92, v[94:95]
	v_add_co_u32 v94, vcc_lo, v88, v130
	v_add_co_ci_u32_e64 v95, null, v89, v131, vcc_lo
	v_add_co_u32 v96, vcc_lo, v90, v128
	v_add_co_ci_u32_e64 v97, null, v91, v129, vcc_lo
	v_min_f32_e32 v92, v92, v93
	v_cvt_f64_f32_e32 v[92:93], v92
	global_store_dwordx2 v[94:95], v[92:93], off
	global_load_dwordx2 v[92:93], v[96:97], off
	s_waitcnt vmcnt(0)
	v_mul_f64 v[92:93], s[2:3], v[92:93]
	v_cvt_f32_f64_e32 v92, v[92:93]
.LBB157_95:
	v_add_f64 v[93:94], v[60:61], v[84:85]
	v_add_f64 v[95:96], v[62:63], v[86:87]
	v_add_f64 v[97:98], v[52:53], v[80:81]
	v_add_f64 v[99:100], v[54:55], v[82:83]
	v_add_f64 v[101:102], v[50:51], v[86:87]
	v_add_f64 v[103:104], v[48:49], v[84:85]
	v_add_f64 v[105:106], v[36:37], v[80:81]
	s_mov_b32 s6, -1
	v_cvt_f32_f64_e32 v107, v[93:94]
	v_cvt_f32_f64_e32 v95, v[95:96]
	v_cvt_f32_f64_e32 v96, v[97:98]
	v_cvt_f32_f64_e32 v97, v[99:100]
	v_add_f64 v[93:94], v[38:39], v[82:83]
	v_cvt_f32_f64_e32 v98, v[103:104]
	v_cvt_f32_f64_e32 v99, v[101:102]
	v_cvt_f32_f64_e32 v100, v[105:106]
	v_min3_f32 v95, v107, v95, v165
	v_min_f32_e32 v96, v96, v97
	v_cvt_f32_f64_e32 v93, v[93:94]
	v_min3_f32 v92, v92, v96, v95
	v_add_co_u32 v96, vcc_lo, v88, v128
	v_add_co_ci_u32_e64 v97, null, v89, v129, vcc_lo
	v_cvt_f64_f32_e32 v[94:95], v92
	v_min3_f32 v92, v98, v99, v166
	s_mov_b32 vcc_lo, s0
	v_min3_f32 v92, v100, v93, v92
	v_max_f32_e32 v93, v92, v92
	global_store_dwordx2 v[96:97], v[94:95], off
	s_cbranch_vccz .LBB157_97
; %bb.96:
	v_min_f32_e32 v92, 0, v93
	v_add_co_u32 v96, vcc_lo, v88, v136
	v_add_co_ci_u32_e64 v97, null, v89, v137, vcc_lo
	v_cvt_f64_f32_e32 v[94:95], v92
	s_mov_b32 s6, 0
	global_store_dwordx2 v[96:97], v[94:95], off
.LBB157_97:
	v_mov_b32_e32 v92, 0
	s_andn2_b32 vcc_lo, exec_lo, s6
	s_cbranch_vccnz .LBB157_99
; %bb.98:
	v_add_co_u32 v94, vcc_lo, v90, v136
	v_add_co_ci_u32_e64 v95, null, v91, v137, vcc_lo
	global_load_dwordx2 v[94:95], v[94:95], off
	s_waitcnt vmcnt(0)
	v_mul_f64 v[94:95], s[2:3], v[94:95]
	v_cvt_f32_f64_e32 v92, v[94:95]
	v_add_co_u32 v94, vcc_lo, v88, v136
	v_add_co_ci_u32_e64 v95, null, v89, v137, vcc_lo
	v_add_co_u32 v96, vcc_lo, v90, v132
	v_add_co_ci_u32_e64 v97, null, v91, v133, vcc_lo
	v_min_f32_e32 v92, v92, v93
	v_cvt_f64_f32_e32 v[92:93], v92
	global_store_dwordx2 v[94:95], v[92:93], off
	global_load_dwordx2 v[92:93], v[96:97], off
	s_waitcnt vmcnt(0)
	v_mul_f64 v[92:93], s[2:3], v[92:93]
	v_cvt_f32_f64_e32 v92, v[92:93]
.LBB157_99:
	v_add_f64 v[93:94], v[56:57], v[84:85]
	v_add_f64 v[95:96], v[58:59], v[86:87]
	v_add_f64 v[97:98], v[44:45], v[80:81]
	v_add_f64 v[99:100], v[46:47], v[82:83]
	v_add_f64 v[101:102], v[42:43], v[86:87]
	v_add_f64 v[103:104], v[40:41], v[84:85]
	v_add_f64 v[105:106], v[32:33], v[80:81]
	s_mov_b32 s6, -1
	v_cvt_f32_f64_e32 v107, v[93:94]
	v_cvt_f32_f64_e32 v95, v[95:96]
	v_cvt_f32_f64_e32 v96, v[97:98]
	v_cvt_f32_f64_e32 v97, v[99:100]
	v_add_f64 v[93:94], v[34:35], v[82:83]
	v_cvt_f32_f64_e32 v98, v[103:104]
	v_cvt_f32_f64_e32 v99, v[101:102]
	v_cvt_f32_f64_e32 v100, v[105:106]
	v_min3_f32 v95, v107, v95, v163
	v_min_f32_e32 v96, v96, v97
	v_cvt_f32_f64_e32 v93, v[93:94]
	v_min3_f32 v92, v92, v96, v95
	v_add_co_u32 v96, vcc_lo, v88, v132
	v_add_co_ci_u32_e64 v97, null, v89, v133, vcc_lo
	v_cvt_f64_f32_e32 v[94:95], v92
	v_min3_f32 v92, v98, v99, v164
	s_mov_b32 vcc_lo, s0
	v_min3_f32 v92, v100, v93, v92
	v_max_f32_e32 v93, v92, v92
	;; [unrolled: 59-line block ×3, first 2 shown]
	global_store_dwordx2 v[96:97], v[94:95], off
	s_cbranch_vccz .LBB157_105
; %bb.104:
	v_min_f32_e32 v92, 0, v93
	v_add_co_u32 v96, vcc_lo, v88, v142
	v_add_co_ci_u32_e64 v97, null, v89, v143, vcc_lo
	v_cvt_f64_f32_e32 v[94:95], v92
	s_mov_b32 s6, 0
	global_store_dwordx2 v[96:97], v[94:95], off
.LBB157_105:
	v_mov_b32_e32 v92, 0
	s_andn2_b32 vcc_lo, exec_lo, s6
	s_cbranch_vccnz .LBB157_107
; %bb.106:
	v_add_co_u32 v94, vcc_lo, v90, v142
	v_add_co_ci_u32_e64 v95, null, v91, v143, vcc_lo
	global_load_dwordx2 v[94:95], v[94:95], off
	s_waitcnt vmcnt(0)
	v_mul_f64 v[94:95], s[2:3], v[94:95]
	v_cvt_f32_f64_e32 v92, v[94:95]
	v_add_co_u32 v94, vcc_lo, v88, v142
	v_add_co_ci_u32_e64 v95, null, v89, v143, vcc_lo
	v_add_co_u32 v90, vcc_lo, v90, v138
	v_add_co_ci_u32_e64 v91, null, v91, v139, vcc_lo
	v_min_f32_e32 v92, v92, v93
	v_cvt_f64_f32_e32 v[92:93], v92
	global_store_dwordx2 v[94:95], v[92:93], off
	global_load_dwordx2 v[90:91], v[90:91], off
	s_waitcnt vmcnt(0)
	v_mul_f64 v[90:91], s[2:3], v[90:91]
	v_cvt_f32_f64_e32 v92, v[90:91]
.LBB157_107:
	v_add_f64 v[84:85], v[0:1], v[84:85]
	v_add_f64 v[86:87], v[2:3], v[86:87]
	;; [unrolled: 1-line block ×4, first 2 shown]
	s_waitcnt lgkmcnt(3)
	v_add_f64 v[90:91], v[70:71], v[78:79]
	v_add_f64 v[93:94], v[68:69], v[76:77]
	v_add_co_u32 v88, vcc_lo, v88, v138
	v_add_co_ci_u32_e64 v89, null, v89, v139, vcc_lo
	s_mov_b32 s6, -1
	v_cvt_f32_f64_e32 v84, v[84:85]
	v_cvt_f32_f64_e32 v85, v[86:87]
	;; [unrolled: 1-line block ×4, first 2 shown]
	s_waitcnt lgkmcnt(2)
	v_add_f64 v[80:81], v[64:65], v[72:73]
	v_add_f64 v[82:83], v[66:67], v[74:75]
	v_cvt_f32_f64_e32 v93, v[93:94]
	v_cvt_f32_f64_e32 v90, v[90:91]
	v_add_nc_u32_e32 v91, 48, v201
	v_min3_f32 v84, v84, v85, v159
	v_min_f32_e32 v85, v86, v87
	v_cvt_f32_f64_e32 v94, v[80:81]
	v_cvt_f32_f64_e32 v95, v[82:83]
	v_mad_i64_i32 v[80:81], null, v91, s8, 0
	v_min3_f32 v82, v92, v85, v84
	v_min3_f32 v84, v93, v90, v160
	v_cvt_f64_f32_e32 v[86:87], v82
	v_mad_i64_i32 v[82:83], null, v91, s4, 0
	v_lshlrev_b64 v[80:81], 3, v[80:81]
	v_add_co_u32 v80, vcc_lo, s1, v80
	v_lshlrev_b64 v[82:83], 3, v[82:83]
	v_add_co_ci_u32_e64 v81, null, s5, v81, vcc_lo
	v_min3_f32 v84, v94, v95, v84
	v_add_co_u32 v82, vcc_lo, s12, v82
	v_add_co_ci_u32_e64 v83, null, s13, v83, vcc_lo
	v_max_f32_e32 v85, v84, v84
	s_mov_b32 vcc_lo, s0
	global_store_dwordx2 v[88:89], v[86:87], off
	s_cbranch_vccz .LBB157_109
; %bb.108:
	v_min_f32_e32 v84, 0, v85
	v_add_co_u32 v88, vcc_lo, v80, v130
	v_add_co_ci_u32_e64 v89, null, v81, v131, vcc_lo
	v_cvt_f64_f32_e32 v[86:87], v84
	s_mov_b32 s6, 0
	global_store_dwordx2 v[88:89], v[86:87], off
.LBB157_109:
	v_mov_b32_e32 v84, 0
	s_andn2_b32 vcc_lo, exec_lo, s6
	s_cbranch_vccnz .LBB157_111
; %bb.110:
	v_add_co_u32 v86, vcc_lo, v82, v130
	v_add_co_ci_u32_e64 v87, null, v83, v131, vcc_lo
	global_load_dwordx2 v[86:87], v[86:87], off
	s_waitcnt vmcnt(0)
	v_mul_f64 v[86:87], s[2:3], v[86:87]
	v_cvt_f32_f64_e32 v84, v[86:87]
	v_add_co_u32 v86, vcc_lo, v80, v130
	v_add_co_ci_u32_e64 v87, null, v81, v131, vcc_lo
	v_add_co_u32 v88, vcc_lo, v82, v128
	v_add_co_ci_u32_e64 v89, null, v83, v129, vcc_lo
	v_min_f32_e32 v84, v84, v85
	v_cvt_f64_f32_e32 v[84:85], v84
	global_store_dwordx2 v[86:87], v[84:85], off
	global_load_dwordx2 v[84:85], v[88:89], off
	s_waitcnt vmcnt(0)
	v_mul_f64 v[84:85], s[2:3], v[84:85]
	v_cvt_f32_f64_e32 v84, v[84:85]
.LBB157_111:
	v_add_f64 v[85:86], v[60:61], v[76:77]
	v_add_f64 v[87:88], v[62:63], v[78:79]
	v_add_f64 v[89:90], v[52:53], v[72:73]
	v_add_f64 v[91:92], v[54:55], v[74:75]
	v_add_f64 v[93:94], v[50:51], v[78:79]
	v_add_f64 v[95:96], v[48:49], v[76:77]
	v_add_f64 v[97:98], v[36:37], v[72:73]
	s_mov_b32 s6, -1
	v_cvt_f32_f64_e32 v99, v[85:86]
	v_cvt_f32_f64_e32 v87, v[87:88]
	v_cvt_f32_f64_e32 v88, v[89:90]
	v_cvt_f32_f64_e32 v89, v[91:92]
	v_add_f64 v[85:86], v[38:39], v[74:75]
	v_cvt_f32_f64_e32 v90, v[95:96]
	v_cvt_f32_f64_e32 v91, v[93:94]
	v_cvt_f32_f64_e32 v92, v[97:98]
	v_min3_f32 v87, v99, v87, v157
	v_min_f32_e32 v88, v88, v89
	v_cvt_f32_f64_e32 v85, v[85:86]
	v_min3_f32 v84, v84, v88, v87
	v_add_co_u32 v88, vcc_lo, v80, v128
	v_add_co_ci_u32_e64 v89, null, v81, v129, vcc_lo
	v_cvt_f64_f32_e32 v[86:87], v84
	v_min3_f32 v84, v90, v91, v158
	s_mov_b32 vcc_lo, s0
	v_min3_f32 v84, v92, v85, v84
	v_max_f32_e32 v85, v84, v84
	global_store_dwordx2 v[88:89], v[86:87], off
	s_cbranch_vccz .LBB157_113
; %bb.112:
	v_min_f32_e32 v84, 0, v85
	v_add_co_u32 v88, vcc_lo, v80, v136
	v_add_co_ci_u32_e64 v89, null, v81, v137, vcc_lo
	v_cvt_f64_f32_e32 v[86:87], v84
	s_mov_b32 s6, 0
	global_store_dwordx2 v[88:89], v[86:87], off
.LBB157_113:
	v_mov_b32_e32 v84, 0
	s_andn2_b32 vcc_lo, exec_lo, s6
	s_cbranch_vccnz .LBB157_115
; %bb.114:
	v_add_co_u32 v86, vcc_lo, v82, v136
	v_add_co_ci_u32_e64 v87, null, v83, v137, vcc_lo
	global_load_dwordx2 v[86:87], v[86:87], off
	s_waitcnt vmcnt(0)
	v_mul_f64 v[86:87], s[2:3], v[86:87]
	v_cvt_f32_f64_e32 v84, v[86:87]
	v_add_co_u32 v86, vcc_lo, v80, v136
	v_add_co_ci_u32_e64 v87, null, v81, v137, vcc_lo
	v_add_co_u32 v88, vcc_lo, v82, v132
	v_add_co_ci_u32_e64 v89, null, v83, v133, vcc_lo
	v_min_f32_e32 v84, v84, v85
	v_cvt_f64_f32_e32 v[84:85], v84
	global_store_dwordx2 v[86:87], v[84:85], off
	global_load_dwordx2 v[84:85], v[88:89], off
	s_waitcnt vmcnt(0)
	v_mul_f64 v[84:85], s[2:3], v[84:85]
	v_cvt_f32_f64_e32 v84, v[84:85]
.LBB157_115:
	v_add_f64 v[85:86], v[56:57], v[76:77]
	v_add_f64 v[87:88], v[58:59], v[78:79]
	v_add_f64 v[89:90], v[44:45], v[72:73]
	v_add_f64 v[91:92], v[46:47], v[74:75]
	v_add_f64 v[93:94], v[42:43], v[78:79]
	v_add_f64 v[95:96], v[40:41], v[76:77]
	v_add_f64 v[97:98], v[32:33], v[72:73]
	s_mov_b32 s6, -1
	v_cvt_f32_f64_e32 v99, v[85:86]
	v_cvt_f32_f64_e32 v87, v[87:88]
	v_cvt_f32_f64_e32 v88, v[89:90]
	v_cvt_f32_f64_e32 v89, v[91:92]
	v_add_f64 v[85:86], v[34:35], v[74:75]
	v_cvt_f32_f64_e32 v90, v[95:96]
	v_cvt_f32_f64_e32 v91, v[93:94]
	v_cvt_f32_f64_e32 v92, v[97:98]
	v_min3_f32 v87, v99, v87, v155
	v_min_f32_e32 v88, v88, v89
	v_cvt_f32_f64_e32 v85, v[85:86]
	v_min3_f32 v84, v84, v88, v87
	v_add_co_u32 v88, vcc_lo, v80, v132
	v_add_co_ci_u32_e64 v89, null, v81, v133, vcc_lo
	v_cvt_f64_f32_e32 v[86:87], v84
	v_min3_f32 v84, v90, v91, v156
	s_mov_b32 vcc_lo, s0
	v_min3_f32 v84, v92, v85, v84
	v_max_f32_e32 v85, v84, v84
	;; [unrolled: 59-line block ×3, first 2 shown]
	global_store_dwordx2 v[88:89], v[86:87], off
	s_cbranch_vccz .LBB157_121
; %bb.120:
	v_min_f32_e32 v84, 0, v85
	v_add_co_u32 v88, vcc_lo, v80, v142
	v_add_co_ci_u32_e64 v89, null, v81, v143, vcc_lo
	v_cvt_f64_f32_e32 v[86:87], v84
	s_mov_b32 s6, 0
	global_store_dwordx2 v[88:89], v[86:87], off
.LBB157_121:
	v_mov_b32_e32 v84, 0
	s_andn2_b32 vcc_lo, exec_lo, s6
	s_cbranch_vccnz .LBB157_123
; %bb.122:
	v_add_co_u32 v86, vcc_lo, v82, v142
	v_add_co_ci_u32_e64 v87, null, v83, v143, vcc_lo
	global_load_dwordx2 v[86:87], v[86:87], off
	s_waitcnt vmcnt(0)
	v_mul_f64 v[86:87], s[2:3], v[86:87]
	v_cvt_f32_f64_e32 v84, v[86:87]
	v_add_co_u32 v86, vcc_lo, v80, v142
	v_add_co_ci_u32_e64 v87, null, v81, v143, vcc_lo
	v_add_co_u32 v82, vcc_lo, v82, v138
	v_add_co_ci_u32_e64 v83, null, v83, v139, vcc_lo
	v_min_f32_e32 v84, v84, v85
	v_cvt_f64_f32_e32 v[84:85], v84
	global_store_dwordx2 v[86:87], v[84:85], off
	global_load_dwordx2 v[82:83], v[82:83], off
	s_waitcnt vmcnt(0)
	v_mul_f64 v[82:83], s[2:3], v[82:83]
	v_cvt_f32_f64_e32 v84, v[82:83]
.LBB157_123:
	v_add_f64 v[76:77], v[0:1], v[76:77]
	v_add_f64 v[78:79], v[2:3], v[78:79]
	;; [unrolled: 1-line block ×4, first 2 shown]
	s_waitcnt lgkmcnt(1)
	v_add_f64 v[70:71], v[70:71], v[10:11]
	v_add_f64 v[68:69], v[68:69], v[8:9]
	s_waitcnt lgkmcnt(0)
	v_add_f64 v[64:65], v[64:65], v[12:13]
	v_add_f64 v[66:67], v[66:67], v[14:15]
	v_cvt_f32_f64_e32 v76, v[76:77]
	v_cvt_f32_f64_e32 v77, v[78:79]
	;; [unrolled: 1-line block ×8, first 2 shown]
	v_min3_f32 v70, v76, v77, v151
	v_min_f32_e32 v71, v72, v73
	v_add_nc_u32_e32 v72, 56, v201
	v_min3_f32 v68, v68, v69, v152
	v_min3_f32 v66, v84, v71, v70
	v_mad_i64_i32 v[64:65], null, v72, s8, 0
	v_min3_f32 v68, v74, v75, v68
	v_cvt_f64_f32_e32 v[70:71], v66
	v_mad_i64_i32 v[66:67], null, v72, s4, 0
	v_add_co_u32 v72, vcc_lo, v80, v138
	v_lshlrev_b64 v[64:65], 3, v[64:65]
	v_add_co_ci_u32_e64 v73, null, v81, v139, vcc_lo
	v_max_f32_e32 v69, v68, v68
	v_lshlrev_b64 v[66:67], 3, v[66:67]
	s_mov_b32 s4, -1
	v_add_co_u32 v64, vcc_lo, s1, v64
	v_add_co_ci_u32_e64 v65, null, s5, v65, vcc_lo
	v_add_co_u32 v66, vcc_lo, s12, v66
	v_add_co_ci_u32_e64 v67, null, s13, v67, vcc_lo
	s_mov_b32 vcc_lo, s0
	global_store_dwordx2 v[72:73], v[70:71], off
	s_cbranch_vccz .LBB157_125
; %bb.124:
	v_min_f32_e32 v68, 0, v69
	v_add_co_u32 v72, vcc_lo, v64, v130
	v_add_co_ci_u32_e64 v73, null, v65, v131, vcc_lo
	v_cvt_f64_f32_e32 v[70:71], v68
	s_mov_b32 s4, 0
	global_store_dwordx2 v[72:73], v[70:71], off
.LBB157_125:
	v_mov_b32_e32 v68, 0
	s_andn2_b32 vcc_lo, exec_lo, s4
	s_cbranch_vccnz .LBB157_127
; %bb.126:
	v_add_co_u32 v70, vcc_lo, v66, v130
	v_add_co_ci_u32_e64 v71, null, v67, v131, vcc_lo
	global_load_dwordx2 v[70:71], v[70:71], off
	s_waitcnt vmcnt(0)
	v_mul_f64 v[70:71], s[2:3], v[70:71]
	v_cvt_f32_f64_e32 v68, v[70:71]
	v_add_co_u32 v70, vcc_lo, v64, v130
	v_add_co_ci_u32_e64 v71, null, v65, v131, vcc_lo
	v_add_co_u32 v72, vcc_lo, v66, v128
	v_add_co_ci_u32_e64 v73, null, v67, v129, vcc_lo
	v_min_f32_e32 v68, v68, v69
	v_cvt_f64_f32_e32 v[68:69], v68
	global_store_dwordx2 v[70:71], v[68:69], off
	global_load_dwordx2 v[68:69], v[72:73], off
	s_waitcnt vmcnt(0)
	v_mul_f64 v[68:69], s[2:3], v[68:69]
	v_cvt_f32_f64_e32 v68, v[68:69]
.LBB157_127:
	v_add_f64 v[60:61], v[60:61], v[8:9]
	v_add_f64 v[62:63], v[62:63], v[10:11]
	;; [unrolled: 1-line block ×8, first 2 shown]
	s_mov_b32 s1, -1
	v_cvt_f32_f64_e32 v60, v[60:61]
	v_cvt_f32_f64_e32 v61, v[62:63]
	;; [unrolled: 1-line block ×8, first 2 shown]
	v_min3_f32 v37, v60, v61, v149
	v_min_f32_e32 v50, v52, v53
	v_min3_f32 v37, v68, v50, v37
	v_cvt_f64_f32_e32 v[38:39], v37
	v_min3_f32 v37, v48, v49, v150
	v_add_co_u32 v48, vcc_lo, v64, v128
	v_add_co_ci_u32_e64 v49, null, v65, v129, vcc_lo
	v_min3_f32 v36, v36, v51, v37
	s_mov_b32 vcc_lo, s0
	v_max_f32_e32 v37, v36, v36
	global_store_dwordx2 v[48:49], v[38:39], off
	s_cbranch_vccz .LBB157_129
; %bb.128:
	v_min_f32_e32 v36, 0, v37
	v_add_co_u32 v48, vcc_lo, v64, v136
	v_add_co_ci_u32_e64 v49, null, v65, v137, vcc_lo
	v_cvt_f64_f32_e32 v[38:39], v36
	s_mov_b32 s1, 0
	global_store_dwordx2 v[48:49], v[38:39], off
.LBB157_129:
	v_mov_b32_e32 v36, 0
	s_andn2_b32 vcc_lo, exec_lo, s1
	s_cbranch_vccnz .LBB157_131
; %bb.130:
	v_add_co_u32 v38, vcc_lo, v66, v136
	v_add_co_ci_u32_e64 v39, null, v67, v137, vcc_lo
	global_load_dwordx2 v[38:39], v[38:39], off
	s_waitcnt vmcnt(0)
	v_mul_f64 v[38:39], s[2:3], v[38:39]
	v_cvt_f32_f64_e32 v36, v[38:39]
	v_add_co_u32 v38, vcc_lo, v64, v136
	v_add_co_ci_u32_e64 v39, null, v65, v137, vcc_lo
	v_add_co_u32 v48, vcc_lo, v66, v132
	v_add_co_ci_u32_e64 v49, null, v67, v133, vcc_lo
	v_min_f32_e32 v36, v36, v37
	v_cvt_f64_f32_e32 v[36:37], v36
	global_store_dwordx2 v[38:39], v[36:37], off
	global_load_dwordx2 v[36:37], v[48:49], off
	s_waitcnt vmcnt(0)
	v_mul_f64 v[36:37], s[2:3], v[36:37]
	v_cvt_f32_f64_e32 v36, v[36:37]
.LBB157_131:
	v_add_f64 v[37:38], v[56:57], v[8:9]
	v_add_f64 v[48:49], v[58:59], v[10:11]
	;; [unrolled: 1-line block ×8, first 2 shown]
	s_mov_b32 s1, -1
	v_cvt_f32_f64_e32 v37, v[37:38]
	v_cvt_f32_f64_e32 v38, v[48:49]
	;; [unrolled: 1-line block ×7, first 2 shown]
	v_min3_f32 v33, v37, v38, v147
	v_cvt_f32_f64_e32 v38, v[34:35]
	v_min_f32_e32 v37, v41, v44
	v_min3_f32 v33, v36, v37, v33
	v_add_co_u32 v36, vcc_lo, v64, v132
	v_add_co_ci_u32_e64 v37, null, v65, v133, vcc_lo
	v_cvt_f64_f32_e32 v[34:35], v33
	v_min3_f32 v33, v39, v40, v148
	s_mov_b32 vcc_lo, s0
	v_min3_f32 v32, v32, v38, v33
	v_max_f32_e32 v33, v32, v32
	global_store_dwordx2 v[36:37], v[34:35], off
	s_cbranch_vccz .LBB157_133
; %bb.132:
	v_min_f32_e32 v32, 0, v33
	v_add_co_u32 v36, vcc_lo, v64, v140
	v_add_co_ci_u32_e64 v37, null, v65, v141, vcc_lo
	v_cvt_f64_f32_e32 v[34:35], v32
	s_mov_b32 s1, 0
	global_store_dwordx2 v[36:37], v[34:35], off
.LBB157_133:
	v_mov_b32_e32 v32, 0
	s_andn2_b32 vcc_lo, exec_lo, s1
	s_cbranch_vccnz .LBB157_135
; %bb.134:
	v_add_co_u32 v34, vcc_lo, v66, v140
	v_add_co_ci_u32_e64 v35, null, v67, v141, vcc_lo
	global_load_dwordx2 v[34:35], v[34:35], off
	s_waitcnt vmcnt(0)
	v_mul_f64 v[34:35], s[2:3], v[34:35]
	v_cvt_f32_f64_e32 v32, v[34:35]
	v_add_co_u32 v34, vcc_lo, v64, v140
	v_add_co_ci_u32_e64 v35, null, v65, v141, vcc_lo
	v_add_co_u32 v36, vcc_lo, v66, v134
	v_add_co_ci_u32_e64 v37, null, v67, v135, vcc_lo
	v_min_f32_e32 v32, v32, v33
	v_cvt_f64_f32_e32 v[32:33], v32
	global_store_dwordx2 v[34:35], v[32:33], off
	global_load_dwordx2 v[32:33], v[36:37], off
	s_waitcnt vmcnt(0)
	v_mul_f64 v[32:33], s[2:3], v[32:33]
	v_cvt_f32_f64_e32 v32, v[32:33]
.LBB157_135:
	v_add_f64 v[28:29], v[28:29], v[8:9]
	v_add_f64 v[30:31], v[30:31], v[10:11]
	v_add_f64 v[24:25], v[24:25], v[12:13]
	v_add_f64 v[26:27], v[26:27], v[14:15]
	v_add_f64 v[22:23], v[22:23], v[10:11]
	v_add_f64 v[20:21], v[20:21], v[8:9]
	v_add_f64 v[16:17], v[16:17], v[12:13]
	v_add_f64 v[18:19], v[18:19], v[14:15]
	s_mov_b32 s1, -1
	v_cvt_f32_f64_e32 v28, v[28:29]
	v_cvt_f32_f64_e32 v29, v[30:31]
	v_cvt_f32_f64_e32 v24, v[24:25]
	v_cvt_f32_f64_e32 v25, v[26:27]
	v_cvt_f32_f64_e32 v20, v[20:21]
	v_cvt_f32_f64_e32 v21, v[22:23]
	v_cvt_f32_f64_e32 v16, v[16:17]
	v_cvt_f32_f64_e32 v23, v[18:19]
	v_min3_f32 v17, v28, v29, v145
	v_min_f32_e32 v22, v24, v25
	v_min3_f32 v17, v32, v22, v17
	v_cvt_f64_f32_e32 v[18:19], v17
	v_min3_f32 v17, v20, v21, v146
	v_add_co_u32 v20, vcc_lo, v64, v134
	v_add_co_ci_u32_e64 v21, null, v65, v135, vcc_lo
	v_min3_f32 v16, v16, v23, v17
	s_mov_b32 vcc_lo, s0
	v_max_f32_e32 v17, v16, v16
	global_store_dwordx2 v[20:21], v[18:19], off
	s_cbranch_vccz .LBB157_137
; %bb.136:
	v_min_f32_e32 v16, 0, v17
	v_add_co_u32 v20, vcc_lo, v64, v142
	v_add_co_ci_u32_e64 v21, null, v65, v143, vcc_lo
	v_cvt_f64_f32_e32 v[18:19], v16
	s_mov_b32 s1, 0
	global_store_dwordx2 v[20:21], v[18:19], off
.LBB157_137:
	v_mov_b32_e32 v16, 0
	s_andn2_b32 vcc_lo, exec_lo, s1
	s_cbranch_vccnz .LBB157_139
; %bb.138:
	v_add_co_u32 v18, vcc_lo, v66, v142
	v_add_co_ci_u32_e64 v19, null, v67, v143, vcc_lo
	global_load_dwordx2 v[18:19], v[18:19], off
	s_waitcnt vmcnt(0)
	v_mul_f64 v[18:19], s[2:3], v[18:19]
	v_cvt_f32_f64_e32 v16, v[18:19]
	v_add_co_u32 v18, vcc_lo, v64, v142
	v_add_co_ci_u32_e64 v19, null, v65, v143, vcc_lo
	v_add_co_u32 v20, vcc_lo, v66, v138
	v_add_co_ci_u32_e64 v21, null, v67, v139, vcc_lo
	v_min_f32_e32 v16, v16, v17
	v_cvt_f64_f32_e32 v[16:17], v16
	global_store_dwordx2 v[18:19], v[16:17], off
	global_load_dwordx2 v[16:17], v[20:21], off
	s_waitcnt vmcnt(0)
	v_mul_f64 v[16:17], s[2:3], v[16:17]
	v_cvt_f32_f64_e32 v16, v[16:17]
.LBB157_139:
	v_add_f64 v[4:5], v[4:5], v[12:13]
	v_add_f64 v[6:7], v[6:7], v[14:15]
	;; [unrolled: 1-line block ×4, first 2 shown]
	v_cvt_f32_f64_e32 v4, v[4:5]
	v_cvt_f32_f64_e32 v5, v[6:7]
	;; [unrolled: 1-line block ×4, first 2 shown]
	v_min_f32_e32 v2, v4, v5
	v_min3_f32 v0, v0, v1, v144
	v_min3_f32 v0, v16, v2, v0
	v_add_co_u32 v2, vcc_lo, v64, v138
	v_add_co_ci_u32_e64 v3, null, v65, v139, vcc_lo
	v_cvt_f64_f32_e32 v[0:1], v0
	global_store_dwordx2 v[2:3], v[0:1], off
	s_endpgm
	.section	.rodata,"a",@progbits
	.p2align	6, 0x0
	.amdhsa_kernel _ZN12_GLOBAL__N_120geam_min_plus_kernelId15HIP_vector_typeIdLj2EEdLi32ELi8ELi256ELi64ELi4ELi64ELi4ELi4ELi64ELc78ELc78ELb1ELb0ELb1EdKddEEviiiT16_PT17_ilS6_ilS4_S6_ilPT18_ili26rocblas_geam_ex_operation_
		.amdhsa_group_segment_fixed_size 20480
		.amdhsa_private_segment_fixed_size 0
		.amdhsa_kernarg_size 136
		.amdhsa_user_sgpr_count 6
		.amdhsa_user_sgpr_private_segment_buffer 1
		.amdhsa_user_sgpr_dispatch_ptr 0
		.amdhsa_user_sgpr_queue_ptr 0
		.amdhsa_user_sgpr_kernarg_segment_ptr 1
		.amdhsa_user_sgpr_dispatch_id 0
		.amdhsa_user_sgpr_flat_scratch_init 0
		.amdhsa_user_sgpr_private_segment_size 0
		.amdhsa_wavefront_size32 1
		.amdhsa_uses_dynamic_stack 0
		.amdhsa_system_sgpr_private_segment_wavefront_offset 0
		.amdhsa_system_sgpr_workgroup_id_x 1
		.amdhsa_system_sgpr_workgroup_id_y 0
		.amdhsa_system_sgpr_workgroup_id_z 1
		.amdhsa_system_sgpr_workgroup_info 0
		.amdhsa_system_vgpr_workitem_id 1
		.amdhsa_next_free_vgpr 221
		.amdhsa_next_free_sgpr 23
		.amdhsa_reserve_vcc 1
		.amdhsa_reserve_flat_scratch 0
		.amdhsa_float_round_mode_32 0
		.amdhsa_float_round_mode_16_64 0
		.amdhsa_float_denorm_mode_32 3
		.amdhsa_float_denorm_mode_16_64 3
		.amdhsa_dx10_clamp 1
		.amdhsa_ieee_mode 1
		.amdhsa_fp16_overflow 0
		.amdhsa_workgroup_processor_mode 1
		.amdhsa_memory_ordered 1
		.amdhsa_forward_progress 1
		.amdhsa_shared_vgpr_count 0
		.amdhsa_exception_fp_ieee_invalid_op 0
		.amdhsa_exception_fp_denorm_src 0
		.amdhsa_exception_fp_ieee_div_zero 0
		.amdhsa_exception_fp_ieee_overflow 0
		.amdhsa_exception_fp_ieee_underflow 0
		.amdhsa_exception_fp_ieee_inexact 0
		.amdhsa_exception_int_div_zero 0
	.end_amdhsa_kernel
	.section	.text._ZN12_GLOBAL__N_120geam_min_plus_kernelId15HIP_vector_typeIdLj2EEdLi32ELi8ELi256ELi64ELi4ELi64ELi4ELi4ELi64ELc78ELc78ELb1ELb0ELb1EdKddEEviiiT16_PT17_ilS6_ilS4_S6_ilPT18_ili26rocblas_geam_ex_operation_,"axG",@progbits,_ZN12_GLOBAL__N_120geam_min_plus_kernelId15HIP_vector_typeIdLj2EEdLi32ELi8ELi256ELi64ELi4ELi64ELi4ELi4ELi64ELc78ELc78ELb1ELb0ELb1EdKddEEviiiT16_PT17_ilS6_ilS4_S6_ilPT18_ili26rocblas_geam_ex_operation_,comdat
.Lfunc_end157:
	.size	_ZN12_GLOBAL__N_120geam_min_plus_kernelId15HIP_vector_typeIdLj2EEdLi32ELi8ELi256ELi64ELi4ELi64ELi4ELi4ELi64ELc78ELc78ELb1ELb0ELb1EdKddEEviiiT16_PT17_ilS6_ilS4_S6_ilPT18_ili26rocblas_geam_ex_operation_, .Lfunc_end157-_ZN12_GLOBAL__N_120geam_min_plus_kernelId15HIP_vector_typeIdLj2EEdLi32ELi8ELi256ELi64ELi4ELi64ELi4ELi4ELi64ELc78ELc78ELb1ELb0ELb1EdKddEEviiiT16_PT17_ilS6_ilS4_S6_ilPT18_ili26rocblas_geam_ex_operation_
                                        ; -- End function
	.set _ZN12_GLOBAL__N_120geam_min_plus_kernelId15HIP_vector_typeIdLj2EEdLi32ELi8ELi256ELi64ELi4ELi64ELi4ELi4ELi64ELc78ELc78ELb1ELb0ELb1EdKddEEviiiT16_PT17_ilS6_ilS4_S6_ilPT18_ili26rocblas_geam_ex_operation_.num_vgpr, 221
	.set _ZN12_GLOBAL__N_120geam_min_plus_kernelId15HIP_vector_typeIdLj2EEdLi32ELi8ELi256ELi64ELi4ELi64ELi4ELi4ELi64ELc78ELc78ELb1ELb0ELb1EdKddEEviiiT16_PT17_ilS6_ilS4_S6_ilPT18_ili26rocblas_geam_ex_operation_.num_agpr, 0
	.set _ZN12_GLOBAL__N_120geam_min_plus_kernelId15HIP_vector_typeIdLj2EEdLi32ELi8ELi256ELi64ELi4ELi64ELi4ELi4ELi64ELc78ELc78ELb1ELb0ELb1EdKddEEviiiT16_PT17_ilS6_ilS4_S6_ilPT18_ili26rocblas_geam_ex_operation_.numbered_sgpr, 23
	.set _ZN12_GLOBAL__N_120geam_min_plus_kernelId15HIP_vector_typeIdLj2EEdLi32ELi8ELi256ELi64ELi4ELi64ELi4ELi4ELi64ELc78ELc78ELb1ELb0ELb1EdKddEEviiiT16_PT17_ilS6_ilS4_S6_ilPT18_ili26rocblas_geam_ex_operation_.num_named_barrier, 0
	.set _ZN12_GLOBAL__N_120geam_min_plus_kernelId15HIP_vector_typeIdLj2EEdLi32ELi8ELi256ELi64ELi4ELi64ELi4ELi4ELi64ELc78ELc78ELb1ELb0ELb1EdKddEEviiiT16_PT17_ilS6_ilS4_S6_ilPT18_ili26rocblas_geam_ex_operation_.private_seg_size, 0
	.set _ZN12_GLOBAL__N_120geam_min_plus_kernelId15HIP_vector_typeIdLj2EEdLi32ELi8ELi256ELi64ELi4ELi64ELi4ELi4ELi64ELc78ELc78ELb1ELb0ELb1EdKddEEviiiT16_PT17_ilS6_ilS4_S6_ilPT18_ili26rocblas_geam_ex_operation_.uses_vcc, 1
	.set _ZN12_GLOBAL__N_120geam_min_plus_kernelId15HIP_vector_typeIdLj2EEdLi32ELi8ELi256ELi64ELi4ELi64ELi4ELi4ELi64ELc78ELc78ELb1ELb0ELb1EdKddEEviiiT16_PT17_ilS6_ilS4_S6_ilPT18_ili26rocblas_geam_ex_operation_.uses_flat_scratch, 0
	.set _ZN12_GLOBAL__N_120geam_min_plus_kernelId15HIP_vector_typeIdLj2EEdLi32ELi8ELi256ELi64ELi4ELi64ELi4ELi4ELi64ELc78ELc78ELb1ELb0ELb1EdKddEEviiiT16_PT17_ilS6_ilS4_S6_ilPT18_ili26rocblas_geam_ex_operation_.has_dyn_sized_stack, 0
	.set _ZN12_GLOBAL__N_120geam_min_plus_kernelId15HIP_vector_typeIdLj2EEdLi32ELi8ELi256ELi64ELi4ELi64ELi4ELi4ELi64ELc78ELc78ELb1ELb0ELb1EdKddEEviiiT16_PT17_ilS6_ilS4_S6_ilPT18_ili26rocblas_geam_ex_operation_.has_recursion, 0
	.set _ZN12_GLOBAL__N_120geam_min_plus_kernelId15HIP_vector_typeIdLj2EEdLi32ELi8ELi256ELi64ELi4ELi64ELi4ELi4ELi64ELc78ELc78ELb1ELb0ELb1EdKddEEviiiT16_PT17_ilS6_ilS4_S6_ilPT18_ili26rocblas_geam_ex_operation_.has_indirect_call, 0
	.section	.AMDGPU.csdata,"",@progbits
; Kernel info:
; codeLenInByte = 26484
; TotalNumSgprs: 25
; NumVgprs: 221
; ScratchSize: 0
; MemoryBound: 0
; FloatMode: 240
; IeeeMode: 1
; LDSByteSize: 20480 bytes/workgroup (compile time only)
; SGPRBlocks: 0
; VGPRBlocks: 27
; NumSGPRsForWavesPerEU: 25
; NumVGPRsForWavesPerEU: 221
; Occupancy: 4
; WaveLimiterHint : 1
; COMPUTE_PGM_RSRC2:SCRATCH_EN: 0
; COMPUTE_PGM_RSRC2:USER_SGPR: 6
; COMPUTE_PGM_RSRC2:TRAP_HANDLER: 0
; COMPUTE_PGM_RSRC2:TGID_X_EN: 1
; COMPUTE_PGM_RSRC2:TGID_Y_EN: 0
; COMPUTE_PGM_RSRC2:TGID_Z_EN: 1
; COMPUTE_PGM_RSRC2:TIDIG_COMP_CNT: 1
	.section	.text._ZN12_GLOBAL__N_120geam_min_plus_kernelId15HIP_vector_typeIdLj2EEdLi32ELi8ELi256ELi64ELi4ELi64ELi4ELi4ELi64ELc78ELc78ELb0ELb0ELb1EdKddEEviiiT16_PT17_ilS6_ilS4_S6_ilPT18_ili26rocblas_geam_ex_operation_,"axG",@progbits,_ZN12_GLOBAL__N_120geam_min_plus_kernelId15HIP_vector_typeIdLj2EEdLi32ELi8ELi256ELi64ELi4ELi64ELi4ELi4ELi64ELc78ELc78ELb0ELb0ELb1EdKddEEviiiT16_PT17_ilS6_ilS4_S6_ilPT18_ili26rocblas_geam_ex_operation_,comdat
	.globl	_ZN12_GLOBAL__N_120geam_min_plus_kernelId15HIP_vector_typeIdLj2EEdLi32ELi8ELi256ELi64ELi4ELi64ELi4ELi4ELi64ELc78ELc78ELb0ELb0ELb1EdKddEEviiiT16_PT17_ilS6_ilS4_S6_ilPT18_ili26rocblas_geam_ex_operation_ ; -- Begin function _ZN12_GLOBAL__N_120geam_min_plus_kernelId15HIP_vector_typeIdLj2EEdLi32ELi8ELi256ELi64ELi4ELi64ELi4ELi4ELi64ELc78ELc78ELb0ELb0ELb1EdKddEEviiiT16_PT17_ilS6_ilS4_S6_ilPT18_ili26rocblas_geam_ex_operation_
	.p2align	8
	.type	_ZN12_GLOBAL__N_120geam_min_plus_kernelId15HIP_vector_typeIdLj2EEdLi32ELi8ELi256ELi64ELi4ELi64ELi4ELi4ELi64ELc78ELc78ELb0ELb0ELb1EdKddEEviiiT16_PT17_ilS6_ilS4_S6_ilPT18_ili26rocblas_geam_ex_operation_,@function
_ZN12_GLOBAL__N_120geam_min_plus_kernelId15HIP_vector_typeIdLj2EEdLi32ELi8ELi256ELi64ELi4ELi64ELi4ELi4ELi64ELc78ELc78ELb0ELb0ELb1EdKddEEviiiT16_PT17_ilS6_ilS4_S6_ilPT18_ili26rocblas_geam_ex_operation_: ; @_ZN12_GLOBAL__N_120geam_min_plus_kernelId15HIP_vector_typeIdLj2EEdLi32ELi8ELi256ELi64ELi4ELi64ELi4ELi4ELi64ELc78ELc78ELb0ELb0ELb1EdKddEEviiiT16_PT17_ilS6_ilS4_S6_ilPT18_ili26rocblas_geam_ex_operation_
; %bb.0:
	s_clause 0x1
	s_load_dwordx4 s[12:15], s[4:5], 0x10
	s_load_dwordx4 s[8:11], s[4:5], 0x28
	s_mov_b64 s[16:17], 0
	s_waitcnt lgkmcnt(0)
	v_cmp_eq_f64_e64 s18, s[12:13], 0
	s_and_b32 vcc_lo, exec_lo, s18
	s_cbranch_vccnz .LBB158_2
; %bb.1:
	s_mul_i32 s0, s9, s7
	s_mul_hi_u32 s1, s8, s7
	s_add_i32 s1, s1, s0
	s_mul_i32 s0, s8, s7
	s_lshl_b64 s[0:1], s[0:1], 3
	s_add_u32 s16, s14, s0
	s_addc_u32 s17, s15, s1
.LBB158_2:
	s_clause 0x1
	s_load_dwordx4 s[0:3], s[4:5], 0x40
	s_load_dwordx2 s[20:21], s[4:5], 0x50
	s_andn2_b32 vcc_lo, exec_lo, s18
	s_mov_b32 s8, -1
	s_cbranch_vccnz .LBB158_4
; %bb.3:
	s_mov_b32 s8, 0
.LBB158_4:
	s_mov_b64 s[14:15], 0
	s_andn2_b32 vcc_lo, exec_lo, s8
	s_mov_b64 s[18:19], 0
	s_cbranch_vccnz .LBB158_6
; %bb.5:
	s_waitcnt lgkmcnt(0)
	s_mul_i32 s1, s1, s7
	s_mul_hi_u32 s8, s0, s7
	s_mul_i32 s0, s0, s7
	s_add_i32 s1, s8, s1
	s_lshl_b64 s[0:1], s[0:1], 3
	s_add_u32 s18, s10, s0
	s_addc_u32 s19, s11, s1
.LBB158_6:
	s_waitcnt lgkmcnt(0)
	v_cmp_eq_f64_e64 s0, s[2:3], 0
	v_cmp_neq_f64_e64 s23, s[12:13], 0
	s_load_dwordx4 s[8:11], s[4:5], 0x60
	s_and_b32 s0, exec_lo, s0
	s_mov_b32 vcc_lo, s0
	s_cbranch_vccnz .LBB158_8
; %bb.7:
	s_waitcnt lgkmcnt(0)
	s_mul_i32 s1, s9, s7
	s_mul_hi_u32 s9, s8, s7
	s_mul_i32 s8, s8, s7
	s_add_i32 s9, s9, s1
	s_lshl_b64 s[8:9], s[8:9], 3
	s_add_u32 s14, s20, s8
	s_addc_u32 s15, s21, s9
.LBB158_8:
	s_load_dword s1, s[4:5], 0x0
	s_waitcnt lgkmcnt(0)
	s_load_dword s8, s[4:5], 0x20
	v_lshl_add_u32 v12, v1, 5, v0
	v_cndmask_b32_e64 v4, 0, 1, s23
	v_mov_b32_e32 v6, 0
	v_mov_b32_e32 v7, 0
	v_lshrrev_b32_e32 v76, 6, v12
	v_and_b32_e32 v77, 63, v12
	s_add_i32 s1, s1, -1
	s_ashr_i32 s9, s1, 31
	s_lshr_b32 s9, s9, 24
	s_add_i32 s1, s1, s9
	s_ashr_i32 s1, s1, 8
	s_add_i32 s20, s1, 1
	s_not_b32 s1, s1
	v_cvt_f32_u32_e32 v2, s20
	v_rcp_iflag_f32_e32 v2, v2
	v_mul_f32_e32 v2, 0x4f7ffffe, v2
	v_cvt_u32_f32_e32 v2, v2
	v_readfirstlane_b32 s9, v2
	s_waitcnt lgkmcnt(0)
	v_mad_i64_i32 v[2:3], null, s8, v76, 0
	s_mul_i32 s1, s1, s9
	s_mul_hi_u32 s1, s9, s1
	v_lshlrev_b64 v[2:3], 3, v[2:3]
	s_add_i32 s9, s9, s1
	s_mul_hi_u32 s1, s6, s9
	s_ashr_i32 s9, s8, 31
	s_mul_i32 s21, s1, s20
	s_add_i32 s22, s1, 1
	s_sub_i32 s21, s6, s21
	v_add_co_u32 v13, vcc_lo, s16, v2
	s_sub_i32 s24, s21, s20
	s_cmp_ge_u32 s21, s20
	v_add_co_ci_u32_e64 v14, null, s17, v3, vcc_lo
	s_cselect_b32 s1, s22, s1
	s_cselect_b32 s21, s24, s21
	s_add_i32 s22, s1, 1
	s_cmp_ge_u32 s21, s20
	v_mov_b32_e32 v2, 0
	s_cselect_b32 s21, s22, s1
	v_mov_b32_e32 v3, 0
	s_mul_i32 s22, s21, s20
	s_andn2_b32 vcc_lo, exec_lo, s23
	s_sub_i32 s1, s6, s22
	s_lshl_b32 s20, s1, 8
	v_cmp_ne_u32_e64 s1, 1, v4
	v_or_b32_e32 v8, s20, v77
	v_mov_b32_e32 v4, 0
	v_mov_b32_e32 v5, 0
	v_ashrrev_i32_e32 v9, 31, v8
	s_cbranch_vccnz .LBB158_10
; %bb.9:
	v_lshlrev_b64 v[4:5], 3, v[8:9]
	v_add_co_u32 v4, vcc_lo, v13, v4
	v_add_co_ci_u32_e64 v5, null, v14, v5, vcc_lo
	s_clause 0x1
	global_load_dwordx2 v[6:7], v[4:5], off
	global_load_dwordx2 v[10:11], v[4:5], off offset:512
	s_waitcnt vmcnt(1)
	v_mul_f64 v[4:5], s[12:13], v[6:7]
	s_waitcnt vmcnt(0)
	v_mul_f64 v[6:7], s[12:13], v[10:11]
.LBB158_10:
	v_mov_b32_e32 v10, 0
	v_mov_b32_e32 v11, 0
	s_and_b32 vcc_lo, exec_lo, s1
	s_cbranch_vccnz .LBB158_12
; %bb.11:
	v_lshlrev_b64 v[2:3], 3, v[8:9]
	v_add_co_u32 v2, vcc_lo, v13, v2
	v_add_co_ci_u32_e64 v3, null, v14, v3, vcc_lo
	s_clause 0x1
	global_load_dwordx2 v[10:11], v[2:3], off offset:1024
	global_load_dwordx2 v[13:14], v[2:3], off offset:1536
	s_waitcnt vmcnt(1)
	v_mul_f64 v[2:3], s[12:13], v[10:11]
	s_waitcnt vmcnt(0)
	v_mul_f64 v[10:11], s[12:13], v[13:14]
.LBB158_12:
	s_load_dword s23, s[4:5], 0x38
	v_lshrrev_b32_e32 v14, 2, v12
	v_and_b32_e32 v15, 3, v0
	s_lshl_b32 s21, s21, 6
	v_mov_b32_e32 v68, 0
	v_mov_b32_e32 v12, 0
	;; [unrolled: 1-line block ×3, first 2 shown]
	v_add_nc_u32_e32 v79, s21, v14
	v_mov_b32_e32 v13, 0
	v_lshlrev_b32_e32 v78, 3, v15
	s_and_b32 vcc_lo, exec_lo, s1
	s_cbranch_vccnz .LBB158_14
; %bb.13:
	s_waitcnt lgkmcnt(0)
	v_mad_i64_i32 v[12:13], null, v79, s23, 0
	v_lshlrev_b64 v[12:13], 3, v[12:13]
	v_add_co_u32 v12, vcc_lo, s18, v12
	v_add_co_ci_u32_e64 v13, null, s19, v13, vcc_lo
	v_add_co_u32 v12, vcc_lo, v12, v78
	v_add_co_ci_u32_e64 v13, null, 0, v13, vcc_lo
	global_load_dwordx2 v[12:13], v[12:13], off
	s_waitcnt vmcnt(0)
	v_mul_f64 v[12:13], s[12:13], v[12:13]
.LBB158_14:
	v_add_nc_u32_e32 v15, 4, v76
	v_mov_b32_e32 v70, 0
	v_mov_b32_e32 v71, 0
	v_mad_i64_i32 v[15:16], null, s8, v15, 0
	v_lshlrev_b64 v[15:16], 3, v[15:16]
	v_add_co_u32 v15, vcc_lo, s16, v15
	v_add_co_ci_u32_e64 v16, null, s17, v16, vcc_lo
	s_and_b32 vcc_lo, exec_lo, s1
	s_cbranch_vccnz .LBB158_16
; %bb.15:
	v_lshlrev_b64 v[17:18], 3, v[8:9]
	v_add_co_u32 v17, vcc_lo, v15, v17
	v_add_co_ci_u32_e64 v18, null, v16, v18, vcc_lo
	s_clause 0x1
	global_load_dwordx2 v[19:20], v[17:18], off
	global_load_dwordx2 v[17:18], v[17:18], off offset:512
	s_waitcnt vmcnt(1)
	v_mul_f64 v[68:69], s[12:13], v[19:20]
	s_waitcnt vmcnt(0)
	v_mul_f64 v[70:71], s[12:13], v[17:18]
.LBB158_16:
	v_mov_b32_e32 v66, 0
	v_mov_b32_e32 v72, 0
	;; [unrolled: 1-line block ×6, first 2 shown]
	s_and_b32 vcc_lo, exec_lo, s1
	s_cbranch_vccnz .LBB158_18
; %bb.17:
	v_lshlrev_b64 v[8:9], 3, v[8:9]
	v_add_co_u32 v8, vcc_lo, v15, v8
	v_add_co_ci_u32_e64 v9, null, v16, v9, vcc_lo
	s_clause 0x1
	global_load_dwordx2 v[15:16], v[8:9], off offset:1024
	global_load_dwordx2 v[8:9], v[8:9], off offset:1536
	s_waitcnt vmcnt(1)
	v_mul_f64 v[72:73], s[12:13], v[15:16]
	s_waitcnt vmcnt(0)
	v_mul_f64 v[74:75], s[12:13], v[8:9]
.LBB158_18:
	s_and_b32 vcc_lo, exec_lo, s1
	s_cbranch_vccnz .LBB158_20
; %bb.19:
	s_waitcnt lgkmcnt(0)
	v_mad_i64_i32 v[8:9], null, v79, s23, 0
	v_lshlrev_b64 v[8:9], 3, v[8:9]
	v_add_co_u32 v8, vcc_lo, s18, v8
	v_add_co_ci_u32_e64 v9, null, s19, v9, vcc_lo
	v_add_co_u32 v8, vcc_lo, v8, v78
	v_add_co_ci_u32_e64 v9, null, 0, v9, vcc_lo
	global_load_dwordx2 v[8:9], v[8:9], off offset:32
	s_waitcnt vmcnt(0)
	v_mul_f64 v[66:67], s[12:13], v[8:9]
.LBB158_20:
	v_lshlrev_b32_e32 v8, 5, v77
	v_lshl_or_b32 v80, v14, 5, v78
	v_lshlrev_b32_e32 v147, 5, v0
	v_lshlrev_b32_e32 v146, 5, v1
	s_load_dword s24, s[4:5], 0x8
	v_lshl_add_u32 v148, v76, 3, v8
	ds_write2st64_b64 v148, v[4:5], v[6:7] offset1:4
	ds_write2st64_b64 v148, v[2:3], v[10:11] offset0:8 offset1:12
	ds_write_b64 v80, v[12:13] offset:16384
	s_waitcnt lgkmcnt(0)
	s_barrier
	buffer_gl0_inv
	ds_read_b128 v[10:13], v147 offset:1024
	ds_read_b128 v[14:17], v147 offset:2048
	;; [unrolled: 1-line block ×14, first 2 shown]
	ds_read_b128 v[81:84], v147
	ds_read_b128 v[2:5], v147 offset:16
	ds_read_b128 v[85:88], v146 offset:16384
	;; [unrolled: 1-line block ×3, first 2 shown]
	s_cmp_lt_i32 s24, 9
	s_waitcnt lgkmcnt(1)
	v_add_f64 v[89:90], v[83:84], v[87:88]
	v_add_f64 v[91:92], v[81:82], v[85:86]
	s_waitcnt lgkmcnt(0)
	v_add_f64 v[149:150], v[4:5], v[8:9]
	v_add_f64 v[151:152], v[2:3], v[6:7]
	v_cvt_f32_f64_e32 v89, v[89:90]
	v_cvt_f32_f64_e32 v91, v[91:92]
	v_cvt_f32_f64_e32 v149, v[149:150]
	v_cvt_f32_f64_e32 v145, v[151:152]
	v_min3_f32 v144, v91, v89, 0x7f800000
	v_add_f64 v[89:90], v[12:13], v[87:88]
	v_add_f64 v[91:92], v[10:11], v[85:86]
	v_min3_f32 v222, v145, v149, v144
	v_cvt_f32_f64_e32 v89, v[89:90]
	v_cvt_f32_f64_e32 v91, v[91:92]
	v_min3_f32 v143, v91, v89, 0x7f800000
	v_add_f64 v[89:90], v[16:17], v[87:88]
	v_add_f64 v[91:92], v[14:15], v[85:86]
	v_cvt_f32_f64_e32 v89, v[89:90]
	v_cvt_f32_f64_e32 v91, v[91:92]
	v_min3_f32 v142, v91, v89, 0x7f800000
	v_add_f64 v[89:90], v[20:21], v[87:88]
	v_add_f64 v[91:92], v[18:19], v[85:86]
	;; [unrolled: 5-line block ×5, first 2 shown]
	v_add_f64 v[87:88], v[36:37], v[87:88]
	v_add_f64 v[85:86], v[34:35], v[85:86]
	v_cvt_f32_f64_e32 v89, v[89:90]
	v_cvt_f32_f64_e32 v91, v[91:92]
	;; [unrolled: 1-line block ×4, first 2 shown]
	v_add_f64 v[87:88], v[81:82], v[38:39]
	v_min3_f32 v138, v91, v89, 0x7f800000
	v_min3_f32 v137, v85, v86, 0x7f800000
	v_add_f64 v[85:86], v[83:84], v[40:41]
	v_cvt_f32_f64_e32 v87, v[87:88]
	v_cvt_f32_f64_e32 v85, v[85:86]
	v_min3_f32 v136, v87, v85, 0x7f800000
	v_add_f64 v[85:86], v[12:13], v[40:41]
	v_add_f64 v[87:88], v[10:11], v[38:39]
	v_cvt_f32_f64_e32 v85, v[85:86]
	v_cvt_f32_f64_e32 v87, v[87:88]
	v_min3_f32 v135, v87, v85, 0x7f800000
	v_add_f64 v[85:86], v[16:17], v[40:41]
	;; [unrolled: 5-line block ×6, first 2 shown]
	v_add_f64 v[87:88], v[30:31], v[38:39]
	v_add_f64 v[40:41], v[36:37], v[40:41]
	;; [unrolled: 1-line block ×3, first 2 shown]
	v_cvt_f32_f64_e32 v85, v[85:86]
	v_cvt_f32_f64_e32 v87, v[87:88]
	v_cvt_f32_f64_e32 v38, v[38:39]
	v_cvt_f32_f64_e32 v39, v[40:41]
	v_add_f64 v[40:41], v[81:82], v[42:43]
	v_min3_f32 v130, v87, v85, 0x7f800000
	v_min3_f32 v129, v38, v39, 0x7f800000
	v_add_f64 v[38:39], v[83:84], v[44:45]
	v_cvt_f32_f64_e32 v40, v[40:41]
	v_cvt_f32_f64_e32 v38, v[38:39]
	v_min3_f32 v128, v40, v38, 0x7f800000
	v_add_f64 v[38:39], v[12:13], v[44:45]
	v_add_f64 v[40:41], v[10:11], v[42:43]
	v_cvt_f32_f64_e32 v38, v[38:39]
	v_cvt_f32_f64_e32 v40, v[40:41]
	v_min3_f32 v127, v40, v38, 0x7f800000
	v_add_f64 v[38:39], v[16:17], v[44:45]
	;; [unrolled: 5-line block ×33, first 2 shown]
	v_add_f64 v[40:41], v[10:11], v[58:59]
	v_add_f64 v[12:13], v[12:13], v[64:65]
	;; [unrolled: 1-line block ×3, first 2 shown]
	v_cvt_f32_f64_e32 v38, v[38:39]
	v_cvt_f32_f64_e32 v40, v[40:41]
	v_cvt_f32_f64_e32 v10, v[10:11]
	v_cvt_f32_f64_e32 v11, v[12:13]
	v_add_f64 v[12:13], v[14:15], v[62:63]
	v_min3_f32 v95, v40, v38, 0x7f800000
	v_add_f64 v[38:39], v[16:17], v[60:61]
	v_add_f64 v[40:41], v[14:15], v[58:59]
	v_min3_f32 v87, v10, v11, 0x7f800000
	v_add_f64 v[10:11], v[16:17], v[64:65]
	v_cvt_f32_f64_e32 v12, v[12:13]
	v_cvt_f32_f64_e32 v38, v[38:39]
	;; [unrolled: 1-line block ×4, first 2 shown]
	v_min3_f32 v94, v40, v38, 0x7f800000
	v_add_f64 v[38:39], v[20:21], v[60:61]
	v_add_f64 v[40:41], v[18:19], v[58:59]
	v_min3_f32 v86, v12, v10, 0x7f800000
	v_add_f64 v[10:11], v[20:21], v[64:65]
	v_add_f64 v[12:13], v[18:19], v[62:63]
	v_cvt_f32_f64_e32 v38, v[38:39]
	v_cvt_f32_f64_e32 v40, v[40:41]
	;; [unrolled: 1-line block ×4, first 2 shown]
	v_min3_f32 v93, v40, v38, 0x7f800000
	v_add_f64 v[38:39], v[24:25], v[60:61]
	v_add_f64 v[40:41], v[22:23], v[58:59]
	v_min3_f32 v85, v12, v10, 0x7f800000
	v_add_f64 v[10:11], v[24:25], v[64:65]
	v_add_f64 v[12:13], v[22:23], v[62:63]
	v_cvt_f32_f64_e32 v38, v[38:39]
	v_cvt_f32_f64_e32 v40, v[40:41]
	;; [unrolled: 1-line block ×4, first 2 shown]
	v_min3_f32 v92, v40, v38, 0x7f800000
	v_add_f64 v[38:39], v[28:29], v[60:61]
	v_add_f64 v[40:41], v[26:27], v[58:59]
	v_cvt_f32_f64_e32 v38, v[38:39]
	v_cvt_f32_f64_e32 v40, v[40:41]
	v_min3_f32 v91, v40, v38, 0x7f800000
	v_add_f64 v[38:39], v[32:33], v[60:61]
	v_add_f64 v[40:41], v[30:31], v[58:59]
	v_cvt_f32_f64_e32 v38, v[38:39]
	v_cvt_f32_f64_e32 v40, v[40:41]
	;; [unrolled: 5-line block ×3, first 2 shown]
	v_min3_f32 v89, v40, v38, 0x7f800000
	v_add_f64 v[38:39], v[83:84], v[64:65]
	v_min3_f32 v84, v12, v10, 0x7f800000
	v_add_f64 v[10:11], v[28:29], v[64:65]
	v_add_f64 v[12:13], v[26:27], v[62:63]
	;; [unrolled: 1-line block ×3, first 2 shown]
	v_cvt_f32_f64_e32 v38, v[38:39]
	v_cvt_f32_f64_e32 v10, v[10:11]
	;; [unrolled: 1-line block ×4, first 2 shown]
	v_min3_f32 v83, v12, v10, 0x7f800000
	v_add_f64 v[10:11], v[32:33], v[64:65]
	v_add_f64 v[12:13], v[30:31], v[62:63]
	v_min3_f32 v88, v40, v38, 0x7f800000
	v_cvt_f32_f64_e32 v10, v[10:11]
	v_cvt_f32_f64_e32 v12, v[12:13]
	v_min3_f32 v82, v12, v10, 0x7f800000
	v_add_f64 v[10:11], v[36:37], v[64:65]
	v_add_f64 v[12:13], v[34:35], v[62:63]
	v_cvt_f32_f64_e32 v10, v[10:11]
	v_cvt_f32_f64_e32 v12, v[12:13]
	v_min3_f32 v81, v12, v10, 0x7f800000
	ds_read_b128 v[34:37], v147 offset:1040
	ds_read_b128 v[30:33], v147 offset:2064
	;; [unrolled: 1-line block ×14, first 2 shown]
	ds_write2st64_b64 v148, v[68:69], v[70:71] offset0:16 offset1:20
	ds_write2st64_b64 v148, v[72:73], v[74:75] offset0:24 offset1:28
	ds_write_b64 v80, v[66:67] offset:18432
	s_waitcnt lgkmcnt(0)
	s_barrier
	buffer_gl0_inv
	v_add_f64 v[144:145], v[36:37], v[8:9]
	v_add_f64 v[149:150], v[34:35], v[6:7]
	v_cvt_f32_f64_e32 v144, v[144:145]
	v_cvt_f32_f64_e32 v149, v[149:150]
	v_min3_f32 v221, v149, v144, v143
	v_add_f64 v[143:144], v[32:33], v[8:9]
	v_add_f64 v[149:150], v[30:31], v[6:7]
	v_cvt_f32_f64_e32 v143, v[143:144]
	v_cvt_f32_f64_e32 v145, v[149:150]
	v_min3_f32 v220, v145, v143, v142
	;; [unrolled: 5-line block ×5, first 2 shown]
	v_add_f64 v[139:140], v[16:17], v[8:9]
	v_add_f64 v[141:142], v[14:15], v[6:7]
	;; [unrolled: 1-line block ×4, first 2 shown]
	v_cvt_f32_f64_e32 v139, v[139:140]
	v_cvt_f32_f64_e32 v141, v[141:142]
	;; [unrolled: 1-line block ×4, first 2 shown]
	v_add_f64 v[8:9], v[2:3], v[62:63]
	v_min3_f32 v217, v141, v139, v138
	v_min3_f32 v214, v6, v7, v137
	v_add_f64 v[6:7], v[4:5], v[64:65]
	v_cvt_f32_f64_e32 v8, v[8:9]
	v_cvt_f32_f64_e32 v6, v[6:7]
	v_min3_f32 v215, v8, v6, v136
	v_add_f64 v[6:7], v[36:37], v[64:65]
	v_add_f64 v[8:9], v[34:35], v[62:63]
	v_cvt_f32_f64_e32 v6, v[6:7]
	v_cvt_f32_f64_e32 v8, v[8:9]
	v_min3_f32 v212, v8, v6, v135
	v_add_f64 v[6:7], v[32:33], v[64:65]
	v_add_f64 v[8:9], v[30:31], v[62:63]
	v_cvt_f32_f64_e32 v6, v[6:7]
	v_cvt_f32_f64_e32 v8, v[8:9]
	v_min3_f32 v213, v8, v6, v134
	v_add_f64 v[6:7], v[28:29], v[64:65]
	v_add_f64 v[8:9], v[26:27], v[62:63]
	v_cvt_f32_f64_e32 v6, v[6:7]
	v_cvt_f32_f64_e32 v8, v[8:9]
	v_min3_f32 v210, v8, v6, v133
	v_add_f64 v[6:7], v[24:25], v[64:65]
	v_add_f64 v[8:9], v[22:23], v[62:63]
	v_cvt_f32_f64_e32 v6, v[6:7]
	v_cvt_f32_f64_e32 v8, v[8:9]
	v_min3_f32 v211, v8, v6, v132
	v_add_f64 v[6:7], v[20:21], v[64:65]
	v_add_f64 v[8:9], v[18:19], v[62:63]
	v_cvt_f32_f64_e32 v6, v[6:7]
	v_cvt_f32_f64_e32 v8, v[8:9]
	v_min3_f32 v208, v8, v6, v131
	v_add_f64 v[6:7], v[16:17], v[64:65]
	v_add_f64 v[8:9], v[14:15], v[62:63]
	v_cvt_f32_f64_e32 v6, v[6:7]
	v_cvt_f32_f64_e32 v8, v[8:9]
	v_min3_f32 v209, v8, v6, v130
	v_add_f64 v[6:7], v[12:13], v[64:65]
	v_add_f64 v[8:9], v[10:11], v[62:63]
	v_cvt_f32_f64_e32 v6, v[6:7]
	v_cvt_f32_f64_e32 v8, v[8:9]
	v_min3_f32 v206, v8, v6, v129
	v_add_f64 v[6:7], v[4:5], v[60:61]
	v_add_f64 v[8:9], v[2:3], v[58:59]
	v_cvt_f32_f64_e32 v6, v[6:7]
	v_cvt_f32_f64_e32 v8, v[8:9]
	v_min3_f32 v207, v8, v6, v128
	v_add_f64 v[6:7], v[36:37], v[60:61]
	v_add_f64 v[8:9], v[34:35], v[58:59]
	v_cvt_f32_f64_e32 v6, v[6:7]
	v_cvt_f32_f64_e32 v8, v[8:9]
	v_min3_f32 v204, v8, v6, v127
	v_add_f64 v[6:7], v[32:33], v[60:61]
	v_add_f64 v[8:9], v[30:31], v[58:59]
	v_cvt_f32_f64_e32 v6, v[6:7]
	v_cvt_f32_f64_e32 v8, v[8:9]
	v_min3_f32 v205, v8, v6, v126
	v_add_f64 v[6:7], v[28:29], v[60:61]
	v_add_f64 v[8:9], v[26:27], v[58:59]
	v_cvt_f32_f64_e32 v6, v[6:7]
	v_cvt_f32_f64_e32 v8, v[8:9]
	v_min3_f32 v202, v8, v6, v125
	v_add_f64 v[6:7], v[24:25], v[60:61]
	v_add_f64 v[8:9], v[22:23], v[58:59]
	v_cvt_f32_f64_e32 v6, v[6:7]
	v_cvt_f32_f64_e32 v8, v[8:9]
	v_min3_f32 v203, v8, v6, v124
	v_add_f64 v[6:7], v[20:21], v[60:61]
	v_add_f64 v[8:9], v[18:19], v[58:59]
	v_cvt_f32_f64_e32 v6, v[6:7]
	v_cvt_f32_f64_e32 v8, v[8:9]
	v_min3_f32 v200, v8, v6, v123
	v_add_f64 v[6:7], v[16:17], v[60:61]
	v_add_f64 v[8:9], v[14:15], v[58:59]
	v_cvt_f32_f64_e32 v6, v[6:7]
	v_cvt_f32_f64_e32 v8, v[8:9]
	v_min3_f32 v201, v8, v6, v122
	v_add_f64 v[6:7], v[12:13], v[60:61]
	v_add_f64 v[8:9], v[10:11], v[58:59]
	v_cvt_f32_f64_e32 v6, v[6:7]
	v_cvt_f32_f64_e32 v8, v[8:9]
	v_min3_f32 v198, v8, v6, v121
	v_add_f64 v[6:7], v[4:5], v[56:57]
	v_add_f64 v[8:9], v[2:3], v[54:55]
	v_cvt_f32_f64_e32 v6, v[6:7]
	v_cvt_f32_f64_e32 v8, v[8:9]
	v_min3_f32 v199, v8, v6, v120
	v_add_f64 v[6:7], v[36:37], v[56:57]
	v_add_f64 v[8:9], v[34:35], v[54:55]
	v_cvt_f32_f64_e32 v6, v[6:7]
	v_cvt_f32_f64_e32 v8, v[8:9]
	v_min3_f32 v196, v8, v6, v119
	v_add_f64 v[6:7], v[32:33], v[56:57]
	v_add_f64 v[8:9], v[30:31], v[54:55]
	v_cvt_f32_f64_e32 v6, v[6:7]
	v_cvt_f32_f64_e32 v8, v[8:9]
	v_min3_f32 v197, v8, v6, v118
	v_add_f64 v[6:7], v[28:29], v[56:57]
	v_add_f64 v[8:9], v[26:27], v[54:55]
	v_cvt_f32_f64_e32 v6, v[6:7]
	v_cvt_f32_f64_e32 v8, v[8:9]
	v_min3_f32 v195, v8, v6, v117
	v_add_f64 v[6:7], v[24:25], v[56:57]
	v_add_f64 v[8:9], v[22:23], v[54:55]
	v_cvt_f32_f64_e32 v6, v[6:7]
	v_cvt_f32_f64_e32 v8, v[8:9]
	v_min3_f32 v194, v8, v6, v116
	v_add_f64 v[6:7], v[20:21], v[56:57]
	v_add_f64 v[8:9], v[18:19], v[54:55]
	v_cvt_f32_f64_e32 v6, v[6:7]
	v_cvt_f32_f64_e32 v8, v[8:9]
	v_min3_f32 v192, v8, v6, v115
	v_add_f64 v[6:7], v[16:17], v[56:57]
	v_add_f64 v[8:9], v[14:15], v[54:55]
	v_cvt_f32_f64_e32 v6, v[6:7]
	v_cvt_f32_f64_e32 v8, v[8:9]
	v_min3_f32 v193, v8, v6, v114
	v_add_f64 v[6:7], v[12:13], v[56:57]
	v_add_f64 v[8:9], v[10:11], v[54:55]
	v_cvt_f32_f64_e32 v6, v[6:7]
	v_cvt_f32_f64_e32 v8, v[8:9]
	v_min3_f32 v190, v8, v6, v113
	v_add_f64 v[6:7], v[4:5], v[52:53]
	v_add_f64 v[8:9], v[2:3], v[50:51]
	v_cvt_f32_f64_e32 v6, v[6:7]
	v_cvt_f32_f64_e32 v8, v[8:9]
	v_min3_f32 v191, v8, v6, v112
	v_add_f64 v[6:7], v[36:37], v[52:53]
	v_add_f64 v[8:9], v[34:35], v[50:51]
	v_cvt_f32_f64_e32 v6, v[6:7]
	v_cvt_f32_f64_e32 v8, v[8:9]
	v_min3_f32 v188, v8, v6, v111
	v_add_f64 v[6:7], v[32:33], v[52:53]
	v_add_f64 v[8:9], v[30:31], v[50:51]
	v_cvt_f32_f64_e32 v6, v[6:7]
	v_cvt_f32_f64_e32 v8, v[8:9]
	v_min3_f32 v189, v8, v6, v110
	v_add_f64 v[6:7], v[28:29], v[52:53]
	v_add_f64 v[8:9], v[26:27], v[50:51]
	v_cvt_f32_f64_e32 v6, v[6:7]
	v_cvt_f32_f64_e32 v8, v[8:9]
	v_min3_f32 v186, v8, v6, v109
	v_add_f64 v[6:7], v[24:25], v[52:53]
	v_add_f64 v[8:9], v[22:23], v[50:51]
	v_cvt_f32_f64_e32 v6, v[6:7]
	v_cvt_f32_f64_e32 v8, v[8:9]
	v_min3_f32 v187, v8, v6, v108
	v_add_f64 v[6:7], v[20:21], v[52:53]
	v_add_f64 v[8:9], v[18:19], v[50:51]
	v_cvt_f32_f64_e32 v6, v[6:7]
	v_cvt_f32_f64_e32 v8, v[8:9]
	v_min3_f32 v184, v8, v6, v107
	v_add_f64 v[6:7], v[16:17], v[52:53]
	v_add_f64 v[8:9], v[14:15], v[50:51]
	v_cvt_f32_f64_e32 v6, v[6:7]
	v_cvt_f32_f64_e32 v8, v[8:9]
	v_min3_f32 v185, v8, v6, v106
	v_add_f64 v[6:7], v[12:13], v[52:53]
	v_add_f64 v[8:9], v[10:11], v[50:51]
	v_cvt_f32_f64_e32 v6, v[6:7]
	v_cvt_f32_f64_e32 v8, v[8:9]
	v_min3_f32 v182, v8, v6, v105
	v_add_f64 v[6:7], v[4:5], v[48:49]
	v_add_f64 v[8:9], v[2:3], v[46:47]
	v_cvt_f32_f64_e32 v6, v[6:7]
	v_cvt_f32_f64_e32 v8, v[8:9]
	v_min3_f32 v183, v8, v6, v104
	v_add_f64 v[6:7], v[36:37], v[48:49]
	v_add_f64 v[8:9], v[34:35], v[46:47]
	v_cvt_f32_f64_e32 v6, v[6:7]
	v_cvt_f32_f64_e32 v8, v[8:9]
	v_min3_f32 v180, v8, v6, v103
	v_add_f64 v[6:7], v[32:33], v[48:49]
	v_add_f64 v[8:9], v[30:31], v[46:47]
	v_cvt_f32_f64_e32 v6, v[6:7]
	v_cvt_f32_f64_e32 v8, v[8:9]
	v_min3_f32 v181, v8, v6, v102
	v_add_f64 v[6:7], v[28:29], v[48:49]
	v_add_f64 v[8:9], v[26:27], v[46:47]
	v_cvt_f32_f64_e32 v6, v[6:7]
	v_cvt_f32_f64_e32 v8, v[8:9]
	v_min3_f32 v178, v8, v6, v101
	v_add_f64 v[6:7], v[24:25], v[48:49]
	v_add_f64 v[8:9], v[22:23], v[46:47]
	v_cvt_f32_f64_e32 v6, v[6:7]
	v_cvt_f32_f64_e32 v8, v[8:9]
	v_min3_f32 v179, v8, v6, v100
	v_add_f64 v[6:7], v[20:21], v[48:49]
	v_add_f64 v[8:9], v[18:19], v[46:47]
	v_cvt_f32_f64_e32 v6, v[6:7]
	v_cvt_f32_f64_e32 v8, v[8:9]
	v_min3_f32 v176, v8, v6, v99
	v_add_f64 v[6:7], v[16:17], v[48:49]
	v_add_f64 v[8:9], v[14:15], v[46:47]
	v_cvt_f32_f64_e32 v6, v[6:7]
	v_cvt_f32_f64_e32 v8, v[8:9]
	v_min3_f32 v177, v8, v6, v98
	v_add_f64 v[6:7], v[12:13], v[48:49]
	v_add_f64 v[8:9], v[10:11], v[46:47]
	v_cvt_f32_f64_e32 v6, v[6:7]
	v_cvt_f32_f64_e32 v8, v[8:9]
	v_min3_f32 v170, v8, v6, v97
	v_add_f64 v[6:7], v[4:5], v[44:45]
	v_add_f64 v[8:9], v[2:3], v[42:43]
	v_add_f64 v[4:5], v[4:5], v[40:41]
	;; [unrolled: 1-line block ×3, first 2 shown]
	v_cvt_f32_f64_e32 v6, v[6:7]
	v_cvt_f32_f64_e32 v8, v[8:9]
	;; [unrolled: 1-line block ×4, first 2 shown]
	v_add_f64 v[4:5], v[34:35], v[38:39]
	v_min3_f32 v171, v8, v6, v96
	v_add_f64 v[6:7], v[36:37], v[44:45]
	v_add_f64 v[8:9], v[34:35], v[42:43]
	v_min3_f32 v156, v2, v3, v88
	v_add_f64 v[2:3], v[36:37], v[40:41]
	v_cvt_f32_f64_e32 v4, v[4:5]
	v_cvt_f32_f64_e32 v6, v[6:7]
	v_cvt_f32_f64_e32 v8, v[8:9]
	v_cvt_f32_f64_e32 v2, v[2:3]
	v_min3_f32 v162, v8, v6, v95
	v_add_f64 v[6:7], v[32:33], v[44:45]
	v_add_f64 v[8:9], v[30:31], v[42:43]
	v_min3_f32 v155, v4, v2, v87
	v_add_f64 v[2:3], v[32:33], v[40:41]
	v_add_f64 v[4:5], v[30:31], v[38:39]
	v_cvt_f32_f64_e32 v6, v[6:7]
	v_cvt_f32_f64_e32 v8, v[8:9]
	v_cvt_f32_f64_e32 v2, v[2:3]
	v_cvt_f32_f64_e32 v4, v[4:5]
	v_min3_f32 v163, v8, v6, v94
	v_add_f64 v[6:7], v[28:29], v[44:45]
	v_add_f64 v[8:9], v[26:27], v[42:43]
	v_min3_f32 v154, v4, v2, v86
	v_add_f64 v[2:3], v[28:29], v[40:41]
	;; [unrolled: 10-line block ×6, first 2 shown]
	v_add_f64 v[4:5], v[10:11], v[38:39]
	v_cvt_f32_f64_e32 v6, v[6:7]
	v_cvt_f32_f64_e32 v8, v[8:9]
	;; [unrolled: 1-line block ×4, first 2 shown]
	v_min3_f32 v157, v8, v6, v89
	v_min3_f32 v149, v4, v2, v81
	s_cbranch_scc1 .LBB158_35
; %bb.21:
	v_mad_i64_i32 v[2:3], null, s23, v79, 0
	v_lshl_or_b32 v4, s6, 8, v77
	v_add_nc_u32_e32 v5, 12, v76
	v_add_nc_u32_e32 v7, 8, v76
	s_lshl_b32 s6, s22, 8
	v_add_nc_u32_e32 v164, 0x4000, v80
	v_or_b32_e32 v165, 0x4000, v146
	v_lshlrev_b64 v[2:3], 3, v[2:3]
	v_or_b32_e32 v166, 0x2000, v148
	v_add_nc_u32_e32 v167, 0x4800, v80
	v_lshl_or_b32 v168, v0, 5, 0x2000
	v_lshl_add_u32 v169, v1, 5, 0x4800
	v_add_co_u32 v6, vcc_lo, v2, v78
	v_add_co_ci_u32_e64 v3, null, 0, v3, vcc_lo
	v_subrev_nc_u32_e32 v2, s6, v4
	v_mad_i64_i32 v[4:5], null, v5, s8, 0
	v_add_co_u32 v8, vcc_lo, s18, v6
	v_mad_i64_i32 v[6:7], null, v7, s8, 0
	v_add_co_ci_u32_e64 v9, null, s19, v3, vcc_lo
	v_ashrrev_i32_e32 v3, 31, v2
	v_lshlrev_b64 v[4:5], 3, v[4:5]
	v_add_co_u32 v130, vcc_lo, v8, 64
	v_add_co_ci_u32_e64 v131, null, 0, v9, vcc_lo
	v_lshlrev_b64 v[132:133], 3, v[2:3]
	v_lshlrev_b64 v[2:3], 3, v[6:7]
	v_add_co_u32 v172, vcc_lo, s16, v4
	v_add_co_ci_u32_e64 v173, null, s17, v5, vcc_lo
	s_add_i32 s6, s24, -8
	v_add_co_u32 v174, vcc_lo, s16, v2
	v_add_co_ci_u32_e64 v175, null, s17, v3, vcc_lo
	s_lshl_b64 s[8:9], s[8:9], 6
	s_mov_b32 s16, 0
	s_branch .LBB158_23
.LBB158_22:                             ;   in Loop: Header=BB158_23 Depth=1
	v_add_f64 v[144:145], v[100:101], v[128:129]
	v_add_f64 v[223:224], v[98:99], v[126:127]
	;; [unrolled: 1-line block ×3, first 2 shown]
	v_add_co_u32 v130, vcc_lo, v130, 64
	v_add_co_ci_u32_e64 v131, null, 0, v131, vcc_lo
	v_add_co_u32 v172, vcc_lo, v172, s8
	v_add_co_ci_u32_e64 v173, null, s9, v173, vcc_lo
	v_add_co_u32 v174, vcc_lo, v174, s8
	v_add_co_ci_u32_e64 v175, null, s9, v175, vcc_lo
	s_add_i32 s16, s16, 8
	s_cmp_ge_i32 s16, s6
	v_cvt_f32_f64_e32 v144, v[144:145]
	v_cvt_f32_f64_e32 v223, v[223:224]
	v_min3_f32 v222, v223, v144, v222
	v_add_f64 v[144:145], v[96:97], v[128:129]
	v_add_f64 v[223:224], v[94:95], v[126:127]
	v_cvt_f32_f64_e32 v144, v[144:145]
	v_cvt_f32_f64_e32 v223, v[223:224]
	v_min3_f32 v221, v223, v144, v221
	v_add_f64 v[144:145], v[92:93], v[128:129]
	v_add_f64 v[223:224], v[90:91], v[126:127]
	;; [unrolled: 5-line block ×5, first 2 shown]
	v_add_f64 v[126:127], v[66:67], v[126:127]
	v_cvt_f32_f64_e32 v144, v[144:145]
	v_cvt_f32_f64_e32 v223, v[223:224]
	;; [unrolled: 1-line block ×4, first 2 shown]
	v_min3_f32 v144, v223, v144, v216
	v_add_f64 v[223:224], v[72:73], v[128:129]
	v_add_f64 v[128:129], v[68:69], v[128:129]
	v_cvt_f32_f64_e32 v216, v[223:224]
	v_cvt_f32_f64_e32 v127, v[128:129]
	v_min3_f32 v145, v145, v216, v217
	v_min3_f32 v126, v126, v127, v214
	v_add_f64 v[127:128], v[100:101], v[124:125]
	v_add_f64 v[216:217], v[98:99], v[122:123]
	v_cvt_f32_f64_e32 v127, v[127:128]
	v_cvt_f32_f64_e32 v129, v[216:217]
	v_min3_f32 v127, v129, v127, v215
	v_add_f64 v[128:129], v[96:97], v[124:125]
	v_add_f64 v[214:215], v[94:95], v[122:123]
	v_cvt_f32_f64_e32 v128, v[128:129]
	v_cvt_f32_f64_e32 v214, v[214:215]
	;; [unrolled: 5-line block ×6, first 2 shown]
	v_min3_f32 v208, v214, v128, v208
	v_add_f64 v[128:129], v[72:73], v[124:125]
	v_add_f64 v[214:215], v[70:71], v[122:123]
	;; [unrolled: 1-line block ×4, first 2 shown]
	v_cvt_f32_f64_e32 v128, v[128:129]
	v_cvt_f32_f64_e32 v214, v[214:215]
	;; [unrolled: 1-line block ×4, first 2 shown]
	v_add_f64 v[124:125], v[98:99], v[118:119]
	v_min3_f32 v209, v214, v128, v209
	v_add_f64 v[128:129], v[86:87], v[110:111]
	v_min3_f32 v214, v122, v123, v206
	v_add_f64 v[122:123], v[100:101], v[120:121]
	v_cvt_f32_f64_e32 v124, v[124:125]
	v_cvt_f32_f64_e32 v122, v[122:123]
	v_min3_f32 v206, v124, v122, v207
	v_add_f64 v[122:123], v[96:97], v[120:121]
	v_add_f64 v[124:125], v[94:95], v[118:119]
	v_cvt_f32_f64_e32 v122, v[122:123]
	v_cvt_f32_f64_e32 v124, v[124:125]
	v_min3_f32 v204, v124, v122, v204
	v_add_f64 v[122:123], v[92:93], v[120:121]
	;; [unrolled: 5-line block ×6, first 2 shown]
	v_add_f64 v[124:125], v[70:71], v[118:119]
	v_add_f64 v[120:121], v[68:69], v[120:121]
	;; [unrolled: 1-line block ×3, first 2 shown]
	v_cvt_f32_f64_e32 v122, v[122:123]
	v_cvt_f32_f64_e32 v124, v[124:125]
	;; [unrolled: 1-line block ×4, first 2 shown]
	v_add_f64 v[120:121], v[98:99], v[114:115]
	v_min3_f32 v201, v124, v122, v201
	v_min3_f32 v198, v118, v119, v198
	v_add_f64 v[118:119], v[100:101], v[116:117]
	v_cvt_f32_f64_e32 v120, v[120:121]
	v_cvt_f32_f64_e32 v118, v[118:119]
	v_min3_f32 v199, v120, v118, v199
	v_add_f64 v[118:119], v[96:97], v[116:117]
	v_add_f64 v[120:121], v[94:95], v[114:115]
	v_cvt_f32_f64_e32 v118, v[118:119]
	v_cvt_f32_f64_e32 v120, v[120:121]
	v_min3_f32 v196, v120, v118, v196
	v_add_f64 v[118:119], v[92:93], v[116:117]
	;; [unrolled: 5-line block ×3, first 2 shown]
	v_add_f64 v[120:121], v[86:87], v[114:115]
	v_cvt_f32_f64_e32 v118, v[118:119]
	v_cvt_f32_f64_e32 v120, v[120:121]
	v_add_f64 v[121:122], v[82:83], v[114:115]
	v_min3_f32 v118, v120, v118, v195
	v_add_f64 v[119:120], v[84:85], v[116:117]
	v_cvt_f32_f64_e32 v121, v[121:122]
	v_add_f64 v[122:123], v[78:79], v[114:115]
	v_cvt_f32_f64_e32 v119, v[119:120]
	v_cvt_f32_f64_e32 v122, v[122:123]
	v_add_f64 v[123:124], v[70:71], v[114:115]
	v_add_f64 v[114:115], v[66:67], v[114:115]
	v_min3_f32 v119, v121, v119, v194
	v_add_f64 v[120:121], v[80:81], v[116:117]
	v_cvt_f32_f64_e32 v123, v[123:124]
	v_cvt_f32_f64_e32 v114, v[114:115]
	v_add_f64 v[124:125], v[94:95], v[110:111]
	v_cvt_f32_f64_e32 v120, v[120:121]
	v_min3_f32 v120, v122, v120, v192
	v_add_f64 v[121:122], v[72:73], v[116:117]
	v_add_f64 v[116:117], v[68:69], v[116:117]
	v_cvt_f32_f64_e32 v121, v[121:122]
	v_cvt_f32_f64_e32 v115, v[116:117]
	v_add_f64 v[116:117], v[100:101], v[112:113]
	v_min3_f32 v121, v123, v121, v193
	v_add_f64 v[122:123], v[98:99], v[110:111]
	v_min3_f32 v115, v114, v115, v190
	v_cvt_f32_f64_e32 v116, v[116:117]
	v_cvt_f32_f64_e32 v114, v[122:123]
	v_add_f64 v[122:123], v[96:97], v[112:113]
	v_min3_f32 v116, v114, v116, v191
	v_cvt_f32_f64_e32 v114, v[124:125]
	v_cvt_f32_f64_e32 v117, v[122:123]
	v_add_f64 v[122:123], v[92:93], v[112:113]
	v_add_f64 v[124:125], v[90:91], v[110:111]
	v_min3_f32 v117, v114, v117, v188
	v_cvt_f32_f64_e32 v122, v[122:123]
	v_cvt_f32_f64_e32 v114, v[124:125]
	v_add_f64 v[123:124], v[88:89], v[112:113]
	v_min3_f32 v122, v114, v122, v189
	v_cvt_f32_f64_e32 v114, v[128:129]
	v_cvt_f32_f64_e32 v123, v[123:124]
	v_add_f64 v[124:125], v[84:85], v[112:113]
	v_add_f64 v[128:129], v[82:83], v[110:111]
	v_min3_f32 v123, v114, v123, v186
	v_cvt_f32_f64_e32 v124, v[124:125]
	v_cvt_f32_f64_e32 v114, v[128:129]
	v_add_f64 v[128:129], v[80:81], v[112:113]
	v_min3_f32 v124, v114, v124, v187
	v_add_f64 v[186:187], v[78:79], v[110:111]
	v_cvt_f32_f64_e32 v125, v[128:129]
	v_add_f64 v[128:129], v[72:73], v[112:113]
	v_add_f64 v[112:113], v[68:69], v[112:113]
	v_cvt_f32_f64_e32 v114, v[186:187]
	v_add_f64 v[186:187], v[70:71], v[110:111]
	v_add_f64 v[110:111], v[66:67], v[110:111]
	v_cvt_f32_f64_e32 v128, v[128:129]
	v_min3_f32 v125, v114, v125, v184
	v_cvt_f32_f64_e32 v114, v[186:187]
	v_cvt_f32_f64_e32 v110, v[110:111]
	;; [unrolled: 1-line block ×3, first 2 shown]
	v_min3_f32 v114, v114, v128, v185
	v_add_f64 v[128:129], v[98:99], v[106:107]
	v_min3_f32 v112, v110, v111, v182
	v_add_f64 v[110:111], v[100:101], v[108:109]
	v_cvt_f32_f64_e32 v113, v[128:129]
	v_add_f64 v[128:129], v[94:95], v[106:107]
	v_cvt_f32_f64_e32 v110, v[110:111]
	v_cvt_f32_f64_e32 v128, v[128:129]
	v_min3_f32 v113, v113, v110, v183
	v_add_f64 v[110:111], v[96:97], v[108:109]
	v_add_f64 v[182:183], v[90:91], v[106:107]
	v_cvt_f32_f64_e32 v110, v[110:111]
	v_cvt_f32_f64_e32 v129, v[182:183]
	v_min3_f32 v128, v128, v110, v180
	v_add_f64 v[110:111], v[92:93], v[108:109]
	v_cvt_f32_f64_e32 v110, v[110:111]
	v_min3_f32 v129, v129, v110, v181
	v_add_f64 v[110:111], v[88:89], v[108:109]
	v_add_f64 v[180:181], v[86:87], v[106:107]
	v_cvt_f32_f64_e32 v110, v[110:111]
	v_cvt_f32_f64_e32 v180, v[180:181]
	v_min3_f32 v178, v180, v110, v178
	v_add_f64 v[110:111], v[84:85], v[108:109]
	v_add_f64 v[180:181], v[82:83], v[106:107]
	v_cvt_f32_f64_e32 v110, v[110:111]
	;; [unrolled: 5-line block ×3, first 2 shown]
	v_cvt_f32_f64_e32 v180, v[180:181]
	v_min3_f32 v176, v180, v110, v176
	v_add_f64 v[110:111], v[72:73], v[108:109]
	v_add_f64 v[180:181], v[70:71], v[106:107]
	;; [unrolled: 1-line block ×4, first 2 shown]
	v_cvt_f32_f64_e32 v110, v[110:111]
	v_cvt_f32_f64_e32 v180, v[180:181]
	;; [unrolled: 1-line block ×4, first 2 shown]
	v_add_f64 v[108:109], v[98:99], v[102:103]
	v_add_f64 v[98:99], v[98:99], v[74:75]
	v_min3_f32 v177, v180, v110, v177
	v_min3_f32 v170, v106, v107, v170
	v_add_f64 v[106:107], v[100:101], v[104:105]
	v_cvt_f32_f64_e32 v108, v[108:109]
	v_add_f64 v[100:101], v[100:101], v[76:77]
	v_cvt_f32_f64_e32 v98, v[98:99]
	v_cvt_f32_f64_e32 v106, v[106:107]
	;; [unrolled: 1-line block ×3, first 2 shown]
	v_min3_f32 v171, v108, v106, v171
	v_add_f64 v[106:107], v[96:97], v[104:105]
	v_add_f64 v[108:109], v[94:95], v[102:103]
	;; [unrolled: 1-line block ×4, first 2 shown]
	v_min3_f32 v98, v98, v99, v156
	v_add_f64 v[99:100], v[10:11], v[46:47]
	v_cvt_f32_f64_e32 v106, v[106:107]
	v_cvt_f32_f64_e32 v108, v[108:109]
	v_add_f64 v[109:110], v[90:91], v[102:103]
	v_add_f64 v[90:91], v[90:91], v[74:75]
	v_cvt_f32_f64_e32 v94, v[94:95]
	v_cvt_f32_f64_e32 v95, v[96:97]
	v_min3_f32 v106, v108, v106, v162
	v_add_f64 v[107:108], v[92:93], v[104:105]
	v_cvt_f32_f64_e32 v109, v[109:110]
	v_add_f64 v[110:111], v[86:87], v[102:103]
	v_add_f64 v[86:87], v[86:87], v[74:75]
	;; [unrolled: 1-line block ×3, first 2 shown]
	v_cvt_f32_f64_e32 v90, v[90:91]
	v_min3_f32 v94, v94, v95, v155
	v_add_f64 v[95:96], v[6:7], v[50:51]
	v_cvt_f32_f64_e32 v107, v[107:108]
	v_cvt_f32_f64_e32 v110, v[110:111]
	;; [unrolled: 1-line block ×4, first 2 shown]
	v_min3_f32 v107, v109, v107, v163
	v_add_f64 v[108:109], v[88:89], v[104:105]
	v_add_f64 v[162:163], v[82:83], v[102:103]
	;; [unrolled: 1-line block ×4, first 2 shown]
	v_min3_f32 v90, v90, v91, v154
	v_add_f64 v[91:92], v[26:27], v[50:51]
	v_cvt_f32_f64_e32 v108, v[108:109]
	v_cvt_f32_f64_e32 v111, v[162:163]
	v_add_f64 v[162:163], v[70:71], v[102:103]
	v_add_f64 v[70:71], v[70:71], v[74:75]
	v_cvt_f32_f64_e32 v82, v[82:83]
	v_cvt_f32_f64_e32 v87, v[88:89]
	v_min3_f32 v108, v110, v108, v160
	v_add_f64 v[109:110], v[84:85], v[104:105]
	v_add_f64 v[84:85], v[84:85], v[76:77]
	v_cvt_f32_f64_e32 v70, v[70:71]
	v_min3_f32 v86, v86, v87, v152
	v_add_f64 v[87:88], v[14:15], v[54:55]
	v_cvt_f32_f64_e32 v109, v[109:110]
	v_cvt_f32_f64_e32 v83, v[84:85]
	v_min3_f32 v109, v111, v109, v161
	v_add_f64 v[110:111], v[80:81], v[104:105]
	v_add_f64 v[160:161], v[78:79], v[102:103]
	;; [unrolled: 1-line block ×7, first 2 shown]
	v_min3_f32 v82, v82, v83, v153
	v_add_f64 v[83:84], v[10:11], v[58:59]
	v_cvt_f32_f64_e32 v110, v[110:111]
	v_cvt_f32_f64_e32 v160, v[160:161]
	;; [unrolled: 1-line block ×7, first 2 shown]
	v_min3_f32 v110, v160, v110, v158
	v_add_f64 v[160:161], v[72:73], v[104:105]
	v_add_f64 v[104:105], v[68:69], v[104:105]
	;; [unrolled: 1-line block ×5, first 2 shown]
	v_min3_f32 v78, v78, v79, v150
	v_add_f64 v[79:80], v[26:27], v[58:59]
	v_cvt_f32_f64_e32 v158, v[160:161]
	v_cvt_f32_f64_e32 v103, v[104:105]
	;; [unrolled: 1-line block ×4, first 2 shown]
	v_add_f64 v[68:69], v[34:35], v[62:63]
	v_min3_f32 v111, v111, v158, v159
	v_min3_f32 v102, v102, v103, v157
	;; [unrolled: 1-line block ×3, first 2 shown]
	v_add_f64 v[66:67], v[36:37], v[64:65]
	v_cvt_f32_f64_e32 v68, v[68:69]
	v_min3_f32 v71, v70, v71, v151
	v_add_f64 v[69:70], v[30:31], v[62:63]
	v_cvt_f32_f64_e32 v66, v[66:67]
	v_cvt_f32_f64_e32 v69, v[69:70]
	;; [unrolled: 1-line block ×3, first 2 shown]
	v_add_f64 v[74:75], v[18:19], v[62:63]
	v_min3_f32 v66, v68, v66, v222
	v_add_f64 v[67:68], v[32:33], v[64:65]
	v_cvt_f32_f64_e32 v72, v[74:75]
	v_add_f64 v[74:75], v[16:17], v[64:65]
	v_cvt_f32_f64_e32 v67, v[67:68]
	v_min3_f32 v67, v69, v67, v221
	v_add_f64 v[68:69], v[28:29], v[64:65]
	v_cvt_f32_f64_e32 v68, v[68:69]
	v_min3_f32 v68, v70, v68, v220
	v_add_f64 v[69:70], v[20:21], v[64:65]
	v_cvt_f32_f64_e32 v69, v[69:70]
	v_cvt_f32_f64_e32 v70, v[76:77]
	v_add_f64 v[76:77], v[10:11], v[62:63]
	v_min3_f32 v69, v72, v69, v218
	v_cvt_f32_f64_e32 v72, v[74:75]
	v_add_f64 v[74:75], v[12:13], v[64:65]
	v_min3_f32 v70, v70, v72, v219
	v_cvt_f32_f64_e32 v72, v[76:77]
	v_cvt_f32_f64_e32 v74, v[74:75]
	v_add_f64 v[76:77], v[6:7], v[62:63]
	v_add_f64 v[62:63], v[2:3], v[62:63]
	v_min3_f32 v72, v72, v74, v144
	v_add_f64 v[74:75], v[8:9], v[64:65]
	v_add_f64 v[64:65], v[4:5], v[64:65]
	v_cvt_f32_f64_e32 v76, v[76:77]
	v_cvt_f32_f64_e32 v62, v[62:63]
	;; [unrolled: 1-line block ×4, first 2 shown]
	v_min3_f32 v74, v76, v74, v145
	v_min3_f32 v62, v62, v63, v126
	v_add_f64 v[63:64], v[36:37], v[60:61]
	v_add_f64 v[75:76], v[34:35], v[58:59]
	v_cvt_f32_f64_e32 v63, v[63:64]
	v_cvt_f32_f64_e32 v65, v[75:76]
	v_add_f64 v[75:76], v[30:31], v[58:59]
	v_min3_f32 v63, v65, v63, v127
	v_add_f64 v[64:65], v[32:33], v[60:61]
	v_cvt_f32_f64_e32 v75, v[75:76]
	v_cvt_f32_f64_e32 v64, v[64:65]
	;; [unrolled: 1-line block ×3, first 2 shown]
	v_add_f64 v[79:80], v[18:19], v[58:59]
	v_min3_f32 v64, v75, v64, v212
	v_add_f64 v[75:76], v[28:29], v[60:61]
	v_cvt_f32_f64_e32 v77, v[79:80]
	v_add_f64 v[79:80], v[14:15], v[58:59]
	v_cvt_f32_f64_e32 v75, v[75:76]
	v_cvt_f32_f64_e32 v79, v[79:80]
	v_min3_f32 v65, v65, v75, v213
	v_add_f64 v[75:76], v[20:21], v[60:61]
	v_cvt_f32_f64_e32 v75, v[75:76]
	v_min3_f32 v75, v77, v75, v210
	v_add_f64 v[76:77], v[16:17], v[60:61]
	v_cvt_f32_f64_e32 v76, v[76:77]
	v_cvt_f32_f64_e32 v77, v[83:84]
	v_add_f64 v[83:84], v[6:7], v[58:59]
	v_add_f64 v[58:59], v[2:3], v[58:59]
	v_min3_f32 v76, v79, v76, v211
	v_add_f64 v[79:80], v[12:13], v[60:61]
	v_cvt_f32_f64_e32 v81, v[83:84]
	v_cvt_f32_f64_e32 v58, v[58:59]
	v_add_f64 v[83:84], v[26:27], v[54:55]
	v_cvt_f32_f64_e32 v79, v[79:80]
	v_min3_f32 v77, v77, v79, v208
	v_add_f64 v[79:80], v[8:9], v[60:61]
	v_add_f64 v[60:61], v[4:5], v[60:61]
	v_cvt_f32_f64_e32 v79, v[79:80]
	v_cvt_f32_f64_e32 v59, v[60:61]
	v_min3_f32 v79, v81, v79, v209
	v_min3_f32 v58, v58, v59, v214
	v_add_f64 v[59:60], v[36:37], v[56:57]
	v_add_f64 v[80:81], v[34:35], v[54:55]
	v_cvt_f32_f64_e32 v59, v[59:60]
	v_cvt_f32_f64_e32 v61, v[80:81]
	v_add_f64 v[80:81], v[30:31], v[54:55]
	v_min3_f32 v59, v61, v59, v206
	v_add_f64 v[60:61], v[32:33], v[56:57]
	v_cvt_f32_f64_e32 v80, v[80:81]
	v_cvt_f32_f64_e32 v60, v[60:61]
	;; [unrolled: 1-line block ×3, first 2 shown]
	v_add_f64 v[83:84], v[18:19], v[54:55]
	v_min3_f32 v60, v80, v60, v204
	v_add_f64 v[80:81], v[28:29], v[56:57]
	v_cvt_f32_f64_e32 v83, v[83:84]
	v_cvt_f32_f64_e32 v80, v[80:81]
	v_min3_f32 v61, v61, v80, v205
	v_add_f64 v[80:81], v[20:21], v[56:57]
	v_cvt_f32_f64_e32 v80, v[80:81]
	v_cvt_f32_f64_e32 v81, v[87:88]
	v_add_f64 v[87:88], v[10:11], v[54:55]
	v_min3_f32 v80, v83, v80, v202
	v_add_f64 v[83:84], v[16:17], v[56:57]
	v_cvt_f32_f64_e32 v85, v[87:88]
	v_add_f64 v[87:88], v[6:7], v[54:55]
	v_add_f64 v[54:55], v[2:3], v[54:55]
	v_cvt_f32_f64_e32 v83, v[83:84]
	v_cvt_f32_f64_e32 v87, v[87:88]
	;; [unrolled: 1-line block ×3, first 2 shown]
	v_min3_f32 v81, v81, v83, v203
	v_add_f64 v[83:84], v[12:13], v[56:57]
	v_cvt_f32_f64_e32 v83, v[83:84]
	v_min3_f32 v83, v85, v83, v200
	v_add_f64 v[84:85], v[8:9], v[56:57]
	v_add_f64 v[56:57], v[4:5], v[56:57]
	v_cvt_f32_f64_e32 v84, v[84:85]
	v_cvt_f32_f64_e32 v55, v[56:57]
	v_min3_f32 v84, v87, v84, v201
	v_min3_f32 v54, v54, v55, v198
	v_add_f64 v[55:56], v[36:37], v[52:53]
	v_add_f64 v[87:88], v[34:35], v[50:51]
	v_cvt_f32_f64_e32 v55, v[55:56]
	v_cvt_f32_f64_e32 v57, v[87:88]
	v_add_f64 v[87:88], v[30:31], v[50:51]
	v_min3_f32 v55, v57, v55, v199
	v_add_f64 v[56:57], v[32:33], v[52:53]
	v_cvt_f32_f64_e32 v85, v[87:88]
	v_add_f64 v[87:88], v[28:29], v[52:53]
	v_cvt_f32_f64_e32 v56, v[56:57]
	v_cvt_f32_f64_e32 v57, v[91:92]
	v_add_f64 v[91:92], v[18:19], v[50:51]
	v_min3_f32 v56, v85, v56, v196
	v_cvt_f32_f64_e32 v85, v[87:88]
	v_add_f64 v[87:88], v[20:21], v[52:53]
	v_min3_f32 v57, v57, v85, v197
	v_cvt_f32_f64_e32 v85, v[91:92]
	v_cvt_f32_f64_e32 v87, v[87:88]
	v_add_f64 v[91:92], v[14:15], v[50:51]
	v_min3_f32 v85, v85, v87, v118
	v_add_f64 v[87:88], v[16:17], v[52:53]
	v_cvt_f32_f64_e32 v89, v[91:92]
	v_add_f64 v[91:92], v[10:11], v[50:51]
	v_add_f64 v[50:51], v[2:3], v[50:51]
	v_cvt_f32_f64_e32 v87, v[87:88]
	v_cvt_f32_f64_e32 v91, v[91:92]
	;; [unrolled: 1-line block ×3, first 2 shown]
	v_min3_f32 v87, v89, v87, v119
	v_add_f64 v[88:89], v[12:13], v[52:53]
	v_cvt_f32_f64_e32 v88, v[88:89]
	v_cvt_f32_f64_e32 v89, v[95:96]
	v_add_f64 v[95:96], v[26:27], v[46:47]
	v_min3_f32 v88, v91, v88, v120
	v_add_f64 v[91:92], v[8:9], v[52:53]
	v_add_f64 v[52:53], v[4:5], v[52:53]
	v_cvt_f32_f64_e32 v91, v[91:92]
	v_cvt_f32_f64_e32 v51, v[52:53]
	v_min3_f32 v89, v89, v91, v121
	v_min3_f32 v50, v50, v51, v115
	v_add_f64 v[51:52], v[36:37], v[48:49]
	v_add_f64 v[91:92], v[34:35], v[46:47]
	v_cvt_f32_f64_e32 v51, v[51:52]
	v_cvt_f32_f64_e32 v53, v[91:92]
	v_add_f64 v[91:92], v[30:31], v[46:47]
	v_min3_f32 v51, v53, v51, v116
	v_add_f64 v[52:53], v[32:33], v[48:49]
	v_cvt_f32_f64_e32 v91, v[91:92]
	v_cvt_f32_f64_e32 v52, v[52:53]
	v_cvt_f32_f64_e32 v53, v[95:96]
	v_add_f64 v[95:96], v[18:19], v[46:47]
	v_min3_f32 v52, v91, v52, v117
	v_add_f64 v[91:92], v[28:29], v[48:49]
	v_cvt_f32_f64_e32 v93, v[95:96]
	v_add_f64 v[95:96], v[14:15], v[46:47]
	v_cvt_f32_f64_e32 v91, v[91:92]
	v_cvt_f32_f64_e32 v95, v[95:96]
	v_min3_f32 v53, v53, v91, v122
	v_add_f64 v[91:92], v[20:21], v[48:49]
	v_cvt_f32_f64_e32 v91, v[91:92]
	v_min3_f32 v91, v93, v91, v123
	v_add_f64 v[92:93], v[16:17], v[48:49]
	v_cvt_f32_f64_e32 v92, v[92:93]
	v_cvt_f32_f64_e32 v93, v[99:100]
	v_add_f64 v[99:100], v[6:7], v[46:47]
	v_add_f64 v[46:47], v[2:3], v[46:47]
	v_min3_f32 v92, v95, v92, v124
	v_add_f64 v[95:96], v[12:13], v[48:49]
	v_cvt_f32_f64_e32 v46, v[46:47]
	v_cvt_f32_f64_e32 v95, v[95:96]
	v_min3_f32 v144, v93, v95, v125
	v_add_f64 v[95:96], v[8:9], v[48:49]
	v_add_f64 v[48:49], v[4:5], v[48:49]
	v_cvt_f32_f64_e32 v93, v[99:100]
	v_add_f64 v[99:100], v[26:27], v[42:43]
	v_cvt_f32_f64_e32 v95, v[95:96]
	v_cvt_f32_f64_e32 v47, v[48:49]
	v_min3_f32 v145, v93, v95, v114
	v_min3_f32 v46, v46, v47, v112
	v_add_f64 v[47:48], v[36:37], v[44:45]
	v_add_f64 v[95:96], v[34:35], v[42:43]
	v_cvt_f32_f64_e32 v47, v[47:48]
	v_cvt_f32_f64_e32 v49, v[95:96]
	v_add_f64 v[95:96], v[30:31], v[42:43]
	v_min3_f32 v47, v49, v47, v113
	v_add_f64 v[48:49], v[32:33], v[44:45]
	v_cvt_f32_f64_e32 v93, v[95:96]
	v_add_f64 v[95:96], v[28:29], v[44:45]
	v_cvt_f32_f64_e32 v48, v[48:49]
	v_cvt_f32_f64_e32 v49, v[99:100]
	v_add_f64 v[99:100], v[18:19], v[42:43]
	v_min3_f32 v48, v93, v48, v128
	v_cvt_f32_f64_e32 v93, v[95:96]
	v_add_f64 v[95:96], v[20:21], v[44:45]
	v_min3_f32 v49, v49, v93, v129
	v_cvt_f32_f64_e32 v93, v[99:100]
	v_cvt_f32_f64_e32 v95, v[95:96]
	v_add_f64 v[99:100], v[14:15], v[42:43]
	v_min3_f32 v149, v93, v95, v178
	v_add_f64 v[95:96], v[16:17], v[44:45]
	v_cvt_f32_f64_e32 v93, v[99:100]
	v_add_f64 v[99:100], v[10:11], v[42:43]
	v_cvt_f32_f64_e32 v95, v[95:96]
	v_min3_f32 v150, v93, v95, v179
	v_add_f64 v[95:96], v[12:13], v[44:45]
	v_cvt_f32_f64_e32 v93, v[99:100]
	v_add_f64 v[99:100], v[6:7], v[42:43]
	v_add_f64 v[42:43], v[2:3], v[42:43]
	v_cvt_f32_f64_e32 v95, v[95:96]
	v_cvt_f32_f64_e32 v42, v[42:43]
	v_min3_f32 v151, v93, v95, v176
	v_add_f64 v[95:96], v[8:9], v[44:45]
	v_add_f64 v[44:45], v[4:5], v[44:45]
	v_cvt_f32_f64_e32 v93, v[99:100]
	v_add_f64 v[99:100], v[26:27], v[38:39]
	v_add_f64 v[26:27], v[26:27], v[22:23]
	v_cvt_f32_f64_e32 v95, v[95:96]
	v_cvt_f32_f64_e32 v43, v[44:45]
	;; [unrolled: 1-line block ×3, first 2 shown]
	v_min3_f32 v152, v93, v95, v177
	v_min3_f32 v42, v42, v43, v170
	v_add_f64 v[43:44], v[36:37], v[40:41]
	v_add_f64 v[95:96], v[34:35], v[38:39]
	;; [unrolled: 1-line block ×4, first 2 shown]
	v_cvt_f32_f64_e32 v43, v[43:44]
	v_cvt_f32_f64_e32 v45, v[95:96]
	v_add_f64 v[95:96], v[30:31], v[38:39]
	v_add_f64 v[30:31], v[30:31], v[22:23]
	v_cvt_f32_f64_e32 v34, v[34:35]
	v_cvt_f32_f64_e32 v35, v[36:37]
	v_min3_f32 v43, v45, v43, v171
	v_add_f64 v[44:45], v[32:33], v[40:41]
	v_cvt_f32_f64_e32 v93, v[95:96]
	v_add_f64 v[95:96], v[28:29], v[40:41]
	v_add_f64 v[32:33], v[32:33], v[24:25]
	;; [unrolled: 1-line block ×3, first 2 shown]
	v_cvt_f32_f64_e32 v30, v[30:31]
	v_min3_f32 v192, v34, v35, v98
	v_cvt_f32_f64_e32 v44, v[44:45]
	v_cvt_f32_f64_e32 v45, v[99:100]
	v_add_f64 v[99:100], v[18:19], v[38:39]
	v_add_f64 v[18:19], v[18:19], v[22:23]
	v_cvt_f32_f64_e32 v31, v[32:33]
	v_cvt_f32_f64_e32 v27, v[28:29]
	v_min3_f32 v44, v93, v44, v106
	v_cvt_f32_f64_e32 v93, v[95:96]
	v_add_f64 v[95:96], v[20:21], v[40:41]
	v_add_f64 v[20:21], v[20:21], v[24:25]
	v_cvt_f32_f64_e32 v18, v[18:19]
	v_min3_f32 v193, v30, v31, v94
	v_min3_f32 v194, v26, v27, v90
	;; [unrolled: 1-line block ×3, first 2 shown]
	v_cvt_f32_f64_e32 v93, v[99:100]
	v_cvt_f32_f64_e32 v95, v[95:96]
	v_add_f64 v[99:100], v[14:15], v[38:39]
	v_add_f64 v[14:15], v[14:15], v[22:23]
	v_cvt_f32_f64_e32 v19, v[20:21]
	v_min3_f32 v153, v93, v95, v108
	v_add_f64 v[95:96], v[16:17], v[40:41]
	v_cvt_f32_f64_e32 v93, v[99:100]
	v_add_f64 v[99:100], v[10:11], v[38:39]
	v_add_f64 v[16:17], v[16:17], v[24:25]
	;; [unrolled: 1-line block ×3, first 2 shown]
	v_cvt_f32_f64_e32 v14, v[14:15]
	v_min3_f32 v195, v18, v19, v86
	v_cvt_f32_f64_e32 v95, v[95:96]
	v_cvt_f32_f64_e32 v15, v[16:17]
	;; [unrolled: 1-line block ×3, first 2 shown]
	v_min3_f32 v154, v93, v95, v109
	v_add_f64 v[95:96], v[12:13], v[40:41]
	v_cvt_f32_f64_e32 v93, v[99:100]
	v_add_f64 v[99:100], v[6:7], v[38:39]
	v_add_f64 v[38:39], v[2:3], v[38:39]
	;; [unrolled: 1-line block ×5, first 2 shown]
	v_min3_f32 v196, v14, v15, v82
	v_cvt_f32_f64_e32 v95, v[95:96]
	v_cvt_f32_f64_e32 v38, v[38:39]
	;; [unrolled: 1-line block ×5, first 2 shown]
	v_min3_f32 v155, v93, v95, v110
	v_add_f64 v[95:96], v[8:9], v[40:41]
	v_add_f64 v[40:41], v[4:5], v[40:41]
	;; [unrolled: 1-line block ×4, first 2 shown]
	v_cvt_f32_f64_e32 v93, v[99:100]
	v_min3_f32 v197, v10, v11, v78
	v_cvt_f32_f64_e32 v95, v[95:96]
	v_cvt_f32_f64_e32 v39, v[40:41]
	;; [unrolled: 1-line block ×4, first 2 shown]
	v_min3_f32 v170, v93, v95, v111
	v_min3_f32 v171, v38, v39, v102
	;; [unrolled: 1-line block ×4, first 2 shown]
	ds_read_b128 v[6:9], v147 offset:1024
	ds_read_b128 v[10:13], v147 offset:2048
	;; [unrolled: 1-line block ×14, first 2 shown]
	ds_read_b128 v[97:100], v165
	ds_read_b128 v[34:37], v165 offset:16
	ds_read_b128 v[188:191], v147
	ds_read_b128 v[2:5], v147 offset:16
	s_waitcnt lgkmcnt(1)
	v_add_f64 v[101:102], v[190:191], v[99:100]
	v_add_f64 v[103:104], v[188:189], v[97:98]
	v_cvt_f32_f64_e32 v73, v[101:102]
	v_cvt_f32_f64_e32 v71, v[103:104]
	v_add_f64 v[101:102], v[8:9], v[99:100]
	v_add_f64 v[103:104], v[6:7], v[97:98]
	v_min3_f32 v129, v71, v73, v66
	v_cvt_f32_f64_e32 v71, v[101:102]
	v_cvt_f32_f64_e32 v66, v[103:104]
	v_add_f64 v[101:102], v[10:11], v[97:98]
	v_min3_f32 v128, v66, v71, v67
	v_add_f64 v[66:67], v[12:13], v[99:100]
	v_cvt_f32_f64_e32 v71, v[101:102]
	v_add_f64 v[101:102], v[14:15], v[97:98]
	v_cvt_f32_f64_e32 v66, v[66:67]
	v_min3_f32 v127, v71, v66, v68
	v_add_f64 v[66:67], v[16:17], v[99:100]
	v_cvt_f32_f64_e32 v68, v[101:102]
	v_cvt_f32_f64_e32 v66, v[66:67]
	v_min3_f32 v126, v68, v66, v69
	v_add_f64 v[66:67], v[20:21], v[99:100]
	v_add_f64 v[68:69], v[18:19], v[97:98]
	v_cvt_f32_f64_e32 v66, v[66:67]
	v_cvt_f32_f64_e32 v68, v[68:69]
	v_min3_f32 v125, v68, v66, v70
	v_add_f64 v[66:67], v[24:25], v[99:100]
	v_add_f64 v[68:69], v[22:23], v[97:98]
	v_cvt_f32_f64_e32 v66, v[66:67]
	v_cvt_f32_f64_e32 v68, v[68:69]
	v_min3_f32 v124, v68, v66, v72
	v_add_f64 v[66:67], v[28:29], v[99:100]
	v_add_f64 v[68:69], v[26:27], v[97:98]
	v_cvt_f32_f64_e32 v66, v[66:67]
	v_cvt_f32_f64_e32 v68, v[68:69]
	v_min3_f32 v123, v68, v66, v74
	v_add_f64 v[66:67], v[32:33], v[99:100]
	v_add_f64 v[68:69], v[30:31], v[97:98]
	v_cvt_f32_f64_e32 v66, v[66:67]
	v_cvt_f32_f64_e32 v68, v[68:69]
	v_min3_f32 v122, v68, v66, v62
	v_add_f64 v[66:67], v[190:191], v[40:41]
	v_add_f64 v[68:69], v[188:189], v[38:39]
	v_cvt_f32_f64_e32 v66, v[66:67]
	v_cvt_f32_f64_e32 v62, v[68:69]
	v_min3_f32 v121, v62, v66, v63
	v_add_f64 v[62:63], v[8:9], v[40:41]
	v_add_f64 v[66:67], v[6:7], v[38:39]
	v_cvt_f32_f64_e32 v62, v[62:63]
	v_cvt_f32_f64_e32 v66, v[66:67]
	v_min3_f32 v120, v66, v62, v64
	v_add_f64 v[62:63], v[12:13], v[40:41]
	v_add_f64 v[66:67], v[10:11], v[38:39]
	v_cvt_f32_f64_e32 v62, v[62:63]
	v_cvt_f32_f64_e32 v64, v[66:67]
	v_min3_f32 v119, v64, v62, v65
	v_add_f64 v[62:63], v[16:17], v[40:41]
	v_add_f64 v[64:65], v[14:15], v[38:39]
	v_cvt_f32_f64_e32 v62, v[62:63]
	v_cvt_f32_f64_e32 v64, v[64:65]
	v_min3_f32 v118, v64, v62, v75
	v_add_f64 v[62:63], v[20:21], v[40:41]
	v_add_f64 v[64:65], v[18:19], v[38:39]
	v_cvt_f32_f64_e32 v62, v[62:63]
	v_cvt_f32_f64_e32 v64, v[64:65]
	v_min3_f32 v117, v64, v62, v76
	v_add_f64 v[62:63], v[24:25], v[40:41]
	v_add_f64 v[64:65], v[22:23], v[38:39]
	v_cvt_f32_f64_e32 v62, v[62:63]
	v_cvt_f32_f64_e32 v64, v[64:65]
	v_min3_f32 v116, v64, v62, v77
	v_add_f64 v[62:63], v[28:29], v[40:41]
	v_add_f64 v[64:65], v[26:27], v[38:39]
	v_add_f64 v[40:41], v[32:33], v[40:41]
	;; [unrolled: 1-line block ×3, first 2 shown]
	v_cvt_f32_f64_e32 v62, v[62:63]
	v_cvt_f32_f64_e32 v64, v[64:65]
	;; [unrolled: 1-line block ×4, first 2 shown]
	v_add_f64 v[40:41], v[188:189], v[93:94]
	v_min3_f32 v115, v64, v62, v79
	v_min3_f32 v114, v38, v39, v58
	v_add_f64 v[38:39], v[190:191], v[95:96]
	v_cvt_f32_f64_e32 v40, v[40:41]
	v_cvt_f32_f64_e32 v38, v[38:39]
	v_min3_f32 v113, v40, v38, v59
	v_add_f64 v[38:39], v[8:9], v[95:96]
	v_add_f64 v[40:41], v[6:7], v[93:94]
	v_cvt_f32_f64_e32 v38, v[38:39]
	v_cvt_f32_f64_e32 v40, v[40:41]
	v_min3_f32 v112, v40, v38, v60
	v_add_f64 v[38:39], v[12:13], v[95:96]
	;; [unrolled: 5-line block ×23, first 2 shown]
	v_add_f64 v[40:41], v[30:31], v[160:161]
	s_waitcnt lgkmcnt(0)
	v_add_f64 v[144:145], v[4:5], v[36:37]
	v_cvt_f32_f64_e32 v38, v[38:39]
	v_cvt_f32_f64_e32 v40, v[40:41]
	;; [unrolled: 1-line block ×3, first 2 shown]
	v_min3_f32 v90, v40, v38, v46
	v_add_f64 v[38:39], v[190:191], v[178:179]
	v_add_f64 v[40:41], v[188:189], v[176:177]
	v_cvt_f32_f64_e32 v38, v[38:39]
	v_cvt_f32_f64_e32 v40, v[40:41]
	v_min3_f32 v89, v40, v38, v47
	v_add_f64 v[38:39], v[8:9], v[178:179]
	v_add_f64 v[40:41], v[6:7], v[176:177]
	v_cvt_f32_f64_e32 v38, v[38:39]
	v_cvt_f32_f64_e32 v40, v[40:41]
	v_min3_f32 v88, v40, v38, v48
	v_add_f64 v[38:39], v[12:13], v[178:179]
	v_add_f64 v[40:41], v[10:11], v[176:177]
	v_cvt_f32_f64_e32 v38, v[38:39]
	v_cvt_f32_f64_e32 v40, v[40:41]
	v_min3_f32 v87, v40, v38, v49
	v_add_f64 v[38:39], v[16:17], v[178:179]
	v_add_f64 v[40:41], v[14:15], v[176:177]
	v_cvt_f32_f64_e32 v38, v[38:39]
	v_cvt_f32_f64_e32 v40, v[40:41]
	v_min3_f32 v86, v40, v38, v149
	v_add_f64 v[38:39], v[20:21], v[178:179]
	v_add_f64 v[40:41], v[18:19], v[176:177]
	v_cvt_f32_f64_e32 v38, v[38:39]
	v_cvt_f32_f64_e32 v40, v[40:41]
	v_min3_f32 v85, v40, v38, v150
	v_add_f64 v[38:39], v[24:25], v[178:179]
	v_add_f64 v[40:41], v[22:23], v[176:177]
	;; [unrolled: 1-line block ×3, first 2 shown]
	v_cvt_f32_f64_e32 v38, v[38:39]
	v_cvt_f32_f64_e32 v40, v[40:41]
	;; [unrolled: 1-line block ×3, first 2 shown]
	v_min3_f32 v84, v40, v38, v151
	v_add_f64 v[38:39], v[28:29], v[178:179]
	v_add_f64 v[40:41], v[26:27], v[176:177]
	v_min3_f32 v222, v149, v144, v129
	v_cvt_f32_f64_e32 v38, v[38:39]
	v_cvt_f32_f64_e32 v40, v[40:41]
	v_min3_f32 v83, v40, v38, v152
	v_add_f64 v[38:39], v[32:33], v[178:179]
	v_add_f64 v[40:41], v[30:31], v[176:177]
	v_cvt_f32_f64_e32 v38, v[38:39]
	v_cvt_f32_f64_e32 v40, v[40:41]
	v_min3_f32 v82, v40, v38, v42
	v_add_f64 v[38:39], v[190:191], v[182:183]
	v_add_f64 v[40:41], v[188:189], v[180:181]
	;; [unrolled: 5-line block ×3, first 2 shown]
	v_add_f64 v[8:9], v[8:9], v[186:187]
	v_add_f64 v[6:7], v[6:7], v[184:185]
	v_cvt_f32_f64_e32 v38, v[38:39]
	v_cvt_f32_f64_e32 v40, v[40:41]
	;; [unrolled: 1-line block ×4, first 2 shown]
	v_add_f64 v[8:9], v[10:11], v[184:185]
	v_min3_f32 v80, v40, v38, v44
	v_add_f64 v[38:39], v[12:13], v[182:183]
	v_add_f64 v[40:41], v[10:11], v[180:181]
	v_min3_f32 v72, v6, v7, v193
	v_add_f64 v[6:7], v[12:13], v[186:187]
	v_cvt_f32_f64_e32 v8, v[8:9]
	v_cvt_f32_f64_e32 v38, v[38:39]
	v_cvt_f32_f64_e32 v40, v[40:41]
	v_cvt_f32_f64_e32 v6, v[6:7]
	v_min3_f32 v79, v40, v38, v45
	v_add_f64 v[38:39], v[16:17], v[182:183]
	v_add_f64 v[40:41], v[14:15], v[180:181]
	v_min3_f32 v71, v8, v6, v194
	v_add_f64 v[6:7], v[16:17], v[186:187]
	v_add_f64 v[8:9], v[14:15], v[184:185]
	v_cvt_f32_f64_e32 v38, v[38:39]
	v_cvt_f32_f64_e32 v40, v[40:41]
	v_cvt_f32_f64_e32 v6, v[6:7]
	v_cvt_f32_f64_e32 v8, v[8:9]
	v_min3_f32 v78, v40, v38, v153
	v_add_f64 v[38:39], v[20:21], v[182:183]
	v_add_f64 v[40:41], v[18:19], v[180:181]
	v_min3_f32 v70, v8, v6, v195
	v_add_f64 v[6:7], v[20:21], v[186:187]
	;; [unrolled: 10-line block ×5, first 2 shown]
	v_add_f64 v[8:9], v[30:31], v[184:185]
	v_cvt_f32_f64_e32 v38, v[38:39]
	v_cvt_f32_f64_e32 v40, v[40:41]
	;; [unrolled: 1-line block ×4, first 2 shown]
	v_min3_f32 v74, v40, v38, v171
	v_add_f64 v[38:39], v[190:191], v[186:187]
	v_add_f64 v[40:41], v[188:189], v[184:185]
	v_min3_f32 v66, v8, v6, v199
	v_cvt_f32_f64_e32 v38, v[38:39]
	v_cvt_f32_f64_e32 v40, v[40:41]
	v_min3_f32 v73, v40, v38, v192
	ds_read_b128 v[22:25], v147 offset:1040
	ds_read_b128 v[18:21], v147 offset:2064
	;; [unrolled: 1-line block ×14, first 2 shown]
	ds_write2st64_b64 v166, v[136:137], v[138:139] offset1:4
	ds_write2st64_b64 v166, v[140:141], v[142:143] offset0:8 offset1:12
	ds_write_b64 v167, v[134:135]
	s_waitcnt lgkmcnt(0)
	s_barrier
	buffer_gl0_inv
	v_add_f64 v[144:145], v[24:25], v[36:37]
	v_add_f64 v[149:150], v[22:23], v[34:35]
	v_cvt_f32_f64_e32 v144, v[144:145]
	v_cvt_f32_f64_e32 v129, v[149:150]
	v_min3_f32 v221, v129, v144, v128
	v_add_f64 v[128:129], v[20:21], v[36:37]
	v_add_f64 v[144:145], v[18:19], v[34:35]
	v_cvt_f32_f64_e32 v128, v[128:129]
	v_cvt_f32_f64_e32 v144, v[144:145]
	v_min3_f32 v220, v144, v128, v127
	;; [unrolled: 5-line block ×5, first 2 shown]
	v_add_f64 v[124:125], v[32:33], v[36:37]
	v_add_f64 v[126:127], v[30:31], v[34:35]
	;; [unrolled: 1-line block ×4, first 2 shown]
	v_cvt_f32_f64_e32 v124, v[124:125]
	v_cvt_f32_f64_e32 v126, v[126:127]
	;; [unrolled: 1-line block ×4, first 2 shown]
	v_add_f64 v[36:37], v[2:3], v[62:63]
	v_min3_f32 v217, v126, v124, v123
	v_min3_f32 v214, v34, v35, v122
	v_add_f64 v[34:35], v[4:5], v[64:65]
	v_cvt_f32_f64_e32 v36, v[36:37]
	v_cvt_f32_f64_e32 v34, v[34:35]
	v_min3_f32 v215, v36, v34, v121
	v_add_f64 v[34:35], v[24:25], v[64:65]
	v_add_f64 v[36:37], v[22:23], v[62:63]
	v_cvt_f32_f64_e32 v34, v[34:35]
	v_cvt_f32_f64_e32 v36, v[36:37]
	v_min3_f32 v212, v36, v34, v120
	v_add_f64 v[34:35], v[20:21], v[64:65]
	;; [unrolled: 5-line block ×40, first 2 shown]
	v_add_f64 v[36:37], v[2:3], v[42:43]
	v_add_f64 v[4:5], v[4:5], v[40:41]
	;; [unrolled: 1-line block ×3, first 2 shown]
	v_cvt_f32_f64_e32 v34, v[34:35]
	v_cvt_f32_f64_e32 v36, v[36:37]
	;; [unrolled: 1-line block ×4, first 2 shown]
	v_add_f64 v[4:5], v[22:23], v[38:39]
	v_min3_f32 v171, v36, v34, v81
	v_add_f64 v[34:35], v[24:25], v[44:45]
	v_add_f64 v[36:37], v[22:23], v[42:43]
	v_min3_f32 v156, v2, v3, v73
	v_add_f64 v[2:3], v[24:25], v[40:41]
	v_cvt_f32_f64_e32 v4, v[4:5]
	v_cvt_f32_f64_e32 v34, v[34:35]
	v_cvt_f32_f64_e32 v36, v[36:37]
	v_cvt_f32_f64_e32 v2, v[2:3]
	v_min3_f32 v162, v36, v34, v80
	v_add_f64 v[34:35], v[20:21], v[44:45]
	v_add_f64 v[36:37], v[18:19], v[42:43]
	v_min3_f32 v155, v4, v2, v72
	v_add_f64 v[2:3], v[20:21], v[40:41]
	v_add_f64 v[4:5], v[18:19], v[38:39]
	v_cvt_f32_f64_e32 v34, v[34:35]
	v_cvt_f32_f64_e32 v36, v[36:37]
	v_cvt_f32_f64_e32 v2, v[2:3]
	v_cvt_f32_f64_e32 v4, v[4:5]
	v_min3_f32 v163, v36, v34, v79
	v_add_f64 v[34:35], v[16:17], v[44:45]
	v_add_f64 v[36:37], v[14:15], v[42:43]
	v_min3_f32 v154, v4, v2, v71
	v_add_f64 v[2:3], v[16:17], v[40:41]
	v_add_f64 v[4:5], v[14:15], v[38:39]
	v_cvt_f32_f64_e32 v34, v[34:35]
	v_cvt_f32_f64_e32 v36, v[36:37]
	v_cvt_f32_f64_e32 v2, v[2:3]
	v_cvt_f32_f64_e32 v4, v[4:5]
	v_min3_f32 v160, v36, v34, v78
	v_add_f64 v[34:35], v[12:13], v[44:45]
	v_add_f64 v[36:37], v[10:11], v[42:43]
	v_min3_f32 v152, v4, v2, v70
	v_add_f64 v[2:3], v[12:13], v[40:41]
	v_add_f64 v[4:5], v[10:11], v[38:39]
	v_cvt_f32_f64_e32 v34, v[34:35]
	v_cvt_f32_f64_e32 v36, v[36:37]
	v_cvt_f32_f64_e32 v2, v[2:3]
	v_cvt_f32_f64_e32 v4, v[4:5]
	v_min3_f32 v161, v36, v34, v77
	v_add_f64 v[34:35], v[8:9], v[44:45]
	v_add_f64 v[36:37], v[6:7], v[42:43]
	v_min3_f32 v153, v4, v2, v69
	v_add_f64 v[2:3], v[8:9], v[40:41]
	v_add_f64 v[4:5], v[6:7], v[38:39]
	v_cvt_f32_f64_e32 v34, v[34:35]
	v_cvt_f32_f64_e32 v36, v[36:37]
	v_cvt_f32_f64_e32 v2, v[2:3]
	v_cvt_f32_f64_e32 v4, v[4:5]
	v_min3_f32 v158, v36, v34, v76
	v_add_f64 v[34:35], v[32:33], v[44:45]
	v_add_f64 v[36:37], v[30:31], v[42:43]
	v_min3_f32 v150, v4, v2, v68
	v_add_f64 v[2:3], v[32:33], v[40:41]
	v_add_f64 v[4:5], v[30:31], v[38:39]
	v_cvt_f32_f64_e32 v34, v[34:35]
	v_cvt_f32_f64_e32 v36, v[36:37]
	v_cvt_f32_f64_e32 v2, v[2:3]
	v_cvt_f32_f64_e32 v4, v[4:5]
	v_min3_f32 v159, v36, v34, v75
	v_add_f64 v[34:35], v[28:29], v[44:45]
	v_add_f64 v[36:37], v[26:27], v[42:43]
	v_min3_f32 v151, v4, v2, v67
	v_add_f64 v[2:3], v[28:29], v[40:41]
	v_add_f64 v[4:5], v[26:27], v[38:39]
	v_cvt_f32_f64_e32 v34, v[34:35]
	v_cvt_f32_f64_e32 v36, v[36:37]
	;; [unrolled: 1-line block ×4, first 2 shown]
	v_min3_f32 v157, v36, v34, v74
	v_min3_f32 v149, v4, v2, v66
	s_cbranch_scc1 .LBB158_35
.LBB158_23:                             ; =>This Inner Loop Header: Depth=1
	v_mov_b32_e32 v134, 0
	v_mov_b32_e32 v138, 0
	;; [unrolled: 1-line block ×6, first 2 shown]
	s_and_b32 vcc_lo, exec_lo, s1
	s_cbranch_vccnz .LBB158_25
; %bb.24:                               ;   in Loop: Header=BB158_23 Depth=1
	v_add_co_u32 v2, vcc_lo, v174, v132
	v_add_co_ci_u32_e64 v3, null, v175, v133, vcc_lo
	s_clause 0x1
	global_load_dwordx2 v[4:5], v[2:3], off
	global_load_dwordx2 v[2:3], v[2:3], off offset:512
	s_waitcnt vmcnt(1)
	v_mul_f64 v[138:139], s[12:13], v[4:5]
	s_waitcnt vmcnt(0)
	v_mul_f64 v[140:141], s[12:13], v[2:3]
.LBB158_25:                             ;   in Loop: Header=BB158_23 Depth=1
	v_mov_b32_e32 v142, 0
	v_mov_b32_e32 v143, 0
	s_and_b32 vcc_lo, exec_lo, s1
	s_cbranch_vccnz .LBB158_27
; %bb.26:                               ;   in Loop: Header=BB158_23 Depth=1
	v_add_co_u32 v2, vcc_lo, v174, v132
	v_add_co_ci_u32_e64 v3, null, v175, v133, vcc_lo
	s_clause 0x1
	global_load_dwordx2 v[4:5], v[2:3], off offset:1024
	global_load_dwordx2 v[2:3], v[2:3], off offset:1536
	s_waitcnt vmcnt(1)
	v_mul_f64 v[134:135], s[12:13], v[4:5]
	s_waitcnt vmcnt(0)
	v_mul_f64 v[142:143], s[12:13], v[2:3]
.LBB158_27:                             ;   in Loop: Header=BB158_23 Depth=1
	v_mov_b32_e32 v136, 0
	v_mov_b32_e32 v144, 0
	;; [unrolled: 1-line block ×4, first 2 shown]
	s_and_b32 vcc_lo, exec_lo, s1
	s_cbranch_vccnz .LBB158_29
; %bb.28:                               ;   in Loop: Header=BB158_23 Depth=1
	global_load_dwordx2 v[2:3], v[130:131], off
	s_waitcnt vmcnt(0)
	v_mul_f64 v[144:145], s[12:13], v[2:3]
.LBB158_29:                             ;   in Loop: Header=BB158_23 Depth=1
	ds_read_b128 v[126:129], v169
	ds_read_b128 v[62:65], v169 offset:16
	ds_read_b128 v[98:101], v168
	ds_read_b128 v[34:37], v168 offset:16
	ds_read_b128 v[94:97], v168 offset:1024
	;; [unrolled: 1-line block ×29, first 2 shown]
	ds_write2st64_b64 v148, v[138:139], v[140:141] offset1:4
	ds_write2st64_b64 v148, v[134:135], v[142:143] offset0:8 offset1:12
	v_mov_b32_e32 v138, 0
	v_mov_b32_e32 v139, 0
	s_and_b32 vcc_lo, exec_lo, s1
	ds_write_b64 v164, v[144:145]
	s_waitcnt lgkmcnt(0)
	s_barrier
	buffer_gl0_inv
	s_cbranch_vccnz .LBB158_31
; %bb.30:                               ;   in Loop: Header=BB158_23 Depth=1
	v_add_co_u32 v134, vcc_lo, v172, v132
	v_add_co_ci_u32_e64 v135, null, v173, v133, vcc_lo
	s_clause 0x1
	global_load_dwordx2 v[136:137], v[134:135], off
	global_load_dwordx2 v[134:135], v[134:135], off offset:512
	s_waitcnt vmcnt(1)
	v_mul_f64 v[136:137], s[12:13], v[136:137]
	s_waitcnt vmcnt(0)
	v_mul_f64 v[138:139], s[12:13], v[134:135]
.LBB158_31:                             ;   in Loop: Header=BB158_23 Depth=1
	v_mov_b32_e32 v134, 0
	v_mov_b32_e32 v140, 0
	;; [unrolled: 1-line block ×6, first 2 shown]
	s_and_b32 vcc_lo, exec_lo, s1
	s_cbranch_vccnz .LBB158_33
; %bb.32:                               ;   in Loop: Header=BB158_23 Depth=1
	v_add_co_u32 v140, vcc_lo, v172, v132
	v_add_co_ci_u32_e64 v141, null, v173, v133, vcc_lo
	s_clause 0x1
	global_load_dwordx2 v[142:143], v[140:141], off offset:1024
	global_load_dwordx2 v[144:145], v[140:141], off offset:1536
	s_waitcnt vmcnt(1)
	v_mul_f64 v[140:141], s[12:13], v[142:143]
	s_waitcnt vmcnt(0)
	v_mul_f64 v[142:143], s[12:13], v[144:145]
.LBB158_33:                             ;   in Loop: Header=BB158_23 Depth=1
	s_and_b32 vcc_lo, exec_lo, s1
	s_cbranch_vccnz .LBB158_22
; %bb.34:                               ;   in Loop: Header=BB158_23 Depth=1
	global_load_dwordx2 v[134:135], v[130:131], off offset:32
	s_waitcnt vmcnt(0)
	v_mul_f64 v[134:135], s[12:13], v[134:135]
	s_branch .LBB158_22
.LBB158_35:
	ds_read_b128 v[124:127], v146 offset:18432
	ds_read_b128 v[68:71], v147 offset:8192
	;; [unrolled: 1-line block ×4, first 2 shown]
	s_clause 0x2
	s_load_dwordx2 s[8:9], s[4:5], 0x78
	s_load_dword s6, s[4:5], 0x70
	s_load_dword s1, s[4:5], 0x58
	v_add_nc_u32_e32 v144, s21, v1
	v_add_nc_u32_e32 v138, s20, v0
	v_ashrrev_i32_e32 v139, 31, v138
	v_add_nc_u32_e32 v0, 32, v138
	v_lshlrev_b64 v[130:131], 3, v[138:139]
	v_ashrrev_i32_e32 v1, 31, v0
	s_waitcnt lgkmcnt(0)
	v_add_f64 v[2:3], v[68:69], v[124:125]
	v_add_f64 v[4:5], v[70:71], v[126:127]
	;; [unrolled: 1-line block ×4, first 2 shown]
	s_mul_i32 s5, s9, s7
	s_mul_hi_u32 s9, s8, s7
	s_mul_i32 s4, s8, s7
	s_add_i32 s5, s9, s5
	s_mov_b32 s7, -1
	s_lshl_b64 s[4:5], s[4:5], 3
	s_add_u32 s4, s10, s4
	s_addc_u32 s5, s11, s5
	v_cvt_f32_f64_e32 v10, v[2:3]
	v_cvt_f32_f64_e32 v11, v[4:5]
	;; [unrolled: 1-line block ×4, first 2 shown]
	v_mad_i64_i32 v[2:3], null, v144, s6, 0
	v_mad_i64_i32 v[4:5], null, v144, s1, 0
	v_lshlrev_b64 v[2:3], 3, v[2:3]
	v_lshlrev_b64 v[4:5], 3, v[4:5]
	v_add_co_u32 v145, vcc_lo, s4, v2
	v_add_co_ci_u32_e64 v148, null, s5, v3, vcc_lo
	v_add_co_u32 v164, vcc_lo, s14, v4
	v_min3_f32 v8, v10, v11, v222
	v_add_co_ci_u32_e64 v165, null, s15, v5, vcc_lo
	s_mov_b32 vcc_lo, s0
	v_min3_f32 v2, v6, v7, v8
	v_max_f32_e32 v2, v2, v2
	s_cbranch_vccz .LBB158_37
; %bb.36:
	v_min_f32_e32 v3, 0, v2
	v_add_co_u32 v5, vcc_lo, v145, v130
	v_add_co_ci_u32_e64 v6, null, v148, v131, vcc_lo
	v_cvt_f64_f32_e32 v[3:4], v3
	s_mov_b32 s7, 0
	global_store_dwordx2 v[5:6], v[3:4], off
.LBB158_37:
	ds_read_b128 v[60:63], v147 offset:9216
	ds_read_b128 v[52:55], v147 offset:9232
	;; [unrolled: 1-line block ×4, first 2 shown]
	v_lshlrev_b64 v[128:129], 3, v[0:1]
	v_mov_b32_e32 v8, 0
	s_andn2_b32 vcc_lo, exec_lo, s7
	s_cbranch_vccnz .LBB158_39
; %bb.38:
	v_add_co_u32 v0, vcc_lo, v164, v130
	v_add_co_ci_u32_e64 v1, null, v165, v131, vcc_lo
	global_load_dwordx2 v[0:1], v[0:1], off
	s_waitcnt vmcnt(0)
	v_mul_f64 v[0:1], s[2:3], v[0:1]
	v_cvt_f32_f64_e32 v0, v[0:1]
	v_min_f32_e32 v0, v0, v2
	v_add_co_u32 v2, vcc_lo, v145, v130
	v_add_co_ci_u32_e64 v3, null, v148, v131, vcc_lo
	v_cvt_f64_f32_e32 v[0:1], v0
	v_add_co_u32 v4, vcc_lo, v164, v128
	v_add_co_ci_u32_e64 v5, null, v165, v129, vcc_lo
	global_store_dwordx2 v[2:3], v[0:1], off
	global_load_dwordx2 v[0:1], v[4:5], off
	s_waitcnt vmcnt(0)
	v_mul_f64 v[0:1], s[2:3], v[0:1]
	v_cvt_f32_f64_e32 v8, v[0:1]
.LBB158_39:
	s_waitcnt lgkmcnt(3)
	v_add_f64 v[0:1], v[60:61], v[124:125]
	v_add_f64 v[2:3], v[62:63], v[126:127]
	s_waitcnt lgkmcnt(2)
	v_add_f64 v[4:5], v[52:53], v[120:121]
	v_add_f64 v[6:7], v[54:55], v[122:123]
	;; [unrolled: 3-line block ×4, first 2 shown]
	v_add_nc_u32_e32 v134, 64, v138
	v_add_co_u32 v141, vcc_lo, v145, v128
	v_add_co_ci_u32_e64 v142, null, v148, v129, vcc_lo
	v_ashrrev_i32_e32 v135, 31, v134
	s_mov_b32 s7, -1
	s_mov_b32 vcc_lo, s0
	v_cvt_f32_f64_e32 v15, v[0:1]
	v_cvt_f32_f64_e32 v74, v[2:3]
	;; [unrolled: 1-line block ×8, first 2 shown]
	ds_read_b128 v[56:59], v147 offset:11264
	ds_read_b128 v[44:47], v147 offset:11280
	;; [unrolled: 1-line block ×18, first 2 shown]
	v_min3_f32 v9, v15, v74, v221
	v_min_f32_e32 v10, v75, v76
	v_min3_f32 v133, v132, v133, v220
	v_add_nc_u32_e32 v132, 0x60, v138
	v_min3_f32 v8, v8, v10, v9
	v_min3_f32 v143, v136, v137, v133
	v_lshlrev_b64 v[136:137], 3, v[134:135]
	v_ashrrev_i32_e32 v133, 31, v132
	v_cvt_f64_f32_e32 v[139:140], v8
	ds_read_b128 v[84:87], v146 offset:19712
	ds_read_b128 v[80:83], v146 offset:19728
	;; [unrolled: 1-line block ×6, first 2 shown]
	v_max_f32_e32 v135, v143, v143
	global_store_dwordx2 v[141:142], v[139:140], off
	s_cbranch_vccz .LBB158_41
; %bb.40:
	v_min_f32_e32 v134, 0, v135
	v_add_co_u32 v141, vcc_lo, v145, v136
	v_add_co_ci_u32_e64 v142, null, v148, v137, vcc_lo
	v_cvt_f64_f32_e32 v[139:140], v134
	s_mov_b32 s7, 0
	global_store_dwordx2 v[141:142], v[139:140], off
.LBB158_41:
	v_lshlrev_b64 v[132:133], 3, v[132:133]
	v_mov_b32_e32 v134, 0
	s_andn2_b32 vcc_lo, exec_lo, s7
	s_cbranch_vccnz .LBB158_43
; %bb.42:
	v_add_co_u32 v139, vcc_lo, v164, v136
	v_add_co_ci_u32_e64 v140, null, v165, v137, vcc_lo
	global_load_dwordx2 v[139:140], v[139:140], off
	s_waitcnt vmcnt(0)
	v_mul_f64 v[139:140], s[2:3], v[139:140]
	v_cvt_f32_f64_e32 v134, v[139:140]
	v_add_co_u32 v139, vcc_lo, v145, v136
	v_add_co_ci_u32_e64 v140, null, v148, v137, vcc_lo
	v_add_co_u32 v141, vcc_lo, v164, v132
	v_add_co_ci_u32_e64 v142, null, v165, v133, vcc_lo
	v_min_f32_e32 v134, v134, v135
	v_cvt_f64_f32_e32 v[134:135], v134
	global_store_dwordx2 v[139:140], v[134:135], off
	global_load_dwordx2 v[134:135], v[141:142], off
	s_waitcnt vmcnt(0)
	v_mul_f64 v[134:135], s[2:3], v[134:135]
	v_cvt_f32_f64_e32 v134, v[134:135]
.LBB158_43:
	s_waitcnt lgkmcnt(23)
	v_add_f64 v[139:140], v[56:57], v[124:125]
	v_add_f64 v[141:142], v[58:59], v[126:127]
	s_waitcnt lgkmcnt(22)
	v_add_f64 v[146:147], v[44:45], v[120:121]
	v_add_f64 v[166:167], v[46:47], v[122:123]
	;; [unrolled: 3-line block ×3, first 2 shown]
	s_waitcnt lgkmcnt(20)
	v_add_f64 v[174:175], v[32:33], v[120:121]
	s_mov_b32 s7, -1
	v_cvt_f32_f64_e32 v135, v[139:140]
	v_cvt_f32_f64_e32 v141, v[141:142]
	;; [unrolled: 1-line block ×4, first 2 shown]
	v_add_f64 v[139:140], v[34:35], v[122:123]
	v_cvt_f32_f64_e32 v166, v[172:173]
	v_cvt_f32_f64_e32 v167, v[168:169]
	;; [unrolled: 1-line block ×3, first 2 shown]
	v_min3_f32 v135, v135, v141, v218
	v_min_f32_e32 v141, v142, v143
	v_cvt_f32_f64_e32 v142, v[139:140]
	v_add_nc_u32_e32 v139, 0x80, v138
	v_min3_f32 v134, v134, v141, v135
	v_min3_f32 v135, v166, v167, v219
	v_ashrrev_i32_e32 v140, 31, v139
	v_add_co_u32 v166, vcc_lo, v145, v132
	v_cvt_f64_f32_e32 v[146:147], v134
	v_add_nc_u32_e32 v134, 0xa0, v138
	v_lshlrev_b64 v[140:141], 3, v[139:140]
	v_add_co_ci_u32_e64 v167, null, v148, v133, vcc_lo
	s_mov_b32 vcc_lo, s0
	v_min3_f32 v142, v168, v142, v135
	v_ashrrev_i32_e32 v135, 31, v134
	v_max_f32_e32 v142, v142, v142
	global_store_dwordx2 v[166:167], v[146:147], off
	s_cbranch_vccz .LBB158_45
; %bb.44:
	v_min_f32_e32 v139, 0, v142
	v_add_co_u32 v166, vcc_lo, v145, v140
	v_add_co_ci_u32_e64 v167, null, v148, v141, vcc_lo
	v_cvt_f64_f32_e32 v[146:147], v139
	s_mov_b32 s7, 0
	global_store_dwordx2 v[166:167], v[146:147], off
.LBB158_45:
	v_lshlrev_b64 v[134:135], 3, v[134:135]
	v_mov_b32_e32 v139, 0
	s_andn2_b32 vcc_lo, exec_lo, s7
	s_cbranch_vccnz .LBB158_47
; %bb.46:
	v_add_co_u32 v146, vcc_lo, v164, v140
	v_add_co_ci_u32_e64 v147, null, v165, v141, vcc_lo
	global_load_dwordx2 v[146:147], v[146:147], off
	s_waitcnt vmcnt(0)
	v_mul_f64 v[146:147], s[2:3], v[146:147]
	v_cvt_f32_f64_e32 v139, v[146:147]
	v_add_co_u32 v146, vcc_lo, v145, v140
	v_add_co_ci_u32_e64 v147, null, v148, v141, vcc_lo
	v_add_co_u32 v166, vcc_lo, v164, v134
	v_add_co_ci_u32_e64 v167, null, v165, v135, vcc_lo
	v_min_f32_e32 v139, v139, v142
	v_cvt_f64_f32_e32 v[142:143], v139
	global_store_dwordx2 v[146:147], v[142:143], off
	global_load_dwordx2 v[142:143], v[166:167], off
	s_waitcnt vmcnt(0)
	v_mul_f64 v[142:143], s[2:3], v[142:143]
	v_cvt_f32_f64_e32 v139, v[142:143]
.LBB158_47:
	s_waitcnt lgkmcnt(19)
	v_add_f64 v[142:143], v[28:29], v[124:125]
	v_add_f64 v[146:147], v[30:31], v[126:127]
	s_waitcnt lgkmcnt(18)
	v_add_f64 v[166:167], v[24:25], v[120:121]
	v_add_f64 v[168:169], v[26:27], v[122:123]
	;; [unrolled: 3-line block ×3, first 2 shown]
	s_waitcnt lgkmcnt(16)
	v_add_f64 v[218:219], v[16:17], v[120:121]
	s_mov_b32 s7, -1
	v_cvt_f32_f64_e32 v220, v[142:143]
	v_cvt_f32_f64_e32 v146, v[146:147]
	v_cvt_f32_f64_e32 v147, v[166:167]
	v_cvt_f32_f64_e32 v166, v[168:169]
	v_add_f64 v[142:143], v[18:19], v[122:123]
	v_cvt_f32_f64_e32 v168, v[174:175]
	v_cvt_f32_f64_e32 v169, v[172:173]
	;; [unrolled: 1-line block ×3, first 2 shown]
	v_min3_f32 v146, v220, v146, v216
	v_min_f32_e32 v147, v147, v166
	v_cvt_f32_f64_e32 v173, v[142:143]
	v_add_nc_u32_e32 v142, 0xc0, v138
	v_add_nc_u32_e32 v138, 0xe0, v138
	v_min3_f32 v139, v139, v147, v146
	v_ashrrev_i32_e32 v143, 31, v142
	v_cvt_f64_f32_e32 v[166:167], v139
	v_min3_f32 v139, v168, v169, v217
	v_add_co_u32 v168, vcc_lo, v145, v134
	v_lshlrev_b64 v[142:143], 3, v[142:143]
	v_add_co_ci_u32_e64 v169, null, v148, v135, vcc_lo
	s_mov_b32 vcc_lo, s0
	v_min3_f32 v146, v172, v173, v139
	v_ashrrev_i32_e32 v139, 31, v138
	v_max_f32_e32 v147, v146, v146
	global_store_dwordx2 v[168:169], v[166:167], off
	s_cbranch_vccz .LBB158_49
; %bb.48:
	v_min_f32_e32 v146, 0, v147
	v_add_co_u32 v168, vcc_lo, v145, v142
	v_add_co_ci_u32_e64 v169, null, v148, v143, vcc_lo
	v_cvt_f64_f32_e32 v[166:167], v146
	s_mov_b32 s7, 0
	global_store_dwordx2 v[168:169], v[166:167], off
.LBB158_49:
	v_lshlrev_b64 v[138:139], 3, v[138:139]
	v_mov_b32_e32 v146, 0
	s_andn2_b32 vcc_lo, exec_lo, s7
	s_cbranch_vccnz .LBB158_51
; %bb.50:
	v_add_co_u32 v166, vcc_lo, v164, v142
	v_add_co_ci_u32_e64 v167, null, v165, v143, vcc_lo
	global_load_dwordx2 v[166:167], v[166:167], off
	s_waitcnt vmcnt(0)
	v_mul_f64 v[166:167], s[2:3], v[166:167]
	v_cvt_f32_f64_e32 v146, v[166:167]
	v_add_co_u32 v166, vcc_lo, v145, v142
	v_add_co_ci_u32_e64 v167, null, v148, v143, vcc_lo
	v_add_co_u32 v164, vcc_lo, v164, v138
	v_add_co_ci_u32_e64 v165, null, v165, v139, vcc_lo
	v_min_f32_e32 v146, v146, v147
	v_cvt_f64_f32_e32 v[146:147], v146
	global_store_dwordx2 v[166:167], v[146:147], off
	global_load_dwordx2 v[146:147], v[164:165], off
	s_waitcnt vmcnt(0)
	v_mul_f64 v[146:147], s[2:3], v[146:147]
	v_cvt_f32_f64_e32 v146, v[146:147]
.LBB158_51:
	s_waitcnt lgkmcnt(15)
	v_add_f64 v[124:125], v[0:1], v[124:125]
	v_add_f64 v[126:127], v[2:3], v[126:127]
	s_waitcnt lgkmcnt(14)
	v_add_f64 v[120:121], v[4:5], v[120:121]
	v_add_f64 v[122:123], v[6:7], v[122:123]
	;; [unrolled: 3-line block ×3, first 2 shown]
	v_add_co_u32 v145, vcc_lo, v145, v138
	s_mov_b32 s7, -1
	v_cvt_f32_f64_e32 v124, v[124:125]
	v_cvt_f32_f64_e32 v125, v[126:127]
	;; [unrolled: 1-line block ×4, first 2 shown]
	s_waitcnt lgkmcnt(12)
	v_add_f64 v[120:121], v[64:65], v[112:113]
	v_add_f64 v[122:123], v[66:67], v[114:115]
	v_cvt_f32_f64_e32 v147, v[166:167]
	v_cvt_f32_f64_e32 v164, v[164:165]
	v_add_nc_u32_e32 v165, 8, v144
	v_min3_f32 v124, v124, v125, v214
	v_min_f32_e32 v125, v126, v127
	v_cvt_f32_f64_e32 v166, v[120:121]
	v_cvt_f32_f64_e32 v167, v[122:123]
	v_mad_i64_i32 v[120:121], null, v165, s6, 0
	v_min3_f32 v122, v146, v125, v124
	v_min3_f32 v124, v147, v164, v215
	v_add_co_ci_u32_e64 v146, null, v148, v139, vcc_lo
	v_cvt_f64_f32_e32 v[126:127], v122
	v_mad_i64_i32 v[122:123], null, v165, s1, 0
	v_lshlrev_b64 v[120:121], 3, v[120:121]
	v_add_co_u32 v120, vcc_lo, s4, v120
	v_lshlrev_b64 v[122:123], 3, v[122:123]
	v_add_co_ci_u32_e64 v121, null, s5, v121, vcc_lo
	v_min3_f32 v124, v166, v167, v124
	v_add_co_u32 v122, vcc_lo, s14, v122
	v_add_co_ci_u32_e64 v123, null, s15, v123, vcc_lo
	v_max_f32_e32 v125, v124, v124
	s_mov_b32 vcc_lo, s0
	global_store_dwordx2 v[145:146], v[126:127], off
	s_cbranch_vccz .LBB158_53
; %bb.52:
	v_min_f32_e32 v124, 0, v125
	v_add_co_u32 v145, vcc_lo, v120, v130
	v_add_co_ci_u32_e64 v146, null, v121, v131, vcc_lo
	v_cvt_f64_f32_e32 v[126:127], v124
	s_mov_b32 s7, 0
	global_store_dwordx2 v[145:146], v[126:127], off
.LBB158_53:
	v_mov_b32_e32 v124, 0
	s_andn2_b32 vcc_lo, exec_lo, s7
	s_cbranch_vccnz .LBB158_55
; %bb.54:
	v_add_co_u32 v126, vcc_lo, v122, v130
	v_add_co_ci_u32_e64 v127, null, v123, v131, vcc_lo
	global_load_dwordx2 v[126:127], v[126:127], off
	s_waitcnt vmcnt(0)
	v_mul_f64 v[126:127], s[2:3], v[126:127]
	v_cvt_f32_f64_e32 v124, v[126:127]
	v_add_co_u32 v126, vcc_lo, v120, v130
	v_add_co_ci_u32_e64 v127, null, v121, v131, vcc_lo
	v_add_co_u32 v145, vcc_lo, v122, v128
	v_add_co_ci_u32_e64 v146, null, v123, v129, vcc_lo
	v_min_f32_e32 v124, v124, v125
	v_cvt_f64_f32_e32 v[124:125], v124
	global_store_dwordx2 v[126:127], v[124:125], off
	global_load_dwordx2 v[124:125], v[145:146], off
	s_waitcnt vmcnt(0)
	v_mul_f64 v[124:125], s[2:3], v[124:125]
	v_cvt_f32_f64_e32 v124, v[124:125]
.LBB158_55:
	v_add_f64 v[125:126], v[60:61], v[116:117]
	v_add_f64 v[145:146], v[62:63], v[118:119]
	v_add_f64 v[147:148], v[52:53], v[112:113]
	v_add_f64 v[164:165], v[54:55], v[114:115]
	v_add_f64 v[166:167], v[50:51], v[118:119]
	v_add_f64 v[168:169], v[48:49], v[116:117]
	v_add_f64 v[172:173], v[36:37], v[112:113]
	s_mov_b32 s7, -1
	v_cvt_f32_f64_e32 v127, v[125:126]
	v_cvt_f32_f64_e32 v145, v[145:146]
	v_cvt_f32_f64_e32 v146, v[147:148]
	v_cvt_f32_f64_e32 v147, v[164:165]
	v_add_f64 v[125:126], v[38:39], v[114:115]
	v_cvt_f32_f64_e32 v148, v[168:169]
	v_cvt_f32_f64_e32 v164, v[166:167]
	v_cvt_f32_f64_e32 v165, v[172:173]
	v_min3_f32 v127, v127, v145, v212
	v_min_f32_e32 v145, v146, v147
	v_cvt_f32_f64_e32 v125, v[125:126]
	v_min3_f32 v124, v124, v145, v127
	v_add_co_u32 v145, vcc_lo, v120, v128
	v_add_co_ci_u32_e64 v146, null, v121, v129, vcc_lo
	v_cvt_f64_f32_e32 v[126:127], v124
	v_min3_f32 v124, v148, v164, v213
	s_mov_b32 vcc_lo, s0
	v_min3_f32 v124, v165, v125, v124
	v_max_f32_e32 v125, v124, v124
	global_store_dwordx2 v[145:146], v[126:127], off
	s_cbranch_vccz .LBB158_57
; %bb.56:
	v_min_f32_e32 v124, 0, v125
	v_add_co_u32 v145, vcc_lo, v120, v136
	v_add_co_ci_u32_e64 v146, null, v121, v137, vcc_lo
	v_cvt_f64_f32_e32 v[126:127], v124
	s_mov_b32 s7, 0
	global_store_dwordx2 v[145:146], v[126:127], off
.LBB158_57:
	v_mov_b32_e32 v124, 0
	s_andn2_b32 vcc_lo, exec_lo, s7
	s_cbranch_vccnz .LBB158_59
; %bb.58:
	v_add_co_u32 v126, vcc_lo, v122, v136
	v_add_co_ci_u32_e64 v127, null, v123, v137, vcc_lo
	global_load_dwordx2 v[126:127], v[126:127], off
	s_waitcnt vmcnt(0)
	v_mul_f64 v[126:127], s[2:3], v[126:127]
	v_cvt_f32_f64_e32 v124, v[126:127]
	v_add_co_u32 v126, vcc_lo, v120, v136
	v_add_co_ci_u32_e64 v127, null, v121, v137, vcc_lo
	v_add_co_u32 v145, vcc_lo, v122, v132
	v_add_co_ci_u32_e64 v146, null, v123, v133, vcc_lo
	v_min_f32_e32 v124, v124, v125
	v_cvt_f64_f32_e32 v[124:125], v124
	global_store_dwordx2 v[126:127], v[124:125], off
	global_load_dwordx2 v[124:125], v[145:146], off
	s_waitcnt vmcnt(0)
	v_mul_f64 v[124:125], s[2:3], v[124:125]
	v_cvt_f32_f64_e32 v124, v[124:125]
.LBB158_59:
	v_add_f64 v[125:126], v[56:57], v[116:117]
	v_add_f64 v[145:146], v[58:59], v[118:119]
	v_add_f64 v[147:148], v[44:45], v[112:113]
	v_add_f64 v[164:165], v[46:47], v[114:115]
	v_add_f64 v[166:167], v[42:43], v[118:119]
	v_add_f64 v[168:169], v[40:41], v[116:117]
	v_add_f64 v[172:173], v[32:33], v[112:113]
	s_mov_b32 s7, -1
	v_cvt_f32_f64_e32 v127, v[125:126]
	v_cvt_f32_f64_e32 v145, v[145:146]
	v_cvt_f32_f64_e32 v146, v[147:148]
	v_cvt_f32_f64_e32 v147, v[164:165]
	v_add_f64 v[125:126], v[34:35], v[114:115]
	v_cvt_f32_f64_e32 v148, v[168:169]
	v_cvt_f32_f64_e32 v164, v[166:167]
	v_cvt_f32_f64_e32 v165, v[172:173]
	v_min3_f32 v127, v127, v145, v210
	v_min_f32_e32 v145, v146, v147
	v_cvt_f32_f64_e32 v125, v[125:126]
	v_min3_f32 v124, v124, v145, v127
	v_add_co_u32 v145, vcc_lo, v120, v132
	v_add_co_ci_u32_e64 v146, null, v121, v133, vcc_lo
	v_cvt_f64_f32_e32 v[126:127], v124
	v_min3_f32 v124, v148, v164, v211
	s_mov_b32 vcc_lo, s0
	v_min3_f32 v124, v165, v125, v124
	v_max_f32_e32 v125, v124, v124
	;; [unrolled: 59-line block ×3, first 2 shown]
	global_store_dwordx2 v[145:146], v[126:127], off
	s_cbranch_vccz .LBB158_65
; %bb.64:
	v_min_f32_e32 v124, 0, v125
	v_add_co_u32 v145, vcc_lo, v120, v142
	v_add_co_ci_u32_e64 v146, null, v121, v143, vcc_lo
	v_cvt_f64_f32_e32 v[126:127], v124
	s_mov_b32 s7, 0
	global_store_dwordx2 v[145:146], v[126:127], off
.LBB158_65:
	v_mov_b32_e32 v124, 0
	s_andn2_b32 vcc_lo, exec_lo, s7
	s_cbranch_vccnz .LBB158_67
; %bb.66:
	v_add_co_u32 v126, vcc_lo, v122, v142
	v_add_co_ci_u32_e64 v127, null, v123, v143, vcc_lo
	global_load_dwordx2 v[126:127], v[126:127], off
	s_waitcnt vmcnt(0)
	v_mul_f64 v[126:127], s[2:3], v[126:127]
	v_cvt_f32_f64_e32 v124, v[126:127]
	v_add_co_u32 v126, vcc_lo, v120, v142
	v_add_co_ci_u32_e64 v127, null, v121, v143, vcc_lo
	v_add_co_u32 v122, vcc_lo, v122, v138
	v_add_co_ci_u32_e64 v123, null, v123, v139, vcc_lo
	v_min_f32_e32 v124, v124, v125
	v_cvt_f64_f32_e32 v[124:125], v124
	global_store_dwordx2 v[126:127], v[124:125], off
	global_load_dwordx2 v[122:123], v[122:123], off
	s_waitcnt vmcnt(0)
	v_mul_f64 v[122:123], s[2:3], v[122:123]
	v_cvt_f32_f64_e32 v124, v[122:123]
.LBB158_67:
	v_add_f64 v[116:117], v[0:1], v[116:117]
	v_add_f64 v[118:119], v[2:3], v[118:119]
	;; [unrolled: 1-line block ×4, first 2 shown]
	s_waitcnt lgkmcnt(11)
	v_add_f64 v[122:123], v[70:71], v[110:111]
	v_add_f64 v[125:126], v[68:69], v[108:109]
	v_add_co_u32 v120, vcc_lo, v120, v138
	v_add_co_ci_u32_e64 v121, null, v121, v139, vcc_lo
	s_mov_b32 s7, -1
	v_cvt_f32_f64_e32 v116, v[116:117]
	v_cvt_f32_f64_e32 v117, v[118:119]
	;; [unrolled: 1-line block ×4, first 2 shown]
	s_waitcnt lgkmcnt(10)
	v_add_f64 v[112:113], v[64:65], v[104:105]
	v_add_f64 v[114:115], v[66:67], v[106:107]
	v_cvt_f32_f64_e32 v125, v[125:126]
	v_cvt_f32_f64_e32 v122, v[122:123]
	v_add_nc_u32_e32 v123, 16, v144
	v_min3_f32 v116, v116, v117, v206
	v_min_f32_e32 v117, v118, v119
	v_cvt_f32_f64_e32 v126, v[112:113]
	v_cvt_f32_f64_e32 v127, v[114:115]
	v_mad_i64_i32 v[112:113], null, v123, s6, 0
	v_min3_f32 v114, v124, v117, v116
	v_min3_f32 v116, v125, v122, v207
	v_cvt_f64_f32_e32 v[118:119], v114
	v_mad_i64_i32 v[114:115], null, v123, s1, 0
	v_lshlrev_b64 v[112:113], 3, v[112:113]
	v_add_co_u32 v112, vcc_lo, s4, v112
	v_lshlrev_b64 v[114:115], 3, v[114:115]
	v_add_co_ci_u32_e64 v113, null, s5, v113, vcc_lo
	v_min3_f32 v116, v126, v127, v116
	v_add_co_u32 v114, vcc_lo, s14, v114
	v_add_co_ci_u32_e64 v115, null, s15, v115, vcc_lo
	v_max_f32_e32 v117, v116, v116
	s_mov_b32 vcc_lo, s0
	global_store_dwordx2 v[120:121], v[118:119], off
	s_cbranch_vccz .LBB158_69
; %bb.68:
	v_min_f32_e32 v116, 0, v117
	v_add_co_u32 v120, vcc_lo, v112, v130
	v_add_co_ci_u32_e64 v121, null, v113, v131, vcc_lo
	v_cvt_f64_f32_e32 v[118:119], v116
	s_mov_b32 s7, 0
	global_store_dwordx2 v[120:121], v[118:119], off
.LBB158_69:
	v_mov_b32_e32 v116, 0
	s_andn2_b32 vcc_lo, exec_lo, s7
	s_cbranch_vccnz .LBB158_71
; %bb.70:
	v_add_co_u32 v118, vcc_lo, v114, v130
	v_add_co_ci_u32_e64 v119, null, v115, v131, vcc_lo
	global_load_dwordx2 v[118:119], v[118:119], off
	s_waitcnt vmcnt(0)
	v_mul_f64 v[118:119], s[2:3], v[118:119]
	v_cvt_f32_f64_e32 v116, v[118:119]
	v_add_co_u32 v118, vcc_lo, v112, v130
	v_add_co_ci_u32_e64 v119, null, v113, v131, vcc_lo
	v_add_co_u32 v120, vcc_lo, v114, v128
	v_add_co_ci_u32_e64 v121, null, v115, v129, vcc_lo
	v_min_f32_e32 v116, v116, v117
	v_cvt_f64_f32_e32 v[116:117], v116
	global_store_dwordx2 v[118:119], v[116:117], off
	global_load_dwordx2 v[116:117], v[120:121], off
	s_waitcnt vmcnt(0)
	v_mul_f64 v[116:117], s[2:3], v[116:117]
	v_cvt_f32_f64_e32 v116, v[116:117]
.LBB158_71:
	v_add_f64 v[117:118], v[60:61], v[108:109]
	v_add_f64 v[119:120], v[62:63], v[110:111]
	v_add_f64 v[121:122], v[52:53], v[104:105]
	v_add_f64 v[123:124], v[54:55], v[106:107]
	v_add_f64 v[125:126], v[50:51], v[110:111]
	v_add_f64 v[145:146], v[48:49], v[108:109]
	v_add_f64 v[147:148], v[36:37], v[104:105]
	s_mov_b32 s7, -1
	v_cvt_f32_f64_e32 v127, v[117:118]
	v_cvt_f32_f64_e32 v119, v[119:120]
	v_cvt_f32_f64_e32 v120, v[121:122]
	v_cvt_f32_f64_e32 v121, v[123:124]
	v_add_f64 v[117:118], v[38:39], v[106:107]
	v_cvt_f32_f64_e32 v122, v[145:146]
	v_cvt_f32_f64_e32 v123, v[125:126]
	v_cvt_f32_f64_e32 v124, v[147:148]
	v_min3_f32 v119, v127, v119, v204
	v_min_f32_e32 v120, v120, v121
	v_cvt_f32_f64_e32 v117, v[117:118]
	v_min3_f32 v116, v116, v120, v119
	v_add_co_u32 v120, vcc_lo, v112, v128
	v_add_co_ci_u32_e64 v121, null, v113, v129, vcc_lo
	v_cvt_f64_f32_e32 v[118:119], v116
	v_min3_f32 v116, v122, v123, v205
	s_mov_b32 vcc_lo, s0
	v_min3_f32 v116, v124, v117, v116
	v_max_f32_e32 v117, v116, v116
	global_store_dwordx2 v[120:121], v[118:119], off
	s_cbranch_vccz .LBB158_73
; %bb.72:
	v_min_f32_e32 v116, 0, v117
	v_add_co_u32 v120, vcc_lo, v112, v136
	v_add_co_ci_u32_e64 v121, null, v113, v137, vcc_lo
	v_cvt_f64_f32_e32 v[118:119], v116
	s_mov_b32 s7, 0
	global_store_dwordx2 v[120:121], v[118:119], off
.LBB158_73:
	v_mov_b32_e32 v116, 0
	s_andn2_b32 vcc_lo, exec_lo, s7
	s_cbranch_vccnz .LBB158_75
; %bb.74:
	v_add_co_u32 v118, vcc_lo, v114, v136
	v_add_co_ci_u32_e64 v119, null, v115, v137, vcc_lo
	global_load_dwordx2 v[118:119], v[118:119], off
	s_waitcnt vmcnt(0)
	v_mul_f64 v[118:119], s[2:3], v[118:119]
	v_cvt_f32_f64_e32 v116, v[118:119]
	v_add_co_u32 v118, vcc_lo, v112, v136
	v_add_co_ci_u32_e64 v119, null, v113, v137, vcc_lo
	v_add_co_u32 v120, vcc_lo, v114, v132
	v_add_co_ci_u32_e64 v121, null, v115, v133, vcc_lo
	v_min_f32_e32 v116, v116, v117
	v_cvt_f64_f32_e32 v[116:117], v116
	global_store_dwordx2 v[118:119], v[116:117], off
	global_load_dwordx2 v[116:117], v[120:121], off
	s_waitcnt vmcnt(0)
	v_mul_f64 v[116:117], s[2:3], v[116:117]
	v_cvt_f32_f64_e32 v116, v[116:117]
.LBB158_75:
	v_add_f64 v[117:118], v[56:57], v[108:109]
	v_add_f64 v[119:120], v[58:59], v[110:111]
	v_add_f64 v[121:122], v[44:45], v[104:105]
	v_add_f64 v[123:124], v[46:47], v[106:107]
	v_add_f64 v[125:126], v[42:43], v[110:111]
	v_add_f64 v[145:146], v[40:41], v[108:109]
	v_add_f64 v[147:148], v[32:33], v[104:105]
	s_mov_b32 s7, -1
	v_cvt_f32_f64_e32 v127, v[117:118]
	v_cvt_f32_f64_e32 v119, v[119:120]
	v_cvt_f32_f64_e32 v120, v[121:122]
	v_cvt_f32_f64_e32 v121, v[123:124]
	v_add_f64 v[117:118], v[34:35], v[106:107]
	v_cvt_f32_f64_e32 v122, v[145:146]
	v_cvt_f32_f64_e32 v123, v[125:126]
	v_cvt_f32_f64_e32 v124, v[147:148]
	v_min3_f32 v119, v127, v119, v202
	v_min_f32_e32 v120, v120, v121
	v_cvt_f32_f64_e32 v117, v[117:118]
	v_min3_f32 v116, v116, v120, v119
	v_add_co_u32 v120, vcc_lo, v112, v132
	v_add_co_ci_u32_e64 v121, null, v113, v133, vcc_lo
	v_cvt_f64_f32_e32 v[118:119], v116
	v_min3_f32 v116, v122, v123, v203
	s_mov_b32 vcc_lo, s0
	v_min3_f32 v116, v124, v117, v116
	v_max_f32_e32 v117, v116, v116
	;; [unrolled: 59-line block ×3, first 2 shown]
	global_store_dwordx2 v[120:121], v[118:119], off
	s_cbranch_vccz .LBB158_81
; %bb.80:
	v_min_f32_e32 v116, 0, v117
	v_add_co_u32 v120, vcc_lo, v112, v142
	v_add_co_ci_u32_e64 v121, null, v113, v143, vcc_lo
	v_cvt_f64_f32_e32 v[118:119], v116
	s_mov_b32 s7, 0
	global_store_dwordx2 v[120:121], v[118:119], off
.LBB158_81:
	v_mov_b32_e32 v116, 0
	s_andn2_b32 vcc_lo, exec_lo, s7
	s_cbranch_vccnz .LBB158_83
; %bb.82:
	v_add_co_u32 v118, vcc_lo, v114, v142
	v_add_co_ci_u32_e64 v119, null, v115, v143, vcc_lo
	global_load_dwordx2 v[118:119], v[118:119], off
	s_waitcnt vmcnt(0)
	v_mul_f64 v[118:119], s[2:3], v[118:119]
	v_cvt_f32_f64_e32 v116, v[118:119]
	v_add_co_u32 v118, vcc_lo, v112, v142
	v_add_co_ci_u32_e64 v119, null, v113, v143, vcc_lo
	v_add_co_u32 v114, vcc_lo, v114, v138
	v_add_co_ci_u32_e64 v115, null, v115, v139, vcc_lo
	v_min_f32_e32 v116, v116, v117
	v_cvt_f64_f32_e32 v[116:117], v116
	global_store_dwordx2 v[118:119], v[116:117], off
	global_load_dwordx2 v[114:115], v[114:115], off
	s_waitcnt vmcnt(0)
	v_mul_f64 v[114:115], s[2:3], v[114:115]
	v_cvt_f32_f64_e32 v116, v[114:115]
.LBB158_83:
	v_add_f64 v[108:109], v[0:1], v[108:109]
	v_add_f64 v[110:111], v[2:3], v[110:111]
	;; [unrolled: 1-line block ×4, first 2 shown]
	s_waitcnt lgkmcnt(9)
	v_add_f64 v[114:115], v[70:71], v[102:103]
	v_add_f64 v[117:118], v[68:69], v[100:101]
	v_add_co_u32 v112, vcc_lo, v112, v138
	v_add_co_ci_u32_e64 v113, null, v113, v139, vcc_lo
	s_mov_b32 s7, -1
	v_cvt_f32_f64_e32 v108, v[108:109]
	v_cvt_f32_f64_e32 v109, v[110:111]
	;; [unrolled: 1-line block ×4, first 2 shown]
	s_waitcnt lgkmcnt(8)
	v_add_f64 v[104:105], v[64:65], v[96:97]
	v_add_f64 v[106:107], v[66:67], v[98:99]
	v_cvt_f32_f64_e32 v117, v[117:118]
	v_cvt_f32_f64_e32 v114, v[114:115]
	v_add_nc_u32_e32 v115, 24, v144
	v_min3_f32 v108, v108, v109, v198
	v_min_f32_e32 v109, v110, v111
	v_cvt_f32_f64_e32 v118, v[104:105]
	v_cvt_f32_f64_e32 v119, v[106:107]
	v_mad_i64_i32 v[104:105], null, v115, s6, 0
	v_min3_f32 v106, v116, v109, v108
	v_min3_f32 v108, v117, v114, v199
	v_cvt_f64_f32_e32 v[110:111], v106
	v_mad_i64_i32 v[106:107], null, v115, s1, 0
	v_lshlrev_b64 v[104:105], 3, v[104:105]
	v_add_co_u32 v104, vcc_lo, s4, v104
	v_lshlrev_b64 v[106:107], 3, v[106:107]
	v_add_co_ci_u32_e64 v105, null, s5, v105, vcc_lo
	v_min3_f32 v108, v118, v119, v108
	v_add_co_u32 v106, vcc_lo, s14, v106
	v_add_co_ci_u32_e64 v107, null, s15, v107, vcc_lo
	v_max_f32_e32 v109, v108, v108
	s_mov_b32 vcc_lo, s0
	global_store_dwordx2 v[112:113], v[110:111], off
	s_cbranch_vccz .LBB158_85
; %bb.84:
	v_min_f32_e32 v108, 0, v109
	v_add_co_u32 v112, vcc_lo, v104, v130
	v_add_co_ci_u32_e64 v113, null, v105, v131, vcc_lo
	v_cvt_f64_f32_e32 v[110:111], v108
	s_mov_b32 s7, 0
	global_store_dwordx2 v[112:113], v[110:111], off
.LBB158_85:
	v_mov_b32_e32 v108, 0
	s_andn2_b32 vcc_lo, exec_lo, s7
	s_cbranch_vccnz .LBB158_87
; %bb.86:
	v_add_co_u32 v110, vcc_lo, v106, v130
	v_add_co_ci_u32_e64 v111, null, v107, v131, vcc_lo
	global_load_dwordx2 v[110:111], v[110:111], off
	s_waitcnt vmcnt(0)
	v_mul_f64 v[110:111], s[2:3], v[110:111]
	v_cvt_f32_f64_e32 v108, v[110:111]
	v_add_co_u32 v110, vcc_lo, v104, v130
	v_add_co_ci_u32_e64 v111, null, v105, v131, vcc_lo
	v_add_co_u32 v112, vcc_lo, v106, v128
	v_add_co_ci_u32_e64 v113, null, v107, v129, vcc_lo
	v_min_f32_e32 v108, v108, v109
	v_cvt_f64_f32_e32 v[108:109], v108
	global_store_dwordx2 v[110:111], v[108:109], off
	global_load_dwordx2 v[108:109], v[112:113], off
	s_waitcnt vmcnt(0)
	v_mul_f64 v[108:109], s[2:3], v[108:109]
	v_cvt_f32_f64_e32 v108, v[108:109]
.LBB158_87:
	v_add_f64 v[109:110], v[60:61], v[100:101]
	v_add_f64 v[111:112], v[62:63], v[102:103]
	v_add_f64 v[113:114], v[52:53], v[96:97]
	v_add_f64 v[115:116], v[54:55], v[98:99]
	v_add_f64 v[117:118], v[50:51], v[102:103]
	v_add_f64 v[119:120], v[48:49], v[100:101]
	v_add_f64 v[121:122], v[36:37], v[96:97]
	s_mov_b32 s7, -1
	v_cvt_f32_f64_e32 v123, v[109:110]
	v_cvt_f32_f64_e32 v111, v[111:112]
	v_cvt_f32_f64_e32 v112, v[113:114]
	v_cvt_f32_f64_e32 v113, v[115:116]
	v_add_f64 v[109:110], v[38:39], v[98:99]
	v_cvt_f32_f64_e32 v114, v[119:120]
	v_cvt_f32_f64_e32 v115, v[117:118]
	v_cvt_f32_f64_e32 v116, v[121:122]
	v_min3_f32 v111, v123, v111, v196
	v_min_f32_e32 v112, v112, v113
	v_cvt_f32_f64_e32 v109, v[109:110]
	v_min3_f32 v108, v108, v112, v111
	v_add_co_u32 v112, vcc_lo, v104, v128
	v_add_co_ci_u32_e64 v113, null, v105, v129, vcc_lo
	v_cvt_f64_f32_e32 v[110:111], v108
	v_min3_f32 v108, v114, v115, v197
	s_mov_b32 vcc_lo, s0
	v_min3_f32 v108, v116, v109, v108
	v_max_f32_e32 v109, v108, v108
	global_store_dwordx2 v[112:113], v[110:111], off
	s_cbranch_vccz .LBB158_89
; %bb.88:
	v_min_f32_e32 v108, 0, v109
	v_add_co_u32 v112, vcc_lo, v104, v136
	v_add_co_ci_u32_e64 v113, null, v105, v137, vcc_lo
	v_cvt_f64_f32_e32 v[110:111], v108
	s_mov_b32 s7, 0
	global_store_dwordx2 v[112:113], v[110:111], off
.LBB158_89:
	v_mov_b32_e32 v108, 0
	s_andn2_b32 vcc_lo, exec_lo, s7
	s_cbranch_vccnz .LBB158_91
; %bb.90:
	v_add_co_u32 v110, vcc_lo, v106, v136
	v_add_co_ci_u32_e64 v111, null, v107, v137, vcc_lo
	global_load_dwordx2 v[110:111], v[110:111], off
	s_waitcnt vmcnt(0)
	v_mul_f64 v[110:111], s[2:3], v[110:111]
	v_cvt_f32_f64_e32 v108, v[110:111]
	v_add_co_u32 v110, vcc_lo, v104, v136
	v_add_co_ci_u32_e64 v111, null, v105, v137, vcc_lo
	v_add_co_u32 v112, vcc_lo, v106, v132
	v_add_co_ci_u32_e64 v113, null, v107, v133, vcc_lo
	v_min_f32_e32 v108, v108, v109
	v_cvt_f64_f32_e32 v[108:109], v108
	global_store_dwordx2 v[110:111], v[108:109], off
	global_load_dwordx2 v[108:109], v[112:113], off
	s_waitcnt vmcnt(0)
	v_mul_f64 v[108:109], s[2:3], v[108:109]
	v_cvt_f32_f64_e32 v108, v[108:109]
.LBB158_91:
	v_add_f64 v[109:110], v[56:57], v[100:101]
	v_add_f64 v[111:112], v[58:59], v[102:103]
	v_add_f64 v[113:114], v[44:45], v[96:97]
	v_add_f64 v[115:116], v[46:47], v[98:99]
	v_add_f64 v[117:118], v[42:43], v[102:103]
	v_add_f64 v[119:120], v[40:41], v[100:101]
	v_add_f64 v[121:122], v[32:33], v[96:97]
	s_mov_b32 s7, -1
	v_cvt_f32_f64_e32 v123, v[109:110]
	v_cvt_f32_f64_e32 v111, v[111:112]
	v_cvt_f32_f64_e32 v112, v[113:114]
	v_cvt_f32_f64_e32 v113, v[115:116]
	v_add_f64 v[109:110], v[34:35], v[98:99]
	v_cvt_f32_f64_e32 v114, v[119:120]
	v_cvt_f32_f64_e32 v115, v[117:118]
	v_cvt_f32_f64_e32 v116, v[121:122]
	v_min3_f32 v111, v123, v111, v195
	v_min_f32_e32 v112, v112, v113
	v_cvt_f32_f64_e32 v109, v[109:110]
	v_min3_f32 v108, v108, v112, v111
	v_add_co_u32 v112, vcc_lo, v104, v132
	v_add_co_ci_u32_e64 v113, null, v105, v133, vcc_lo
	v_cvt_f64_f32_e32 v[110:111], v108
	v_min3_f32 v108, v114, v115, v194
	s_mov_b32 vcc_lo, s0
	v_min3_f32 v108, v116, v109, v108
	v_max_f32_e32 v109, v108, v108
	;; [unrolled: 59-line block ×3, first 2 shown]
	global_store_dwordx2 v[112:113], v[110:111], off
	s_cbranch_vccz .LBB158_97
; %bb.96:
	v_min_f32_e32 v108, 0, v109
	v_add_co_u32 v112, vcc_lo, v104, v142
	v_add_co_ci_u32_e64 v113, null, v105, v143, vcc_lo
	v_cvt_f64_f32_e32 v[110:111], v108
	s_mov_b32 s7, 0
	global_store_dwordx2 v[112:113], v[110:111], off
.LBB158_97:
	v_mov_b32_e32 v108, 0
	s_andn2_b32 vcc_lo, exec_lo, s7
	s_cbranch_vccnz .LBB158_99
; %bb.98:
	v_add_co_u32 v110, vcc_lo, v106, v142
	v_add_co_ci_u32_e64 v111, null, v107, v143, vcc_lo
	global_load_dwordx2 v[110:111], v[110:111], off
	s_waitcnt vmcnt(0)
	v_mul_f64 v[110:111], s[2:3], v[110:111]
	v_cvt_f32_f64_e32 v108, v[110:111]
	v_add_co_u32 v110, vcc_lo, v104, v142
	v_add_co_ci_u32_e64 v111, null, v105, v143, vcc_lo
	v_add_co_u32 v106, vcc_lo, v106, v138
	v_add_co_ci_u32_e64 v107, null, v107, v139, vcc_lo
	v_min_f32_e32 v108, v108, v109
	v_cvt_f64_f32_e32 v[108:109], v108
	global_store_dwordx2 v[110:111], v[108:109], off
	global_load_dwordx2 v[106:107], v[106:107], off
	s_waitcnt vmcnt(0)
	v_mul_f64 v[106:107], s[2:3], v[106:107]
	v_cvt_f32_f64_e32 v108, v[106:107]
.LBB158_99:
	v_add_f64 v[100:101], v[0:1], v[100:101]
	v_add_f64 v[102:103], v[2:3], v[102:103]
	;; [unrolled: 1-line block ×4, first 2 shown]
	s_waitcnt lgkmcnt(7)
	v_add_f64 v[106:107], v[70:71], v[94:95]
	v_add_f64 v[109:110], v[68:69], v[92:93]
	v_add_co_u32 v104, vcc_lo, v104, v138
	v_add_co_ci_u32_e64 v105, null, v105, v139, vcc_lo
	s_mov_b32 s7, -1
	v_cvt_f32_f64_e32 v100, v[100:101]
	v_cvt_f32_f64_e32 v101, v[102:103]
	;; [unrolled: 1-line block ×4, first 2 shown]
	s_waitcnt lgkmcnt(6)
	v_add_f64 v[96:97], v[64:65], v[88:89]
	v_add_f64 v[98:99], v[66:67], v[90:91]
	v_cvt_f32_f64_e32 v109, v[109:110]
	v_cvt_f32_f64_e32 v106, v[106:107]
	v_add_nc_u32_e32 v107, 32, v144
	v_min3_f32 v100, v100, v101, v190
	v_min_f32_e32 v101, v102, v103
	v_cvt_f32_f64_e32 v110, v[96:97]
	v_cvt_f32_f64_e32 v111, v[98:99]
	v_mad_i64_i32 v[96:97], null, v107, s6, 0
	v_min3_f32 v98, v108, v101, v100
	v_min3_f32 v100, v109, v106, v191
	v_cvt_f64_f32_e32 v[102:103], v98
	v_mad_i64_i32 v[98:99], null, v107, s1, 0
	v_lshlrev_b64 v[96:97], 3, v[96:97]
	v_add_co_u32 v96, vcc_lo, s4, v96
	v_lshlrev_b64 v[98:99], 3, v[98:99]
	v_add_co_ci_u32_e64 v97, null, s5, v97, vcc_lo
	v_min3_f32 v100, v110, v111, v100
	v_add_co_u32 v98, vcc_lo, s14, v98
	v_add_co_ci_u32_e64 v99, null, s15, v99, vcc_lo
	v_max_f32_e32 v101, v100, v100
	s_mov_b32 vcc_lo, s0
	global_store_dwordx2 v[104:105], v[102:103], off
	s_cbranch_vccz .LBB158_101
; %bb.100:
	v_min_f32_e32 v100, 0, v101
	v_add_co_u32 v104, vcc_lo, v96, v130
	v_add_co_ci_u32_e64 v105, null, v97, v131, vcc_lo
	v_cvt_f64_f32_e32 v[102:103], v100
	s_mov_b32 s7, 0
	global_store_dwordx2 v[104:105], v[102:103], off
.LBB158_101:
	v_mov_b32_e32 v100, 0
	s_andn2_b32 vcc_lo, exec_lo, s7
	s_cbranch_vccnz .LBB158_103
; %bb.102:
	v_add_co_u32 v102, vcc_lo, v98, v130
	v_add_co_ci_u32_e64 v103, null, v99, v131, vcc_lo
	global_load_dwordx2 v[102:103], v[102:103], off
	s_waitcnt vmcnt(0)
	v_mul_f64 v[102:103], s[2:3], v[102:103]
	v_cvt_f32_f64_e32 v100, v[102:103]
	v_add_co_u32 v102, vcc_lo, v96, v130
	v_add_co_ci_u32_e64 v103, null, v97, v131, vcc_lo
	v_add_co_u32 v104, vcc_lo, v98, v128
	v_add_co_ci_u32_e64 v105, null, v99, v129, vcc_lo
	v_min_f32_e32 v100, v100, v101
	v_cvt_f64_f32_e32 v[100:101], v100
	global_store_dwordx2 v[102:103], v[100:101], off
	global_load_dwordx2 v[100:101], v[104:105], off
	s_waitcnt vmcnt(0)
	v_mul_f64 v[100:101], s[2:3], v[100:101]
	v_cvt_f32_f64_e32 v100, v[100:101]
.LBB158_103:
	v_add_f64 v[101:102], v[60:61], v[92:93]
	v_add_f64 v[103:104], v[62:63], v[94:95]
	v_add_f64 v[105:106], v[52:53], v[88:89]
	v_add_f64 v[107:108], v[54:55], v[90:91]
	v_add_f64 v[109:110], v[50:51], v[94:95]
	v_add_f64 v[111:112], v[48:49], v[92:93]
	v_add_f64 v[113:114], v[36:37], v[88:89]
	s_mov_b32 s7, -1
	v_cvt_f32_f64_e32 v115, v[101:102]
	v_cvt_f32_f64_e32 v103, v[103:104]
	v_cvt_f32_f64_e32 v104, v[105:106]
	v_cvt_f32_f64_e32 v105, v[107:108]
	v_add_f64 v[101:102], v[38:39], v[90:91]
	v_cvt_f32_f64_e32 v106, v[111:112]
	v_cvt_f32_f64_e32 v107, v[109:110]
	v_cvt_f32_f64_e32 v108, v[113:114]
	v_min3_f32 v103, v115, v103, v188
	v_min_f32_e32 v104, v104, v105
	v_cvt_f32_f64_e32 v101, v[101:102]
	v_min3_f32 v100, v100, v104, v103
	v_add_co_u32 v104, vcc_lo, v96, v128
	v_add_co_ci_u32_e64 v105, null, v97, v129, vcc_lo
	v_cvt_f64_f32_e32 v[102:103], v100
	v_min3_f32 v100, v106, v107, v189
	s_mov_b32 vcc_lo, s0
	v_min3_f32 v100, v108, v101, v100
	v_max_f32_e32 v101, v100, v100
	global_store_dwordx2 v[104:105], v[102:103], off
	s_cbranch_vccz .LBB158_105
; %bb.104:
	v_min_f32_e32 v100, 0, v101
	v_add_co_u32 v104, vcc_lo, v96, v136
	v_add_co_ci_u32_e64 v105, null, v97, v137, vcc_lo
	v_cvt_f64_f32_e32 v[102:103], v100
	s_mov_b32 s7, 0
	global_store_dwordx2 v[104:105], v[102:103], off
.LBB158_105:
	v_mov_b32_e32 v100, 0
	s_andn2_b32 vcc_lo, exec_lo, s7
	s_cbranch_vccnz .LBB158_107
; %bb.106:
	v_add_co_u32 v102, vcc_lo, v98, v136
	v_add_co_ci_u32_e64 v103, null, v99, v137, vcc_lo
	global_load_dwordx2 v[102:103], v[102:103], off
	s_waitcnt vmcnt(0)
	v_mul_f64 v[102:103], s[2:3], v[102:103]
	v_cvt_f32_f64_e32 v100, v[102:103]
	v_add_co_u32 v102, vcc_lo, v96, v136
	v_add_co_ci_u32_e64 v103, null, v97, v137, vcc_lo
	v_add_co_u32 v104, vcc_lo, v98, v132
	v_add_co_ci_u32_e64 v105, null, v99, v133, vcc_lo
	v_min_f32_e32 v100, v100, v101
	v_cvt_f64_f32_e32 v[100:101], v100
	global_store_dwordx2 v[102:103], v[100:101], off
	global_load_dwordx2 v[100:101], v[104:105], off
	s_waitcnt vmcnt(0)
	v_mul_f64 v[100:101], s[2:3], v[100:101]
	v_cvt_f32_f64_e32 v100, v[100:101]
.LBB158_107:
	v_add_f64 v[101:102], v[56:57], v[92:93]
	v_add_f64 v[103:104], v[58:59], v[94:95]
	v_add_f64 v[105:106], v[44:45], v[88:89]
	v_add_f64 v[107:108], v[46:47], v[90:91]
	v_add_f64 v[109:110], v[42:43], v[94:95]
	v_add_f64 v[111:112], v[40:41], v[92:93]
	v_add_f64 v[113:114], v[32:33], v[88:89]
	s_mov_b32 s7, -1
	v_cvt_f32_f64_e32 v115, v[101:102]
	v_cvt_f32_f64_e32 v103, v[103:104]
	v_cvt_f32_f64_e32 v104, v[105:106]
	v_cvt_f32_f64_e32 v105, v[107:108]
	v_add_f64 v[101:102], v[34:35], v[90:91]
	v_cvt_f32_f64_e32 v106, v[111:112]
	v_cvt_f32_f64_e32 v107, v[109:110]
	v_cvt_f32_f64_e32 v108, v[113:114]
	v_min3_f32 v103, v115, v103, v186
	v_min_f32_e32 v104, v104, v105
	v_cvt_f32_f64_e32 v101, v[101:102]
	v_min3_f32 v100, v100, v104, v103
	v_add_co_u32 v104, vcc_lo, v96, v132
	v_add_co_ci_u32_e64 v105, null, v97, v133, vcc_lo
	v_cvt_f64_f32_e32 v[102:103], v100
	v_min3_f32 v100, v106, v107, v187
	s_mov_b32 vcc_lo, s0
	v_min3_f32 v100, v108, v101, v100
	v_max_f32_e32 v101, v100, v100
	global_store_dwordx2 v[104:105], v[102:103], off
	s_cbranch_vccz .LBB158_109
; %bb.108:
	v_min_f32_e32 v100, 0, v101
	v_add_co_u32 v104, vcc_lo, v96, v140
	v_add_co_ci_u32_e64 v105, null, v97, v141, vcc_lo
	v_cvt_f64_f32_e32 v[102:103], v100
	s_mov_b32 s7, 0
	global_store_dwordx2 v[104:105], v[102:103], off
.LBB158_109:
	v_mov_b32_e32 v100, 0
	s_andn2_b32 vcc_lo, exec_lo, s7
	s_cbranch_vccnz .LBB158_111
; %bb.110:
	v_add_co_u32 v102, vcc_lo, v98, v140
	v_add_co_ci_u32_e64 v103, null, v99, v141, vcc_lo
	global_load_dwordx2 v[102:103], v[102:103], off
	s_waitcnt vmcnt(0)
	v_mul_f64 v[102:103], s[2:3], v[102:103]
	v_cvt_f32_f64_e32 v100, v[102:103]
	v_add_co_u32 v102, vcc_lo, v96, v140
	v_add_co_ci_u32_e64 v103, null, v97, v141, vcc_lo
	v_add_co_u32 v104, vcc_lo, v98, v134
	v_add_co_ci_u32_e64 v105, null, v99, v135, vcc_lo
	v_min_f32_e32 v100, v100, v101
	v_cvt_f64_f32_e32 v[100:101], v100
	global_store_dwordx2 v[102:103], v[100:101], off
	global_load_dwordx2 v[100:101], v[104:105], off
	s_waitcnt vmcnt(0)
	v_mul_f64 v[100:101], s[2:3], v[100:101]
	v_cvt_f32_f64_e32 v100, v[100:101]
.LBB158_111:
	v_add_f64 v[101:102], v[28:29], v[92:93]
	v_add_f64 v[103:104], v[30:31], v[94:95]
	v_add_f64 v[105:106], v[24:25], v[88:89]
	v_add_f64 v[107:108], v[26:27], v[90:91]
	v_add_f64 v[109:110], v[22:23], v[94:95]
	v_add_f64 v[111:112], v[20:21], v[92:93]
	v_add_f64 v[113:114], v[16:17], v[88:89]
	s_mov_b32 s7, -1
	v_cvt_f32_f64_e32 v115, v[101:102]
	v_cvt_f32_f64_e32 v103, v[103:104]
	v_cvt_f32_f64_e32 v104, v[105:106]
	v_cvt_f32_f64_e32 v105, v[107:108]
	v_add_f64 v[101:102], v[18:19], v[90:91]
	v_cvt_f32_f64_e32 v106, v[111:112]
	v_cvt_f32_f64_e32 v107, v[109:110]
	v_cvt_f32_f64_e32 v108, v[113:114]
	v_min3_f32 v103, v115, v103, v184
	v_min_f32_e32 v104, v104, v105
	v_cvt_f32_f64_e32 v101, v[101:102]
	v_min3_f32 v100, v100, v104, v103
	v_add_co_u32 v104, vcc_lo, v96, v134
	v_add_co_ci_u32_e64 v105, null, v97, v135, vcc_lo
	v_cvt_f64_f32_e32 v[102:103], v100
	v_min3_f32 v100, v106, v107, v185
	s_mov_b32 vcc_lo, s0
	v_min3_f32 v100, v108, v101, v100
	v_max_f32_e32 v101, v100, v100
	global_store_dwordx2 v[104:105], v[102:103], off
	s_cbranch_vccz .LBB158_113
; %bb.112:
	v_min_f32_e32 v100, 0, v101
	v_add_co_u32 v104, vcc_lo, v96, v142
	v_add_co_ci_u32_e64 v105, null, v97, v143, vcc_lo
	v_cvt_f64_f32_e32 v[102:103], v100
	s_mov_b32 s7, 0
	global_store_dwordx2 v[104:105], v[102:103], off
.LBB158_113:
	v_mov_b32_e32 v100, 0
	s_andn2_b32 vcc_lo, exec_lo, s7
	s_cbranch_vccnz .LBB158_115
; %bb.114:
	v_add_co_u32 v102, vcc_lo, v98, v142
	v_add_co_ci_u32_e64 v103, null, v99, v143, vcc_lo
	global_load_dwordx2 v[102:103], v[102:103], off
	s_waitcnt vmcnt(0)
	v_mul_f64 v[102:103], s[2:3], v[102:103]
	v_cvt_f32_f64_e32 v100, v[102:103]
	v_add_co_u32 v102, vcc_lo, v96, v142
	v_add_co_ci_u32_e64 v103, null, v97, v143, vcc_lo
	v_add_co_u32 v98, vcc_lo, v98, v138
	v_add_co_ci_u32_e64 v99, null, v99, v139, vcc_lo
	v_min_f32_e32 v100, v100, v101
	v_cvt_f64_f32_e32 v[100:101], v100
	global_store_dwordx2 v[102:103], v[100:101], off
	global_load_dwordx2 v[98:99], v[98:99], off
	s_waitcnt vmcnt(0)
	v_mul_f64 v[98:99], s[2:3], v[98:99]
	v_cvt_f32_f64_e32 v100, v[98:99]
.LBB158_115:
	v_add_f64 v[92:93], v[0:1], v[92:93]
	v_add_f64 v[94:95], v[2:3], v[94:95]
	;; [unrolled: 1-line block ×4, first 2 shown]
	s_waitcnt lgkmcnt(5)
	v_add_f64 v[98:99], v[70:71], v[86:87]
	v_add_f64 v[101:102], v[68:69], v[84:85]
	v_add_co_u32 v96, vcc_lo, v96, v138
	v_add_co_ci_u32_e64 v97, null, v97, v139, vcc_lo
	s_mov_b32 s7, -1
	v_cvt_f32_f64_e32 v92, v[92:93]
	v_cvt_f32_f64_e32 v93, v[94:95]
	;; [unrolled: 1-line block ×4, first 2 shown]
	s_waitcnt lgkmcnt(4)
	v_add_f64 v[88:89], v[64:65], v[80:81]
	v_add_f64 v[90:91], v[66:67], v[82:83]
	v_cvt_f32_f64_e32 v101, v[101:102]
	v_cvt_f32_f64_e32 v98, v[98:99]
	v_add_nc_u32_e32 v99, 40, v144
	v_min3_f32 v92, v92, v93, v182
	v_min_f32_e32 v93, v94, v95
	v_cvt_f32_f64_e32 v102, v[88:89]
	v_cvt_f32_f64_e32 v103, v[90:91]
	v_mad_i64_i32 v[88:89], null, v99, s6, 0
	v_min3_f32 v90, v100, v93, v92
	v_min3_f32 v92, v101, v98, v183
	v_cvt_f64_f32_e32 v[94:95], v90
	v_mad_i64_i32 v[90:91], null, v99, s1, 0
	v_lshlrev_b64 v[88:89], 3, v[88:89]
	v_add_co_u32 v88, vcc_lo, s4, v88
	v_lshlrev_b64 v[90:91], 3, v[90:91]
	v_add_co_ci_u32_e64 v89, null, s5, v89, vcc_lo
	v_min3_f32 v92, v102, v103, v92
	v_add_co_u32 v90, vcc_lo, s14, v90
	v_add_co_ci_u32_e64 v91, null, s15, v91, vcc_lo
	v_max_f32_e32 v93, v92, v92
	s_mov_b32 vcc_lo, s0
	global_store_dwordx2 v[96:97], v[94:95], off
	s_cbranch_vccz .LBB158_117
; %bb.116:
	v_min_f32_e32 v92, 0, v93
	v_add_co_u32 v96, vcc_lo, v88, v130
	v_add_co_ci_u32_e64 v97, null, v89, v131, vcc_lo
	v_cvt_f64_f32_e32 v[94:95], v92
	s_mov_b32 s7, 0
	global_store_dwordx2 v[96:97], v[94:95], off
.LBB158_117:
	v_mov_b32_e32 v92, 0
	s_andn2_b32 vcc_lo, exec_lo, s7
	s_cbranch_vccnz .LBB158_119
; %bb.118:
	v_add_co_u32 v94, vcc_lo, v90, v130
	v_add_co_ci_u32_e64 v95, null, v91, v131, vcc_lo
	global_load_dwordx2 v[94:95], v[94:95], off
	s_waitcnt vmcnt(0)
	v_mul_f64 v[94:95], s[2:3], v[94:95]
	v_cvt_f32_f64_e32 v92, v[94:95]
	v_add_co_u32 v94, vcc_lo, v88, v130
	v_add_co_ci_u32_e64 v95, null, v89, v131, vcc_lo
	v_add_co_u32 v96, vcc_lo, v90, v128
	v_add_co_ci_u32_e64 v97, null, v91, v129, vcc_lo
	v_min_f32_e32 v92, v92, v93
	v_cvt_f64_f32_e32 v[92:93], v92
	global_store_dwordx2 v[94:95], v[92:93], off
	global_load_dwordx2 v[92:93], v[96:97], off
	s_waitcnt vmcnt(0)
	v_mul_f64 v[92:93], s[2:3], v[92:93]
	v_cvt_f32_f64_e32 v92, v[92:93]
.LBB158_119:
	v_add_f64 v[93:94], v[60:61], v[84:85]
	v_add_f64 v[95:96], v[62:63], v[86:87]
	v_add_f64 v[97:98], v[52:53], v[80:81]
	v_add_f64 v[99:100], v[54:55], v[82:83]
	v_add_f64 v[101:102], v[50:51], v[86:87]
	v_add_f64 v[103:104], v[48:49], v[84:85]
	v_add_f64 v[105:106], v[36:37], v[80:81]
	s_mov_b32 s7, -1
	v_cvt_f32_f64_e32 v107, v[93:94]
	v_cvt_f32_f64_e32 v95, v[95:96]
	v_cvt_f32_f64_e32 v96, v[97:98]
	v_cvt_f32_f64_e32 v97, v[99:100]
	v_add_f64 v[93:94], v[38:39], v[82:83]
	v_cvt_f32_f64_e32 v98, v[103:104]
	v_cvt_f32_f64_e32 v99, v[101:102]
	v_cvt_f32_f64_e32 v100, v[105:106]
	v_min3_f32 v95, v107, v95, v180
	v_min_f32_e32 v96, v96, v97
	v_cvt_f32_f64_e32 v93, v[93:94]
	v_min3_f32 v92, v92, v96, v95
	v_add_co_u32 v96, vcc_lo, v88, v128
	v_add_co_ci_u32_e64 v97, null, v89, v129, vcc_lo
	v_cvt_f64_f32_e32 v[94:95], v92
	v_min3_f32 v92, v98, v99, v181
	s_mov_b32 vcc_lo, s0
	v_min3_f32 v92, v100, v93, v92
	v_max_f32_e32 v93, v92, v92
	global_store_dwordx2 v[96:97], v[94:95], off
	s_cbranch_vccz .LBB158_121
; %bb.120:
	v_min_f32_e32 v92, 0, v93
	v_add_co_u32 v96, vcc_lo, v88, v136
	v_add_co_ci_u32_e64 v97, null, v89, v137, vcc_lo
	v_cvt_f64_f32_e32 v[94:95], v92
	s_mov_b32 s7, 0
	global_store_dwordx2 v[96:97], v[94:95], off
.LBB158_121:
	v_mov_b32_e32 v92, 0
	s_andn2_b32 vcc_lo, exec_lo, s7
	s_cbranch_vccnz .LBB158_123
; %bb.122:
	v_add_co_u32 v94, vcc_lo, v90, v136
	v_add_co_ci_u32_e64 v95, null, v91, v137, vcc_lo
	global_load_dwordx2 v[94:95], v[94:95], off
	s_waitcnt vmcnt(0)
	v_mul_f64 v[94:95], s[2:3], v[94:95]
	v_cvt_f32_f64_e32 v92, v[94:95]
	v_add_co_u32 v94, vcc_lo, v88, v136
	v_add_co_ci_u32_e64 v95, null, v89, v137, vcc_lo
	v_add_co_u32 v96, vcc_lo, v90, v132
	v_add_co_ci_u32_e64 v97, null, v91, v133, vcc_lo
	v_min_f32_e32 v92, v92, v93
	v_cvt_f64_f32_e32 v[92:93], v92
	global_store_dwordx2 v[94:95], v[92:93], off
	global_load_dwordx2 v[92:93], v[96:97], off
	s_waitcnt vmcnt(0)
	v_mul_f64 v[92:93], s[2:3], v[92:93]
	v_cvt_f32_f64_e32 v92, v[92:93]
.LBB158_123:
	v_add_f64 v[93:94], v[56:57], v[84:85]
	v_add_f64 v[95:96], v[58:59], v[86:87]
	v_add_f64 v[97:98], v[44:45], v[80:81]
	v_add_f64 v[99:100], v[46:47], v[82:83]
	v_add_f64 v[101:102], v[42:43], v[86:87]
	v_add_f64 v[103:104], v[40:41], v[84:85]
	v_add_f64 v[105:106], v[32:33], v[80:81]
	s_mov_b32 s7, -1
	v_cvt_f32_f64_e32 v107, v[93:94]
	v_cvt_f32_f64_e32 v95, v[95:96]
	v_cvt_f32_f64_e32 v96, v[97:98]
	v_cvt_f32_f64_e32 v97, v[99:100]
	v_add_f64 v[93:94], v[34:35], v[82:83]
	v_cvt_f32_f64_e32 v98, v[103:104]
	v_cvt_f32_f64_e32 v99, v[101:102]
	v_cvt_f32_f64_e32 v100, v[105:106]
	v_min3_f32 v95, v107, v95, v178
	v_min_f32_e32 v96, v96, v97
	v_cvt_f32_f64_e32 v93, v[93:94]
	v_min3_f32 v92, v92, v96, v95
	v_add_co_u32 v96, vcc_lo, v88, v132
	v_add_co_ci_u32_e64 v97, null, v89, v133, vcc_lo
	v_cvt_f64_f32_e32 v[94:95], v92
	v_min3_f32 v92, v98, v99, v179
	s_mov_b32 vcc_lo, s0
	v_min3_f32 v92, v100, v93, v92
	v_max_f32_e32 v93, v92, v92
	;; [unrolled: 59-line block ×3, first 2 shown]
	global_store_dwordx2 v[96:97], v[94:95], off
	s_cbranch_vccz .LBB158_129
; %bb.128:
	v_min_f32_e32 v92, 0, v93
	v_add_co_u32 v96, vcc_lo, v88, v142
	v_add_co_ci_u32_e64 v97, null, v89, v143, vcc_lo
	v_cvt_f64_f32_e32 v[94:95], v92
	s_mov_b32 s7, 0
	global_store_dwordx2 v[96:97], v[94:95], off
.LBB158_129:
	v_mov_b32_e32 v92, 0
	s_andn2_b32 vcc_lo, exec_lo, s7
	s_cbranch_vccnz .LBB158_131
; %bb.130:
	v_add_co_u32 v94, vcc_lo, v90, v142
	v_add_co_ci_u32_e64 v95, null, v91, v143, vcc_lo
	global_load_dwordx2 v[94:95], v[94:95], off
	s_waitcnt vmcnt(0)
	v_mul_f64 v[94:95], s[2:3], v[94:95]
	v_cvt_f32_f64_e32 v92, v[94:95]
	v_add_co_u32 v94, vcc_lo, v88, v142
	v_add_co_ci_u32_e64 v95, null, v89, v143, vcc_lo
	v_add_co_u32 v90, vcc_lo, v90, v138
	v_add_co_ci_u32_e64 v91, null, v91, v139, vcc_lo
	v_min_f32_e32 v92, v92, v93
	v_cvt_f64_f32_e32 v[92:93], v92
	global_store_dwordx2 v[94:95], v[92:93], off
	global_load_dwordx2 v[90:91], v[90:91], off
	s_waitcnt vmcnt(0)
	v_mul_f64 v[90:91], s[2:3], v[90:91]
	v_cvt_f32_f64_e32 v92, v[90:91]
.LBB158_131:
	v_add_f64 v[84:85], v[0:1], v[84:85]
	v_add_f64 v[86:87], v[2:3], v[86:87]
	;; [unrolled: 1-line block ×4, first 2 shown]
	s_waitcnt lgkmcnt(3)
	v_add_f64 v[90:91], v[70:71], v[78:79]
	v_add_f64 v[93:94], v[68:69], v[76:77]
	v_add_co_u32 v88, vcc_lo, v88, v138
	v_add_co_ci_u32_e64 v89, null, v89, v139, vcc_lo
	s_mov_b32 s7, -1
	v_cvt_f32_f64_e32 v84, v[84:85]
	v_cvt_f32_f64_e32 v85, v[86:87]
	;; [unrolled: 1-line block ×4, first 2 shown]
	s_waitcnt lgkmcnt(2)
	v_add_f64 v[80:81], v[64:65], v[72:73]
	v_add_f64 v[82:83], v[66:67], v[74:75]
	v_cvt_f32_f64_e32 v93, v[93:94]
	v_cvt_f32_f64_e32 v90, v[90:91]
	v_add_nc_u32_e32 v91, 48, v144
	v_min3_f32 v84, v84, v85, v170
	v_min_f32_e32 v85, v86, v87
	v_cvt_f32_f64_e32 v94, v[80:81]
	v_cvt_f32_f64_e32 v95, v[82:83]
	v_mad_i64_i32 v[80:81], null, v91, s6, 0
	v_min3_f32 v82, v92, v85, v84
	v_min3_f32 v84, v93, v90, v171
	v_cvt_f64_f32_e32 v[86:87], v82
	v_mad_i64_i32 v[82:83], null, v91, s1, 0
	v_lshlrev_b64 v[80:81], 3, v[80:81]
	v_add_co_u32 v80, vcc_lo, s4, v80
	v_lshlrev_b64 v[82:83], 3, v[82:83]
	v_add_co_ci_u32_e64 v81, null, s5, v81, vcc_lo
	v_min3_f32 v84, v94, v95, v84
	v_add_co_u32 v82, vcc_lo, s14, v82
	v_add_co_ci_u32_e64 v83, null, s15, v83, vcc_lo
	v_max_f32_e32 v85, v84, v84
	s_mov_b32 vcc_lo, s0
	global_store_dwordx2 v[88:89], v[86:87], off
	s_cbranch_vccz .LBB158_133
; %bb.132:
	v_min_f32_e32 v84, 0, v85
	v_add_co_u32 v88, vcc_lo, v80, v130
	v_add_co_ci_u32_e64 v89, null, v81, v131, vcc_lo
	v_cvt_f64_f32_e32 v[86:87], v84
	s_mov_b32 s7, 0
	global_store_dwordx2 v[88:89], v[86:87], off
.LBB158_133:
	v_mov_b32_e32 v84, 0
	s_andn2_b32 vcc_lo, exec_lo, s7
	s_cbranch_vccnz .LBB158_135
; %bb.134:
	v_add_co_u32 v86, vcc_lo, v82, v130
	v_add_co_ci_u32_e64 v87, null, v83, v131, vcc_lo
	global_load_dwordx2 v[86:87], v[86:87], off
	s_waitcnt vmcnt(0)
	v_mul_f64 v[86:87], s[2:3], v[86:87]
	v_cvt_f32_f64_e32 v84, v[86:87]
	v_add_co_u32 v86, vcc_lo, v80, v130
	v_add_co_ci_u32_e64 v87, null, v81, v131, vcc_lo
	v_add_co_u32 v88, vcc_lo, v82, v128
	v_add_co_ci_u32_e64 v89, null, v83, v129, vcc_lo
	v_min_f32_e32 v84, v84, v85
	v_cvt_f64_f32_e32 v[84:85], v84
	global_store_dwordx2 v[86:87], v[84:85], off
	global_load_dwordx2 v[84:85], v[88:89], off
	s_waitcnt vmcnt(0)
	v_mul_f64 v[84:85], s[2:3], v[84:85]
	v_cvt_f32_f64_e32 v84, v[84:85]
.LBB158_135:
	v_add_f64 v[85:86], v[60:61], v[76:77]
	v_add_f64 v[87:88], v[62:63], v[78:79]
	v_add_f64 v[89:90], v[52:53], v[72:73]
	v_add_f64 v[91:92], v[54:55], v[74:75]
	v_add_f64 v[93:94], v[50:51], v[78:79]
	v_add_f64 v[95:96], v[48:49], v[76:77]
	v_add_f64 v[97:98], v[36:37], v[72:73]
	s_mov_b32 s7, -1
	v_cvt_f32_f64_e32 v99, v[85:86]
	v_cvt_f32_f64_e32 v87, v[87:88]
	v_cvt_f32_f64_e32 v88, v[89:90]
	v_cvt_f32_f64_e32 v89, v[91:92]
	v_add_f64 v[85:86], v[38:39], v[74:75]
	v_cvt_f32_f64_e32 v90, v[95:96]
	v_cvt_f32_f64_e32 v91, v[93:94]
	v_cvt_f32_f64_e32 v92, v[97:98]
	v_min3_f32 v87, v99, v87, v162
	v_min_f32_e32 v88, v88, v89
	v_cvt_f32_f64_e32 v85, v[85:86]
	v_min3_f32 v84, v84, v88, v87
	v_add_co_u32 v88, vcc_lo, v80, v128
	v_add_co_ci_u32_e64 v89, null, v81, v129, vcc_lo
	v_cvt_f64_f32_e32 v[86:87], v84
	v_min3_f32 v84, v90, v91, v163
	s_mov_b32 vcc_lo, s0
	v_min3_f32 v84, v92, v85, v84
	v_max_f32_e32 v85, v84, v84
	global_store_dwordx2 v[88:89], v[86:87], off
	s_cbranch_vccz .LBB158_137
; %bb.136:
	v_min_f32_e32 v84, 0, v85
	v_add_co_u32 v88, vcc_lo, v80, v136
	v_add_co_ci_u32_e64 v89, null, v81, v137, vcc_lo
	v_cvt_f64_f32_e32 v[86:87], v84
	s_mov_b32 s7, 0
	global_store_dwordx2 v[88:89], v[86:87], off
.LBB158_137:
	v_mov_b32_e32 v84, 0
	s_andn2_b32 vcc_lo, exec_lo, s7
	s_cbranch_vccnz .LBB158_139
; %bb.138:
	v_add_co_u32 v86, vcc_lo, v82, v136
	v_add_co_ci_u32_e64 v87, null, v83, v137, vcc_lo
	global_load_dwordx2 v[86:87], v[86:87], off
	s_waitcnt vmcnt(0)
	v_mul_f64 v[86:87], s[2:3], v[86:87]
	v_cvt_f32_f64_e32 v84, v[86:87]
	v_add_co_u32 v86, vcc_lo, v80, v136
	v_add_co_ci_u32_e64 v87, null, v81, v137, vcc_lo
	v_add_co_u32 v88, vcc_lo, v82, v132
	v_add_co_ci_u32_e64 v89, null, v83, v133, vcc_lo
	v_min_f32_e32 v84, v84, v85
	v_cvt_f64_f32_e32 v[84:85], v84
	global_store_dwordx2 v[86:87], v[84:85], off
	global_load_dwordx2 v[84:85], v[88:89], off
	s_waitcnt vmcnt(0)
	v_mul_f64 v[84:85], s[2:3], v[84:85]
	v_cvt_f32_f64_e32 v84, v[84:85]
.LBB158_139:
	v_add_f64 v[85:86], v[56:57], v[76:77]
	v_add_f64 v[87:88], v[58:59], v[78:79]
	v_add_f64 v[89:90], v[44:45], v[72:73]
	v_add_f64 v[91:92], v[46:47], v[74:75]
	v_add_f64 v[93:94], v[42:43], v[78:79]
	v_add_f64 v[95:96], v[40:41], v[76:77]
	v_add_f64 v[97:98], v[32:33], v[72:73]
	s_mov_b32 s7, -1
	v_cvt_f32_f64_e32 v99, v[85:86]
	v_cvt_f32_f64_e32 v87, v[87:88]
	v_cvt_f32_f64_e32 v88, v[89:90]
	v_cvt_f32_f64_e32 v89, v[91:92]
	v_add_f64 v[85:86], v[34:35], v[74:75]
	v_cvt_f32_f64_e32 v90, v[95:96]
	v_cvt_f32_f64_e32 v91, v[93:94]
	v_cvt_f32_f64_e32 v92, v[97:98]
	v_min3_f32 v87, v99, v87, v160
	v_min_f32_e32 v88, v88, v89
	v_cvt_f32_f64_e32 v85, v[85:86]
	v_min3_f32 v84, v84, v88, v87
	v_add_co_u32 v88, vcc_lo, v80, v132
	v_add_co_ci_u32_e64 v89, null, v81, v133, vcc_lo
	v_cvt_f64_f32_e32 v[86:87], v84
	v_min3_f32 v84, v90, v91, v161
	s_mov_b32 vcc_lo, s0
	v_min3_f32 v84, v92, v85, v84
	v_max_f32_e32 v85, v84, v84
	;; [unrolled: 59-line block ×3, first 2 shown]
	global_store_dwordx2 v[88:89], v[86:87], off
	s_cbranch_vccz .LBB158_145
; %bb.144:
	v_min_f32_e32 v84, 0, v85
	v_add_co_u32 v88, vcc_lo, v80, v142
	v_add_co_ci_u32_e64 v89, null, v81, v143, vcc_lo
	v_cvt_f64_f32_e32 v[86:87], v84
	s_mov_b32 s7, 0
	global_store_dwordx2 v[88:89], v[86:87], off
.LBB158_145:
	v_mov_b32_e32 v84, 0
	s_andn2_b32 vcc_lo, exec_lo, s7
	s_cbranch_vccnz .LBB158_147
; %bb.146:
	v_add_co_u32 v86, vcc_lo, v82, v142
	v_add_co_ci_u32_e64 v87, null, v83, v143, vcc_lo
	global_load_dwordx2 v[86:87], v[86:87], off
	s_waitcnt vmcnt(0)
	v_mul_f64 v[86:87], s[2:3], v[86:87]
	v_cvt_f32_f64_e32 v84, v[86:87]
	v_add_co_u32 v86, vcc_lo, v80, v142
	v_add_co_ci_u32_e64 v87, null, v81, v143, vcc_lo
	v_add_co_u32 v82, vcc_lo, v82, v138
	v_add_co_ci_u32_e64 v83, null, v83, v139, vcc_lo
	v_min_f32_e32 v84, v84, v85
	v_cvt_f64_f32_e32 v[84:85], v84
	global_store_dwordx2 v[86:87], v[84:85], off
	global_load_dwordx2 v[82:83], v[82:83], off
	s_waitcnt vmcnt(0)
	v_mul_f64 v[82:83], s[2:3], v[82:83]
	v_cvt_f32_f64_e32 v84, v[82:83]
.LBB158_147:
	v_add_f64 v[76:77], v[0:1], v[76:77]
	v_add_f64 v[78:79], v[2:3], v[78:79]
	;; [unrolled: 1-line block ×4, first 2 shown]
	s_waitcnt lgkmcnt(1)
	v_add_f64 v[70:71], v[70:71], v[10:11]
	v_add_f64 v[68:69], v[68:69], v[8:9]
	s_waitcnt lgkmcnt(0)
	v_add_f64 v[64:65], v[64:65], v[12:13]
	v_add_f64 v[66:67], v[66:67], v[14:15]
	v_cvt_f32_f64_e32 v76, v[76:77]
	v_cvt_f32_f64_e32 v77, v[78:79]
	;; [unrolled: 1-line block ×8, first 2 shown]
	v_min3_f32 v70, v76, v77, v157
	v_min_f32_e32 v71, v72, v73
	v_add_nc_u32_e32 v72, 56, v144
	v_min3_f32 v68, v68, v69, v156
	v_min3_f32 v66, v84, v71, v70
	v_mad_i64_i32 v[64:65], null, v72, s6, 0
	v_min3_f32 v68, v74, v75, v68
	v_cvt_f64_f32_e32 v[70:71], v66
	v_mad_i64_i32 v[66:67], null, v72, s1, 0
	v_add_co_u32 v72, vcc_lo, v80, v138
	v_lshlrev_b64 v[64:65], 3, v[64:65]
	v_add_co_ci_u32_e64 v73, null, v81, v139, vcc_lo
	v_max_f32_e32 v69, v68, v68
	v_lshlrev_b64 v[66:67], 3, v[66:67]
	s_mov_b32 s1, -1
	v_add_co_u32 v64, vcc_lo, s4, v64
	v_add_co_ci_u32_e64 v65, null, s5, v65, vcc_lo
	v_add_co_u32 v66, vcc_lo, s14, v66
	v_add_co_ci_u32_e64 v67, null, s15, v67, vcc_lo
	s_mov_b32 vcc_lo, s0
	global_store_dwordx2 v[72:73], v[70:71], off
	s_cbranch_vccz .LBB158_149
; %bb.148:
	v_min_f32_e32 v68, 0, v69
	v_add_co_u32 v72, vcc_lo, v64, v130
	v_add_co_ci_u32_e64 v73, null, v65, v131, vcc_lo
	v_cvt_f64_f32_e32 v[70:71], v68
	s_mov_b32 s1, 0
	global_store_dwordx2 v[72:73], v[70:71], off
.LBB158_149:
	v_mov_b32_e32 v68, 0
	s_andn2_b32 vcc_lo, exec_lo, s1
	s_cbranch_vccnz .LBB158_151
; %bb.150:
	v_add_co_u32 v70, vcc_lo, v66, v130
	v_add_co_ci_u32_e64 v71, null, v67, v131, vcc_lo
	global_load_dwordx2 v[70:71], v[70:71], off
	s_waitcnt vmcnt(0)
	v_mul_f64 v[70:71], s[2:3], v[70:71]
	v_cvt_f32_f64_e32 v68, v[70:71]
	v_add_co_u32 v70, vcc_lo, v64, v130
	v_add_co_ci_u32_e64 v71, null, v65, v131, vcc_lo
	v_add_co_u32 v72, vcc_lo, v66, v128
	v_add_co_ci_u32_e64 v73, null, v67, v129, vcc_lo
	v_min_f32_e32 v68, v68, v69
	v_cvt_f64_f32_e32 v[68:69], v68
	global_store_dwordx2 v[70:71], v[68:69], off
	global_load_dwordx2 v[68:69], v[72:73], off
	s_waitcnt vmcnt(0)
	v_mul_f64 v[68:69], s[2:3], v[68:69]
	v_cvt_f32_f64_e32 v68, v[68:69]
.LBB158_151:
	v_add_f64 v[60:61], v[60:61], v[8:9]
	v_add_f64 v[62:63], v[62:63], v[10:11]
	;; [unrolled: 1-line block ×8, first 2 shown]
	s_mov_b32 s1, -1
	v_cvt_f32_f64_e32 v60, v[60:61]
	v_cvt_f32_f64_e32 v61, v[62:63]
	;; [unrolled: 1-line block ×8, first 2 shown]
	v_min3_f32 v37, v60, v61, v155
	v_min_f32_e32 v50, v52, v53
	v_min3_f32 v37, v68, v50, v37
	v_cvt_f64_f32_e32 v[38:39], v37
	v_min3_f32 v37, v48, v49, v154
	v_add_co_u32 v48, vcc_lo, v64, v128
	v_add_co_ci_u32_e64 v49, null, v65, v129, vcc_lo
	v_min3_f32 v36, v36, v51, v37
	s_mov_b32 vcc_lo, s0
	v_max_f32_e32 v37, v36, v36
	global_store_dwordx2 v[48:49], v[38:39], off
	s_cbranch_vccz .LBB158_153
; %bb.152:
	v_min_f32_e32 v36, 0, v37
	v_add_co_u32 v48, vcc_lo, v64, v136
	v_add_co_ci_u32_e64 v49, null, v65, v137, vcc_lo
	v_cvt_f64_f32_e32 v[38:39], v36
	s_mov_b32 s1, 0
	global_store_dwordx2 v[48:49], v[38:39], off
.LBB158_153:
	v_mov_b32_e32 v36, 0
	s_andn2_b32 vcc_lo, exec_lo, s1
	s_cbranch_vccnz .LBB158_155
; %bb.154:
	v_add_co_u32 v38, vcc_lo, v66, v136
	v_add_co_ci_u32_e64 v39, null, v67, v137, vcc_lo
	global_load_dwordx2 v[38:39], v[38:39], off
	s_waitcnt vmcnt(0)
	v_mul_f64 v[38:39], s[2:3], v[38:39]
	v_cvt_f32_f64_e32 v36, v[38:39]
	v_add_co_u32 v38, vcc_lo, v64, v136
	v_add_co_ci_u32_e64 v39, null, v65, v137, vcc_lo
	v_add_co_u32 v48, vcc_lo, v66, v132
	v_add_co_ci_u32_e64 v49, null, v67, v133, vcc_lo
	v_min_f32_e32 v36, v36, v37
	v_cvt_f64_f32_e32 v[36:37], v36
	global_store_dwordx2 v[38:39], v[36:37], off
	global_load_dwordx2 v[36:37], v[48:49], off
	s_waitcnt vmcnt(0)
	v_mul_f64 v[36:37], s[2:3], v[36:37]
	v_cvt_f32_f64_e32 v36, v[36:37]
.LBB158_155:
	v_add_f64 v[37:38], v[56:57], v[8:9]
	v_add_f64 v[48:49], v[58:59], v[10:11]
	;; [unrolled: 1-line block ×8, first 2 shown]
	s_mov_b32 s1, -1
	v_cvt_f32_f64_e32 v37, v[37:38]
	v_cvt_f32_f64_e32 v38, v[48:49]
	;; [unrolled: 1-line block ×7, first 2 shown]
	v_min3_f32 v33, v37, v38, v152
	v_cvt_f32_f64_e32 v38, v[34:35]
	v_min_f32_e32 v37, v41, v44
	v_min3_f32 v33, v36, v37, v33
	v_add_co_u32 v36, vcc_lo, v64, v132
	v_add_co_ci_u32_e64 v37, null, v65, v133, vcc_lo
	v_cvt_f64_f32_e32 v[34:35], v33
	v_min3_f32 v33, v39, v40, v153
	s_mov_b32 vcc_lo, s0
	v_min3_f32 v32, v32, v38, v33
	v_max_f32_e32 v33, v32, v32
	global_store_dwordx2 v[36:37], v[34:35], off
	s_cbranch_vccz .LBB158_157
; %bb.156:
	v_min_f32_e32 v32, 0, v33
	v_add_co_u32 v36, vcc_lo, v64, v140
	v_add_co_ci_u32_e64 v37, null, v65, v141, vcc_lo
	v_cvt_f64_f32_e32 v[34:35], v32
	s_mov_b32 s1, 0
	global_store_dwordx2 v[36:37], v[34:35], off
.LBB158_157:
	v_mov_b32_e32 v32, 0
	s_andn2_b32 vcc_lo, exec_lo, s1
	s_cbranch_vccnz .LBB158_159
; %bb.158:
	v_add_co_u32 v34, vcc_lo, v66, v140
	v_add_co_ci_u32_e64 v35, null, v67, v141, vcc_lo
	global_load_dwordx2 v[34:35], v[34:35], off
	s_waitcnt vmcnt(0)
	v_mul_f64 v[34:35], s[2:3], v[34:35]
	v_cvt_f32_f64_e32 v32, v[34:35]
	v_add_co_u32 v34, vcc_lo, v64, v140
	v_add_co_ci_u32_e64 v35, null, v65, v141, vcc_lo
	v_add_co_u32 v36, vcc_lo, v66, v134
	v_add_co_ci_u32_e64 v37, null, v67, v135, vcc_lo
	v_min_f32_e32 v32, v32, v33
	v_cvt_f64_f32_e32 v[32:33], v32
	global_store_dwordx2 v[34:35], v[32:33], off
	global_load_dwordx2 v[32:33], v[36:37], off
	s_waitcnt vmcnt(0)
	v_mul_f64 v[32:33], s[2:3], v[32:33]
	v_cvt_f32_f64_e32 v32, v[32:33]
.LBB158_159:
	v_add_f64 v[28:29], v[28:29], v[8:9]
	v_add_f64 v[30:31], v[30:31], v[10:11]
	;; [unrolled: 1-line block ×8, first 2 shown]
	s_mov_b32 s1, -1
	v_cvt_f32_f64_e32 v28, v[28:29]
	v_cvt_f32_f64_e32 v29, v[30:31]
	;; [unrolled: 1-line block ×8, first 2 shown]
	v_min3_f32 v17, v28, v29, v150
	v_min_f32_e32 v22, v24, v25
	v_min3_f32 v17, v32, v22, v17
	v_cvt_f64_f32_e32 v[18:19], v17
	v_min3_f32 v17, v20, v21, v151
	v_add_co_u32 v20, vcc_lo, v64, v134
	v_add_co_ci_u32_e64 v21, null, v65, v135, vcc_lo
	v_min3_f32 v16, v16, v23, v17
	s_mov_b32 vcc_lo, s0
	v_max_f32_e32 v17, v16, v16
	global_store_dwordx2 v[20:21], v[18:19], off
	s_cbranch_vccz .LBB158_161
; %bb.160:
	v_min_f32_e32 v16, 0, v17
	v_add_co_u32 v20, vcc_lo, v64, v142
	v_add_co_ci_u32_e64 v21, null, v65, v143, vcc_lo
	v_cvt_f64_f32_e32 v[18:19], v16
	s_mov_b32 s1, 0
	global_store_dwordx2 v[20:21], v[18:19], off
.LBB158_161:
	v_mov_b32_e32 v16, 0
	s_andn2_b32 vcc_lo, exec_lo, s1
	s_cbranch_vccnz .LBB158_163
; %bb.162:
	v_add_co_u32 v18, vcc_lo, v66, v142
	v_add_co_ci_u32_e64 v19, null, v67, v143, vcc_lo
	global_load_dwordx2 v[18:19], v[18:19], off
	s_waitcnt vmcnt(0)
	v_mul_f64 v[18:19], s[2:3], v[18:19]
	v_cvt_f32_f64_e32 v16, v[18:19]
	v_add_co_u32 v18, vcc_lo, v64, v142
	v_add_co_ci_u32_e64 v19, null, v65, v143, vcc_lo
	v_add_co_u32 v20, vcc_lo, v66, v138
	v_add_co_ci_u32_e64 v21, null, v67, v139, vcc_lo
	v_min_f32_e32 v16, v16, v17
	v_cvt_f64_f32_e32 v[16:17], v16
	global_store_dwordx2 v[18:19], v[16:17], off
	global_load_dwordx2 v[16:17], v[20:21], off
	s_waitcnt vmcnt(0)
	v_mul_f64 v[16:17], s[2:3], v[16:17]
	v_cvt_f32_f64_e32 v16, v[16:17]
.LBB158_163:
	v_add_f64 v[4:5], v[4:5], v[12:13]
	v_add_f64 v[6:7], v[6:7], v[14:15]
	;; [unrolled: 1-line block ×4, first 2 shown]
	v_cvt_f32_f64_e32 v4, v[4:5]
	v_cvt_f32_f64_e32 v5, v[6:7]
	v_cvt_f32_f64_e32 v0, v[0:1]
	v_cvt_f32_f64_e32 v1, v[2:3]
	v_min_f32_e32 v2, v4, v5
	v_min3_f32 v0, v0, v1, v149
	v_min3_f32 v0, v16, v2, v0
	v_add_co_u32 v2, vcc_lo, v64, v138
	v_add_co_ci_u32_e64 v3, null, v65, v139, vcc_lo
	v_cvt_f64_f32_e32 v[0:1], v0
	global_store_dwordx2 v[2:3], v[0:1], off
	s_endpgm
	.section	.rodata,"a",@progbits
	.p2align	6, 0x0
	.amdhsa_kernel _ZN12_GLOBAL__N_120geam_min_plus_kernelId15HIP_vector_typeIdLj2EEdLi32ELi8ELi256ELi64ELi4ELi64ELi4ELi4ELi64ELc78ELc78ELb0ELb0ELb1EdKddEEviiiT16_PT17_ilS6_ilS4_S6_ilPT18_ili26rocblas_geam_ex_operation_
		.amdhsa_group_segment_fixed_size 20480
		.amdhsa_private_segment_fixed_size 0
		.amdhsa_kernarg_size 136
		.amdhsa_user_sgpr_count 6
		.amdhsa_user_sgpr_private_segment_buffer 1
		.amdhsa_user_sgpr_dispatch_ptr 0
		.amdhsa_user_sgpr_queue_ptr 0
		.amdhsa_user_sgpr_kernarg_segment_ptr 1
		.amdhsa_user_sgpr_dispatch_id 0
		.amdhsa_user_sgpr_flat_scratch_init 0
		.amdhsa_user_sgpr_private_segment_size 0
		.amdhsa_wavefront_size32 1
		.amdhsa_uses_dynamic_stack 0
		.amdhsa_system_sgpr_private_segment_wavefront_offset 0
		.amdhsa_system_sgpr_workgroup_id_x 1
		.amdhsa_system_sgpr_workgroup_id_y 0
		.amdhsa_system_sgpr_workgroup_id_z 1
		.amdhsa_system_sgpr_workgroup_info 0
		.amdhsa_system_vgpr_workitem_id 1
		.amdhsa_next_free_vgpr 227
		.amdhsa_next_free_sgpr 25
		.amdhsa_reserve_vcc 1
		.amdhsa_reserve_flat_scratch 0
		.amdhsa_float_round_mode_32 0
		.amdhsa_float_round_mode_16_64 0
		.amdhsa_float_denorm_mode_32 3
		.amdhsa_float_denorm_mode_16_64 3
		.amdhsa_dx10_clamp 1
		.amdhsa_ieee_mode 1
		.amdhsa_fp16_overflow 0
		.amdhsa_workgroup_processor_mode 1
		.amdhsa_memory_ordered 1
		.amdhsa_forward_progress 1
		.amdhsa_shared_vgpr_count 0
		.amdhsa_exception_fp_ieee_invalid_op 0
		.amdhsa_exception_fp_denorm_src 0
		.amdhsa_exception_fp_ieee_div_zero 0
		.amdhsa_exception_fp_ieee_overflow 0
		.amdhsa_exception_fp_ieee_underflow 0
		.amdhsa_exception_fp_ieee_inexact 0
		.amdhsa_exception_int_div_zero 0
	.end_amdhsa_kernel
	.section	.text._ZN12_GLOBAL__N_120geam_min_plus_kernelId15HIP_vector_typeIdLj2EEdLi32ELi8ELi256ELi64ELi4ELi64ELi4ELi4ELi64ELc78ELc78ELb0ELb0ELb1EdKddEEviiiT16_PT17_ilS6_ilS4_S6_ilPT18_ili26rocblas_geam_ex_operation_,"axG",@progbits,_ZN12_GLOBAL__N_120geam_min_plus_kernelId15HIP_vector_typeIdLj2EEdLi32ELi8ELi256ELi64ELi4ELi64ELi4ELi4ELi64ELc78ELc78ELb0ELb0ELb1EdKddEEviiiT16_PT17_ilS6_ilS4_S6_ilPT18_ili26rocblas_geam_ex_operation_,comdat
.Lfunc_end158:
	.size	_ZN12_GLOBAL__N_120geam_min_plus_kernelId15HIP_vector_typeIdLj2EEdLi32ELi8ELi256ELi64ELi4ELi64ELi4ELi4ELi64ELc78ELc78ELb0ELb0ELb1EdKddEEviiiT16_PT17_ilS6_ilS4_S6_ilPT18_ili26rocblas_geam_ex_operation_, .Lfunc_end158-_ZN12_GLOBAL__N_120geam_min_plus_kernelId15HIP_vector_typeIdLj2EEdLi32ELi8ELi256ELi64ELi4ELi64ELi4ELi4ELi64ELc78ELc78ELb0ELb0ELb1EdKddEEviiiT16_PT17_ilS6_ilS4_S6_ilPT18_ili26rocblas_geam_ex_operation_
                                        ; -- End function
	.set _ZN12_GLOBAL__N_120geam_min_plus_kernelId15HIP_vector_typeIdLj2EEdLi32ELi8ELi256ELi64ELi4ELi64ELi4ELi4ELi64ELc78ELc78ELb0ELb0ELb1EdKddEEviiiT16_PT17_ilS6_ilS4_S6_ilPT18_ili26rocblas_geam_ex_operation_.num_vgpr, 227
	.set _ZN12_GLOBAL__N_120geam_min_plus_kernelId15HIP_vector_typeIdLj2EEdLi32ELi8ELi256ELi64ELi4ELi64ELi4ELi4ELi64ELc78ELc78ELb0ELb0ELb1EdKddEEviiiT16_PT17_ilS6_ilS4_S6_ilPT18_ili26rocblas_geam_ex_operation_.num_agpr, 0
	.set _ZN12_GLOBAL__N_120geam_min_plus_kernelId15HIP_vector_typeIdLj2EEdLi32ELi8ELi256ELi64ELi4ELi64ELi4ELi4ELi64ELc78ELc78ELb0ELb0ELb1EdKddEEviiiT16_PT17_ilS6_ilS4_S6_ilPT18_ili26rocblas_geam_ex_operation_.numbered_sgpr, 25
	.set _ZN12_GLOBAL__N_120geam_min_plus_kernelId15HIP_vector_typeIdLj2EEdLi32ELi8ELi256ELi64ELi4ELi64ELi4ELi4ELi64ELc78ELc78ELb0ELb0ELb1EdKddEEviiiT16_PT17_ilS6_ilS4_S6_ilPT18_ili26rocblas_geam_ex_operation_.num_named_barrier, 0
	.set _ZN12_GLOBAL__N_120geam_min_plus_kernelId15HIP_vector_typeIdLj2EEdLi32ELi8ELi256ELi64ELi4ELi64ELi4ELi4ELi64ELc78ELc78ELb0ELb0ELb1EdKddEEviiiT16_PT17_ilS6_ilS4_S6_ilPT18_ili26rocblas_geam_ex_operation_.private_seg_size, 0
	.set _ZN12_GLOBAL__N_120geam_min_plus_kernelId15HIP_vector_typeIdLj2EEdLi32ELi8ELi256ELi64ELi4ELi64ELi4ELi4ELi64ELc78ELc78ELb0ELb0ELb1EdKddEEviiiT16_PT17_ilS6_ilS4_S6_ilPT18_ili26rocblas_geam_ex_operation_.uses_vcc, 1
	.set _ZN12_GLOBAL__N_120geam_min_plus_kernelId15HIP_vector_typeIdLj2EEdLi32ELi8ELi256ELi64ELi4ELi64ELi4ELi4ELi64ELc78ELc78ELb0ELb0ELb1EdKddEEviiiT16_PT17_ilS6_ilS4_S6_ilPT18_ili26rocblas_geam_ex_operation_.uses_flat_scratch, 0
	.set _ZN12_GLOBAL__N_120geam_min_plus_kernelId15HIP_vector_typeIdLj2EEdLi32ELi8ELi256ELi64ELi4ELi64ELi4ELi4ELi64ELc78ELc78ELb0ELb0ELb1EdKddEEviiiT16_PT17_ilS6_ilS4_S6_ilPT18_ili26rocblas_geam_ex_operation_.has_dyn_sized_stack, 0
	.set _ZN12_GLOBAL__N_120geam_min_plus_kernelId15HIP_vector_typeIdLj2EEdLi32ELi8ELi256ELi64ELi4ELi64ELi4ELi4ELi64ELc78ELc78ELb0ELb0ELb1EdKddEEviiiT16_PT17_ilS6_ilS4_S6_ilPT18_ili26rocblas_geam_ex_operation_.has_recursion, 0
	.set _ZN12_GLOBAL__N_120geam_min_plus_kernelId15HIP_vector_typeIdLj2EEdLi32ELi8ELi256ELi64ELi4ELi64ELi4ELi4ELi64ELc78ELc78ELb0ELb0ELb1EdKddEEviiiT16_PT17_ilS6_ilS4_S6_ilPT18_ili26rocblas_geam_ex_operation_.has_indirect_call, 0
	.section	.AMDGPU.csdata,"",@progbits
; Kernel info:
; codeLenInByte = 27172
; TotalNumSgprs: 27
; NumVgprs: 227
; ScratchSize: 0
; MemoryBound: 1
; FloatMode: 240
; IeeeMode: 1
; LDSByteSize: 20480 bytes/workgroup (compile time only)
; SGPRBlocks: 0
; VGPRBlocks: 28
; NumSGPRsForWavesPerEU: 27
; NumVGPRsForWavesPerEU: 227
; Occupancy: 4
; WaveLimiterHint : 1
; COMPUTE_PGM_RSRC2:SCRATCH_EN: 0
; COMPUTE_PGM_RSRC2:USER_SGPR: 6
; COMPUTE_PGM_RSRC2:TRAP_HANDLER: 0
; COMPUTE_PGM_RSRC2:TGID_X_EN: 1
; COMPUTE_PGM_RSRC2:TGID_Y_EN: 0
; COMPUTE_PGM_RSRC2:TGID_Z_EN: 1
; COMPUTE_PGM_RSRC2:TIDIG_COMP_CNT: 1
	.section	.text._ZN12_GLOBAL__N_120geam_min_plus_kernelId15HIP_vector_typeIdLj2EEdLi32ELi8ELi256ELi64ELi4ELi64ELi4ELi4ELi64ELc78ELc78ELb0ELb1ELb1EPKdS3_dEEviiiT16_PT17_ilS7_ilS5_S7_ilPT18_ili26rocblas_geam_ex_operation_,"axG",@progbits,_ZN12_GLOBAL__N_120geam_min_plus_kernelId15HIP_vector_typeIdLj2EEdLi32ELi8ELi256ELi64ELi4ELi64ELi4ELi4ELi64ELc78ELc78ELb0ELb1ELb1EPKdS3_dEEviiiT16_PT17_ilS7_ilS5_S7_ilPT18_ili26rocblas_geam_ex_operation_,comdat
	.globl	_ZN12_GLOBAL__N_120geam_min_plus_kernelId15HIP_vector_typeIdLj2EEdLi32ELi8ELi256ELi64ELi4ELi64ELi4ELi4ELi64ELc78ELc78ELb0ELb1ELb1EPKdS3_dEEviiiT16_PT17_ilS7_ilS5_S7_ilPT18_ili26rocblas_geam_ex_operation_ ; -- Begin function _ZN12_GLOBAL__N_120geam_min_plus_kernelId15HIP_vector_typeIdLj2EEdLi32ELi8ELi256ELi64ELi4ELi64ELi4ELi4ELi64ELc78ELc78ELb0ELb1ELb1EPKdS3_dEEviiiT16_PT17_ilS7_ilS5_S7_ilPT18_ili26rocblas_geam_ex_operation_
	.p2align	8
	.type	_ZN12_GLOBAL__N_120geam_min_plus_kernelId15HIP_vector_typeIdLj2EEdLi32ELi8ELi256ELi64ELi4ELi64ELi4ELi4ELi64ELc78ELc78ELb0ELb1ELb1EPKdS3_dEEviiiT16_PT17_ilS7_ilS5_S7_ilPT18_ili26rocblas_geam_ex_operation_,@function
_ZN12_GLOBAL__N_120geam_min_plus_kernelId15HIP_vector_typeIdLj2EEdLi32ELi8ELi256ELi64ELi4ELi64ELi4ELi4ELi64ELc78ELc78ELb0ELb1ELb1EPKdS3_dEEviiiT16_PT17_ilS7_ilS5_S7_ilPT18_ili26rocblas_geam_ex_operation_: ; @_ZN12_GLOBAL__N_120geam_min_plus_kernelId15HIP_vector_typeIdLj2EEdLi32ELi8ELi256ELi64ELi4ELi64ELi4ELi4ELi64ELc78ELc78ELb0ELb1ELb1EPKdS3_dEEviiiT16_PT17_ilS7_ilS5_S7_ilPT18_ili26rocblas_geam_ex_operation_
; %bb.0:
	s_clause 0x1
	s_load_dwordx4 s[12:15], s[4:5], 0x10
	s_load_dwordx4 s[0:3], s[4:5], 0x28
	s_mov_b32 s20, s7
	s_mov_b32 s21, 0
	s_mov_b64 s[26:27], 0
	s_lshl_b64 s[16:17], s[20:21], 3
	s_mov_b64 s[24:25], 0
	s_waitcnt lgkmcnt(0)
	s_add_u32 s8, s12, s16
	s_addc_u32 s9, s13, s17
	s_load_dwordx2 s[12:13], s[4:5], 0x50
	s_load_dwordx2 s[22:23], s[8:9], 0x0
	s_load_dwordx4 s[8:11], s[4:5], 0x40
	s_waitcnt lgkmcnt(0)
	v_cmp_eq_f64_e64 s18, s[22:23], 0
	v_cmp_neq_f64_e64 s7, s[22:23], 0
	s_add_u32 s10, s10, s16
	s_addc_u32 s11, s11, s17
	s_and_b32 vcc_lo, exec_lo, s18
	s_cbranch_vccnz .LBB159_2
; %bb.1:
	s_mul_i32 s1, s1, s20
	s_mul_hi_u32 s16, s0, s20
	s_mul_i32 s0, s0, s20
	s_add_i32 s1, s16, s1
	s_lshl_b64 s[0:1], s[0:1], 3
	s_add_u32 s24, s14, s0
	s_addc_u32 s25, s15, s1
.LBB159_2:
	s_load_dwordx2 s[16:17], s[10:11], 0x0
	s_andn2_b32 vcc_lo, exec_lo, s7
	s_cbranch_vccnz .LBB159_4
; %bb.3:
	s_mul_i32 s0, s9, s20
	s_mul_hi_u32 s1, s8, s20
	s_add_i32 s1, s1, s0
	s_mul_i32 s0, s8, s20
	s_lshl_b64 s[0:1], s[0:1], 3
	s_add_u32 s26, s2, s0
	s_addc_u32 s27, s3, s1
.LBB159_4:
	s_waitcnt lgkmcnt(0)
	v_cmp_eq_f64_e64 s0, s[16:17], 0
	v_cmp_neq_f64_e64 s21, s[16:17], 0
	s_load_dwordx4 s[8:11], s[4:5], 0x60
	s_mov_b64 s[18:19], 0
	s_and_b32 vcc_lo, exec_lo, s0
	s_cbranch_vccnz .LBB159_6
; %bb.5:
	s_waitcnt lgkmcnt(0)
	s_mul_i32 s0, s9, s20
	s_mul_hi_u32 s1, s8, s20
	s_add_i32 s1, s1, s0
	s_mul_i32 s0, s8, s20
	s_lshl_b64 s[0:1], s[0:1], 3
	s_add_u32 s18, s12, s0
	s_addc_u32 s19, s13, s1
.LBB159_6:
	s_load_dwordx4 s[12:15], s[4:5], 0x0
	s_waitcnt lgkmcnt(0)
	s_load_dword s15, s[4:5], 0x20
	v_lshl_add_u32 v10, v1, 5, v0
	v_cmp_eq_f64_e64 s29, s[22:23], 0
	v_lshrrev_b32_e32 v144, 6, v10
	v_and_b32_e32 v12, 63, v10
	s_add_i32 s0, s12, -1
	s_ashr_i32 s1, s0, 31
	s_lshr_b32 s1, s1, 24
	s_add_i32 s0, s0, s1
	s_ashr_i32 s0, s0, 8
	s_add_i32 s1, s0, 1
	s_not_b32 s0, s0
	v_cvt_f32_u32_e32 v2, s1
	v_rcp_iflag_f32_e32 v2, v2
	v_mul_f32_e32 v2, 0x4f7ffffe, v2
	v_cvt_u32_f32_e32 v2, v2
	v_readfirstlane_b32 s2, v2
	s_mul_i32 s0, s0, s2
	s_mul_hi_u32 s0, s2, s0
	s_add_i32 s2, s2, s0
	s_mul_hi_u32 s0, s6, s2
	s_mul_i32 s2, s0, s1
	s_add_i32 s3, s0, 1
	s_sub_i32 s2, s6, s2
	s_sub_i32 s7, s2, s1
	s_cmp_ge_u32 s2, s1
	s_cselect_b32 s0, s3, s0
	s_cselect_b32 s2, s7, s2
	s_add_i32 s3, s0, 1
	s_cmp_ge_u32 s2, s1
	s_cselect_b32 s7, s3, s0
	s_add_i32 s28, s14, -1
	s_mul_i32 s0, s7, s1
	v_min_i32_e32 v2, s28, v144
	s_sub_i32 s0, s6, s0
	v_cmp_le_i32_e64 s3, s14, v144
	s_lshl_b32 s8, s0, 8
	s_waitcnt lgkmcnt(0)
	v_mad_i64_i32 v[2:3], null, s15, v2, 0
	v_or_b32_e32 v66, s8, v12
	v_cmp_le_i32_e32 vcc_lo, s12, v66
	v_lshlrev_b64 v[4:5], 3, v[2:3]
	v_ashrrev_i32_e32 v67, 31, v66
	s_or_b32 s1, vcc_lo, s3
	v_add_co_u32 v11, s0, s24, v4
	v_cndmask_b32_e64 v3, 0, 0x7fefffff, s1
	v_cndmask_b32_e64 v2, 0, -1, s1
	v_add_co_ci_u32_e64 v13, null, s25, v5, s0
	s_nor_b32 s0, s29, s1
	s_and_saveexec_b32 s1, s0
	s_cbranch_execz .LBB159_8
; %bb.7:
	v_lshlrev_b64 v[2:3], 3, v[66:67]
	v_add_co_u32 v2, s0, v11, v2
	v_add_co_ci_u32_e64 v3, null, v13, v3, s0
	global_load_dwordx2 v[2:3], v[2:3], off
	s_waitcnt vmcnt(0)
	v_mul_f64 v[2:3], s[22:23], v[2:3]
.LBB159_8:
	s_or_b32 exec_lo, exec_lo, s1
	v_or_b32_e32 v4, 64, v66
	v_cmp_le_i32_e64 s0, s12, v4
	s_or_b32 s1, s0, s3
	v_cndmask_b32_e64 v5, 0, 0x7fefffff, s1
	v_cndmask_b32_e64 v4, 0, -1, s1
	s_nor_b32 s1, s29, s1
	s_and_saveexec_b32 s2, s1
	s_cbranch_execz .LBB159_10
; %bb.9:
	v_lshlrev_b64 v[4:5], 3, v[66:67]
	v_add_co_u32 v4, s1, v11, v4
	v_add_co_ci_u32_e64 v5, null, v13, v5, s1
	global_load_dwordx2 v[4:5], v[4:5], off offset:512
	s_waitcnt vmcnt(0)
	v_mul_f64 v[4:5], s[22:23], v[4:5]
.LBB159_10:
	s_or_b32 exec_lo, exec_lo, s2
	v_or_b32_e32 v6, 0x80, v66
	v_cmp_le_i32_e64 s1, s12, v6
	s_or_b32 s2, s1, s3
	v_cndmask_b32_e64 v7, 0, 0x7fefffff, s2
	v_cndmask_b32_e64 v6, 0, -1, s2
	s_nor_b32 s2, s29, s2
	s_and_saveexec_b32 s6, s2
	s_cbranch_execz .LBB159_12
; %bb.11:
	v_lshlrev_b64 v[6:7], 3, v[66:67]
	v_add_co_u32 v6, s2, v11, v6
	v_add_co_ci_u32_e64 v7, null, v13, v7, s2
	global_load_dwordx2 v[6:7], v[6:7], off offset:1024
	s_waitcnt vmcnt(0)
	v_mul_f64 v[6:7], s[22:23], v[6:7]
.LBB159_12:
	;; [unrolled: 17-line block ×3, first 2 shown]
	s_or_b32 exec_lo, exec_lo, s6
	v_lshrrev_b32_e32 v13, 2, v10
	s_load_dword s30, s[4:5], 0x38
	s_lshl_b32 s9, s7, 6
	v_and_b32_e32 v147, 3, v0
	v_add_nc_u32_e32 v78, s9, v13
	v_cmp_le_i32_e64 s6, s14, v147
	v_cmp_le_i32_e64 s3, s13, v78
	s_or_b32 s6, s6, s3
	v_cndmask_b32_e64 v11, 0, 0x7fefffff, s6
	v_cndmask_b32_e64 v10, 0, -1, s6
	s_nor_b32 s6, s29, s6
	s_and_saveexec_b32 s7, s6
	s_cbranch_execz .LBB159_16
; %bb.15:
	s_waitcnt lgkmcnt(0)
	v_mad_i64_i32 v[10:11], null, v78, s30, 0
	v_min_u32_e32 v14, s28, v147
	v_lshlrev_b32_e32 v14, 3, v14
	v_lshlrev_b64 v[10:11], 3, v[10:11]
	v_add_co_u32 v10, s6, s26, v10
	v_add_co_ci_u32_e64 v11, null, s27, v11, s6
	v_add_co_u32 v10, s6, v10, v14
	v_add_co_ci_u32_e64 v11, null, 0, v11, s6
	global_load_dwordx2 v[10:11], v[10:11], off
	s_waitcnt vmcnt(0)
	v_mul_f64 v[10:11], s[22:23], v[10:11]
.LBB159_16:
	s_or_b32 exec_lo, exec_lo, s7
	v_add_nc_u32_e32 v16, 4, v144
	v_min_i32_e32 v14, s28, v16
	v_cmp_le_i32_e64 s6, s14, v16
	v_mad_i64_i32 v[14:15], null, s15, v14, 0
	s_or_b32 s31, vcc_lo, s6
	v_cndmask_b32_e64 v71, 0, 0x7fefffff, s31
	v_cndmask_b32_e64 v70, 0, -1, s31
	v_lshlrev_b64 v[14:15], 3, v[14:15]
	v_add_co_u32 v14, s7, s24, v14
	v_add_co_ci_u32_e64 v15, null, s25, v15, s7
	s_nor_b32 s7, s29, s31
	s_and_saveexec_b32 s31, s7
	s_cbranch_execz .LBB159_18
; %bb.17:
	v_lshlrev_b64 v[16:17], 3, v[66:67]
	v_add_co_u32 v16, s7, v14, v16
	v_add_co_ci_u32_e64 v17, null, v15, v17, s7
	global_load_dwordx2 v[16:17], v[16:17], off
	s_waitcnt vmcnt(0)
	v_mul_f64 v[70:71], s[22:23], v[16:17]
.LBB159_18:
	s_or_b32 exec_lo, exec_lo, s31
	s_or_b32 s7, s0, s6
	v_cndmask_b32_e64 v73, 0, 0x7fefffff, s7
	v_cndmask_b32_e64 v72, 0, -1, s7
	s_nor_b32 s7, s29, s7
	s_and_saveexec_b32 s31, s7
	s_cbranch_execz .LBB159_20
; %bb.19:
	v_lshlrev_b64 v[16:17], 3, v[66:67]
	v_add_co_u32 v16, s7, v14, v16
	v_add_co_ci_u32_e64 v17, null, v15, v17, s7
	global_load_dwordx2 v[16:17], v[16:17], off offset:512
	s_waitcnt vmcnt(0)
	v_mul_f64 v[72:73], s[22:23], v[16:17]
.LBB159_20:
	s_or_b32 exec_lo, exec_lo, s31
	s_or_b32 s7, s1, s6
	v_cndmask_b32_e64 v75, 0, 0x7fefffff, s7
	v_cndmask_b32_e64 v74, 0, -1, s7
	s_nor_b32 s7, s29, s7
	s_and_saveexec_b32 s31, s7
	s_cbranch_execz .LBB159_22
; %bb.21:
	v_lshlrev_b64 v[16:17], 3, v[66:67]
	v_add_co_u32 v16, s7, v14, v16
	v_add_co_ci_u32_e64 v17, null, v15, v17, s7
	global_load_dwordx2 v[16:17], v[16:17], off offset:1024
	s_waitcnt vmcnt(0)
	v_mul_f64 v[74:75], s[22:23], v[16:17]
.LBB159_22:
	;; [unrolled: 15-line block ×3, first 2 shown]
	s_or_b32 exec_lo, exec_lo, s7
	v_or_b32_e32 v14, 4, v147
	v_cmp_le_i32_e64 s6, s14, v14
	s_or_b32 s6, s6, s3
	v_cndmask_b32_e64 v69, 0, 0x7fefffff, s6
	v_cndmask_b32_e64 v68, 0, -1, s6
	s_nor_b32 s6, s29, s6
	s_and_saveexec_b32 s7, s6
	s_cbranch_execz .LBB159_26
; %bb.25:
	s_waitcnt lgkmcnt(0)
	v_mad_i64_i32 v[15:16], null, v78, s30, 0
	v_min_u32_e32 v17, s28, v14
	v_lshlrev_b64 v[14:15], 3, v[15:16]
	v_lshlrev_b32_e32 v16, 3, v17
	v_add_co_u32 v14, s6, s26, v14
	v_add_co_ci_u32_e64 v15, null, s27, v15, s6
	v_add_co_u32 v14, s6, v14, v16
	v_add_co_ci_u32_e64 v15, null, 0, v15, s6
	global_load_dwordx2 v[14:15], v[14:15], off
	s_waitcnt vmcnt(0)
	v_mul_f64 v[68:69], s[22:23], v[14:15]
.LBB159_26:
	s_or_b32 exec_lo, exec_lo, s7
	v_lshlrev_b32_e32 v12, 5, v12
	v_lshlrev_b32_e32 v79, 3, v147
	;; [unrolled: 1-line block ×4, first 2 shown]
	s_cmp_lt_i32 s14, 9
	v_lshl_add_u32 v148, v144, 3, v12
	v_lshl_or_b32 v80, v13, 5, v79
	ds_write2st64_b64 v148, v[2:3], v[4:5] offset1:4
	ds_write2st64_b64 v148, v[6:7], v[8:9] offset0:8 offset1:12
	ds_write_b64 v80, v[10:11] offset:16384
	s_waitcnt lgkmcnt(0)
	s_barrier
	buffer_gl0_inv
	ds_read_b128 v[10:13], v146 offset:1024
	ds_read_b128 v[14:17], v146 offset:2048
	ds_read_b128 v[18:21], v146 offset:3072
	ds_read_b128 v[22:25], v146 offset:4096
	ds_read_b128 v[26:29], v146 offset:5120
	ds_read_b128 v[30:33], v146 offset:6144
	ds_read_b128 v[34:37], v146 offset:7168
	ds_read_b128 v[38:41], v145 offset:16640
	ds_read_b128 v[42:45], v145 offset:16896
	ds_read_b128 v[46:49], v145 offset:17152
	ds_read_b128 v[50:53], v145 offset:17408
	ds_read_b128 v[54:57], v145 offset:17664
	ds_read_b128 v[58:61], v145 offset:17920
	ds_read_b128 v[62:65], v145 offset:18176
	ds_read_b128 v[81:84], v146
	ds_read_b128 v[2:5], v146 offset:16
	ds_read_b128 v[85:88], v145 offset:16384
	;; [unrolled: 1-line block ×3, first 2 shown]
	s_waitcnt lgkmcnt(1)
	v_add_f64 v[89:90], v[83:84], v[87:88]
	v_add_f64 v[91:92], v[81:82], v[85:86]
	s_waitcnt lgkmcnt(0)
	v_add_f64 v[150:151], v[4:5], v[8:9]
	v_add_f64 v[152:153], v[2:3], v[6:7]
	v_cvt_f32_f64_e32 v89, v[89:90]
	v_cvt_f32_f64_e32 v91, v[91:92]
	;; [unrolled: 1-line block ×4, first 2 shown]
	v_min3_f32 v149, v91, v89, 0x7f800000
	v_add_f64 v[89:90], v[12:13], v[87:88]
	v_add_f64 v[91:92], v[10:11], v[85:86]
	v_min3_f32 v218, v152, v150, v149
	v_cvt_f32_f64_e32 v89, v[89:90]
	v_cvt_f32_f64_e32 v91, v[91:92]
	v_min3_f32 v143, v91, v89, 0x7f800000
	v_add_f64 v[89:90], v[16:17], v[87:88]
	v_add_f64 v[91:92], v[14:15], v[85:86]
	v_cvt_f32_f64_e32 v89, v[89:90]
	v_cvt_f32_f64_e32 v91, v[91:92]
	v_min3_f32 v142, v91, v89, 0x7f800000
	v_add_f64 v[89:90], v[20:21], v[87:88]
	v_add_f64 v[91:92], v[18:19], v[85:86]
	;; [unrolled: 5-line block ×5, first 2 shown]
	v_add_f64 v[87:88], v[36:37], v[87:88]
	v_add_f64 v[85:86], v[34:35], v[85:86]
	v_cvt_f32_f64_e32 v89, v[89:90]
	v_cvt_f32_f64_e32 v91, v[91:92]
	;; [unrolled: 1-line block ×4, first 2 shown]
	v_add_f64 v[87:88], v[81:82], v[38:39]
	v_min3_f32 v138, v91, v89, 0x7f800000
	v_min3_f32 v137, v85, v86, 0x7f800000
	v_add_f64 v[85:86], v[83:84], v[40:41]
	v_cvt_f32_f64_e32 v87, v[87:88]
	v_cvt_f32_f64_e32 v85, v[85:86]
	v_min3_f32 v136, v87, v85, 0x7f800000
	v_add_f64 v[85:86], v[12:13], v[40:41]
	v_add_f64 v[87:88], v[10:11], v[38:39]
	v_cvt_f32_f64_e32 v85, v[85:86]
	v_cvt_f32_f64_e32 v87, v[87:88]
	v_min3_f32 v135, v87, v85, 0x7f800000
	v_add_f64 v[85:86], v[16:17], v[40:41]
	;; [unrolled: 5-line block ×6, first 2 shown]
	v_add_f64 v[87:88], v[30:31], v[38:39]
	v_add_f64 v[40:41], v[36:37], v[40:41]
	;; [unrolled: 1-line block ×3, first 2 shown]
	v_cvt_f32_f64_e32 v85, v[85:86]
	v_cvt_f32_f64_e32 v87, v[87:88]
	;; [unrolled: 1-line block ×4, first 2 shown]
	v_add_f64 v[40:41], v[81:82], v[42:43]
	v_min3_f32 v130, v87, v85, 0x7f800000
	v_min3_f32 v129, v38, v39, 0x7f800000
	v_add_f64 v[38:39], v[83:84], v[44:45]
	v_cvt_f32_f64_e32 v40, v[40:41]
	v_cvt_f32_f64_e32 v38, v[38:39]
	v_min3_f32 v128, v40, v38, 0x7f800000
	v_add_f64 v[38:39], v[12:13], v[44:45]
	v_add_f64 v[40:41], v[10:11], v[42:43]
	v_cvt_f32_f64_e32 v38, v[38:39]
	v_cvt_f32_f64_e32 v40, v[40:41]
	v_min3_f32 v127, v40, v38, 0x7f800000
	v_add_f64 v[38:39], v[16:17], v[44:45]
	;; [unrolled: 5-line block ×33, first 2 shown]
	v_add_f64 v[40:41], v[10:11], v[58:59]
	v_add_f64 v[12:13], v[12:13], v[64:65]
	;; [unrolled: 1-line block ×3, first 2 shown]
	v_cvt_f32_f64_e32 v38, v[38:39]
	v_cvt_f32_f64_e32 v40, v[40:41]
	;; [unrolled: 1-line block ×4, first 2 shown]
	v_add_f64 v[12:13], v[14:15], v[62:63]
	v_min3_f32 v95, v40, v38, 0x7f800000
	v_add_f64 v[38:39], v[16:17], v[60:61]
	v_add_f64 v[40:41], v[14:15], v[58:59]
	v_min3_f32 v87, v10, v11, 0x7f800000
	v_add_f64 v[10:11], v[16:17], v[64:65]
	v_cvt_f32_f64_e32 v12, v[12:13]
	v_cvt_f32_f64_e32 v38, v[38:39]
	;; [unrolled: 1-line block ×4, first 2 shown]
	v_min3_f32 v94, v40, v38, 0x7f800000
	v_add_f64 v[38:39], v[20:21], v[60:61]
	v_add_f64 v[40:41], v[18:19], v[58:59]
	v_min3_f32 v86, v12, v10, 0x7f800000
	v_add_f64 v[10:11], v[20:21], v[64:65]
	v_add_f64 v[12:13], v[18:19], v[62:63]
	v_cvt_f32_f64_e32 v38, v[38:39]
	v_cvt_f32_f64_e32 v40, v[40:41]
	;; [unrolled: 1-line block ×4, first 2 shown]
	v_min3_f32 v93, v40, v38, 0x7f800000
	v_add_f64 v[38:39], v[24:25], v[60:61]
	v_add_f64 v[40:41], v[22:23], v[58:59]
	v_min3_f32 v85, v12, v10, 0x7f800000
	v_add_f64 v[10:11], v[24:25], v[64:65]
	v_add_f64 v[12:13], v[22:23], v[62:63]
	v_cvt_f32_f64_e32 v38, v[38:39]
	v_cvt_f32_f64_e32 v40, v[40:41]
	;; [unrolled: 1-line block ×4, first 2 shown]
	v_min3_f32 v92, v40, v38, 0x7f800000
	v_add_f64 v[38:39], v[28:29], v[60:61]
	v_add_f64 v[40:41], v[26:27], v[58:59]
	v_cvt_f32_f64_e32 v38, v[38:39]
	v_cvt_f32_f64_e32 v40, v[40:41]
	v_min3_f32 v91, v40, v38, 0x7f800000
	v_add_f64 v[38:39], v[32:33], v[60:61]
	v_add_f64 v[40:41], v[30:31], v[58:59]
	v_cvt_f32_f64_e32 v38, v[38:39]
	v_cvt_f32_f64_e32 v40, v[40:41]
	;; [unrolled: 5-line block ×3, first 2 shown]
	v_min3_f32 v89, v40, v38, 0x7f800000
	v_add_f64 v[38:39], v[83:84], v[64:65]
	v_min3_f32 v84, v12, v10, 0x7f800000
	v_add_f64 v[10:11], v[28:29], v[64:65]
	v_add_f64 v[12:13], v[26:27], v[62:63]
	;; [unrolled: 1-line block ×3, first 2 shown]
	v_cvt_f32_f64_e32 v38, v[38:39]
	v_cvt_f32_f64_e32 v10, v[10:11]
	;; [unrolled: 1-line block ×4, first 2 shown]
	v_min3_f32 v83, v12, v10, 0x7f800000
	v_add_f64 v[10:11], v[32:33], v[64:65]
	v_add_f64 v[12:13], v[30:31], v[62:63]
	v_min3_f32 v88, v40, v38, 0x7f800000
	v_cvt_f32_f64_e32 v10, v[10:11]
	v_cvt_f32_f64_e32 v12, v[12:13]
	v_min3_f32 v82, v12, v10, 0x7f800000
	v_add_f64 v[10:11], v[36:37], v[64:65]
	v_add_f64 v[12:13], v[34:35], v[62:63]
	v_cvt_f32_f64_e32 v10, v[10:11]
	v_cvt_f32_f64_e32 v12, v[12:13]
	v_min3_f32 v81, v12, v10, 0x7f800000
	ds_read_b128 v[34:37], v146 offset:1040
	ds_read_b128 v[30:33], v146 offset:2064
	;; [unrolled: 1-line block ×14, first 2 shown]
	ds_write2st64_b64 v148, v[70:71], v[72:73] offset0:16 offset1:20
	ds_write2st64_b64 v148, v[74:75], v[76:77] offset0:24 offset1:28
	ds_write_b64 v80, v[68:69] offset:18432
	s_waitcnt lgkmcnt(0)
	s_barrier
	buffer_gl0_inv
	v_add_f64 v[149:150], v[36:37], v[8:9]
	v_add_f64 v[151:152], v[34:35], v[6:7]
	v_cvt_f32_f64_e32 v149, v[149:150]
	v_cvt_f32_f64_e32 v151, v[151:152]
	v_min3_f32 v217, v151, v149, v143
	v_add_f64 v[149:150], v[32:33], v[8:9]
	v_add_f64 v[151:152], v[30:31], v[6:7]
	v_cvt_f32_f64_e32 v149, v[149:150]
	v_cvt_f32_f64_e32 v143, v[151:152]
	v_min3_f32 v216, v143, v149, v142
	;; [unrolled: 5-line block ×5, first 2 shown]
	v_add_f64 v[139:140], v[16:17], v[8:9]
	v_add_f64 v[141:142], v[14:15], v[6:7]
	;; [unrolled: 1-line block ×4, first 2 shown]
	v_cvt_f32_f64_e32 v139, v[139:140]
	v_cvt_f32_f64_e32 v141, v[141:142]
	;; [unrolled: 1-line block ×4, first 2 shown]
	v_add_f64 v[8:9], v[2:3], v[62:63]
	v_min3_f32 v212, v141, v139, v138
	v_min3_f32 v211, v6, v7, v137
	v_add_f64 v[6:7], v[4:5], v[64:65]
	v_cvt_f32_f64_e32 v8, v[8:9]
	v_cvt_f32_f64_e32 v6, v[6:7]
	v_min3_f32 v210, v8, v6, v136
	v_add_f64 v[6:7], v[36:37], v[64:65]
	v_add_f64 v[8:9], v[34:35], v[62:63]
	v_cvt_f32_f64_e32 v6, v[6:7]
	v_cvt_f32_f64_e32 v8, v[8:9]
	v_min3_f32 v209, v8, v6, v135
	v_add_f64 v[6:7], v[32:33], v[64:65]
	;; [unrolled: 5-line block ×40, first 2 shown]
	v_add_f64 v[8:9], v[2:3], v[42:43]
	v_add_f64 v[4:5], v[4:5], v[40:41]
	;; [unrolled: 1-line block ×3, first 2 shown]
	v_cvt_f32_f64_e32 v6, v[6:7]
	v_cvt_f32_f64_e32 v8, v[8:9]
	;; [unrolled: 1-line block ×4, first 2 shown]
	v_add_f64 v[4:5], v[34:35], v[38:39]
	v_min3_f32 v164, v8, v6, v96
	v_add_f64 v[6:7], v[36:37], v[44:45]
	v_add_f64 v[8:9], v[34:35], v[42:43]
	v_min3_f32 v156, v2, v3, v88
	v_add_f64 v[2:3], v[36:37], v[40:41]
	v_cvt_f32_f64_e32 v4, v[4:5]
	v_cvt_f32_f64_e32 v6, v[6:7]
	v_cvt_f32_f64_e32 v8, v[8:9]
	v_cvt_f32_f64_e32 v2, v[2:3]
	v_min3_f32 v163, v8, v6, v95
	v_add_f64 v[6:7], v[32:33], v[44:45]
	v_add_f64 v[8:9], v[30:31], v[42:43]
	v_min3_f32 v155, v4, v2, v87
	v_add_f64 v[2:3], v[32:33], v[40:41]
	v_add_f64 v[4:5], v[30:31], v[38:39]
	v_cvt_f32_f64_e32 v6, v[6:7]
	v_cvt_f32_f64_e32 v8, v[8:9]
	v_cvt_f32_f64_e32 v2, v[2:3]
	v_cvt_f32_f64_e32 v4, v[4:5]
	v_min3_f32 v162, v8, v6, v94
	v_add_f64 v[6:7], v[28:29], v[44:45]
	v_add_f64 v[8:9], v[26:27], v[42:43]
	v_min3_f32 v154, v4, v2, v86
	v_add_f64 v[2:3], v[28:29], v[40:41]
	;; [unrolled: 10-line block ×6, first 2 shown]
	v_add_f64 v[4:5], v[10:11], v[38:39]
	v_cvt_f32_f64_e32 v6, v[6:7]
	v_cvt_f32_f64_e32 v8, v[8:9]
	;; [unrolled: 1-line block ×4, first 2 shown]
	v_min3_f32 v157, v8, v6, v89
	v_min3_f32 v149, v4, v2, v81
	s_cbranch_scc1 .LBB159_49
; %bb.27:
	v_mad_i64_i32 v[2:3], null, s30, v78, 0
	v_lshlrev_b64 v[130:131], 3, v[66:67]
	v_add_nc_u32_e32 v170, 0x4000, v80
	v_or_b32_e32 v171, 0x4000, v145
	v_or_b32_e32 v173, 0x2000, v148
	v_add_nc_u32_e32 v174, 0x4800, v80
	v_lshl_or_b32 v175, v0, 5, 0x2000
	v_lshlrev_b64 v[2:3], 3, v[2:3]
	v_lshl_add_u32 v176, v1, 5, 0x4800
	v_add_co_u32 v2, s6, v2, v79
	v_add_co_ci_u32_e64 v3, null, 0, v3, s6
	v_add_co_u32 v2, s6, s26, v2
	v_add_co_ci_u32_e64 v3, null, s27, v3, s6
	s_add_i32 s26, s14, -8
	v_add_co_u32 v132, s6, v2, 64
	v_add_co_ci_u32_e64 v133, null, 0, v3, s6
	s_mov_b32 s27, 0
	s_branch .LBB159_29
.LBB159_28:                             ;   in Loop: Header=BB159_29 Depth=1
	s_or_b32 exec_lo, exec_lo, s6
	v_add_f64 v[219:220], v[100:101], v[128:129]
	v_add_f64 v[221:222], v[98:99], v[126:127]
	v_add_co_u32 v132, s6, v132, 64
	v_add_co_ci_u32_e64 v133, null, 0, v133, s6
	s_add_i32 s27, s27, 8
	s_cmp_ge_i32 s27, s26
	v_cvt_f32_f64_e32 v219, v[219:220]
	v_cvt_f32_f64_e32 v221, v[221:222]
	v_min3_f32 v218, v221, v219, v218
	v_add_f64 v[219:220], v[96:97], v[128:129]
	v_add_f64 v[221:222], v[94:95], v[126:127]
	v_cvt_f32_f64_e32 v219, v[219:220]
	v_cvt_f32_f64_e32 v221, v[221:222]
	v_min3_f32 v217, v221, v219, v217
	v_add_f64 v[219:220], v[92:93], v[128:129]
	v_add_f64 v[221:222], v[90:91], v[126:127]
	;; [unrolled: 5-line block ×6, first 2 shown]
	v_add_f64 v[128:129], v[68:69], v[128:129]
	v_add_f64 v[126:127], v[66:67], v[126:127]
	v_cvt_f32_f64_e32 v219, v[219:220]
	v_cvt_f32_f64_e32 v221, v[221:222]
	;; [unrolled: 1-line block ×4, first 2 shown]
	v_add_f64 v[128:129], v[98:99], v[122:123]
	v_min3_f32 v212, v221, v219, v212
	v_min3_f32 v211, v126, v127, v211
	v_add_f64 v[126:127], v[100:101], v[124:125]
	v_cvt_f32_f64_e32 v128, v[128:129]
	v_cvt_f32_f64_e32 v126, v[126:127]
	v_min3_f32 v210, v128, v126, v210
	v_add_f64 v[126:127], v[96:97], v[124:125]
	v_add_f64 v[128:129], v[94:95], v[122:123]
	v_cvt_f32_f64_e32 v126, v[126:127]
	v_cvt_f32_f64_e32 v128, v[128:129]
	v_min3_f32 v209, v128, v126, v209
	v_add_f64 v[126:127], v[92:93], v[124:125]
	;; [unrolled: 5-line block ×6, first 2 shown]
	v_add_f64 v[128:129], v[70:71], v[122:123]
	v_add_f64 v[124:125], v[68:69], v[124:125]
	;; [unrolled: 1-line block ×3, first 2 shown]
	v_cvt_f32_f64_e32 v126, v[126:127]
	v_cvt_f32_f64_e32 v128, v[128:129]
	;; [unrolled: 1-line block ×4, first 2 shown]
	v_add_f64 v[124:125], v[98:99], v[118:119]
	v_min3_f32 v204, v128, v126, v204
	v_min3_f32 v203, v122, v123, v203
	v_add_f64 v[122:123], v[100:101], v[120:121]
	v_cvt_f32_f64_e32 v124, v[124:125]
	v_add_f64 v[125:126], v[94:95], v[118:119]
	v_cvt_f32_f64_e32 v122, v[122:123]
	v_cvt_f32_f64_e32 v125, v[125:126]
	v_min3_f32 v122, v124, v122, v202
	v_add_f64 v[123:124], v[96:97], v[120:121]
	v_cvt_f32_f64_e32 v123, v[123:124]
	v_min3_f32 v201, v125, v123, v201
	v_add_f64 v[123:124], v[92:93], v[120:121]
	v_add_f64 v[125:126], v[90:91], v[118:119]
	v_cvt_f32_f64_e32 v123, v[123:124]
	v_cvt_f32_f64_e32 v125, v[125:126]
	v_min3_f32 v200, v125, v123, v200
	v_add_f64 v[123:124], v[88:89], v[120:121]
	v_add_f64 v[125:126], v[86:87], v[118:119]
	v_cvt_f32_f64_e32 v123, v[123:124]
	;; [unrolled: 5-line block ×4, first 2 shown]
	v_cvt_f32_f64_e32 v125, v[125:126]
	v_min3_f32 v197, v125, v123, v197
	v_add_f64 v[123:124], v[72:73], v[120:121]
	v_add_f64 v[125:126], v[70:71], v[118:119]
	;; [unrolled: 1-line block ×4, first 2 shown]
	v_cvt_f32_f64_e32 v123, v[123:124]
	v_cvt_f32_f64_e32 v125, v[125:126]
	;; [unrolled: 1-line block ×4, first 2 shown]
	v_add_f64 v[120:121], v[98:99], v[114:115]
	v_min3_f32 v196, v125, v123, v196
	v_add_f64 v[123:124], v[82:83], v[114:115]
	v_add_f64 v[125:126], v[70:71], v[114:115]
	v_min3_f32 v195, v118, v119, v195
	v_add_f64 v[118:119], v[100:101], v[116:117]
	v_cvt_f32_f64_e32 v120, v[120:121]
	v_cvt_f32_f64_e32 v118, v[118:119]
	v_min3_f32 v194, v120, v118, v194
	v_add_f64 v[118:119], v[96:97], v[116:117]
	v_add_f64 v[120:121], v[94:95], v[114:115]
	v_cvt_f32_f64_e32 v118, v[118:119]
	v_cvt_f32_f64_e32 v120, v[120:121]
	v_min3_f32 v193, v120, v118, v193
	v_add_f64 v[118:119], v[92:93], v[116:117]
	;; [unrolled: 5-line block ×3, first 2 shown]
	v_add_f64 v[120:121], v[86:87], v[114:115]
	v_cvt_f32_f64_e32 v118, v[118:119]
	v_cvt_f32_f64_e32 v120, v[120:121]
	;; [unrolled: 1-line block ×3, first 2 shown]
	v_add_f64 v[123:124], v[74:75], v[114:115]
	v_add_f64 v[114:115], v[66:67], v[114:115]
	v_min3_f32 v118, v120, v118, v191
	v_add_f64 v[119:120], v[84:85], v[116:117]
	v_cvt_f32_f64_e32 v123, v[123:124]
	v_cvt_f32_f64_e32 v114, v[114:115]
	;; [unrolled: 1-line block ×3, first 2 shown]
	v_min3_f32 v119, v121, v119, v190
	v_add_f64 v[120:121], v[76:77], v[116:117]
	v_cvt_f32_f64_e32 v120, v[120:121]
	v_cvt_f32_f64_e32 v121, v[125:126]
	v_add_f64 v[125:126], v[90:91], v[110:111]
	v_min3_f32 v120, v123, v120, v189
	v_add_f64 v[123:124], v[72:73], v[116:117]
	v_add_f64 v[116:117], v[68:69], v[116:117]
	v_cvt_f32_f64_e32 v123, v[123:124]
	v_cvt_f32_f64_e32 v115, v[116:117]
	v_min3_f32 v121, v121, v123, v188
	v_min3_f32 v114, v114, v115, v187
	v_add_f64 v[115:116], v[100:101], v[112:113]
	v_add_f64 v[123:124], v[98:99], v[110:111]
	v_cvt_f32_f64_e32 v115, v[115:116]
	v_cvt_f32_f64_e32 v117, v[123:124]
	v_add_f64 v[123:124], v[94:95], v[110:111]
	v_min3_f32 v115, v117, v115, v186
	v_add_f64 v[116:117], v[96:97], v[112:113]
	v_cvt_f32_f64_e32 v123, v[123:124]
	v_cvt_f32_f64_e32 v116, v[116:117]
	;; [unrolled: 1-line block ×3, first 2 shown]
	v_add_f64 v[125:126], v[86:87], v[110:111]
	v_min3_f32 v116, v123, v116, v185
	v_add_f64 v[123:124], v[92:93], v[112:113]
	v_cvt_f32_f64_e32 v125, v[125:126]
	v_add_f64 v[126:127], v[82:83], v[110:111]
	v_cvt_f32_f64_e32 v123, v[123:124]
	v_cvt_f32_f64_e32 v126, v[126:127]
	v_add_f64 v[127:128], v[74:75], v[110:111]
	v_min3_f32 v117, v117, v123, v184
	v_add_f64 v[123:124], v[88:89], v[112:113]
	v_cvt_f32_f64_e32 v127, v[127:128]
	v_cvt_f32_f64_e32 v123, v[123:124]
	v_min3_f32 v123, v125, v123, v183
	v_add_f64 v[124:125], v[84:85], v[112:113]
	v_cvt_f32_f64_e32 v124, v[124:125]
	v_min3_f32 v124, v126, v124, v182
	v_add_f64 v[125:126], v[76:77], v[112:113]
	;; [unrolled: 3-line block ×3, first 2 shown]
	v_add_f64 v[127:128], v[70:71], v[110:111]
	v_add_f64 v[112:113], v[68:69], v[112:113]
	;; [unrolled: 1-line block ×3, first 2 shown]
	v_cvt_f32_f64_e32 v125, v[125:126]
	v_cvt_f32_f64_e32 v127, v[127:128]
	;; [unrolled: 1-line block ×4, first 2 shown]
	v_min3_f32 v125, v127, v125, v180
	v_add_f64 v[126:127], v[98:99], v[106:107]
	v_min3_f32 v112, v110, v111, v179
	v_add_f64 v[110:111], v[100:101], v[108:109]
	v_cvt_f32_f64_e32 v113, v[126:127]
	v_add_f64 v[126:127], v[94:95], v[106:107]
	v_cvt_f32_f64_e32 v110, v[110:111]
	v_cvt_f32_f64_e32 v126, v[126:127]
	v_add_f64 v[127:128], v[90:91], v[106:107]
	v_min3_f32 v113, v113, v110, v178
	v_add_f64 v[110:111], v[96:97], v[108:109]
	v_cvt_f32_f64_e32 v127, v[127:128]
	v_add_f64 v[128:129], v[86:87], v[106:107]
	v_cvt_f32_f64_e32 v110, v[110:111]
	v_cvt_f32_f64_e32 v128, v[128:129]
	v_min3_f32 v126, v126, v110, v177
	v_add_f64 v[110:111], v[92:93], v[108:109]
	v_add_f64 v[177:178], v[82:83], v[106:107]
	v_cvt_f32_f64_e32 v110, v[110:111]
	v_cvt_f32_f64_e32 v129, v[177:178]
	v_min3_f32 v127, v127, v110, v172
	v_add_f64 v[110:111], v[88:89], v[108:109]
	v_cvt_f32_f64_e32 v110, v[110:111]
	v_min3_f32 v128, v128, v110, v169
	v_add_f64 v[110:111], v[84:85], v[108:109]
	;; [unrolled: 3-line block ×3, first 2 shown]
	v_add_f64 v[168:169], v[74:75], v[106:107]
	v_cvt_f32_f64_e32 v110, v[110:111]
	v_cvt_f32_f64_e32 v168, v[168:169]
	v_min3_f32 v167, v168, v110, v167
	v_add_f64 v[110:111], v[72:73], v[108:109]
	v_add_f64 v[168:169], v[70:71], v[106:107]
	;; [unrolled: 1-line block ×4, first 2 shown]
	v_cvt_f32_f64_e32 v110, v[110:111]
	v_cvt_f32_f64_e32 v168, v[168:169]
	;; [unrolled: 1-line block ×4, first 2 shown]
	v_add_f64 v[108:109], v[98:99], v[102:103]
	v_add_f64 v[98:99], v[98:99], v[78:79]
	v_min3_f32 v166, v168, v110, v166
	v_min3_f32 v165, v106, v107, v165
	v_add_f64 v[106:107], v[100:101], v[104:105]
	v_cvt_f32_f64_e32 v108, v[108:109]
	v_add_f64 v[100:101], v[100:101], v[80:81]
	v_cvt_f32_f64_e32 v98, v[98:99]
	v_cvt_f32_f64_e32 v106, v[106:107]
	;; [unrolled: 1-line block ×3, first 2 shown]
	v_min3_f32 v164, v108, v106, v164
	v_add_f64 v[106:107], v[96:97], v[104:105]
	v_add_f64 v[108:109], v[94:95], v[102:103]
	v_add_f64 v[94:95], v[94:95], v[78:79]
	v_add_f64 v[96:97], v[96:97], v[80:81]
	v_min3_f32 v98, v98, v99, v156
	v_add_f64 v[99:100], v[10:11], v[46:47]
	v_cvt_f32_f64_e32 v106, v[106:107]
	v_cvt_f32_f64_e32 v108, v[108:109]
	v_add_f64 v[109:110], v[90:91], v[102:103]
	v_add_f64 v[90:91], v[90:91], v[78:79]
	v_cvt_f32_f64_e32 v94, v[94:95]
	v_cvt_f32_f64_e32 v95, v[96:97]
	v_min3_f32 v106, v108, v106, v163
	v_add_f64 v[107:108], v[92:93], v[104:105]
	v_cvt_f32_f64_e32 v109, v[109:110]
	v_add_f64 v[110:111], v[86:87], v[102:103]
	v_add_f64 v[86:87], v[86:87], v[78:79]
	;; [unrolled: 1-line block ×3, first 2 shown]
	v_cvt_f32_f64_e32 v90, v[90:91]
	v_min3_f32 v94, v94, v95, v155
	v_add_f64 v[95:96], v[6:7], v[50:51]
	v_cvt_f32_f64_e32 v107, v[107:108]
	v_cvt_f32_f64_e32 v110, v[110:111]
	;; [unrolled: 1-line block ×4, first 2 shown]
	v_min3_f32 v107, v109, v107, v162
	v_add_f64 v[108:109], v[88:89], v[104:105]
	v_add_f64 v[88:89], v[88:89], v[80:81]
	v_min3_f32 v90, v90, v91, v154
	v_add_f64 v[91:92], v[22:23], v[50:51]
	v_cvt_f32_f64_e32 v108, v[108:109]
	v_cvt_f32_f64_e32 v87, v[88:89]
	v_min3_f32 v108, v110, v108, v161
	v_add_f64 v[109:110], v[84:85], v[104:105]
	v_add_f64 v[161:162], v[82:83], v[102:103]
	v_add_f64 v[82:83], v[82:83], v[78:79]
	v_add_f64 v[84:85], v[84:85], v[80:81]
	v_min3_f32 v86, v86, v87, v153
	v_add_f64 v[87:88], v[14:15], v[54:55]
	v_cvt_f32_f64_e32 v109, v[109:110]
	v_cvt_f32_f64_e32 v111, v[161:162]
	;; [unrolled: 1-line block ×4, first 2 shown]
	v_min3_f32 v109, v111, v109, v160
	v_add_f64 v[110:111], v[76:77], v[104:105]
	v_add_f64 v[160:161], v[74:75], v[102:103]
	;; [unrolled: 1-line block ×4, first 2 shown]
	v_min3_f32 v82, v82, v83, v152
	v_add_f64 v[83:84], v[6:7], v[58:59]
	v_cvt_f32_f64_e32 v110, v[110:111]
	v_cvt_f32_f64_e32 v160, v[160:161]
	v_add_f64 v[161:162], v[70:71], v[102:103]
	v_add_f64 v[102:103], v[66:67], v[102:103]
	;; [unrolled: 1-line block ×4, first 2 shown]
	v_cvt_f32_f64_e32 v74, v[74:75]
	v_cvt_f32_f64_e32 v75, v[76:77]
	v_add_f64 v[77:78], v[14:15], v[62:63]
	v_min3_f32 v110, v160, v110, v159
	v_add_f64 v[159:160], v[72:73], v[104:105]
	v_add_f64 v[104:105], v[68:69], v[104:105]
	;; [unrolled: 1-line block ×4, first 2 shown]
	v_cvt_f32_f64_e32 v66, v[66:67]
	v_cvt_f32_f64_e32 v70, v[70:71]
	v_min3_f32 v74, v74, v75, v151
	v_add_f64 v[75:76], v[22:23], v[62:63]
	v_cvt_f32_f64_e32 v102, v[102:103]
	v_cvt_f32_f64_e32 v111, v[161:162]
	v_cvt_f32_f64_e32 v159, v[159:160]
	v_cvt_f32_f64_e32 v103, v[104:105]
	v_cvt_f32_f64_e32 v67, v[68:69]
	v_cvt_f32_f64_e32 v71, v[72:73]
	v_add_f64 v[68:69], v[34:35], v[62:63]
	v_min3_f32 v111, v111, v159, v158
	v_min3_f32 v102, v102, v103, v157
	;; [unrolled: 1-line block ×3, first 2 shown]
	v_add_f64 v[66:67], v[36:37], v[64:65]
	v_cvt_f32_f64_e32 v68, v[68:69]
	v_min3_f32 v71, v70, v71, v150
	v_add_f64 v[69:70], v[26:27], v[62:63]
	v_cvt_f32_f64_e32 v66, v[66:67]
	v_cvt_f32_f64_e32 v69, v[69:70]
	;; [unrolled: 1-line block ×3, first 2 shown]
	v_add_f64 v[75:76], v[18:19], v[62:63]
	v_min3_f32 v66, v68, v66, v218
	v_add_f64 v[67:68], v[28:29], v[64:65]
	v_cvt_f32_f64_e32 v72, v[75:76]
	v_add_f64 v[75:76], v[16:17], v[64:65]
	v_cvt_f32_f64_e32 v67, v[67:68]
	v_min3_f32 v67, v69, v67, v217
	v_add_f64 v[68:69], v[24:25], v[64:65]
	v_cvt_f32_f64_e32 v68, v[68:69]
	v_min3_f32 v68, v70, v68, v216
	v_add_f64 v[69:70], v[20:21], v[64:65]
	v_cvt_f32_f64_e32 v69, v[69:70]
	v_cvt_f32_f64_e32 v70, v[77:78]
	v_add_f64 v[77:78], v[10:11], v[62:63]
	v_min3_f32 v69, v72, v69, v215
	v_cvt_f32_f64_e32 v72, v[75:76]
	v_add_f64 v[75:76], v[12:13], v[64:65]
	v_min3_f32 v70, v70, v72, v214
	v_cvt_f32_f64_e32 v72, v[77:78]
	v_cvt_f32_f64_e32 v75, v[75:76]
	v_add_f64 v[77:78], v[6:7], v[62:63]
	v_add_f64 v[62:63], v[2:3], v[62:63]
	v_min3_f32 v72, v72, v75, v213
	v_add_f64 v[75:76], v[8:9], v[64:65]
	v_add_f64 v[64:65], v[4:5], v[64:65]
	v_cvt_f32_f64_e32 v77, v[77:78]
	v_cvt_f32_f64_e32 v62, v[62:63]
	v_add_f64 v[78:79], v[22:23], v[58:59]
	v_cvt_f32_f64_e32 v75, v[75:76]
	v_cvt_f32_f64_e32 v63, v[64:65]
	v_min3_f32 v75, v77, v75, v212
	v_min3_f32 v62, v62, v63, v211
	v_add_f64 v[63:64], v[36:37], v[60:61]
	v_add_f64 v[76:77], v[34:35], v[58:59]
	v_cvt_f32_f64_e32 v63, v[63:64]
	v_cvt_f32_f64_e32 v65, v[76:77]
	v_add_f64 v[76:77], v[26:27], v[58:59]
	v_min3_f32 v63, v65, v63, v210
	v_add_f64 v[64:65], v[28:29], v[60:61]
	v_cvt_f32_f64_e32 v76, v[76:77]
	v_cvt_f32_f64_e32 v64, v[64:65]
	;; [unrolled: 1-line block ×3, first 2 shown]
	v_add_f64 v[78:79], v[18:19], v[58:59]
	v_min3_f32 v64, v76, v64, v209
	v_add_f64 v[76:77], v[24:25], v[60:61]
	v_cvt_f32_f64_e32 v78, v[78:79]
	v_add_f64 v[79:80], v[14:15], v[58:59]
	v_cvt_f32_f64_e32 v76, v[76:77]
	v_cvt_f32_f64_e32 v79, v[79:80]
	v_add_f64 v[80:81], v[10:11], v[58:59]
	v_add_f64 v[58:59], v[2:3], v[58:59]
	v_min3_f32 v65, v65, v76, v208
	v_add_f64 v[76:77], v[20:21], v[60:61]
	v_cvt_f32_f64_e32 v80, v[80:81]
	v_cvt_f32_f64_e32 v81, v[83:84]
	;; [unrolled: 1-line block ×3, first 2 shown]
	v_add_f64 v[83:84], v[22:23], v[54:55]
	v_cvt_f32_f64_e32 v76, v[76:77]
	v_min3_f32 v76, v78, v76, v207
	v_add_f64 v[77:78], v[16:17], v[60:61]
	v_cvt_f32_f64_e32 v77, v[77:78]
	v_min3_f32 v77, v79, v77, v206
	;; [unrolled: 3-line block ×3, first 2 shown]
	v_add_f64 v[79:80], v[8:9], v[60:61]
	v_add_f64 v[60:61], v[4:5], v[60:61]
	v_cvt_f32_f64_e32 v79, v[79:80]
	v_cvt_f32_f64_e32 v59, v[60:61]
	v_min3_f32 v79, v81, v79, v204
	v_min3_f32 v58, v58, v59, v203
	v_add_f64 v[59:60], v[36:37], v[56:57]
	v_add_f64 v[80:81], v[34:35], v[54:55]
	v_cvt_f32_f64_e32 v59, v[59:60]
	v_cvt_f32_f64_e32 v61, v[80:81]
	v_add_f64 v[80:81], v[26:27], v[54:55]
	v_min3_f32 v59, v61, v59, v122
	v_add_f64 v[60:61], v[28:29], v[56:57]
	v_cvt_f32_f64_e32 v80, v[80:81]
	v_cvt_f32_f64_e32 v60, v[60:61]
	;; [unrolled: 1-line block ×3, first 2 shown]
	v_add_f64 v[83:84], v[18:19], v[54:55]
	v_min3_f32 v60, v80, v60, v201
	v_add_f64 v[80:81], v[24:25], v[56:57]
	v_cvt_f32_f64_e32 v83, v[83:84]
	v_cvt_f32_f64_e32 v80, v[80:81]
	v_min3_f32 v61, v61, v80, v200
	v_add_f64 v[80:81], v[20:21], v[56:57]
	v_cvt_f32_f64_e32 v80, v[80:81]
	v_cvt_f32_f64_e32 v81, v[87:88]
	v_add_f64 v[87:88], v[10:11], v[54:55]
	v_min3_f32 v80, v83, v80, v199
	v_add_f64 v[83:84], v[16:17], v[56:57]
	v_cvt_f32_f64_e32 v85, v[87:88]
	v_add_f64 v[87:88], v[6:7], v[54:55]
	v_add_f64 v[54:55], v[2:3], v[54:55]
	v_cvt_f32_f64_e32 v83, v[83:84]
	v_cvt_f32_f64_e32 v87, v[87:88]
	v_cvt_f32_f64_e32 v54, v[54:55]
	v_min3_f32 v81, v81, v83, v198
	v_add_f64 v[83:84], v[12:13], v[56:57]
	v_cvt_f32_f64_e32 v83, v[83:84]
	v_min3_f32 v83, v85, v83, v197
	v_add_f64 v[84:85], v[8:9], v[56:57]
	v_add_f64 v[56:57], v[4:5], v[56:57]
	v_cvt_f32_f64_e32 v84, v[84:85]
	v_cvt_f32_f64_e32 v55, v[56:57]
	v_min3_f32 v84, v87, v84, v196
	v_min3_f32 v54, v54, v55, v195
	v_add_f64 v[55:56], v[36:37], v[52:53]
	v_add_f64 v[87:88], v[34:35], v[50:51]
	v_cvt_f32_f64_e32 v55, v[55:56]
	v_cvt_f32_f64_e32 v57, v[87:88]
	v_add_f64 v[87:88], v[26:27], v[50:51]
	v_min3_f32 v55, v57, v55, v194
	v_add_f64 v[56:57], v[28:29], v[52:53]
	v_cvt_f32_f64_e32 v85, v[87:88]
	v_add_f64 v[87:88], v[24:25], v[52:53]
	v_cvt_f32_f64_e32 v56, v[56:57]
	v_cvt_f32_f64_e32 v57, v[91:92]
	v_add_f64 v[91:92], v[18:19], v[50:51]
	v_min3_f32 v56, v85, v56, v193
	v_cvt_f32_f64_e32 v85, v[87:88]
	v_add_f64 v[87:88], v[20:21], v[52:53]
	v_min3_f32 v57, v57, v85, v192
	v_cvt_f32_f64_e32 v85, v[91:92]
	v_cvt_f32_f64_e32 v87, v[87:88]
	v_add_f64 v[91:92], v[14:15], v[50:51]
	v_min3_f32 v85, v85, v87, v118
	v_add_f64 v[87:88], v[16:17], v[52:53]
	v_cvt_f32_f64_e32 v89, v[91:92]
	v_add_f64 v[91:92], v[10:11], v[50:51]
	v_add_f64 v[50:51], v[2:3], v[50:51]
	v_cvt_f32_f64_e32 v87, v[87:88]
	v_cvt_f32_f64_e32 v91, v[91:92]
	;; [unrolled: 1-line block ×3, first 2 shown]
	v_min3_f32 v87, v89, v87, v119
	v_add_f64 v[88:89], v[12:13], v[52:53]
	v_cvt_f32_f64_e32 v88, v[88:89]
	v_cvt_f32_f64_e32 v89, v[95:96]
	v_add_f64 v[95:96], v[22:23], v[46:47]
	v_min3_f32 v88, v91, v88, v120
	v_add_f64 v[91:92], v[8:9], v[52:53]
	v_add_f64 v[52:53], v[4:5], v[52:53]
	v_cvt_f32_f64_e32 v91, v[91:92]
	v_cvt_f32_f64_e32 v51, v[52:53]
	v_min3_f32 v89, v89, v91, v121
	v_min3_f32 v50, v50, v51, v114
	v_add_f64 v[51:52], v[36:37], v[48:49]
	v_add_f64 v[91:92], v[34:35], v[46:47]
	v_cvt_f32_f64_e32 v51, v[51:52]
	v_cvt_f32_f64_e32 v53, v[91:92]
	v_add_f64 v[91:92], v[26:27], v[46:47]
	v_min3_f32 v51, v53, v51, v115
	v_add_f64 v[52:53], v[28:29], v[48:49]
	v_cvt_f32_f64_e32 v91, v[91:92]
	v_cvt_f32_f64_e32 v52, v[52:53]
	v_cvt_f32_f64_e32 v53, v[95:96]
	v_add_f64 v[95:96], v[18:19], v[46:47]
	v_min3_f32 v52, v91, v52, v116
	v_add_f64 v[91:92], v[24:25], v[48:49]
	v_cvt_f32_f64_e32 v93, v[95:96]
	v_add_f64 v[95:96], v[14:15], v[46:47]
	v_cvt_f32_f64_e32 v91, v[91:92]
	v_cvt_f32_f64_e32 v95, v[95:96]
	v_min3_f32 v53, v53, v91, v117
	v_add_f64 v[91:92], v[20:21], v[48:49]
	v_cvt_f32_f64_e32 v91, v[91:92]
	v_min3_f32 v91, v93, v91, v123
	v_add_f64 v[92:93], v[16:17], v[48:49]
	v_cvt_f32_f64_e32 v92, v[92:93]
	v_cvt_f32_f64_e32 v93, v[99:100]
	v_add_f64 v[99:100], v[6:7], v[46:47]
	v_add_f64 v[46:47], v[2:3], v[46:47]
	v_min3_f32 v92, v95, v92, v124
	v_add_f64 v[95:96], v[12:13], v[48:49]
	v_cvt_f32_f64_e32 v46, v[46:47]
	v_cvt_f32_f64_e32 v95, v[95:96]
	v_min3_f32 v149, v93, v95, v181
	v_add_f64 v[95:96], v[8:9], v[48:49]
	v_add_f64 v[48:49], v[4:5], v[48:49]
	v_cvt_f32_f64_e32 v93, v[99:100]
	v_add_f64 v[99:100], v[22:23], v[42:43]
	v_cvt_f32_f64_e32 v95, v[95:96]
	v_cvt_f32_f64_e32 v47, v[48:49]
	v_min3_f32 v150, v93, v95, v125
	v_min3_f32 v46, v46, v47, v112
	v_add_f64 v[47:48], v[36:37], v[44:45]
	v_add_f64 v[95:96], v[34:35], v[42:43]
	v_cvt_f32_f64_e32 v47, v[47:48]
	v_cvt_f32_f64_e32 v49, v[95:96]
	v_add_f64 v[95:96], v[26:27], v[42:43]
	v_min3_f32 v47, v49, v47, v113
	v_add_f64 v[48:49], v[28:29], v[44:45]
	v_cvt_f32_f64_e32 v93, v[95:96]
	v_add_f64 v[95:96], v[24:25], v[44:45]
	v_cvt_f32_f64_e32 v48, v[48:49]
	v_cvt_f32_f64_e32 v49, v[99:100]
	v_add_f64 v[99:100], v[18:19], v[42:43]
	v_min3_f32 v48, v93, v48, v126
	v_cvt_f32_f64_e32 v93, v[95:96]
	v_add_f64 v[95:96], v[20:21], v[44:45]
	v_min3_f32 v49, v49, v93, v127
	v_cvt_f32_f64_e32 v93, v[99:100]
	v_cvt_f32_f64_e32 v95, v[95:96]
	v_add_f64 v[99:100], v[14:15], v[42:43]
	v_min3_f32 v151, v93, v95, v128
	v_add_f64 v[95:96], v[16:17], v[44:45]
	v_cvt_f32_f64_e32 v93, v[99:100]
	v_add_f64 v[99:100], v[10:11], v[42:43]
	v_cvt_f32_f64_e32 v95, v[95:96]
	v_min3_f32 v152, v93, v95, v129
	v_add_f64 v[95:96], v[12:13], v[44:45]
	v_cvt_f32_f64_e32 v93, v[99:100]
	v_add_f64 v[99:100], v[6:7], v[42:43]
	v_add_f64 v[42:43], v[2:3], v[42:43]
	v_cvt_f32_f64_e32 v95, v[95:96]
	v_cvt_f32_f64_e32 v42, v[42:43]
	v_min3_f32 v153, v93, v95, v167
	v_add_f64 v[95:96], v[8:9], v[44:45]
	v_add_f64 v[44:45], v[4:5], v[44:45]
	v_cvt_f32_f64_e32 v93, v[99:100]
	v_add_f64 v[99:100], v[22:23], v[38:39]
	v_add_f64 v[22:23], v[22:23], v[30:31]
	v_cvt_f32_f64_e32 v95, v[95:96]
	v_cvt_f32_f64_e32 v43, v[44:45]
	;; [unrolled: 1-line block ×3, first 2 shown]
	v_min3_f32 v154, v93, v95, v166
	v_min3_f32 v42, v42, v43, v165
	v_add_f64 v[43:44], v[36:37], v[40:41]
	v_add_f64 v[95:96], v[34:35], v[38:39]
	;; [unrolled: 1-line block ×4, first 2 shown]
	v_cvt_f32_f64_e32 v43, v[43:44]
	v_cvt_f32_f64_e32 v45, v[95:96]
	v_add_f64 v[95:96], v[26:27], v[38:39]
	v_add_f64 v[26:27], v[26:27], v[30:31]
	v_cvt_f32_f64_e32 v34, v[34:35]
	v_cvt_f32_f64_e32 v35, v[36:37]
	v_min3_f32 v43, v45, v43, v164
	v_add_f64 v[44:45], v[28:29], v[40:41]
	v_cvt_f32_f64_e32 v93, v[95:96]
	v_add_f64 v[95:96], v[24:25], v[40:41]
	v_add_f64 v[28:29], v[28:29], v[32:33]
	;; [unrolled: 1-line block ×3, first 2 shown]
	v_cvt_f32_f64_e32 v26, v[26:27]
	v_min3_f32 v190, v34, v35, v98
	v_cvt_f32_f64_e32 v44, v[44:45]
	v_cvt_f32_f64_e32 v45, v[99:100]
	v_add_f64 v[99:100], v[18:19], v[38:39]
	v_add_f64 v[18:19], v[18:19], v[30:31]
	v_cvt_f32_f64_e32 v27, v[28:29]
	v_cvt_f32_f64_e32 v23, v[24:25]
	v_min3_f32 v44, v93, v44, v106
	v_cvt_f32_f64_e32 v93, v[95:96]
	v_add_f64 v[95:96], v[20:21], v[40:41]
	v_add_f64 v[20:21], v[20:21], v[32:33]
	v_cvt_f32_f64_e32 v18, v[18:19]
	v_min3_f32 v191, v26, v27, v94
	v_min3_f32 v192, v22, v23, v90
	;; [unrolled: 1-line block ×3, first 2 shown]
	v_cvt_f32_f64_e32 v93, v[99:100]
	v_cvt_f32_f64_e32 v95, v[95:96]
	v_add_f64 v[99:100], v[14:15], v[38:39]
	v_add_f64 v[14:15], v[14:15], v[30:31]
	v_cvt_f32_f64_e32 v19, v[20:21]
	v_min3_f32 v155, v93, v95, v108
	v_add_f64 v[95:96], v[16:17], v[40:41]
	v_cvt_f32_f64_e32 v93, v[99:100]
	v_add_f64 v[99:100], v[10:11], v[38:39]
	v_add_f64 v[16:17], v[16:17], v[32:33]
	;; [unrolled: 1-line block ×3, first 2 shown]
	v_cvt_f32_f64_e32 v14, v[14:15]
	v_min3_f32 v193, v18, v19, v86
	v_cvt_f32_f64_e32 v95, v[95:96]
	v_cvt_f32_f64_e32 v15, v[16:17]
	;; [unrolled: 1-line block ×3, first 2 shown]
	v_min3_f32 v156, v93, v95, v109
	v_add_f64 v[95:96], v[12:13], v[40:41]
	v_cvt_f32_f64_e32 v93, v[99:100]
	v_add_f64 v[99:100], v[6:7], v[38:39]
	v_add_f64 v[38:39], v[2:3], v[38:39]
	;; [unrolled: 1-line block ×5, first 2 shown]
	v_min3_f32 v194, v14, v15, v82
	v_cvt_f32_f64_e32 v95, v[95:96]
	v_cvt_f32_f64_e32 v38, v[38:39]
	;; [unrolled: 1-line block ×5, first 2 shown]
	v_min3_f32 v157, v93, v95, v110
	v_add_f64 v[95:96], v[8:9], v[40:41]
	v_add_f64 v[40:41], v[4:5], v[40:41]
	;; [unrolled: 1-line block ×4, first 2 shown]
	v_cvt_f32_f64_e32 v93, v[99:100]
	v_min3_f32 v195, v10, v11, v74
	v_cvt_f32_f64_e32 v95, v[95:96]
	v_cvt_f32_f64_e32 v39, v[40:41]
	;; [unrolled: 1-line block ×4, first 2 shown]
	v_min3_f32 v172, v93, v95, v111
	v_min3_f32 v189, v38, v39, v102
	v_min3_f32 v196, v6, v7, v71
	v_min3_f32 v197, v2, v3, v73
	ds_read_b128 v[6:9], v146 offset:1024
	ds_read_b128 v[10:13], v146 offset:2048
	ds_read_b128 v[14:17], v146 offset:3072
	ds_read_b128 v[18:21], v146 offset:4096
	ds_read_b128 v[22:25], v146 offset:5120
	ds_read_b128 v[26:29], v146 offset:6144
	ds_read_b128 v[30:33], v146 offset:7168
	ds_read_b128 v[38:41], v171 offset:256
	ds_read_b128 v[93:96], v171 offset:512
	ds_read_b128 v[158:161], v171 offset:768
	ds_read_b128 v[162:165], v171 offset:1024
	ds_read_b128 v[166:169], v171 offset:1280
	ds_read_b128 v[177:180], v171 offset:1536
	ds_read_b128 v[181:184], v171 offset:1792
	ds_read_b128 v[97:100], v171
	ds_read_b128 v[34:37], v171 offset:16
	ds_read_b128 v[185:188], v146
	ds_read_b128 v[2:5], v146 offset:16
	s_waitcnt lgkmcnt(1)
	v_add_f64 v[73:74], v[187:188], v[99:100]
	v_add_f64 v[101:102], v[185:186], v[97:98]
	v_cvt_f32_f64_e32 v73, v[73:74]
	v_cvt_f32_f64_e32 v71, v[101:102]
	v_add_f64 v[101:102], v[6:7], v[97:98]
	v_min3_f32 v129, v71, v73, v66
	v_add_f64 v[73:74], v[8:9], v[99:100]
	v_cvt_f32_f64_e32 v66, v[101:102]
	v_cvt_f32_f64_e32 v71, v[73:74]
	v_add_f64 v[73:74], v[10:11], v[97:98]
	v_min3_f32 v128, v66, v71, v67
	v_add_f64 v[66:67], v[12:13], v[99:100]
	v_cvt_f32_f64_e32 v71, v[73:74]
	v_add_f64 v[73:74], v[14:15], v[97:98]
	v_cvt_f32_f64_e32 v66, v[66:67]
	v_min3_f32 v127, v71, v66, v68
	v_add_f64 v[66:67], v[16:17], v[99:100]
	v_cvt_f32_f64_e32 v68, v[73:74]
	v_cvt_f32_f64_e32 v66, v[66:67]
	v_min3_f32 v126, v68, v66, v69
	v_add_f64 v[66:67], v[20:21], v[99:100]
	v_add_f64 v[68:69], v[18:19], v[97:98]
	v_cvt_f32_f64_e32 v66, v[66:67]
	v_cvt_f32_f64_e32 v68, v[68:69]
	v_min3_f32 v125, v68, v66, v70
	v_add_f64 v[66:67], v[24:25], v[99:100]
	;; [unrolled: 5-line block ×11, first 2 shown]
	v_add_f64 v[64:65], v[26:27], v[38:39]
	v_add_f64 v[40:41], v[32:33], v[40:41]
	;; [unrolled: 1-line block ×3, first 2 shown]
	v_cvt_f32_f64_e32 v62, v[62:63]
	v_cvt_f32_f64_e32 v64, v[64:65]
	;; [unrolled: 1-line block ×4, first 2 shown]
	v_add_f64 v[40:41], v[185:186], v[93:94]
	v_min3_f32 v115, v64, v62, v79
	v_min3_f32 v114, v38, v39, v58
	v_add_f64 v[38:39], v[187:188], v[95:96]
	v_cvt_f32_f64_e32 v40, v[40:41]
	v_cvt_f32_f64_e32 v38, v[38:39]
	v_min3_f32 v113, v40, v38, v59
	v_add_f64 v[38:39], v[8:9], v[95:96]
	v_add_f64 v[40:41], v[6:7], v[93:94]
	v_cvt_f32_f64_e32 v38, v[38:39]
	v_cvt_f32_f64_e32 v40, v[40:41]
	v_min3_f32 v112, v40, v38, v60
	v_add_f64 v[38:39], v[12:13], v[95:96]
	;; [unrolled: 5-line block ×23, first 2 shown]
	v_add_f64 v[40:41], v[30:31], v[162:163]
	s_waitcnt lgkmcnt(0)
	v_add_f64 v[149:150], v[4:5], v[36:37]
	v_cvt_f32_f64_e32 v38, v[38:39]
	v_cvt_f32_f64_e32 v40, v[40:41]
	;; [unrolled: 1-line block ×3, first 2 shown]
	v_min3_f32 v90, v40, v38, v46
	v_add_f64 v[38:39], v[187:188], v[168:169]
	v_add_f64 v[40:41], v[185:186], v[166:167]
	v_cvt_f32_f64_e32 v38, v[38:39]
	v_cvt_f32_f64_e32 v40, v[40:41]
	v_min3_f32 v89, v40, v38, v47
	v_add_f64 v[38:39], v[8:9], v[168:169]
	v_add_f64 v[40:41], v[6:7], v[166:167]
	v_cvt_f32_f64_e32 v38, v[38:39]
	v_cvt_f32_f64_e32 v40, v[40:41]
	;; [unrolled: 5-line block ×5, first 2 shown]
	v_min3_f32 v85, v40, v38, v152
	v_add_f64 v[38:39], v[24:25], v[168:169]
	v_add_f64 v[40:41], v[22:23], v[166:167]
	;; [unrolled: 1-line block ×3, first 2 shown]
	v_cvt_f32_f64_e32 v38, v[38:39]
	v_cvt_f32_f64_e32 v40, v[40:41]
	;; [unrolled: 1-line block ×3, first 2 shown]
	v_min3_f32 v84, v40, v38, v153
	v_add_f64 v[38:39], v[28:29], v[168:169]
	v_add_f64 v[40:41], v[26:27], v[166:167]
	v_min3_f32 v218, v151, v149, v129
	v_cvt_f32_f64_e32 v38, v[38:39]
	v_cvt_f32_f64_e32 v40, v[40:41]
	v_min3_f32 v83, v40, v38, v154
	v_add_f64 v[38:39], v[32:33], v[168:169]
	v_add_f64 v[40:41], v[30:31], v[166:167]
	v_cvt_f32_f64_e32 v38, v[38:39]
	v_cvt_f32_f64_e32 v40, v[40:41]
	v_min3_f32 v82, v40, v38, v42
	v_add_f64 v[38:39], v[187:188], v[179:180]
	v_add_f64 v[40:41], v[185:186], v[177:178]
	;; [unrolled: 5-line block ×3, first 2 shown]
	v_add_f64 v[8:9], v[8:9], v[183:184]
	v_add_f64 v[6:7], v[6:7], v[181:182]
	v_cvt_f32_f64_e32 v38, v[38:39]
	v_cvt_f32_f64_e32 v40, v[40:41]
	;; [unrolled: 1-line block ×4, first 2 shown]
	v_add_f64 v[8:9], v[10:11], v[181:182]
	v_min3_f32 v80, v40, v38, v44
	v_add_f64 v[38:39], v[12:13], v[179:180]
	v_add_f64 v[40:41], v[10:11], v[177:178]
	v_min3_f32 v72, v6, v7, v191
	v_add_f64 v[6:7], v[12:13], v[183:184]
	v_cvt_f32_f64_e32 v8, v[8:9]
	v_cvt_f32_f64_e32 v38, v[38:39]
	v_cvt_f32_f64_e32 v40, v[40:41]
	v_cvt_f32_f64_e32 v6, v[6:7]
	v_min3_f32 v79, v40, v38, v45
	v_add_f64 v[38:39], v[16:17], v[179:180]
	v_add_f64 v[40:41], v[14:15], v[177:178]
	v_min3_f32 v71, v8, v6, v192
	v_add_f64 v[6:7], v[16:17], v[183:184]
	v_add_f64 v[8:9], v[14:15], v[181:182]
	v_cvt_f32_f64_e32 v38, v[38:39]
	v_cvt_f32_f64_e32 v40, v[40:41]
	v_cvt_f32_f64_e32 v6, v[6:7]
	v_cvt_f32_f64_e32 v8, v[8:9]
	v_min3_f32 v78, v40, v38, v155
	v_add_f64 v[38:39], v[20:21], v[179:180]
	v_add_f64 v[40:41], v[18:19], v[177:178]
	v_min3_f32 v70, v8, v6, v193
	v_add_f64 v[6:7], v[20:21], v[183:184]
	;; [unrolled: 10-line block ×5, first 2 shown]
	v_add_f64 v[8:9], v[30:31], v[181:182]
	v_cvt_f32_f64_e32 v38, v[38:39]
	v_cvt_f32_f64_e32 v40, v[40:41]
	;; [unrolled: 1-line block ×4, first 2 shown]
	v_min3_f32 v74, v40, v38, v189
	v_add_f64 v[38:39], v[187:188], v[183:184]
	v_add_f64 v[40:41], v[185:186], v[181:182]
	v_min3_f32 v66, v8, v6, v197
	v_cvt_f32_f64_e32 v38, v[38:39]
	v_cvt_f32_f64_e32 v40, v[40:41]
	v_min3_f32 v73, v40, v38, v190
	ds_read_b128 v[22:25], v146 offset:1040
	ds_read_b128 v[18:21], v146 offset:2064
	;; [unrolled: 1-line block ×14, first 2 shown]
	ds_write2st64_b64 v173, v[136:137], v[138:139] offset1:4
	ds_write2st64_b64 v173, v[140:141], v[142:143] offset0:8 offset1:12
	ds_write_b64 v174, v[134:135]
	s_waitcnt lgkmcnt(0)
	s_barrier
	buffer_gl0_inv
	v_add_f64 v[149:150], v[24:25], v[36:37]
	v_add_f64 v[151:152], v[22:23], v[34:35]
	v_cvt_f32_f64_e32 v149, v[149:150]
	v_cvt_f32_f64_e32 v129, v[151:152]
	v_min3_f32 v217, v129, v149, v128
	v_add_f64 v[128:129], v[20:21], v[36:37]
	v_add_f64 v[149:150], v[18:19], v[34:35]
	v_cvt_f32_f64_e32 v128, v[128:129]
	v_cvt_f32_f64_e32 v149, v[149:150]
	v_min3_f32 v216, v149, v128, v127
	;; [unrolled: 5-line block ×5, first 2 shown]
	v_add_f64 v[124:125], v[32:33], v[36:37]
	v_add_f64 v[126:127], v[30:31], v[34:35]
	;; [unrolled: 1-line block ×4, first 2 shown]
	v_cvt_f32_f64_e32 v124, v[124:125]
	v_cvt_f32_f64_e32 v126, v[126:127]
	;; [unrolled: 1-line block ×4, first 2 shown]
	v_add_f64 v[36:37], v[2:3], v[62:63]
	v_min3_f32 v212, v126, v124, v123
	v_min3_f32 v211, v34, v35, v122
	v_add_f64 v[34:35], v[4:5], v[64:65]
	v_cvt_f32_f64_e32 v36, v[36:37]
	v_cvt_f32_f64_e32 v34, v[34:35]
	v_min3_f32 v210, v36, v34, v121
	v_add_f64 v[34:35], v[24:25], v[64:65]
	v_add_f64 v[36:37], v[22:23], v[62:63]
	v_cvt_f32_f64_e32 v34, v[34:35]
	v_cvt_f32_f64_e32 v36, v[36:37]
	v_min3_f32 v209, v36, v34, v120
	v_add_f64 v[34:35], v[20:21], v[64:65]
	;; [unrolled: 5-line block ×40, first 2 shown]
	v_add_f64 v[36:37], v[2:3], v[42:43]
	v_add_f64 v[4:5], v[4:5], v[40:41]
	v_add_f64 v[2:3], v[2:3], v[38:39]
	v_cvt_f32_f64_e32 v34, v[34:35]
	v_cvt_f32_f64_e32 v36, v[36:37]
	;; [unrolled: 1-line block ×4, first 2 shown]
	v_add_f64 v[4:5], v[22:23], v[38:39]
	v_min3_f32 v164, v36, v34, v81
	v_add_f64 v[34:35], v[24:25], v[44:45]
	v_add_f64 v[36:37], v[22:23], v[42:43]
	v_min3_f32 v156, v2, v3, v73
	v_add_f64 v[2:3], v[24:25], v[40:41]
	v_cvt_f32_f64_e32 v4, v[4:5]
	v_cvt_f32_f64_e32 v34, v[34:35]
	v_cvt_f32_f64_e32 v36, v[36:37]
	v_cvt_f32_f64_e32 v2, v[2:3]
	v_min3_f32 v163, v36, v34, v80
	v_add_f64 v[34:35], v[20:21], v[44:45]
	v_add_f64 v[36:37], v[18:19], v[42:43]
	v_min3_f32 v155, v4, v2, v72
	v_add_f64 v[2:3], v[20:21], v[40:41]
	v_add_f64 v[4:5], v[18:19], v[38:39]
	v_cvt_f32_f64_e32 v34, v[34:35]
	v_cvt_f32_f64_e32 v36, v[36:37]
	v_cvt_f32_f64_e32 v2, v[2:3]
	v_cvt_f32_f64_e32 v4, v[4:5]
	v_min3_f32 v162, v36, v34, v79
	v_add_f64 v[34:35], v[16:17], v[44:45]
	v_add_f64 v[36:37], v[14:15], v[42:43]
	v_min3_f32 v154, v4, v2, v71
	v_add_f64 v[2:3], v[16:17], v[40:41]
	v_add_f64 v[4:5], v[14:15], v[38:39]
	v_cvt_f32_f64_e32 v34, v[34:35]
	v_cvt_f32_f64_e32 v36, v[36:37]
	v_cvt_f32_f64_e32 v2, v[2:3]
	v_cvt_f32_f64_e32 v4, v[4:5]
	v_min3_f32 v161, v36, v34, v78
	v_add_f64 v[34:35], v[12:13], v[44:45]
	v_add_f64 v[36:37], v[10:11], v[42:43]
	v_min3_f32 v153, v4, v2, v70
	v_add_f64 v[2:3], v[12:13], v[40:41]
	v_add_f64 v[4:5], v[10:11], v[38:39]
	v_cvt_f32_f64_e32 v34, v[34:35]
	v_cvt_f32_f64_e32 v36, v[36:37]
	v_cvt_f32_f64_e32 v2, v[2:3]
	v_cvt_f32_f64_e32 v4, v[4:5]
	v_min3_f32 v160, v36, v34, v77
	v_add_f64 v[34:35], v[8:9], v[44:45]
	v_add_f64 v[36:37], v[6:7], v[42:43]
	v_min3_f32 v152, v4, v2, v69
	v_add_f64 v[2:3], v[8:9], v[40:41]
	v_add_f64 v[4:5], v[6:7], v[38:39]
	v_cvt_f32_f64_e32 v34, v[34:35]
	v_cvt_f32_f64_e32 v36, v[36:37]
	v_cvt_f32_f64_e32 v2, v[2:3]
	v_cvt_f32_f64_e32 v4, v[4:5]
	v_min3_f32 v159, v36, v34, v76
	v_add_f64 v[34:35], v[32:33], v[44:45]
	v_add_f64 v[36:37], v[30:31], v[42:43]
	v_min3_f32 v151, v4, v2, v68
	v_add_f64 v[2:3], v[32:33], v[40:41]
	v_add_f64 v[4:5], v[30:31], v[38:39]
	v_cvt_f32_f64_e32 v34, v[34:35]
	v_cvt_f32_f64_e32 v36, v[36:37]
	v_cvt_f32_f64_e32 v2, v[2:3]
	v_cvt_f32_f64_e32 v4, v[4:5]
	v_min3_f32 v158, v36, v34, v75
	v_add_f64 v[34:35], v[28:29], v[44:45]
	v_add_f64 v[36:37], v[26:27], v[42:43]
	v_min3_f32 v150, v4, v2, v67
	v_add_f64 v[2:3], v[28:29], v[40:41]
	v_add_f64 v[4:5], v[26:27], v[38:39]
	v_cvt_f32_f64_e32 v34, v[34:35]
	v_cvt_f32_f64_e32 v36, v[36:37]
	;; [unrolled: 1-line block ×4, first 2 shown]
	v_min3_f32 v157, v36, v34, v74
	v_min3_f32 v149, v4, v2, v66
	s_cbranch_scc1 .LBB159_49
.LBB159_29:                             ; =>This Inner Loop Header: Depth=1
	v_add_nc_u32_e32 v30, s27, v144
	v_add_nc_u32_e32 v4, 8, v30
	v_min_i32_e32 v2, s28, v4
	v_cmp_le_i32_e64 s6, s14, v4
	v_mad_i64_i32 v[2:3], null, v2, s15, 0
	s_or_b32 s30, vcc_lo, s6
	v_cndmask_b32_e64 v135, 0, 0x7fefffff, s30
	v_cndmask_b32_e64 v134, 0, -1, s30
	v_lshlrev_b64 v[2:3], 3, v[2:3]
	v_add_co_u32 v2, s7, s24, v2
	v_add_co_ci_u32_e64 v3, null, s25, v3, s7
	s_nor_b32 s7, s29, s30
	s_and_saveexec_b32 s30, s7
	s_cbranch_execz .LBB159_31
; %bb.30:                               ;   in Loop: Header=BB159_29 Depth=1
	v_add_co_u32 v4, s7, v2, v130
	v_add_co_ci_u32_e64 v5, null, v3, v131, s7
	global_load_dwordx2 v[4:5], v[4:5], off
	s_waitcnt vmcnt(0)
	v_mul_f64 v[134:135], s[22:23], v[4:5]
.LBB159_31:                             ;   in Loop: Header=BB159_29 Depth=1
	s_or_b32 exec_lo, exec_lo, s30
	s_or_b32 s7, s0, s6
	v_cndmask_b32_e64 v137, 0, 0x7fefffff, s7
	v_cndmask_b32_e64 v136, 0, -1, s7
	s_nor_b32 s7, s29, s7
	s_and_saveexec_b32 s30, s7
	s_cbranch_execz .LBB159_33
; %bb.32:                               ;   in Loop: Header=BB159_29 Depth=1
	v_add_co_u32 v4, s7, v2, v130
	v_add_co_ci_u32_e64 v5, null, v3, v131, s7
	global_load_dwordx2 v[4:5], v[4:5], off offset:512
	s_waitcnt vmcnt(0)
	v_mul_f64 v[136:137], s[22:23], v[4:5]
.LBB159_33:                             ;   in Loop: Header=BB159_29 Depth=1
	s_or_b32 exec_lo, exec_lo, s30
	s_or_b32 s7, s1, s6
	v_cndmask_b32_e64 v139, 0, 0x7fefffff, s7
	v_cndmask_b32_e64 v138, 0, -1, s7
	s_nor_b32 s7, s29, s7
	s_and_saveexec_b32 s30, s7
	s_cbranch_execz .LBB159_35
; %bb.34:                               ;   in Loop: Header=BB159_29 Depth=1
	v_add_co_u32 v4, s7, v2, v130
	v_add_co_ci_u32_e64 v5, null, v3, v131, s7
	global_load_dwordx2 v[4:5], v[4:5], off offset:1024
	s_waitcnt vmcnt(0)
	v_mul_f64 v[138:139], s[22:23], v[4:5]
.LBB159_35:                             ;   in Loop: Header=BB159_29 Depth=1
	;; [unrolled: 14-line block ×3, first 2 shown]
	s_or_b32 exec_lo, exec_lo, s7
	v_add_nc_u32_e32 v219, s27, v147
	v_add_nc_u32_e32 v2, 8, v219
	v_cmp_le_i32_e64 s6, s14, v2
	s_or_b32 s6, s6, s3
	v_cndmask_b32_e64 v143, 0, 0x7fefffff, s6
	v_cndmask_b32_e64 v142, 0, -1, s6
	s_nor_b32 s7, s29, s6
	s_and_saveexec_b32 s6, s7
	s_cbranch_execz .LBB159_39
; %bb.38:                               ;   in Loop: Header=BB159_29 Depth=1
	global_load_dwordx2 v[2:3], v[132:133], off
	s_waitcnt vmcnt(0)
	v_mul_f64 v[142:143], s[22:23], v[2:3]
.LBB159_39:                             ;   in Loop: Header=BB159_29 Depth=1
	s_or_b32 exec_lo, exec_lo, s6
	ds_read_b128 v[126:129], v176
	ds_read_b128 v[62:65], v176 offset:16
	ds_read_b128 v[98:101], v175
	ds_read_b128 v[34:37], v175 offset:16
	ds_read_b128 v[94:97], v175 offset:1024
	;; [unrolled: 1-line block ×17, first 2 shown]
	v_add_nc_u32_e32 v222, 12, v30
	ds_read_b128 v[118:121], v176 offset:512
	ds_read_b128 v[54:57], v176 offset:528
	;; [unrolled: 1-line block ×8, first 2 shown]
	v_min_i32_e32 v30, s28, v222
	v_cmp_le_i32_e64 s6, s14, v222
	v_mad_i64_i32 v[220:221], null, v30, s15, 0
	ds_read_b128 v[102:105], v176 offset:1536
	ds_read_b128 v[38:41], v176 offset:1552
	;; [unrolled: 1-line block ×4, first 2 shown]
	ds_write2st64_b64 v148, v[134:135], v[136:137] offset1:4
	ds_write2st64_b64 v148, v[138:139], v[140:141] offset0:8 offset1:12
	ds_write_b64 v170, v[142:143]
	s_waitcnt lgkmcnt(0)
	s_barrier
	buffer_gl0_inv
	v_lshlrev_b64 v[220:221], 3, v[220:221]
	v_add_co_u32 v134, s7, s24, v220
	v_add_co_ci_u32_e64 v135, null, s25, v221, s7
	s_or_b32 s7, vcc_lo, s6
	v_cndmask_b32_e64 v137, 0, 0x7fefffff, s7
	v_cndmask_b32_e64 v136, 0, -1, s7
	s_nor_b32 s7, s29, s7
	s_and_saveexec_b32 s30, s7
	s_cbranch_execz .LBB159_41
; %bb.40:                               ;   in Loop: Header=BB159_29 Depth=1
	v_add_co_u32 v136, s7, v134, v130
	v_add_co_ci_u32_e64 v137, null, v135, v131, s7
	global_load_dwordx2 v[136:137], v[136:137], off
	s_waitcnt vmcnt(0)
	v_mul_f64 v[136:137], s[22:23], v[136:137]
.LBB159_41:                             ;   in Loop: Header=BB159_29 Depth=1
	s_or_b32 exec_lo, exec_lo, s30
	s_or_b32 s7, s0, s6
	v_cndmask_b32_e64 v139, 0, 0x7fefffff, s7
	v_cndmask_b32_e64 v138, 0, -1, s7
	s_nor_b32 s7, s29, s7
	s_and_saveexec_b32 s30, s7
	s_cbranch_execz .LBB159_43
; %bb.42:                               ;   in Loop: Header=BB159_29 Depth=1
	v_add_co_u32 v138, s7, v134, v130
	v_add_co_ci_u32_e64 v139, null, v135, v131, s7
	global_load_dwordx2 v[138:139], v[138:139], off offset:512
	s_waitcnt vmcnt(0)
	v_mul_f64 v[138:139], s[22:23], v[138:139]
.LBB159_43:                             ;   in Loop: Header=BB159_29 Depth=1
	s_or_b32 exec_lo, exec_lo, s30
	s_or_b32 s7, s1, s6
	v_cndmask_b32_e64 v141, 0, 0x7fefffff, s7
	v_cndmask_b32_e64 v140, 0, -1, s7
	s_nor_b32 s7, s29, s7
	s_and_saveexec_b32 s30, s7
	s_cbranch_execz .LBB159_45
; %bb.44:                               ;   in Loop: Header=BB159_29 Depth=1
	v_add_co_u32 v140, s7, v134, v130
	v_add_co_ci_u32_e64 v141, null, v135, v131, s7
	global_load_dwordx2 v[140:141], v[140:141], off offset:1024
	s_waitcnt vmcnt(0)
	v_mul_f64 v[140:141], s[22:23], v[140:141]
.LBB159_45:                             ;   in Loop: Header=BB159_29 Depth=1
	;; [unrolled: 14-line block ×3, first 2 shown]
	s_or_b32 exec_lo, exec_lo, s7
	v_add_nc_u32_e32 v134, 12, v219
	v_cmp_le_i32_e64 s6, s14, v134
	s_or_b32 s6, s6, s3
	v_cndmask_b32_e64 v135, 0, 0x7fefffff, s6
	v_cndmask_b32_e64 v134, 0, -1, s6
	s_nor_b32 s7, s29, s6
	s_and_saveexec_b32 s6, s7
	s_cbranch_execz .LBB159_28
; %bb.48:                               ;   in Loop: Header=BB159_29 Depth=1
	global_load_dwordx2 v[134:135], v[132:133], off offset:32
	s_waitcnt vmcnt(0)
	v_mul_f64 v[134:135], s[22:23], v[134:135]
	s_branch .LBB159_28
.LBB159_49:
	s_clause 0x2
	s_load_dwordx2 s[0:1], s[4:5], 0x78
	s_load_dword s15, s[4:5], 0x58
	s_load_dword s14, s[4:5], 0x70
	ds_read_b128 v[70:73], v146 offset:8192
	ds_read_b128 v[66:69], v146 offset:8208
	;; [unrolled: 1-line block ×18, first 2 shown]
	v_add_nc_u32_e32 v146, s9, v1
	ds_read_b128 v[118:121], v145 offset:18688
	ds_read_b128 v[114:117], v145 offset:18704
	;; [unrolled: 1-line block ×14, first 2 shown]
	v_add_nc_u32_e32 v0, s8, v0
	v_cmp_gt_i32_e64 s8, s13, v146
	v_cndmask_b32_e64 v144, 0, 1, s21
	v_ashrrev_i32_e32 v1, 31, v0
	s_waitcnt lgkmcnt(0)
	s_mul_i32 s1, s1, s20
	v_mad_i64_i32 v[130:131], null, v146, s15, 0
	v_mad_i64_i32 v[132:133], null, v146, s14, 0
	s_mul_hi_u32 s2, s0, s20
	s_mul_i32 s0, s0, s20
	s_add_i32 s1, s2, s1
	s_lshl_b64 s[0:1], s[0:1], 3
	v_lshlrev_b64 v[130:131], 3, v[130:131]
	v_lshlrev_b64 v[132:133], 3, v[132:133]
	s_add_u32 s10, s10, s0
	s_addc_u32 s9, s11, s1
	v_cmp_gt_i32_e64 s0, s12, v0
	v_add_co_u32 v148, vcc_lo, s18, v130
	v_add_co_ci_u32_e64 v170, null, s19, v131, vcc_lo
	v_add_co_u32 v145, vcc_lo, s10, v132
	v_add_co_ci_u32_e64 v147, null, s9, v133, vcc_lo
	s_and_b32 s2, s0, s8
	s_and_saveexec_b32 s1, s2
	s_cbranch_execz .LBB159_54
; %bb.50:
	s_andn2_b32 vcc_lo, exec_lo, s21
	s_cbranch_vccnz .LBB159_52
; %bb.51:
	v_lshlrev_b64 v[130:131], 3, v[0:1]
	v_add_co_u32 v130, vcc_lo, v148, v130
	v_add_co_ci_u32_e64 v131, null, v170, v131, vcc_lo
	global_load_dwordx2 v[130:131], v[130:131], off
	s_waitcnt vmcnt(0)
	v_mul_f64 v[130:131], s[16:17], v[130:131]
	v_cvt_f32_f64_e32 v130, v[130:131]
	s_branch .LBB159_53
.LBB159_52:
	v_mov_b32_e32 v130, 0
.LBB159_53:
	v_add_f64 v[131:132], v[70:71], v[126:127]
	v_add_f64 v[133:134], v[72:73], v[128:129]
	;; [unrolled: 1-line block ×4, first 2 shown]
	v_cvt_f32_f64_e32 v131, v[131:132]
	v_cvt_f32_f64_e32 v132, v[133:134]
	;; [unrolled: 1-line block ×4, first 2 shown]
	v_min3_f32 v131, v131, v132, v218
	v_min_f32_e32 v132, v133, v134
	v_min3_f32 v130, v130, v132, v131
	v_lshlrev_b64 v[132:133], 3, v[0:1]
	v_cvt_f64_f32_e32 v[130:131], v130
	v_add_co_u32 v132, vcc_lo, v145, v132
	v_add_co_ci_u32_e64 v133, null, v147, v133, vcc_lo
	global_store_dwordx2 v[132:133], v[130:131], off
.LBB159_54:
	s_or_b32 exec_lo, exec_lo, s1
	v_add_nc_u32_e32 v130, 32, v0
	v_cmp_gt_i32_e64 s1, s12, v130
	v_ashrrev_i32_e32 v131, 31, v130
	s_and_b32 s3, s1, s8
	s_and_saveexec_b32 s2, s3
	s_cbranch_execz .LBB159_59
; %bb.55:
	v_cmp_ne_u32_e32 vcc_lo, 1, v144
	s_cbranch_vccnz .LBB159_57
; %bb.56:
	v_lshlrev_b64 v[132:133], 3, v[130:131]
	v_add_co_u32 v132, vcc_lo, v148, v132
	v_add_co_ci_u32_e64 v133, null, v170, v133, vcc_lo
	global_load_dwordx2 v[132:133], v[132:133], off
	s_waitcnt vmcnt(0)
	v_mul_f64 v[132:133], s[16:17], v[132:133]
	v_cvt_f32_f64_e32 v132, v[132:133]
	s_branch .LBB159_58
.LBB159_57:
	v_mov_b32_e32 v132, 0
.LBB159_58:
	v_add_f64 v[133:134], v[62:63], v[126:127]
	v_add_f64 v[135:136], v[64:65], v[128:129]
	v_add_f64 v[137:138], v[58:59], v[122:123]
	v_add_f64 v[139:140], v[60:61], v[124:125]
	v_cvt_f32_f64_e32 v133, v[133:134]
	v_cvt_f32_f64_e32 v134, v[135:136]
	v_cvt_f32_f64_e32 v135, v[137:138]
	v_cvt_f32_f64_e32 v136, v[139:140]
	v_min3_f32 v133, v133, v134, v217
	v_min_f32_e32 v134, v135, v136
	v_min3_f32 v132, v132, v134, v133
	v_lshlrev_b64 v[134:135], 3, v[130:131]
	v_cvt_f64_f32_e32 v[132:133], v132
	v_add_co_u32 v134, vcc_lo, v145, v134
	v_add_co_ci_u32_e64 v135, null, v147, v135, vcc_lo
	global_store_dwordx2 v[134:135], v[132:133], off
.LBB159_59:
	s_or_b32 exec_lo, exec_lo, s2
	v_add_nc_u32_e32 v132, 64, v0
	v_cmp_gt_i32_e64 s2, s12, v132
	v_ashrrev_i32_e32 v133, 31, v132
	s_and_b32 s4, s2, s8
	s_and_saveexec_b32 s3, s4
	s_cbranch_execz .LBB159_64
; %bb.60:
	v_cmp_ne_u32_e32 vcc_lo, 1, v144
	s_cbranch_vccnz .LBB159_62
; %bb.61:
	v_lshlrev_b64 v[134:135], 3, v[132:133]
	v_add_co_u32 v134, vcc_lo, v148, v134
	v_add_co_ci_u32_e64 v135, null, v170, v135, vcc_lo
	global_load_dwordx2 v[134:135], v[134:135], off
	s_waitcnt vmcnt(0)
	v_mul_f64 v[134:135], s[16:17], v[134:135]
	v_cvt_f32_f64_e32 v134, v[134:135]
	s_branch .LBB159_63
.LBB159_62:
	v_mov_b32_e32 v134, 0
.LBB159_63:
	v_add_f64 v[135:136], v[54:55], v[126:127]
	v_add_f64 v[137:138], v[56:57], v[128:129]
	v_add_f64 v[139:140], v[50:51], v[122:123]
	v_add_f64 v[141:142], v[52:53], v[124:125]
	v_cvt_f32_f64_e32 v135, v[135:136]
	v_cvt_f32_f64_e32 v136, v[137:138]
	v_cvt_f32_f64_e32 v137, v[139:140]
	v_cvt_f32_f64_e32 v138, v[141:142]
	v_min3_f32 v135, v135, v136, v216
	v_min_f32_e32 v136, v137, v138
	v_min3_f32 v134, v134, v136, v135
	v_lshlrev_b64 v[136:137], 3, v[132:133]
	v_cvt_f64_f32_e32 v[134:135], v134
	v_add_co_u32 v136, vcc_lo, v145, v136
	v_add_co_ci_u32_e64 v137, null, v147, v137, vcc_lo
	global_store_dwordx2 v[136:137], v[134:135], off
.LBB159_64:
	;; [unrolled: 39-line block ×5, first 2 shown]
	s_or_b32 exec_lo, exec_lo, s6
	v_add_nc_u32_e32 v140, 0xc0, v0
	v_cmp_gt_i32_e64 s6, s12, v140
	v_ashrrev_i32_e32 v141, 31, v140
	s_and_b32 s11, s6, s8
	s_and_saveexec_b32 s7, s11
	s_cbranch_execz .LBB159_84
; %bb.80:
	v_cmp_ne_u32_e32 vcc_lo, 1, v144
	s_cbranch_vccnz .LBB159_82
; %bb.81:
	v_lshlrev_b64 v[142:143], 3, v[140:141]
	v_add_co_u32 v142, vcc_lo, v148, v142
	v_add_co_ci_u32_e64 v143, null, v170, v143, vcc_lo
	global_load_dwordx2 v[142:143], v[142:143], off
	s_waitcnt vmcnt(0)
	v_mul_f64 v[142:143], s[16:17], v[142:143]
	v_cvt_f32_f64_e32 v142, v[142:143]
	s_branch .LBB159_83
.LBB159_82:
	v_mov_b32_e32 v142, 0
.LBB159_83:
	v_add_f64 v[173:174], v[22:23], v[126:127]
	v_add_f64 v[175:176], v[24:25], v[128:129]
	v_add_f64 v[213:214], v[18:19], v[122:123]
	v_add_f64 v[215:216], v[20:21], v[124:125]
	v_cvt_f32_f64_e32 v143, v[173:174]
	v_cvt_f32_f64_e32 v171, v[175:176]
	v_cvt_f32_f64_e32 v173, v[213:214]
	v_cvt_f32_f64_e32 v174, v[215:216]
	v_min3_f32 v143, v143, v171, v212
	v_min_f32_e32 v171, v173, v174
	v_lshlrev_b64 v[173:174], 3, v[140:141]
	v_min3_f32 v142, v142, v171, v143
	v_add_co_u32 v173, vcc_lo, v145, v173
	v_add_co_ci_u32_e64 v174, null, v147, v174, vcc_lo
	v_cvt_f64_f32_e32 v[142:143], v142
	global_store_dwordx2 v[173:174], v[142:143], off
.LBB159_84:
	s_or_b32 exec_lo, exec_lo, s7
	v_add_nc_u32_e32 v142, 0xe0, v0
	v_cmp_gt_i32_e64 s7, s12, v142
	v_ashrrev_i32_e32 v143, 31, v142
	s_and_b32 s11, s7, s8
	s_and_saveexec_b32 s8, s11
	s_cbranch_execz .LBB159_89
; %bb.85:
	v_cmp_ne_u32_e32 vcc_lo, 1, v144
	s_cbranch_vccnz .LBB159_87
; %bb.86:
	v_lshlrev_b64 v[173:174], 3, v[142:143]
	v_add_co_u32 v173, vcc_lo, v148, v173
	v_add_co_ci_u32_e64 v174, null, v170, v174, vcc_lo
	global_load_dwordx2 v[170:171], v[173:174], off
	s_waitcnt vmcnt(0)
	v_mul_f64 v[170:171], s[16:17], v[170:171]
	v_cvt_f32_f64_e32 v148, v[170:171]
	s_branch .LBB159_88
.LBB159_87:
	v_mov_b32_e32 v148, 0
.LBB159_88:
	v_add_f64 v[126:127], v[6:7], v[126:127]
	v_add_f64 v[128:129], v[8:9], v[128:129]
	;; [unrolled: 1-line block ×4, first 2 shown]
	v_cvt_f32_f64_e32 v126, v[126:127]
	v_cvt_f32_f64_e32 v127, v[128:129]
	;; [unrolled: 1-line block ×4, first 2 shown]
	v_min3_f32 v124, v126, v127, v211
	v_min_f32_e32 v122, v122, v123
	v_min3_f32 v122, v148, v122, v124
	v_lshlrev_b64 v[124:125], 3, v[142:143]
	v_cvt_f64_f32_e32 v[122:123], v122
	v_add_co_u32 v124, vcc_lo, v145, v124
	v_add_co_ci_u32_e64 v125, null, v147, v125, vcc_lo
	global_store_dwordx2 v[124:125], v[122:123], off
.LBB159_89:
	s_or_b32 exec_lo, exec_lo, s8
	v_add_nc_u32_e32 v126, 8, v146
	v_mad_i64_i32 v[122:123], null, v126, s15, 0
	v_mad_i64_i32 v[124:125], null, v126, s14, 0
	v_cmp_gt_i32_e64 s8, s13, v126
	v_lshlrev_b64 v[122:123], 3, v[122:123]
	s_and_b32 s12, s0, s8
	v_lshlrev_b64 v[126:127], 3, v[124:125]
	v_add_co_u32 v124, vcc_lo, s18, v122
	v_add_co_ci_u32_e64 v125, null, s19, v123, vcc_lo
	v_add_co_u32 v122, vcc_lo, s10, v126
	v_add_co_ci_u32_e64 v123, null, s9, v127, vcc_lo
	s_and_saveexec_b32 s11, s12
	s_cbranch_execnz .LBB159_97
; %bb.90:
	s_or_b32 exec_lo, exec_lo, s11
	s_and_b32 s12, s1, s8
	s_and_saveexec_b32 s11, s12
	s_cbranch_execnz .LBB159_101
.LBB159_91:
	s_or_b32 exec_lo, exec_lo, s11
	s_and_b32 s12, s2, s8
	s_and_saveexec_b32 s11, s12
	s_cbranch_execnz .LBB159_105
.LBB159_92:
	s_or_b32 exec_lo, exec_lo, s11
	s_and_b32 s12, s3, s8
	s_and_saveexec_b32 s11, s12
	s_cbranch_execnz .LBB159_109
.LBB159_93:
	s_or_b32 exec_lo, exec_lo, s11
	s_and_b32 s12, s4, s8
	s_and_saveexec_b32 s11, s12
	s_cbranch_execnz .LBB159_113
.LBB159_94:
	s_or_b32 exec_lo, exec_lo, s11
	s_and_b32 s12, s5, s8
	s_and_saveexec_b32 s11, s12
	s_cbranch_execnz .LBB159_117
.LBB159_95:
	s_or_b32 exec_lo, exec_lo, s11
	s_and_b32 s12, s6, s8
	s_and_saveexec_b32 s11, s12
	s_cbranch_execnz .LBB159_121
.LBB159_96:
	s_or_b32 exec_lo, exec_lo, s11
	s_and_b32 s11, s7, s8
	s_and_saveexec_b32 s8, s11
	s_cbranch_execnz .LBB159_125
	s_branch .LBB159_129
.LBB159_97:
	v_cmp_ne_u32_e32 vcc_lo, 1, v144
	s_cbranch_vccnz .LBB159_99
; %bb.98:
	v_lshlrev_b64 v[126:127], 3, v[0:1]
	v_add_co_u32 v126, vcc_lo, v124, v126
	v_add_co_ci_u32_e64 v127, null, v125, v127, vcc_lo
	global_load_dwordx2 v[126:127], v[126:127], off
	s_waitcnt vmcnt(0)
	v_mul_f64 v[126:127], s[16:17], v[126:127]
	v_cvt_f32_f64_e32 v126, v[126:127]
	s_branch .LBB159_100
.LBB159_99:
	v_mov_b32_e32 v126, 0
.LBB159_100:
	v_add_f64 v[127:128], v[70:71], v[118:119]
	v_add_f64 v[147:148], v[72:73], v[120:121]
	;; [unrolled: 1-line block ×4, first 2 shown]
	v_cvt_f32_f64_e32 v127, v[127:128]
	v_cvt_f32_f64_e32 v128, v[147:148]
	;; [unrolled: 1-line block ×4, first 2 shown]
	v_min3_f32 v127, v127, v128, v210
	v_min_f32_e32 v128, v129, v145
	v_min3_f32 v126, v126, v128, v127
	v_lshlrev_b64 v[128:129], 3, v[0:1]
	v_cvt_f64_f32_e32 v[126:127], v126
	v_add_co_u32 v128, vcc_lo, v122, v128
	v_add_co_ci_u32_e64 v129, null, v123, v129, vcc_lo
	global_store_dwordx2 v[128:129], v[126:127], off
	s_or_b32 exec_lo, exec_lo, s11
	s_and_b32 s12, s1, s8
	s_and_saveexec_b32 s11, s12
	s_cbranch_execz .LBB159_91
.LBB159_101:
	v_cmp_ne_u32_e32 vcc_lo, 1, v144
	s_cbranch_vccnz .LBB159_103
; %bb.102:
	v_lshlrev_b64 v[126:127], 3, v[130:131]
	v_add_co_u32 v126, vcc_lo, v124, v126
	v_add_co_ci_u32_e64 v127, null, v125, v127, vcc_lo
	global_load_dwordx2 v[126:127], v[126:127], off
	s_waitcnt vmcnt(0)
	v_mul_f64 v[126:127], s[16:17], v[126:127]
	v_cvt_f32_f64_e32 v126, v[126:127]
	s_branch .LBB159_104
.LBB159_103:
	v_mov_b32_e32 v126, 0
.LBB159_104:
	v_add_f64 v[127:128], v[62:63], v[118:119]
	v_add_f64 v[147:148], v[64:65], v[120:121]
	v_add_f64 v[170:171], v[58:59], v[114:115]
	v_add_f64 v[173:174], v[60:61], v[116:117]
	v_cvt_f32_f64_e32 v127, v[127:128]
	v_cvt_f32_f64_e32 v128, v[147:148]
	;; [unrolled: 1-line block ×4, first 2 shown]
	v_min3_f32 v127, v127, v128, v209
	v_min_f32_e32 v128, v129, v145
	v_min3_f32 v126, v126, v128, v127
	v_lshlrev_b64 v[128:129], 3, v[130:131]
	v_cvt_f64_f32_e32 v[126:127], v126
	v_add_co_u32 v128, vcc_lo, v122, v128
	v_add_co_ci_u32_e64 v129, null, v123, v129, vcc_lo
	global_store_dwordx2 v[128:129], v[126:127], off
	s_or_b32 exec_lo, exec_lo, s11
	s_and_b32 s12, s2, s8
	s_and_saveexec_b32 s11, s12
	s_cbranch_execz .LBB159_92
.LBB159_105:
	v_cmp_ne_u32_e32 vcc_lo, 1, v144
	s_cbranch_vccnz .LBB159_107
; %bb.106:
	v_lshlrev_b64 v[126:127], 3, v[132:133]
	v_add_co_u32 v126, vcc_lo, v124, v126
	v_add_co_ci_u32_e64 v127, null, v125, v127, vcc_lo
	global_load_dwordx2 v[126:127], v[126:127], off
	s_waitcnt vmcnt(0)
	v_mul_f64 v[126:127], s[16:17], v[126:127]
	v_cvt_f32_f64_e32 v126, v[126:127]
	s_branch .LBB159_108
.LBB159_107:
	v_mov_b32_e32 v126, 0
.LBB159_108:
	v_add_f64 v[127:128], v[54:55], v[118:119]
	v_add_f64 v[147:148], v[56:57], v[120:121]
	;; [unrolled: 1-line block ×4, first 2 shown]
	v_cvt_f32_f64_e32 v127, v[127:128]
	v_cvt_f32_f64_e32 v128, v[147:148]
	;; [unrolled: 1-line block ×4, first 2 shown]
	v_min3_f32 v127, v127, v128, v208
	v_min_f32_e32 v128, v129, v145
	v_min3_f32 v126, v126, v128, v127
	v_lshlrev_b64 v[128:129], 3, v[132:133]
	v_cvt_f64_f32_e32 v[126:127], v126
	v_add_co_u32 v128, vcc_lo, v122, v128
	v_add_co_ci_u32_e64 v129, null, v123, v129, vcc_lo
	global_store_dwordx2 v[128:129], v[126:127], off
	s_or_b32 exec_lo, exec_lo, s11
	s_and_b32 s12, s3, s8
	s_and_saveexec_b32 s11, s12
	s_cbranch_execz .LBB159_93
.LBB159_109:
	v_cmp_ne_u32_e32 vcc_lo, 1, v144
	s_cbranch_vccnz .LBB159_111
; %bb.110:
	v_lshlrev_b64 v[126:127], 3, v[134:135]
	v_add_co_u32 v126, vcc_lo, v124, v126
	v_add_co_ci_u32_e64 v127, null, v125, v127, vcc_lo
	global_load_dwordx2 v[126:127], v[126:127], off
	s_waitcnt vmcnt(0)
	v_mul_f64 v[126:127], s[16:17], v[126:127]
	v_cvt_f32_f64_e32 v126, v[126:127]
	s_branch .LBB159_112
.LBB159_111:
	v_mov_b32_e32 v126, 0
.LBB159_112:
	v_add_f64 v[127:128], v[46:47], v[118:119]
	v_add_f64 v[147:148], v[48:49], v[120:121]
	;; [unrolled: 1-line block ×4, first 2 shown]
	v_cvt_f32_f64_e32 v127, v[127:128]
	v_cvt_f32_f64_e32 v128, v[147:148]
	;; [unrolled: 1-line block ×4, first 2 shown]
	v_min3_f32 v127, v127, v128, v207
	v_min_f32_e32 v128, v129, v145
	v_min3_f32 v126, v126, v128, v127
	v_lshlrev_b64 v[128:129], 3, v[134:135]
	v_cvt_f64_f32_e32 v[126:127], v126
	v_add_co_u32 v128, vcc_lo, v122, v128
	v_add_co_ci_u32_e64 v129, null, v123, v129, vcc_lo
	global_store_dwordx2 v[128:129], v[126:127], off
	s_or_b32 exec_lo, exec_lo, s11
	s_and_b32 s12, s4, s8
	s_and_saveexec_b32 s11, s12
	s_cbranch_execz .LBB159_94
.LBB159_113:
	v_cmp_ne_u32_e32 vcc_lo, 1, v144
	s_cbranch_vccnz .LBB159_115
; %bb.114:
	v_lshlrev_b64 v[126:127], 3, v[136:137]
	v_add_co_u32 v126, vcc_lo, v124, v126
	v_add_co_ci_u32_e64 v127, null, v125, v127, vcc_lo
	global_load_dwordx2 v[126:127], v[126:127], off
	s_waitcnt vmcnt(0)
	v_mul_f64 v[126:127], s[16:17], v[126:127]
	v_cvt_f32_f64_e32 v126, v[126:127]
	s_branch .LBB159_116
.LBB159_115:
	v_mov_b32_e32 v126, 0
.LBB159_116:
	v_add_f64 v[127:128], v[38:39], v[118:119]
	v_add_f64 v[147:148], v[40:41], v[120:121]
	;; [unrolled: 1-line block ×4, first 2 shown]
	v_cvt_f32_f64_e32 v127, v[127:128]
	v_cvt_f32_f64_e32 v128, v[147:148]
	;; [unrolled: 1-line block ×4, first 2 shown]
	v_min3_f32 v127, v127, v128, v206
	v_min_f32_e32 v128, v129, v145
	v_min3_f32 v126, v126, v128, v127
	v_lshlrev_b64 v[128:129], 3, v[136:137]
	v_cvt_f64_f32_e32 v[126:127], v126
	v_add_co_u32 v128, vcc_lo, v122, v128
	v_add_co_ci_u32_e64 v129, null, v123, v129, vcc_lo
	global_store_dwordx2 v[128:129], v[126:127], off
	s_or_b32 exec_lo, exec_lo, s11
	s_and_b32 s12, s5, s8
	s_and_saveexec_b32 s11, s12
	s_cbranch_execz .LBB159_95
.LBB159_117:
	v_cmp_ne_u32_e32 vcc_lo, 1, v144
	s_cbranch_vccnz .LBB159_119
; %bb.118:
	v_lshlrev_b64 v[126:127], 3, v[138:139]
	v_add_co_u32 v126, vcc_lo, v124, v126
	v_add_co_ci_u32_e64 v127, null, v125, v127, vcc_lo
	global_load_dwordx2 v[126:127], v[126:127], off
	s_waitcnt vmcnt(0)
	v_mul_f64 v[126:127], s[16:17], v[126:127]
	v_cvt_f32_f64_e32 v126, v[126:127]
	s_branch .LBB159_120
.LBB159_119:
	v_mov_b32_e32 v126, 0
.LBB159_120:
	v_add_f64 v[127:128], v[30:31], v[118:119]
	v_add_f64 v[147:148], v[32:33], v[120:121]
	;; [unrolled: 1-line block ×4, first 2 shown]
	v_cvt_f32_f64_e32 v127, v[127:128]
	v_cvt_f32_f64_e32 v128, v[147:148]
	;; [unrolled: 1-line block ×4, first 2 shown]
	v_min3_f32 v127, v127, v128, v205
	v_min_f32_e32 v128, v129, v145
	v_min3_f32 v126, v126, v128, v127
	v_lshlrev_b64 v[128:129], 3, v[138:139]
	v_cvt_f64_f32_e32 v[126:127], v126
	v_add_co_u32 v128, vcc_lo, v122, v128
	v_add_co_ci_u32_e64 v129, null, v123, v129, vcc_lo
	global_store_dwordx2 v[128:129], v[126:127], off
	s_or_b32 exec_lo, exec_lo, s11
	s_and_b32 s12, s6, s8
	s_and_saveexec_b32 s11, s12
	s_cbranch_execz .LBB159_96
.LBB159_121:
	v_cmp_ne_u32_e32 vcc_lo, 1, v144
	s_cbranch_vccnz .LBB159_123
; %bb.122:
	v_lshlrev_b64 v[126:127], 3, v[140:141]
	v_add_co_u32 v126, vcc_lo, v124, v126
	v_add_co_ci_u32_e64 v127, null, v125, v127, vcc_lo
	global_load_dwordx2 v[126:127], v[126:127], off
	s_waitcnt vmcnt(0)
	v_mul_f64 v[126:127], s[16:17], v[126:127]
	v_cvt_f32_f64_e32 v126, v[126:127]
	s_branch .LBB159_124
.LBB159_123:
	v_mov_b32_e32 v126, 0
.LBB159_124:
	v_add_f64 v[127:128], v[22:23], v[118:119]
	v_add_f64 v[147:148], v[24:25], v[120:121]
	;; [unrolled: 1-line block ×4, first 2 shown]
	v_cvt_f32_f64_e32 v127, v[127:128]
	v_cvt_f32_f64_e32 v128, v[147:148]
	;; [unrolled: 1-line block ×4, first 2 shown]
	v_min3_f32 v127, v127, v128, v204
	v_min_f32_e32 v128, v129, v145
	v_min3_f32 v126, v126, v128, v127
	v_lshlrev_b64 v[128:129], 3, v[140:141]
	v_cvt_f64_f32_e32 v[126:127], v126
	v_add_co_u32 v128, vcc_lo, v122, v128
	v_add_co_ci_u32_e64 v129, null, v123, v129, vcc_lo
	global_store_dwordx2 v[128:129], v[126:127], off
	s_or_b32 exec_lo, exec_lo, s11
	s_and_b32 s11, s7, s8
	s_and_saveexec_b32 s8, s11
	s_cbranch_execz .LBB159_129
.LBB159_125:
	v_cmp_ne_u32_e32 vcc_lo, 1, v144
	s_cbranch_vccnz .LBB159_127
; %bb.126:
	v_lshlrev_b64 v[126:127], 3, v[142:143]
	v_add_co_u32 v124, vcc_lo, v124, v126
	v_add_co_ci_u32_e64 v125, null, v125, v127, vcc_lo
	global_load_dwordx2 v[124:125], v[124:125], off
	s_waitcnt vmcnt(0)
	v_mul_f64 v[124:125], s[16:17], v[124:125]
	v_cvt_f32_f64_e32 v124, v[124:125]
	s_branch .LBB159_128
.LBB159_127:
	v_mov_b32_e32 v124, 0
.LBB159_128:
	v_add_f64 v[118:119], v[6:7], v[118:119]
	v_add_f64 v[120:121], v[8:9], v[120:121]
	;; [unrolled: 1-line block ×4, first 2 shown]
	v_cvt_f32_f64_e32 v118, v[118:119]
	v_cvt_f32_f64_e32 v119, v[120:121]
	;; [unrolled: 1-line block ×4, first 2 shown]
	v_min3_f32 v116, v118, v119, v203
	v_min_f32_e32 v114, v114, v115
	v_min3_f32 v114, v124, v114, v116
	v_lshlrev_b64 v[116:117], 3, v[142:143]
	v_cvt_f64_f32_e32 v[114:115], v114
	v_add_co_u32 v116, vcc_lo, v122, v116
	v_add_co_ci_u32_e64 v117, null, v123, v117, vcc_lo
	global_store_dwordx2 v[116:117], v[114:115], off
.LBB159_129:
	s_or_b32 exec_lo, exec_lo, s8
	v_add_nc_u32_e32 v118, 16, v146
	v_mad_i64_i32 v[114:115], null, v118, s15, 0
	v_mad_i64_i32 v[116:117], null, v118, s14, 0
	v_cmp_gt_i32_e64 s8, s13, v118
	v_lshlrev_b64 v[114:115], 3, v[114:115]
	s_and_b32 s12, s0, s8
	v_lshlrev_b64 v[118:119], 3, v[116:117]
	v_add_co_u32 v116, vcc_lo, s18, v114
	v_add_co_ci_u32_e64 v117, null, s19, v115, vcc_lo
	v_add_co_u32 v114, vcc_lo, s10, v118
	v_add_co_ci_u32_e64 v115, null, s9, v119, vcc_lo
	s_and_saveexec_b32 s11, s12
	s_cbranch_execnz .LBB159_137
; %bb.130:
	s_or_b32 exec_lo, exec_lo, s11
	s_and_b32 s12, s1, s8
	s_and_saveexec_b32 s11, s12
	s_cbranch_execnz .LBB159_141
.LBB159_131:
	s_or_b32 exec_lo, exec_lo, s11
	s_and_b32 s12, s2, s8
	s_and_saveexec_b32 s11, s12
	s_cbranch_execnz .LBB159_145
.LBB159_132:
	s_or_b32 exec_lo, exec_lo, s11
	s_and_b32 s12, s3, s8
	s_and_saveexec_b32 s11, s12
	s_cbranch_execnz .LBB159_149
.LBB159_133:
	s_or_b32 exec_lo, exec_lo, s11
	s_and_b32 s12, s4, s8
	s_and_saveexec_b32 s11, s12
	s_cbranch_execnz .LBB159_153
.LBB159_134:
	s_or_b32 exec_lo, exec_lo, s11
	s_and_b32 s12, s5, s8
	s_and_saveexec_b32 s11, s12
	s_cbranch_execnz .LBB159_157
.LBB159_135:
	s_or_b32 exec_lo, exec_lo, s11
	s_and_b32 s12, s6, s8
	s_and_saveexec_b32 s11, s12
	s_cbranch_execnz .LBB159_161
.LBB159_136:
	s_or_b32 exec_lo, exec_lo, s11
	s_and_b32 s11, s7, s8
	s_and_saveexec_b32 s8, s11
	s_cbranch_execnz .LBB159_165
	s_branch .LBB159_169
.LBB159_137:
	v_cmp_ne_u32_e32 vcc_lo, 1, v144
	s_cbranch_vccnz .LBB159_139
; %bb.138:
	v_lshlrev_b64 v[118:119], 3, v[0:1]
	v_add_co_u32 v118, vcc_lo, v116, v118
	v_add_co_ci_u32_e64 v119, null, v117, v119, vcc_lo
	global_load_dwordx2 v[118:119], v[118:119], off
	s_waitcnt vmcnt(0)
	v_mul_f64 v[118:119], s[16:17], v[118:119]
	v_cvt_f32_f64_e32 v118, v[118:119]
	s_branch .LBB159_140
.LBB159_139:
	v_mov_b32_e32 v118, 0
.LBB159_140:
	v_add_f64 v[119:120], v[70:71], v[110:111]
	v_add_f64 v[121:122], v[72:73], v[112:113]
	;; [unrolled: 1-line block ×4, first 2 shown]
	v_cvt_f32_f64_e32 v119, v[119:120]
	v_cvt_f32_f64_e32 v120, v[121:122]
	;; [unrolled: 1-line block ×4, first 2 shown]
	v_min3_f32 v119, v119, v120, v202
	v_min_f32_e32 v120, v121, v122
	v_min3_f32 v118, v118, v120, v119
	v_lshlrev_b64 v[120:121], 3, v[0:1]
	v_cvt_f64_f32_e32 v[118:119], v118
	v_add_co_u32 v120, vcc_lo, v114, v120
	v_add_co_ci_u32_e64 v121, null, v115, v121, vcc_lo
	global_store_dwordx2 v[120:121], v[118:119], off
	s_or_b32 exec_lo, exec_lo, s11
	s_and_b32 s12, s1, s8
	s_and_saveexec_b32 s11, s12
	s_cbranch_execz .LBB159_131
.LBB159_141:
	v_cmp_ne_u32_e32 vcc_lo, 1, v144
	s_cbranch_vccnz .LBB159_143
; %bb.142:
	v_lshlrev_b64 v[118:119], 3, v[130:131]
	v_add_co_u32 v118, vcc_lo, v116, v118
	v_add_co_ci_u32_e64 v119, null, v117, v119, vcc_lo
	global_load_dwordx2 v[118:119], v[118:119], off
	s_waitcnt vmcnt(0)
	v_mul_f64 v[118:119], s[16:17], v[118:119]
	v_cvt_f32_f64_e32 v118, v[118:119]
	s_branch .LBB159_144
.LBB159_143:
	v_mov_b32_e32 v118, 0
.LBB159_144:
	v_add_f64 v[119:120], v[62:63], v[110:111]
	v_add_f64 v[121:122], v[64:65], v[112:113]
	;; [unrolled: 1-line block ×4, first 2 shown]
	v_cvt_f32_f64_e32 v119, v[119:120]
	v_cvt_f32_f64_e32 v120, v[121:122]
	;; [unrolled: 1-line block ×4, first 2 shown]
	v_min3_f32 v119, v119, v120, v201
	v_min_f32_e32 v120, v121, v122
	v_min3_f32 v118, v118, v120, v119
	v_lshlrev_b64 v[120:121], 3, v[130:131]
	v_cvt_f64_f32_e32 v[118:119], v118
	v_add_co_u32 v120, vcc_lo, v114, v120
	v_add_co_ci_u32_e64 v121, null, v115, v121, vcc_lo
	global_store_dwordx2 v[120:121], v[118:119], off
	s_or_b32 exec_lo, exec_lo, s11
	s_and_b32 s12, s2, s8
	s_and_saveexec_b32 s11, s12
	s_cbranch_execz .LBB159_132
.LBB159_145:
	v_cmp_ne_u32_e32 vcc_lo, 1, v144
	s_cbranch_vccnz .LBB159_147
; %bb.146:
	v_lshlrev_b64 v[118:119], 3, v[132:133]
	v_add_co_u32 v118, vcc_lo, v116, v118
	v_add_co_ci_u32_e64 v119, null, v117, v119, vcc_lo
	global_load_dwordx2 v[118:119], v[118:119], off
	s_waitcnt vmcnt(0)
	v_mul_f64 v[118:119], s[16:17], v[118:119]
	v_cvt_f32_f64_e32 v118, v[118:119]
	s_branch .LBB159_148
.LBB159_147:
	v_mov_b32_e32 v118, 0
.LBB159_148:
	v_add_f64 v[119:120], v[54:55], v[110:111]
	v_add_f64 v[121:122], v[56:57], v[112:113]
	;; [unrolled: 1-line block ×4, first 2 shown]
	v_cvt_f32_f64_e32 v119, v[119:120]
	v_cvt_f32_f64_e32 v120, v[121:122]
	;; [unrolled: 1-line block ×4, first 2 shown]
	v_min3_f32 v119, v119, v120, v200
	v_min_f32_e32 v120, v121, v122
	v_min3_f32 v118, v118, v120, v119
	v_lshlrev_b64 v[120:121], 3, v[132:133]
	v_cvt_f64_f32_e32 v[118:119], v118
	v_add_co_u32 v120, vcc_lo, v114, v120
	v_add_co_ci_u32_e64 v121, null, v115, v121, vcc_lo
	global_store_dwordx2 v[120:121], v[118:119], off
	s_or_b32 exec_lo, exec_lo, s11
	s_and_b32 s12, s3, s8
	s_and_saveexec_b32 s11, s12
	s_cbranch_execz .LBB159_133
.LBB159_149:
	v_cmp_ne_u32_e32 vcc_lo, 1, v144
	s_cbranch_vccnz .LBB159_151
; %bb.150:
	v_lshlrev_b64 v[118:119], 3, v[134:135]
	v_add_co_u32 v118, vcc_lo, v116, v118
	v_add_co_ci_u32_e64 v119, null, v117, v119, vcc_lo
	global_load_dwordx2 v[118:119], v[118:119], off
	s_waitcnt vmcnt(0)
	v_mul_f64 v[118:119], s[16:17], v[118:119]
	v_cvt_f32_f64_e32 v118, v[118:119]
	s_branch .LBB159_152
.LBB159_151:
	v_mov_b32_e32 v118, 0
.LBB159_152:
	v_add_f64 v[119:120], v[46:47], v[110:111]
	v_add_f64 v[121:122], v[48:49], v[112:113]
	;; [unrolled: 1-line block ×4, first 2 shown]
	v_cvt_f32_f64_e32 v119, v[119:120]
	v_cvt_f32_f64_e32 v120, v[121:122]
	;; [unrolled: 1-line block ×4, first 2 shown]
	v_min3_f32 v119, v119, v120, v199
	v_min_f32_e32 v120, v121, v122
	v_min3_f32 v118, v118, v120, v119
	v_lshlrev_b64 v[120:121], 3, v[134:135]
	v_cvt_f64_f32_e32 v[118:119], v118
	v_add_co_u32 v120, vcc_lo, v114, v120
	v_add_co_ci_u32_e64 v121, null, v115, v121, vcc_lo
	global_store_dwordx2 v[120:121], v[118:119], off
	s_or_b32 exec_lo, exec_lo, s11
	s_and_b32 s12, s4, s8
	s_and_saveexec_b32 s11, s12
	s_cbranch_execz .LBB159_134
.LBB159_153:
	v_cmp_ne_u32_e32 vcc_lo, 1, v144
	s_cbranch_vccnz .LBB159_155
; %bb.154:
	v_lshlrev_b64 v[118:119], 3, v[136:137]
	v_add_co_u32 v118, vcc_lo, v116, v118
	v_add_co_ci_u32_e64 v119, null, v117, v119, vcc_lo
	global_load_dwordx2 v[118:119], v[118:119], off
	s_waitcnt vmcnt(0)
	v_mul_f64 v[118:119], s[16:17], v[118:119]
	v_cvt_f32_f64_e32 v118, v[118:119]
	s_branch .LBB159_156
.LBB159_155:
	v_mov_b32_e32 v118, 0
.LBB159_156:
	v_add_f64 v[119:120], v[38:39], v[110:111]
	v_add_f64 v[121:122], v[40:41], v[112:113]
	;; [unrolled: 1-line block ×4, first 2 shown]
	v_cvt_f32_f64_e32 v119, v[119:120]
	v_cvt_f32_f64_e32 v120, v[121:122]
	;; [unrolled: 1-line block ×4, first 2 shown]
	v_min3_f32 v119, v119, v120, v198
	v_min_f32_e32 v120, v121, v122
	v_min3_f32 v118, v118, v120, v119
	v_lshlrev_b64 v[120:121], 3, v[136:137]
	v_cvt_f64_f32_e32 v[118:119], v118
	v_add_co_u32 v120, vcc_lo, v114, v120
	v_add_co_ci_u32_e64 v121, null, v115, v121, vcc_lo
	global_store_dwordx2 v[120:121], v[118:119], off
	s_or_b32 exec_lo, exec_lo, s11
	s_and_b32 s12, s5, s8
	s_and_saveexec_b32 s11, s12
	s_cbranch_execz .LBB159_135
.LBB159_157:
	v_cmp_ne_u32_e32 vcc_lo, 1, v144
	s_cbranch_vccnz .LBB159_159
; %bb.158:
	v_lshlrev_b64 v[118:119], 3, v[138:139]
	v_add_co_u32 v118, vcc_lo, v116, v118
	v_add_co_ci_u32_e64 v119, null, v117, v119, vcc_lo
	global_load_dwordx2 v[118:119], v[118:119], off
	s_waitcnt vmcnt(0)
	v_mul_f64 v[118:119], s[16:17], v[118:119]
	v_cvt_f32_f64_e32 v118, v[118:119]
	s_branch .LBB159_160
.LBB159_159:
	v_mov_b32_e32 v118, 0
.LBB159_160:
	v_add_f64 v[119:120], v[30:31], v[110:111]
	v_add_f64 v[121:122], v[32:33], v[112:113]
	;; [unrolled: 1-line block ×4, first 2 shown]
	v_cvt_f32_f64_e32 v119, v[119:120]
	v_cvt_f32_f64_e32 v120, v[121:122]
	;; [unrolled: 1-line block ×4, first 2 shown]
	v_min3_f32 v119, v119, v120, v197
	v_min_f32_e32 v120, v121, v122
	v_min3_f32 v118, v118, v120, v119
	v_lshlrev_b64 v[120:121], 3, v[138:139]
	v_cvt_f64_f32_e32 v[118:119], v118
	v_add_co_u32 v120, vcc_lo, v114, v120
	v_add_co_ci_u32_e64 v121, null, v115, v121, vcc_lo
	global_store_dwordx2 v[120:121], v[118:119], off
	s_or_b32 exec_lo, exec_lo, s11
	s_and_b32 s12, s6, s8
	s_and_saveexec_b32 s11, s12
	s_cbranch_execz .LBB159_136
.LBB159_161:
	v_cmp_ne_u32_e32 vcc_lo, 1, v144
	s_cbranch_vccnz .LBB159_163
; %bb.162:
	v_lshlrev_b64 v[118:119], 3, v[140:141]
	v_add_co_u32 v118, vcc_lo, v116, v118
	v_add_co_ci_u32_e64 v119, null, v117, v119, vcc_lo
	global_load_dwordx2 v[118:119], v[118:119], off
	s_waitcnt vmcnt(0)
	v_mul_f64 v[118:119], s[16:17], v[118:119]
	v_cvt_f32_f64_e32 v118, v[118:119]
	s_branch .LBB159_164
.LBB159_163:
	v_mov_b32_e32 v118, 0
.LBB159_164:
	v_add_f64 v[119:120], v[22:23], v[110:111]
	v_add_f64 v[121:122], v[24:25], v[112:113]
	;; [unrolled: 1-line block ×4, first 2 shown]
	v_cvt_f32_f64_e32 v119, v[119:120]
	v_cvt_f32_f64_e32 v120, v[121:122]
	;; [unrolled: 1-line block ×4, first 2 shown]
	v_min3_f32 v119, v119, v120, v196
	v_min_f32_e32 v120, v121, v122
	v_min3_f32 v118, v118, v120, v119
	v_lshlrev_b64 v[120:121], 3, v[140:141]
	v_cvt_f64_f32_e32 v[118:119], v118
	v_add_co_u32 v120, vcc_lo, v114, v120
	v_add_co_ci_u32_e64 v121, null, v115, v121, vcc_lo
	global_store_dwordx2 v[120:121], v[118:119], off
	s_or_b32 exec_lo, exec_lo, s11
	s_and_b32 s11, s7, s8
	s_and_saveexec_b32 s8, s11
	s_cbranch_execz .LBB159_169
.LBB159_165:
	v_cmp_ne_u32_e32 vcc_lo, 1, v144
	s_cbranch_vccnz .LBB159_167
; %bb.166:
	v_lshlrev_b64 v[118:119], 3, v[142:143]
	v_add_co_u32 v116, vcc_lo, v116, v118
	v_add_co_ci_u32_e64 v117, null, v117, v119, vcc_lo
	global_load_dwordx2 v[116:117], v[116:117], off
	s_waitcnt vmcnt(0)
	v_mul_f64 v[116:117], s[16:17], v[116:117]
	v_cvt_f32_f64_e32 v116, v[116:117]
	s_branch .LBB159_168
.LBB159_167:
	v_mov_b32_e32 v116, 0
.LBB159_168:
	v_add_f64 v[110:111], v[6:7], v[110:111]
	v_add_f64 v[112:113], v[8:9], v[112:113]
	;; [unrolled: 1-line block ×4, first 2 shown]
	v_cvt_f32_f64_e32 v110, v[110:111]
	v_cvt_f32_f64_e32 v111, v[112:113]
	;; [unrolled: 1-line block ×4, first 2 shown]
	v_min3_f32 v108, v110, v111, v195
	v_min_f32_e32 v106, v106, v107
	v_min3_f32 v106, v116, v106, v108
	v_lshlrev_b64 v[108:109], 3, v[142:143]
	v_cvt_f64_f32_e32 v[106:107], v106
	v_add_co_u32 v108, vcc_lo, v114, v108
	v_add_co_ci_u32_e64 v109, null, v115, v109, vcc_lo
	global_store_dwordx2 v[108:109], v[106:107], off
.LBB159_169:
	s_or_b32 exec_lo, exec_lo, s8
	v_add_nc_u32_e32 v110, 24, v146
	v_mad_i64_i32 v[106:107], null, v110, s15, 0
	v_mad_i64_i32 v[108:109], null, v110, s14, 0
	v_cmp_gt_i32_e64 s8, s13, v110
	v_lshlrev_b64 v[106:107], 3, v[106:107]
	s_and_b32 s12, s0, s8
	v_lshlrev_b64 v[110:111], 3, v[108:109]
	v_add_co_u32 v108, vcc_lo, s18, v106
	v_add_co_ci_u32_e64 v109, null, s19, v107, vcc_lo
	v_add_co_u32 v106, vcc_lo, s10, v110
	v_add_co_ci_u32_e64 v107, null, s9, v111, vcc_lo
	s_and_saveexec_b32 s11, s12
	s_cbranch_execnz .LBB159_177
; %bb.170:
	s_or_b32 exec_lo, exec_lo, s11
	s_and_b32 s12, s1, s8
	s_and_saveexec_b32 s11, s12
	s_cbranch_execnz .LBB159_181
.LBB159_171:
	s_or_b32 exec_lo, exec_lo, s11
	s_and_b32 s12, s2, s8
	s_and_saveexec_b32 s11, s12
	s_cbranch_execnz .LBB159_185
.LBB159_172:
	s_or_b32 exec_lo, exec_lo, s11
	s_and_b32 s12, s3, s8
	s_and_saveexec_b32 s11, s12
	s_cbranch_execnz .LBB159_189
.LBB159_173:
	s_or_b32 exec_lo, exec_lo, s11
	s_and_b32 s12, s4, s8
	s_and_saveexec_b32 s11, s12
	s_cbranch_execnz .LBB159_193
.LBB159_174:
	s_or_b32 exec_lo, exec_lo, s11
	s_and_b32 s12, s5, s8
	s_and_saveexec_b32 s11, s12
	s_cbranch_execnz .LBB159_197
.LBB159_175:
	s_or_b32 exec_lo, exec_lo, s11
	s_and_b32 s12, s6, s8
	s_and_saveexec_b32 s11, s12
	s_cbranch_execnz .LBB159_201
.LBB159_176:
	s_or_b32 exec_lo, exec_lo, s11
	s_and_b32 s11, s7, s8
	s_and_saveexec_b32 s8, s11
	s_cbranch_execnz .LBB159_205
	s_branch .LBB159_209
.LBB159_177:
	v_cmp_ne_u32_e32 vcc_lo, 1, v144
	s_cbranch_vccnz .LBB159_179
; %bb.178:
	v_lshlrev_b64 v[110:111], 3, v[0:1]
	v_add_co_u32 v110, vcc_lo, v108, v110
	v_add_co_ci_u32_e64 v111, null, v109, v111, vcc_lo
	global_load_dwordx2 v[110:111], v[110:111], off
	s_waitcnt vmcnt(0)
	v_mul_f64 v[110:111], s[16:17], v[110:111]
	v_cvt_f32_f64_e32 v110, v[110:111]
	s_branch .LBB159_180
.LBB159_179:
	v_mov_b32_e32 v110, 0
.LBB159_180:
	v_add_f64 v[111:112], v[70:71], v[102:103]
	v_add_f64 v[113:114], v[72:73], v[104:105]
	;; [unrolled: 1-line block ×4, first 2 shown]
	v_cvt_f32_f64_e32 v111, v[111:112]
	v_cvt_f32_f64_e32 v112, v[113:114]
	;; [unrolled: 1-line block ×4, first 2 shown]
	v_min3_f32 v111, v111, v112, v194
	v_min_f32_e32 v112, v113, v114
	v_min3_f32 v110, v110, v112, v111
	v_lshlrev_b64 v[112:113], 3, v[0:1]
	v_cvt_f64_f32_e32 v[110:111], v110
	v_add_co_u32 v112, vcc_lo, v106, v112
	v_add_co_ci_u32_e64 v113, null, v107, v113, vcc_lo
	global_store_dwordx2 v[112:113], v[110:111], off
	s_or_b32 exec_lo, exec_lo, s11
	s_and_b32 s12, s1, s8
	s_and_saveexec_b32 s11, s12
	s_cbranch_execz .LBB159_171
.LBB159_181:
	v_cmp_ne_u32_e32 vcc_lo, 1, v144
	s_cbranch_vccnz .LBB159_183
; %bb.182:
	v_lshlrev_b64 v[110:111], 3, v[130:131]
	v_add_co_u32 v110, vcc_lo, v108, v110
	v_add_co_ci_u32_e64 v111, null, v109, v111, vcc_lo
	global_load_dwordx2 v[110:111], v[110:111], off
	s_waitcnt vmcnt(0)
	v_mul_f64 v[110:111], s[16:17], v[110:111]
	v_cvt_f32_f64_e32 v110, v[110:111]
	s_branch .LBB159_184
.LBB159_183:
	v_mov_b32_e32 v110, 0
.LBB159_184:
	v_add_f64 v[111:112], v[62:63], v[102:103]
	v_add_f64 v[113:114], v[64:65], v[104:105]
	;; [unrolled: 1-line block ×4, first 2 shown]
	v_cvt_f32_f64_e32 v111, v[111:112]
	v_cvt_f32_f64_e32 v112, v[113:114]
	v_cvt_f32_f64_e32 v113, v[115:116]
	v_cvt_f32_f64_e32 v114, v[117:118]
	v_min3_f32 v111, v111, v112, v193
	v_min_f32_e32 v112, v113, v114
	v_min3_f32 v110, v110, v112, v111
	v_lshlrev_b64 v[112:113], 3, v[130:131]
	v_cvt_f64_f32_e32 v[110:111], v110
	v_add_co_u32 v112, vcc_lo, v106, v112
	v_add_co_ci_u32_e64 v113, null, v107, v113, vcc_lo
	global_store_dwordx2 v[112:113], v[110:111], off
	s_or_b32 exec_lo, exec_lo, s11
	s_and_b32 s12, s2, s8
	s_and_saveexec_b32 s11, s12
	s_cbranch_execz .LBB159_172
.LBB159_185:
	v_cmp_ne_u32_e32 vcc_lo, 1, v144
	s_cbranch_vccnz .LBB159_187
; %bb.186:
	v_lshlrev_b64 v[110:111], 3, v[132:133]
	v_add_co_u32 v110, vcc_lo, v108, v110
	v_add_co_ci_u32_e64 v111, null, v109, v111, vcc_lo
	global_load_dwordx2 v[110:111], v[110:111], off
	s_waitcnt vmcnt(0)
	v_mul_f64 v[110:111], s[16:17], v[110:111]
	v_cvt_f32_f64_e32 v110, v[110:111]
	s_branch .LBB159_188
.LBB159_187:
	v_mov_b32_e32 v110, 0
.LBB159_188:
	v_add_f64 v[111:112], v[54:55], v[102:103]
	v_add_f64 v[113:114], v[56:57], v[104:105]
	;; [unrolled: 1-line block ×4, first 2 shown]
	v_cvt_f32_f64_e32 v111, v[111:112]
	v_cvt_f32_f64_e32 v112, v[113:114]
	;; [unrolled: 1-line block ×4, first 2 shown]
	v_min3_f32 v111, v111, v112, v192
	v_min_f32_e32 v112, v113, v114
	v_min3_f32 v110, v110, v112, v111
	v_lshlrev_b64 v[112:113], 3, v[132:133]
	v_cvt_f64_f32_e32 v[110:111], v110
	v_add_co_u32 v112, vcc_lo, v106, v112
	v_add_co_ci_u32_e64 v113, null, v107, v113, vcc_lo
	global_store_dwordx2 v[112:113], v[110:111], off
	s_or_b32 exec_lo, exec_lo, s11
	s_and_b32 s12, s3, s8
	s_and_saveexec_b32 s11, s12
	s_cbranch_execz .LBB159_173
.LBB159_189:
	v_cmp_ne_u32_e32 vcc_lo, 1, v144
	s_cbranch_vccnz .LBB159_191
; %bb.190:
	v_lshlrev_b64 v[110:111], 3, v[134:135]
	v_add_co_u32 v110, vcc_lo, v108, v110
	v_add_co_ci_u32_e64 v111, null, v109, v111, vcc_lo
	global_load_dwordx2 v[110:111], v[110:111], off
	s_waitcnt vmcnt(0)
	v_mul_f64 v[110:111], s[16:17], v[110:111]
	v_cvt_f32_f64_e32 v110, v[110:111]
	s_branch .LBB159_192
.LBB159_191:
	v_mov_b32_e32 v110, 0
.LBB159_192:
	v_add_f64 v[111:112], v[46:47], v[102:103]
	v_add_f64 v[113:114], v[48:49], v[104:105]
	;; [unrolled: 1-line block ×4, first 2 shown]
	v_cvt_f32_f64_e32 v111, v[111:112]
	v_cvt_f32_f64_e32 v112, v[113:114]
	;; [unrolled: 1-line block ×4, first 2 shown]
	v_min3_f32 v111, v111, v112, v191
	v_min_f32_e32 v112, v113, v114
	v_min3_f32 v110, v110, v112, v111
	v_lshlrev_b64 v[112:113], 3, v[134:135]
	v_cvt_f64_f32_e32 v[110:111], v110
	v_add_co_u32 v112, vcc_lo, v106, v112
	v_add_co_ci_u32_e64 v113, null, v107, v113, vcc_lo
	global_store_dwordx2 v[112:113], v[110:111], off
	s_or_b32 exec_lo, exec_lo, s11
	s_and_b32 s12, s4, s8
	s_and_saveexec_b32 s11, s12
	s_cbranch_execz .LBB159_174
.LBB159_193:
	v_cmp_ne_u32_e32 vcc_lo, 1, v144
	s_cbranch_vccnz .LBB159_195
; %bb.194:
	v_lshlrev_b64 v[110:111], 3, v[136:137]
	v_add_co_u32 v110, vcc_lo, v108, v110
	v_add_co_ci_u32_e64 v111, null, v109, v111, vcc_lo
	global_load_dwordx2 v[110:111], v[110:111], off
	s_waitcnt vmcnt(0)
	v_mul_f64 v[110:111], s[16:17], v[110:111]
	v_cvt_f32_f64_e32 v110, v[110:111]
	s_branch .LBB159_196
.LBB159_195:
	v_mov_b32_e32 v110, 0
.LBB159_196:
	v_add_f64 v[111:112], v[38:39], v[102:103]
	v_add_f64 v[113:114], v[40:41], v[104:105]
	;; [unrolled: 1-line block ×4, first 2 shown]
	v_cvt_f32_f64_e32 v111, v[111:112]
	v_cvt_f32_f64_e32 v112, v[113:114]
	;; [unrolled: 1-line block ×4, first 2 shown]
	v_min3_f32 v111, v111, v112, v190
	v_min_f32_e32 v112, v113, v114
	v_min3_f32 v110, v110, v112, v111
	v_lshlrev_b64 v[112:113], 3, v[136:137]
	v_cvt_f64_f32_e32 v[110:111], v110
	v_add_co_u32 v112, vcc_lo, v106, v112
	v_add_co_ci_u32_e64 v113, null, v107, v113, vcc_lo
	global_store_dwordx2 v[112:113], v[110:111], off
	s_or_b32 exec_lo, exec_lo, s11
	s_and_b32 s12, s5, s8
	s_and_saveexec_b32 s11, s12
	s_cbranch_execz .LBB159_175
.LBB159_197:
	v_cmp_ne_u32_e32 vcc_lo, 1, v144
	s_cbranch_vccnz .LBB159_199
; %bb.198:
	v_lshlrev_b64 v[110:111], 3, v[138:139]
	v_add_co_u32 v110, vcc_lo, v108, v110
	v_add_co_ci_u32_e64 v111, null, v109, v111, vcc_lo
	global_load_dwordx2 v[110:111], v[110:111], off
	s_waitcnt vmcnt(0)
	v_mul_f64 v[110:111], s[16:17], v[110:111]
	v_cvt_f32_f64_e32 v110, v[110:111]
	s_branch .LBB159_200
.LBB159_199:
	v_mov_b32_e32 v110, 0
.LBB159_200:
	v_add_f64 v[111:112], v[30:31], v[102:103]
	v_add_f64 v[113:114], v[32:33], v[104:105]
	;; [unrolled: 1-line block ×4, first 2 shown]
	v_cvt_f32_f64_e32 v111, v[111:112]
	v_cvt_f32_f64_e32 v112, v[113:114]
	;; [unrolled: 1-line block ×4, first 2 shown]
	v_min3_f32 v111, v111, v112, v189
	v_min_f32_e32 v112, v113, v114
	v_min3_f32 v110, v110, v112, v111
	v_lshlrev_b64 v[112:113], 3, v[138:139]
	v_cvt_f64_f32_e32 v[110:111], v110
	v_add_co_u32 v112, vcc_lo, v106, v112
	v_add_co_ci_u32_e64 v113, null, v107, v113, vcc_lo
	global_store_dwordx2 v[112:113], v[110:111], off
	s_or_b32 exec_lo, exec_lo, s11
	s_and_b32 s12, s6, s8
	s_and_saveexec_b32 s11, s12
	s_cbranch_execz .LBB159_176
.LBB159_201:
	v_cmp_ne_u32_e32 vcc_lo, 1, v144
	s_cbranch_vccnz .LBB159_203
; %bb.202:
	v_lshlrev_b64 v[110:111], 3, v[140:141]
	v_add_co_u32 v110, vcc_lo, v108, v110
	v_add_co_ci_u32_e64 v111, null, v109, v111, vcc_lo
	global_load_dwordx2 v[110:111], v[110:111], off
	s_waitcnt vmcnt(0)
	v_mul_f64 v[110:111], s[16:17], v[110:111]
	v_cvt_f32_f64_e32 v110, v[110:111]
	s_branch .LBB159_204
.LBB159_203:
	v_mov_b32_e32 v110, 0
.LBB159_204:
	v_add_f64 v[111:112], v[22:23], v[102:103]
	v_add_f64 v[113:114], v[24:25], v[104:105]
	;; [unrolled: 1-line block ×4, first 2 shown]
	v_cvt_f32_f64_e32 v111, v[111:112]
	v_cvt_f32_f64_e32 v112, v[113:114]
	;; [unrolled: 1-line block ×4, first 2 shown]
	v_min3_f32 v111, v111, v112, v188
	v_min_f32_e32 v112, v113, v114
	v_min3_f32 v110, v110, v112, v111
	v_lshlrev_b64 v[112:113], 3, v[140:141]
	v_cvt_f64_f32_e32 v[110:111], v110
	v_add_co_u32 v112, vcc_lo, v106, v112
	v_add_co_ci_u32_e64 v113, null, v107, v113, vcc_lo
	global_store_dwordx2 v[112:113], v[110:111], off
	s_or_b32 exec_lo, exec_lo, s11
	s_and_b32 s11, s7, s8
	s_and_saveexec_b32 s8, s11
	s_cbranch_execz .LBB159_209
.LBB159_205:
	v_cmp_ne_u32_e32 vcc_lo, 1, v144
	s_cbranch_vccnz .LBB159_207
; %bb.206:
	v_lshlrev_b64 v[110:111], 3, v[142:143]
	v_add_co_u32 v108, vcc_lo, v108, v110
	v_add_co_ci_u32_e64 v109, null, v109, v111, vcc_lo
	global_load_dwordx2 v[108:109], v[108:109], off
	s_waitcnt vmcnt(0)
	v_mul_f64 v[108:109], s[16:17], v[108:109]
	v_cvt_f32_f64_e32 v108, v[108:109]
	s_branch .LBB159_208
.LBB159_207:
	v_mov_b32_e32 v108, 0
.LBB159_208:
	v_add_f64 v[102:103], v[6:7], v[102:103]
	v_add_f64 v[104:105], v[8:9], v[104:105]
	;; [unrolled: 1-line block ×4, first 2 shown]
	v_cvt_f32_f64_e32 v102, v[102:103]
	v_cvt_f32_f64_e32 v103, v[104:105]
	v_cvt_f32_f64_e32 v98, v[98:99]
	v_cvt_f32_f64_e32 v99, v[100:101]
	v_min3_f32 v100, v102, v103, v187
	v_min_f32_e32 v98, v98, v99
	v_min3_f32 v98, v108, v98, v100
	v_lshlrev_b64 v[100:101], 3, v[142:143]
	v_cvt_f64_f32_e32 v[98:99], v98
	v_add_co_u32 v100, vcc_lo, v106, v100
	v_add_co_ci_u32_e64 v101, null, v107, v101, vcc_lo
	global_store_dwordx2 v[100:101], v[98:99], off
.LBB159_209:
	s_or_b32 exec_lo, exec_lo, s8
	v_add_nc_u32_e32 v102, 32, v146
	v_mad_i64_i32 v[98:99], null, v102, s15, 0
	v_mad_i64_i32 v[100:101], null, v102, s14, 0
	v_cmp_gt_i32_e64 s8, s13, v102
	v_lshlrev_b64 v[98:99], 3, v[98:99]
	s_and_b32 s12, s0, s8
	v_lshlrev_b64 v[102:103], 3, v[100:101]
	v_add_co_u32 v100, vcc_lo, s18, v98
	v_add_co_ci_u32_e64 v101, null, s19, v99, vcc_lo
	v_add_co_u32 v98, vcc_lo, s10, v102
	v_add_co_ci_u32_e64 v99, null, s9, v103, vcc_lo
	s_and_saveexec_b32 s11, s12
	s_cbranch_execnz .LBB159_217
; %bb.210:
	s_or_b32 exec_lo, exec_lo, s11
	s_and_b32 s12, s1, s8
	s_and_saveexec_b32 s11, s12
	s_cbranch_execnz .LBB159_221
.LBB159_211:
	s_or_b32 exec_lo, exec_lo, s11
	s_and_b32 s12, s2, s8
	s_and_saveexec_b32 s11, s12
	s_cbranch_execnz .LBB159_225
.LBB159_212:
	s_or_b32 exec_lo, exec_lo, s11
	s_and_b32 s12, s3, s8
	s_and_saveexec_b32 s11, s12
	s_cbranch_execnz .LBB159_229
.LBB159_213:
	s_or_b32 exec_lo, exec_lo, s11
	s_and_b32 s12, s4, s8
	s_and_saveexec_b32 s11, s12
	s_cbranch_execnz .LBB159_233
.LBB159_214:
	s_or_b32 exec_lo, exec_lo, s11
	s_and_b32 s12, s5, s8
	s_and_saveexec_b32 s11, s12
	s_cbranch_execnz .LBB159_237
.LBB159_215:
	s_or_b32 exec_lo, exec_lo, s11
	s_and_b32 s12, s6, s8
	s_and_saveexec_b32 s11, s12
	s_cbranch_execnz .LBB159_241
.LBB159_216:
	s_or_b32 exec_lo, exec_lo, s11
	s_and_b32 s11, s7, s8
	s_and_saveexec_b32 s8, s11
	s_cbranch_execnz .LBB159_245
	s_branch .LBB159_249
.LBB159_217:
	v_cmp_ne_u32_e32 vcc_lo, 1, v144
	s_cbranch_vccnz .LBB159_219
; %bb.218:
	v_lshlrev_b64 v[102:103], 3, v[0:1]
	v_add_co_u32 v102, vcc_lo, v100, v102
	v_add_co_ci_u32_e64 v103, null, v101, v103, vcc_lo
	global_load_dwordx2 v[102:103], v[102:103], off
	s_waitcnt vmcnt(0)
	v_mul_f64 v[102:103], s[16:17], v[102:103]
	v_cvt_f32_f64_e32 v102, v[102:103]
	s_branch .LBB159_220
.LBB159_219:
	v_mov_b32_e32 v102, 0
.LBB159_220:
	v_add_f64 v[103:104], v[70:71], v[94:95]
	v_add_f64 v[105:106], v[72:73], v[96:97]
	;; [unrolled: 1-line block ×4, first 2 shown]
	v_cvt_f32_f64_e32 v103, v[103:104]
	v_cvt_f32_f64_e32 v104, v[105:106]
	;; [unrolled: 1-line block ×4, first 2 shown]
	v_min3_f32 v103, v103, v104, v186
	v_min_f32_e32 v104, v105, v106
	v_min3_f32 v102, v102, v104, v103
	v_lshlrev_b64 v[104:105], 3, v[0:1]
	v_cvt_f64_f32_e32 v[102:103], v102
	v_add_co_u32 v104, vcc_lo, v98, v104
	v_add_co_ci_u32_e64 v105, null, v99, v105, vcc_lo
	global_store_dwordx2 v[104:105], v[102:103], off
	s_or_b32 exec_lo, exec_lo, s11
	s_and_b32 s12, s1, s8
	s_and_saveexec_b32 s11, s12
	s_cbranch_execz .LBB159_211
.LBB159_221:
	v_cmp_ne_u32_e32 vcc_lo, 1, v144
	s_cbranch_vccnz .LBB159_223
; %bb.222:
	v_lshlrev_b64 v[102:103], 3, v[130:131]
	v_add_co_u32 v102, vcc_lo, v100, v102
	v_add_co_ci_u32_e64 v103, null, v101, v103, vcc_lo
	global_load_dwordx2 v[102:103], v[102:103], off
	s_waitcnt vmcnt(0)
	v_mul_f64 v[102:103], s[16:17], v[102:103]
	v_cvt_f32_f64_e32 v102, v[102:103]
	s_branch .LBB159_224
.LBB159_223:
	v_mov_b32_e32 v102, 0
.LBB159_224:
	v_add_f64 v[103:104], v[62:63], v[94:95]
	v_add_f64 v[105:106], v[64:65], v[96:97]
	;; [unrolled: 1-line block ×4, first 2 shown]
	v_cvt_f32_f64_e32 v103, v[103:104]
	v_cvt_f32_f64_e32 v104, v[105:106]
	v_cvt_f32_f64_e32 v105, v[107:108]
	v_cvt_f32_f64_e32 v106, v[109:110]
	v_min3_f32 v103, v103, v104, v185
	v_min_f32_e32 v104, v105, v106
	v_min3_f32 v102, v102, v104, v103
	v_lshlrev_b64 v[104:105], 3, v[130:131]
	v_cvt_f64_f32_e32 v[102:103], v102
	v_add_co_u32 v104, vcc_lo, v98, v104
	v_add_co_ci_u32_e64 v105, null, v99, v105, vcc_lo
	global_store_dwordx2 v[104:105], v[102:103], off
	s_or_b32 exec_lo, exec_lo, s11
	s_and_b32 s12, s2, s8
	s_and_saveexec_b32 s11, s12
	s_cbranch_execz .LBB159_212
.LBB159_225:
	v_cmp_ne_u32_e32 vcc_lo, 1, v144
	s_cbranch_vccnz .LBB159_227
; %bb.226:
	v_lshlrev_b64 v[102:103], 3, v[132:133]
	v_add_co_u32 v102, vcc_lo, v100, v102
	v_add_co_ci_u32_e64 v103, null, v101, v103, vcc_lo
	global_load_dwordx2 v[102:103], v[102:103], off
	s_waitcnt vmcnt(0)
	v_mul_f64 v[102:103], s[16:17], v[102:103]
	v_cvt_f32_f64_e32 v102, v[102:103]
	s_branch .LBB159_228
.LBB159_227:
	v_mov_b32_e32 v102, 0
.LBB159_228:
	v_add_f64 v[103:104], v[54:55], v[94:95]
	v_add_f64 v[105:106], v[56:57], v[96:97]
	v_add_f64 v[107:108], v[50:51], v[90:91]
	v_add_f64 v[109:110], v[52:53], v[92:93]
	v_cvt_f32_f64_e32 v103, v[103:104]
	v_cvt_f32_f64_e32 v104, v[105:106]
	;; [unrolled: 1-line block ×4, first 2 shown]
	v_min3_f32 v103, v103, v104, v184
	v_min_f32_e32 v104, v105, v106
	v_min3_f32 v102, v102, v104, v103
	v_lshlrev_b64 v[104:105], 3, v[132:133]
	v_cvt_f64_f32_e32 v[102:103], v102
	v_add_co_u32 v104, vcc_lo, v98, v104
	v_add_co_ci_u32_e64 v105, null, v99, v105, vcc_lo
	global_store_dwordx2 v[104:105], v[102:103], off
	s_or_b32 exec_lo, exec_lo, s11
	s_and_b32 s12, s3, s8
	s_and_saveexec_b32 s11, s12
	s_cbranch_execz .LBB159_213
.LBB159_229:
	v_cmp_ne_u32_e32 vcc_lo, 1, v144
	s_cbranch_vccnz .LBB159_231
; %bb.230:
	v_lshlrev_b64 v[102:103], 3, v[134:135]
	v_add_co_u32 v102, vcc_lo, v100, v102
	v_add_co_ci_u32_e64 v103, null, v101, v103, vcc_lo
	global_load_dwordx2 v[102:103], v[102:103], off
	s_waitcnt vmcnt(0)
	v_mul_f64 v[102:103], s[16:17], v[102:103]
	v_cvt_f32_f64_e32 v102, v[102:103]
	s_branch .LBB159_232
.LBB159_231:
	v_mov_b32_e32 v102, 0
.LBB159_232:
	v_add_f64 v[103:104], v[46:47], v[94:95]
	v_add_f64 v[105:106], v[48:49], v[96:97]
	;; [unrolled: 1-line block ×4, first 2 shown]
	v_cvt_f32_f64_e32 v103, v[103:104]
	v_cvt_f32_f64_e32 v104, v[105:106]
	;; [unrolled: 1-line block ×4, first 2 shown]
	v_min3_f32 v103, v103, v104, v183
	v_min_f32_e32 v104, v105, v106
	v_min3_f32 v102, v102, v104, v103
	v_lshlrev_b64 v[104:105], 3, v[134:135]
	v_cvt_f64_f32_e32 v[102:103], v102
	v_add_co_u32 v104, vcc_lo, v98, v104
	v_add_co_ci_u32_e64 v105, null, v99, v105, vcc_lo
	global_store_dwordx2 v[104:105], v[102:103], off
	s_or_b32 exec_lo, exec_lo, s11
	s_and_b32 s12, s4, s8
	s_and_saveexec_b32 s11, s12
	s_cbranch_execz .LBB159_214
.LBB159_233:
	v_cmp_ne_u32_e32 vcc_lo, 1, v144
	s_cbranch_vccnz .LBB159_235
; %bb.234:
	v_lshlrev_b64 v[102:103], 3, v[136:137]
	v_add_co_u32 v102, vcc_lo, v100, v102
	v_add_co_ci_u32_e64 v103, null, v101, v103, vcc_lo
	global_load_dwordx2 v[102:103], v[102:103], off
	s_waitcnt vmcnt(0)
	v_mul_f64 v[102:103], s[16:17], v[102:103]
	v_cvt_f32_f64_e32 v102, v[102:103]
	s_branch .LBB159_236
.LBB159_235:
	v_mov_b32_e32 v102, 0
.LBB159_236:
	v_add_f64 v[103:104], v[38:39], v[94:95]
	v_add_f64 v[105:106], v[40:41], v[96:97]
	;; [unrolled: 1-line block ×4, first 2 shown]
	v_cvt_f32_f64_e32 v103, v[103:104]
	v_cvt_f32_f64_e32 v104, v[105:106]
	v_cvt_f32_f64_e32 v105, v[107:108]
	v_cvt_f32_f64_e32 v106, v[109:110]
	v_min3_f32 v103, v103, v104, v182
	v_min_f32_e32 v104, v105, v106
	v_min3_f32 v102, v102, v104, v103
	v_lshlrev_b64 v[104:105], 3, v[136:137]
	v_cvt_f64_f32_e32 v[102:103], v102
	v_add_co_u32 v104, vcc_lo, v98, v104
	v_add_co_ci_u32_e64 v105, null, v99, v105, vcc_lo
	global_store_dwordx2 v[104:105], v[102:103], off
	s_or_b32 exec_lo, exec_lo, s11
	s_and_b32 s12, s5, s8
	s_and_saveexec_b32 s11, s12
	s_cbranch_execz .LBB159_215
.LBB159_237:
	v_cmp_ne_u32_e32 vcc_lo, 1, v144
	s_cbranch_vccnz .LBB159_239
; %bb.238:
	v_lshlrev_b64 v[102:103], 3, v[138:139]
	v_add_co_u32 v102, vcc_lo, v100, v102
	v_add_co_ci_u32_e64 v103, null, v101, v103, vcc_lo
	global_load_dwordx2 v[102:103], v[102:103], off
	s_waitcnt vmcnt(0)
	v_mul_f64 v[102:103], s[16:17], v[102:103]
	v_cvt_f32_f64_e32 v102, v[102:103]
	s_branch .LBB159_240
.LBB159_239:
	v_mov_b32_e32 v102, 0
.LBB159_240:
	v_add_f64 v[103:104], v[30:31], v[94:95]
	v_add_f64 v[105:106], v[32:33], v[96:97]
	;; [unrolled: 1-line block ×4, first 2 shown]
	v_cvt_f32_f64_e32 v103, v[103:104]
	v_cvt_f32_f64_e32 v104, v[105:106]
	v_cvt_f32_f64_e32 v105, v[107:108]
	v_cvt_f32_f64_e32 v106, v[109:110]
	v_min3_f32 v103, v103, v104, v181
	v_min_f32_e32 v104, v105, v106
	v_min3_f32 v102, v102, v104, v103
	v_lshlrev_b64 v[104:105], 3, v[138:139]
	v_cvt_f64_f32_e32 v[102:103], v102
	v_add_co_u32 v104, vcc_lo, v98, v104
	v_add_co_ci_u32_e64 v105, null, v99, v105, vcc_lo
	global_store_dwordx2 v[104:105], v[102:103], off
	s_or_b32 exec_lo, exec_lo, s11
	s_and_b32 s12, s6, s8
	s_and_saveexec_b32 s11, s12
	s_cbranch_execz .LBB159_216
.LBB159_241:
	v_cmp_ne_u32_e32 vcc_lo, 1, v144
	s_cbranch_vccnz .LBB159_243
; %bb.242:
	v_lshlrev_b64 v[102:103], 3, v[140:141]
	v_add_co_u32 v102, vcc_lo, v100, v102
	v_add_co_ci_u32_e64 v103, null, v101, v103, vcc_lo
	global_load_dwordx2 v[102:103], v[102:103], off
	s_waitcnt vmcnt(0)
	v_mul_f64 v[102:103], s[16:17], v[102:103]
	v_cvt_f32_f64_e32 v102, v[102:103]
	s_branch .LBB159_244
.LBB159_243:
	v_mov_b32_e32 v102, 0
.LBB159_244:
	v_add_f64 v[103:104], v[22:23], v[94:95]
	v_add_f64 v[105:106], v[24:25], v[96:97]
	;; [unrolled: 1-line block ×4, first 2 shown]
	v_cvt_f32_f64_e32 v103, v[103:104]
	v_cvt_f32_f64_e32 v104, v[105:106]
	;; [unrolled: 1-line block ×4, first 2 shown]
	v_min3_f32 v103, v103, v104, v180
	v_min_f32_e32 v104, v105, v106
	v_min3_f32 v102, v102, v104, v103
	v_lshlrev_b64 v[104:105], 3, v[140:141]
	v_cvt_f64_f32_e32 v[102:103], v102
	v_add_co_u32 v104, vcc_lo, v98, v104
	v_add_co_ci_u32_e64 v105, null, v99, v105, vcc_lo
	global_store_dwordx2 v[104:105], v[102:103], off
	s_or_b32 exec_lo, exec_lo, s11
	s_and_b32 s11, s7, s8
	s_and_saveexec_b32 s8, s11
	s_cbranch_execz .LBB159_249
.LBB159_245:
	v_cmp_ne_u32_e32 vcc_lo, 1, v144
	s_cbranch_vccnz .LBB159_247
; %bb.246:
	v_lshlrev_b64 v[102:103], 3, v[142:143]
	v_add_co_u32 v100, vcc_lo, v100, v102
	v_add_co_ci_u32_e64 v101, null, v101, v103, vcc_lo
	global_load_dwordx2 v[100:101], v[100:101], off
	s_waitcnt vmcnt(0)
	v_mul_f64 v[100:101], s[16:17], v[100:101]
	v_cvt_f32_f64_e32 v100, v[100:101]
	s_branch .LBB159_248
.LBB159_247:
	v_mov_b32_e32 v100, 0
.LBB159_248:
	v_add_f64 v[94:95], v[6:7], v[94:95]
	v_add_f64 v[96:97], v[8:9], v[96:97]
	;; [unrolled: 1-line block ×4, first 2 shown]
	v_cvt_f32_f64_e32 v94, v[94:95]
	v_cvt_f32_f64_e32 v95, v[96:97]
	v_cvt_f32_f64_e32 v90, v[90:91]
	v_cvt_f32_f64_e32 v91, v[92:93]
	v_min3_f32 v92, v94, v95, v179
	v_min_f32_e32 v90, v90, v91
	v_min3_f32 v90, v100, v90, v92
	v_lshlrev_b64 v[92:93], 3, v[142:143]
	v_cvt_f64_f32_e32 v[90:91], v90
	v_add_co_u32 v92, vcc_lo, v98, v92
	v_add_co_ci_u32_e64 v93, null, v99, v93, vcc_lo
	global_store_dwordx2 v[92:93], v[90:91], off
.LBB159_249:
	s_or_b32 exec_lo, exec_lo, s8
	v_add_nc_u32_e32 v94, 40, v146
	v_mad_i64_i32 v[90:91], null, v94, s15, 0
	v_mad_i64_i32 v[92:93], null, v94, s14, 0
	v_cmp_gt_i32_e64 s8, s13, v94
	v_lshlrev_b64 v[90:91], 3, v[90:91]
	s_and_b32 s12, s0, s8
	v_lshlrev_b64 v[94:95], 3, v[92:93]
	v_add_co_u32 v92, vcc_lo, s18, v90
	v_add_co_ci_u32_e64 v93, null, s19, v91, vcc_lo
	v_add_co_u32 v90, vcc_lo, s10, v94
	v_add_co_ci_u32_e64 v91, null, s9, v95, vcc_lo
	s_and_saveexec_b32 s11, s12
	s_cbranch_execnz .LBB159_257
; %bb.250:
	s_or_b32 exec_lo, exec_lo, s11
	s_and_b32 s12, s1, s8
	s_and_saveexec_b32 s11, s12
	s_cbranch_execnz .LBB159_261
.LBB159_251:
	s_or_b32 exec_lo, exec_lo, s11
	s_and_b32 s12, s2, s8
	s_and_saveexec_b32 s11, s12
	s_cbranch_execnz .LBB159_265
.LBB159_252:
	s_or_b32 exec_lo, exec_lo, s11
	s_and_b32 s12, s3, s8
	s_and_saveexec_b32 s11, s12
	s_cbranch_execnz .LBB159_269
.LBB159_253:
	s_or_b32 exec_lo, exec_lo, s11
	s_and_b32 s12, s4, s8
	s_and_saveexec_b32 s11, s12
	s_cbranch_execnz .LBB159_273
.LBB159_254:
	s_or_b32 exec_lo, exec_lo, s11
	s_and_b32 s12, s5, s8
	s_and_saveexec_b32 s11, s12
	s_cbranch_execnz .LBB159_277
.LBB159_255:
	s_or_b32 exec_lo, exec_lo, s11
	s_and_b32 s12, s6, s8
	s_and_saveexec_b32 s11, s12
	s_cbranch_execnz .LBB159_281
.LBB159_256:
	s_or_b32 exec_lo, exec_lo, s11
	s_and_b32 s11, s7, s8
	s_and_saveexec_b32 s8, s11
	s_cbranch_execnz .LBB159_285
	s_branch .LBB159_289
.LBB159_257:
	v_cmp_ne_u32_e32 vcc_lo, 1, v144
	s_cbranch_vccnz .LBB159_259
; %bb.258:
	v_lshlrev_b64 v[94:95], 3, v[0:1]
	v_add_co_u32 v94, vcc_lo, v92, v94
	v_add_co_ci_u32_e64 v95, null, v93, v95, vcc_lo
	global_load_dwordx2 v[94:95], v[94:95], off
	s_waitcnt vmcnt(0)
	v_mul_f64 v[94:95], s[16:17], v[94:95]
	v_cvt_f32_f64_e32 v94, v[94:95]
	s_branch .LBB159_260
.LBB159_259:
	v_mov_b32_e32 v94, 0
.LBB159_260:
	v_add_f64 v[95:96], v[70:71], v[86:87]
	v_add_f64 v[97:98], v[72:73], v[88:89]
	;; [unrolled: 1-line block ×4, first 2 shown]
	v_cvt_f32_f64_e32 v95, v[95:96]
	v_cvt_f32_f64_e32 v96, v[97:98]
	;; [unrolled: 1-line block ×4, first 2 shown]
	v_min3_f32 v95, v95, v96, v178
	v_min_f32_e32 v96, v97, v98
	v_min3_f32 v94, v94, v96, v95
	v_lshlrev_b64 v[96:97], 3, v[0:1]
	v_cvt_f64_f32_e32 v[94:95], v94
	v_add_co_u32 v96, vcc_lo, v90, v96
	v_add_co_ci_u32_e64 v97, null, v91, v97, vcc_lo
	global_store_dwordx2 v[96:97], v[94:95], off
	s_or_b32 exec_lo, exec_lo, s11
	s_and_b32 s12, s1, s8
	s_and_saveexec_b32 s11, s12
	s_cbranch_execz .LBB159_251
.LBB159_261:
	v_cmp_ne_u32_e32 vcc_lo, 1, v144
	s_cbranch_vccnz .LBB159_263
; %bb.262:
	v_lshlrev_b64 v[94:95], 3, v[130:131]
	v_add_co_u32 v94, vcc_lo, v92, v94
	v_add_co_ci_u32_e64 v95, null, v93, v95, vcc_lo
	global_load_dwordx2 v[94:95], v[94:95], off
	s_waitcnt vmcnt(0)
	v_mul_f64 v[94:95], s[16:17], v[94:95]
	v_cvt_f32_f64_e32 v94, v[94:95]
	s_branch .LBB159_264
.LBB159_263:
	v_mov_b32_e32 v94, 0
.LBB159_264:
	v_add_f64 v[95:96], v[62:63], v[86:87]
	v_add_f64 v[97:98], v[64:65], v[88:89]
	;; [unrolled: 1-line block ×4, first 2 shown]
	v_cvt_f32_f64_e32 v95, v[95:96]
	v_cvt_f32_f64_e32 v96, v[97:98]
	;; [unrolled: 1-line block ×4, first 2 shown]
	v_min3_f32 v95, v95, v96, v177
	v_min_f32_e32 v96, v97, v98
	v_min3_f32 v94, v94, v96, v95
	v_lshlrev_b64 v[96:97], 3, v[130:131]
	v_cvt_f64_f32_e32 v[94:95], v94
	v_add_co_u32 v96, vcc_lo, v90, v96
	v_add_co_ci_u32_e64 v97, null, v91, v97, vcc_lo
	global_store_dwordx2 v[96:97], v[94:95], off
	s_or_b32 exec_lo, exec_lo, s11
	s_and_b32 s12, s2, s8
	s_and_saveexec_b32 s11, s12
	s_cbranch_execz .LBB159_252
.LBB159_265:
	v_cmp_ne_u32_e32 vcc_lo, 1, v144
	s_cbranch_vccnz .LBB159_267
; %bb.266:
	v_lshlrev_b64 v[94:95], 3, v[132:133]
	v_add_co_u32 v94, vcc_lo, v92, v94
	v_add_co_ci_u32_e64 v95, null, v93, v95, vcc_lo
	global_load_dwordx2 v[94:95], v[94:95], off
	s_waitcnt vmcnt(0)
	v_mul_f64 v[94:95], s[16:17], v[94:95]
	v_cvt_f32_f64_e32 v94, v[94:95]
	s_branch .LBB159_268
.LBB159_267:
	v_mov_b32_e32 v94, 0
.LBB159_268:
	v_add_f64 v[95:96], v[54:55], v[86:87]
	v_add_f64 v[97:98], v[56:57], v[88:89]
	v_add_f64 v[99:100], v[50:51], v[82:83]
	v_add_f64 v[101:102], v[52:53], v[84:85]
	v_cvt_f32_f64_e32 v95, v[95:96]
	v_cvt_f32_f64_e32 v96, v[97:98]
	v_cvt_f32_f64_e32 v97, v[99:100]
	v_cvt_f32_f64_e32 v98, v[101:102]
	v_min3_f32 v95, v95, v96, v172
	v_min_f32_e32 v96, v97, v98
	v_min3_f32 v94, v94, v96, v95
	v_lshlrev_b64 v[96:97], 3, v[132:133]
	v_cvt_f64_f32_e32 v[94:95], v94
	v_add_co_u32 v96, vcc_lo, v90, v96
	v_add_co_ci_u32_e64 v97, null, v91, v97, vcc_lo
	global_store_dwordx2 v[96:97], v[94:95], off
	s_or_b32 exec_lo, exec_lo, s11
	s_and_b32 s12, s3, s8
	s_and_saveexec_b32 s11, s12
	s_cbranch_execz .LBB159_253
.LBB159_269:
	v_cmp_ne_u32_e32 vcc_lo, 1, v144
	s_cbranch_vccnz .LBB159_271
; %bb.270:
	v_lshlrev_b64 v[94:95], 3, v[134:135]
	v_add_co_u32 v94, vcc_lo, v92, v94
	v_add_co_ci_u32_e64 v95, null, v93, v95, vcc_lo
	global_load_dwordx2 v[94:95], v[94:95], off
	s_waitcnt vmcnt(0)
	v_mul_f64 v[94:95], s[16:17], v[94:95]
	v_cvt_f32_f64_e32 v94, v[94:95]
	s_branch .LBB159_272
.LBB159_271:
	v_mov_b32_e32 v94, 0
.LBB159_272:
	v_add_f64 v[95:96], v[46:47], v[86:87]
	v_add_f64 v[97:98], v[48:49], v[88:89]
	;; [unrolled: 1-line block ×4, first 2 shown]
	v_cvt_f32_f64_e32 v95, v[95:96]
	v_cvt_f32_f64_e32 v96, v[97:98]
	;; [unrolled: 1-line block ×4, first 2 shown]
	v_min3_f32 v95, v95, v96, v169
	v_min_f32_e32 v96, v97, v98
	v_min3_f32 v94, v94, v96, v95
	v_lshlrev_b64 v[96:97], 3, v[134:135]
	v_cvt_f64_f32_e32 v[94:95], v94
	v_add_co_u32 v96, vcc_lo, v90, v96
	v_add_co_ci_u32_e64 v97, null, v91, v97, vcc_lo
	global_store_dwordx2 v[96:97], v[94:95], off
	s_or_b32 exec_lo, exec_lo, s11
	s_and_b32 s12, s4, s8
	s_and_saveexec_b32 s11, s12
	s_cbranch_execz .LBB159_254
.LBB159_273:
	v_cmp_ne_u32_e32 vcc_lo, 1, v144
	s_cbranch_vccnz .LBB159_275
; %bb.274:
	v_lshlrev_b64 v[94:95], 3, v[136:137]
	v_add_co_u32 v94, vcc_lo, v92, v94
	v_add_co_ci_u32_e64 v95, null, v93, v95, vcc_lo
	global_load_dwordx2 v[94:95], v[94:95], off
	s_waitcnt vmcnt(0)
	v_mul_f64 v[94:95], s[16:17], v[94:95]
	v_cvt_f32_f64_e32 v94, v[94:95]
	s_branch .LBB159_276
.LBB159_275:
	v_mov_b32_e32 v94, 0
.LBB159_276:
	v_add_f64 v[95:96], v[38:39], v[86:87]
	v_add_f64 v[97:98], v[40:41], v[88:89]
	;; [unrolled: 1-line block ×4, first 2 shown]
	v_cvt_f32_f64_e32 v95, v[95:96]
	v_cvt_f32_f64_e32 v96, v[97:98]
	;; [unrolled: 1-line block ×4, first 2 shown]
	v_min3_f32 v95, v95, v96, v168
	v_min_f32_e32 v96, v97, v98
	v_min3_f32 v94, v94, v96, v95
	v_lshlrev_b64 v[96:97], 3, v[136:137]
	v_cvt_f64_f32_e32 v[94:95], v94
	v_add_co_u32 v96, vcc_lo, v90, v96
	v_add_co_ci_u32_e64 v97, null, v91, v97, vcc_lo
	global_store_dwordx2 v[96:97], v[94:95], off
	s_or_b32 exec_lo, exec_lo, s11
	s_and_b32 s12, s5, s8
	s_and_saveexec_b32 s11, s12
	s_cbranch_execz .LBB159_255
.LBB159_277:
	v_cmp_ne_u32_e32 vcc_lo, 1, v144
	s_cbranch_vccnz .LBB159_279
; %bb.278:
	v_lshlrev_b64 v[94:95], 3, v[138:139]
	v_add_co_u32 v94, vcc_lo, v92, v94
	v_add_co_ci_u32_e64 v95, null, v93, v95, vcc_lo
	global_load_dwordx2 v[94:95], v[94:95], off
	s_waitcnt vmcnt(0)
	v_mul_f64 v[94:95], s[16:17], v[94:95]
	v_cvt_f32_f64_e32 v94, v[94:95]
	s_branch .LBB159_280
.LBB159_279:
	v_mov_b32_e32 v94, 0
.LBB159_280:
	v_add_f64 v[95:96], v[30:31], v[86:87]
	v_add_f64 v[97:98], v[32:33], v[88:89]
	v_add_f64 v[99:100], v[26:27], v[82:83]
	v_add_f64 v[101:102], v[28:29], v[84:85]
	v_cvt_f32_f64_e32 v95, v[95:96]
	v_cvt_f32_f64_e32 v96, v[97:98]
	;; [unrolled: 1-line block ×4, first 2 shown]
	v_min3_f32 v95, v95, v96, v167
	v_min_f32_e32 v96, v97, v98
	v_min3_f32 v94, v94, v96, v95
	v_lshlrev_b64 v[96:97], 3, v[138:139]
	v_cvt_f64_f32_e32 v[94:95], v94
	v_add_co_u32 v96, vcc_lo, v90, v96
	v_add_co_ci_u32_e64 v97, null, v91, v97, vcc_lo
	global_store_dwordx2 v[96:97], v[94:95], off
	s_or_b32 exec_lo, exec_lo, s11
	s_and_b32 s12, s6, s8
	s_and_saveexec_b32 s11, s12
	s_cbranch_execz .LBB159_256
.LBB159_281:
	v_cmp_ne_u32_e32 vcc_lo, 1, v144
	s_cbranch_vccnz .LBB159_283
; %bb.282:
	v_lshlrev_b64 v[94:95], 3, v[140:141]
	v_add_co_u32 v94, vcc_lo, v92, v94
	v_add_co_ci_u32_e64 v95, null, v93, v95, vcc_lo
	global_load_dwordx2 v[94:95], v[94:95], off
	s_waitcnt vmcnt(0)
	v_mul_f64 v[94:95], s[16:17], v[94:95]
	v_cvt_f32_f64_e32 v94, v[94:95]
	s_branch .LBB159_284
.LBB159_283:
	v_mov_b32_e32 v94, 0
.LBB159_284:
	v_add_f64 v[95:96], v[22:23], v[86:87]
	v_add_f64 v[97:98], v[24:25], v[88:89]
	;; [unrolled: 1-line block ×4, first 2 shown]
	v_cvt_f32_f64_e32 v95, v[95:96]
	v_cvt_f32_f64_e32 v96, v[97:98]
	;; [unrolled: 1-line block ×4, first 2 shown]
	v_min3_f32 v95, v95, v96, v166
	v_min_f32_e32 v96, v97, v98
	v_min3_f32 v94, v94, v96, v95
	v_lshlrev_b64 v[96:97], 3, v[140:141]
	v_cvt_f64_f32_e32 v[94:95], v94
	v_add_co_u32 v96, vcc_lo, v90, v96
	v_add_co_ci_u32_e64 v97, null, v91, v97, vcc_lo
	global_store_dwordx2 v[96:97], v[94:95], off
	s_or_b32 exec_lo, exec_lo, s11
	s_and_b32 s11, s7, s8
	s_and_saveexec_b32 s8, s11
	s_cbranch_execz .LBB159_289
.LBB159_285:
	v_cmp_ne_u32_e32 vcc_lo, 1, v144
	s_cbranch_vccnz .LBB159_287
; %bb.286:
	v_lshlrev_b64 v[94:95], 3, v[142:143]
	v_add_co_u32 v92, vcc_lo, v92, v94
	v_add_co_ci_u32_e64 v93, null, v93, v95, vcc_lo
	global_load_dwordx2 v[92:93], v[92:93], off
	s_waitcnt vmcnt(0)
	v_mul_f64 v[92:93], s[16:17], v[92:93]
	v_cvt_f32_f64_e32 v92, v[92:93]
	s_branch .LBB159_288
.LBB159_287:
	v_mov_b32_e32 v92, 0
.LBB159_288:
	v_add_f64 v[86:87], v[6:7], v[86:87]
	v_add_f64 v[88:89], v[8:9], v[88:89]
	;; [unrolled: 1-line block ×4, first 2 shown]
	v_cvt_f32_f64_e32 v86, v[86:87]
	v_cvt_f32_f64_e32 v87, v[88:89]
	;; [unrolled: 1-line block ×4, first 2 shown]
	v_min3_f32 v84, v86, v87, v165
	v_min_f32_e32 v82, v82, v83
	v_min3_f32 v82, v92, v82, v84
	v_lshlrev_b64 v[84:85], 3, v[142:143]
	v_cvt_f64_f32_e32 v[82:83], v82
	v_add_co_u32 v84, vcc_lo, v90, v84
	v_add_co_ci_u32_e64 v85, null, v91, v85, vcc_lo
	global_store_dwordx2 v[84:85], v[82:83], off
.LBB159_289:
	s_or_b32 exec_lo, exec_lo, s8
	v_add_nc_u32_e32 v86, 48, v146
	v_mad_i64_i32 v[82:83], null, v86, s15, 0
	v_mad_i64_i32 v[84:85], null, v86, s14, 0
	v_cmp_gt_i32_e64 s8, s13, v86
	v_lshlrev_b64 v[82:83], 3, v[82:83]
	s_and_b32 s12, s0, s8
	v_lshlrev_b64 v[86:87], 3, v[84:85]
	v_add_co_u32 v84, vcc_lo, s18, v82
	v_add_co_ci_u32_e64 v85, null, s19, v83, vcc_lo
	v_add_co_u32 v82, vcc_lo, s10, v86
	v_add_co_ci_u32_e64 v83, null, s9, v87, vcc_lo
	s_and_saveexec_b32 s11, s12
	s_cbranch_execnz .LBB159_297
; %bb.290:
	s_or_b32 exec_lo, exec_lo, s11
	s_and_b32 s12, s1, s8
	s_and_saveexec_b32 s11, s12
	s_cbranch_execnz .LBB159_301
.LBB159_291:
	s_or_b32 exec_lo, exec_lo, s11
	s_and_b32 s12, s2, s8
	s_and_saveexec_b32 s11, s12
	s_cbranch_execnz .LBB159_305
.LBB159_292:
	s_or_b32 exec_lo, exec_lo, s11
	s_and_b32 s12, s3, s8
	s_and_saveexec_b32 s11, s12
	s_cbranch_execnz .LBB159_309
.LBB159_293:
	s_or_b32 exec_lo, exec_lo, s11
	s_and_b32 s12, s4, s8
	s_and_saveexec_b32 s11, s12
	s_cbranch_execnz .LBB159_313
.LBB159_294:
	s_or_b32 exec_lo, exec_lo, s11
	s_and_b32 s12, s5, s8
	s_and_saveexec_b32 s11, s12
	s_cbranch_execnz .LBB159_317
.LBB159_295:
	s_or_b32 exec_lo, exec_lo, s11
	s_and_b32 s12, s6, s8
	s_and_saveexec_b32 s11, s12
	s_cbranch_execnz .LBB159_321
.LBB159_296:
	s_or_b32 exec_lo, exec_lo, s11
	s_and_b32 s11, s7, s8
	s_and_saveexec_b32 s8, s11
	s_cbranch_execnz .LBB159_325
	s_branch .LBB159_329
.LBB159_297:
	v_cmp_ne_u32_e32 vcc_lo, 1, v144
	s_cbranch_vccnz .LBB159_299
; %bb.298:
	v_lshlrev_b64 v[86:87], 3, v[0:1]
	v_add_co_u32 v86, vcc_lo, v84, v86
	v_add_co_ci_u32_e64 v87, null, v85, v87, vcc_lo
	global_load_dwordx2 v[86:87], v[86:87], off
	s_waitcnt vmcnt(0)
	v_mul_f64 v[86:87], s[16:17], v[86:87]
	v_cvt_f32_f64_e32 v86, v[86:87]
	s_branch .LBB159_300
.LBB159_299:
	v_mov_b32_e32 v86, 0
.LBB159_300:
	v_add_f64 v[87:88], v[70:71], v[78:79]
	v_add_f64 v[89:90], v[72:73], v[80:81]
	;; [unrolled: 1-line block ×4, first 2 shown]
	v_cvt_f32_f64_e32 v87, v[87:88]
	v_cvt_f32_f64_e32 v88, v[89:90]
	;; [unrolled: 1-line block ×4, first 2 shown]
	v_min3_f32 v87, v87, v88, v164
	v_min_f32_e32 v88, v89, v90
	v_min3_f32 v86, v86, v88, v87
	v_lshlrev_b64 v[88:89], 3, v[0:1]
	v_cvt_f64_f32_e32 v[86:87], v86
	v_add_co_u32 v88, vcc_lo, v82, v88
	v_add_co_ci_u32_e64 v89, null, v83, v89, vcc_lo
	global_store_dwordx2 v[88:89], v[86:87], off
	s_or_b32 exec_lo, exec_lo, s11
	s_and_b32 s12, s1, s8
	s_and_saveexec_b32 s11, s12
	s_cbranch_execz .LBB159_291
.LBB159_301:
	v_cmp_ne_u32_e32 vcc_lo, 1, v144
	s_cbranch_vccnz .LBB159_303
; %bb.302:
	v_lshlrev_b64 v[86:87], 3, v[130:131]
	v_add_co_u32 v86, vcc_lo, v84, v86
	v_add_co_ci_u32_e64 v87, null, v85, v87, vcc_lo
	global_load_dwordx2 v[86:87], v[86:87], off
	s_waitcnt vmcnt(0)
	v_mul_f64 v[86:87], s[16:17], v[86:87]
	v_cvt_f32_f64_e32 v86, v[86:87]
	s_branch .LBB159_304
.LBB159_303:
	v_mov_b32_e32 v86, 0
.LBB159_304:
	v_add_f64 v[87:88], v[62:63], v[78:79]
	v_add_f64 v[89:90], v[64:65], v[80:81]
	;; [unrolled: 1-line block ×4, first 2 shown]
	v_cvt_f32_f64_e32 v87, v[87:88]
	v_cvt_f32_f64_e32 v88, v[89:90]
	;; [unrolled: 1-line block ×4, first 2 shown]
	v_min3_f32 v87, v87, v88, v163
	v_min_f32_e32 v88, v89, v90
	v_min3_f32 v86, v86, v88, v87
	v_lshlrev_b64 v[88:89], 3, v[130:131]
	v_cvt_f64_f32_e32 v[86:87], v86
	v_add_co_u32 v88, vcc_lo, v82, v88
	v_add_co_ci_u32_e64 v89, null, v83, v89, vcc_lo
	global_store_dwordx2 v[88:89], v[86:87], off
	s_or_b32 exec_lo, exec_lo, s11
	s_and_b32 s12, s2, s8
	s_and_saveexec_b32 s11, s12
	s_cbranch_execz .LBB159_292
.LBB159_305:
	v_cmp_ne_u32_e32 vcc_lo, 1, v144
	s_cbranch_vccnz .LBB159_307
; %bb.306:
	v_lshlrev_b64 v[86:87], 3, v[132:133]
	v_add_co_u32 v86, vcc_lo, v84, v86
	v_add_co_ci_u32_e64 v87, null, v85, v87, vcc_lo
	global_load_dwordx2 v[86:87], v[86:87], off
	s_waitcnt vmcnt(0)
	v_mul_f64 v[86:87], s[16:17], v[86:87]
	v_cvt_f32_f64_e32 v86, v[86:87]
	s_branch .LBB159_308
.LBB159_307:
	v_mov_b32_e32 v86, 0
.LBB159_308:
	v_add_f64 v[87:88], v[54:55], v[78:79]
	v_add_f64 v[89:90], v[56:57], v[80:81]
	;; [unrolled: 1-line block ×4, first 2 shown]
	v_cvt_f32_f64_e32 v87, v[87:88]
	v_cvt_f32_f64_e32 v88, v[89:90]
	;; [unrolled: 1-line block ×4, first 2 shown]
	v_min3_f32 v87, v87, v88, v162
	v_min_f32_e32 v88, v89, v90
	v_min3_f32 v86, v86, v88, v87
	v_lshlrev_b64 v[88:89], 3, v[132:133]
	v_cvt_f64_f32_e32 v[86:87], v86
	v_add_co_u32 v88, vcc_lo, v82, v88
	v_add_co_ci_u32_e64 v89, null, v83, v89, vcc_lo
	global_store_dwordx2 v[88:89], v[86:87], off
	s_or_b32 exec_lo, exec_lo, s11
	s_and_b32 s12, s3, s8
	s_and_saveexec_b32 s11, s12
	s_cbranch_execz .LBB159_293
.LBB159_309:
	v_cmp_ne_u32_e32 vcc_lo, 1, v144
	s_cbranch_vccnz .LBB159_311
; %bb.310:
	v_lshlrev_b64 v[86:87], 3, v[134:135]
	v_add_co_u32 v86, vcc_lo, v84, v86
	v_add_co_ci_u32_e64 v87, null, v85, v87, vcc_lo
	global_load_dwordx2 v[86:87], v[86:87], off
	s_waitcnt vmcnt(0)
	v_mul_f64 v[86:87], s[16:17], v[86:87]
	v_cvt_f32_f64_e32 v86, v[86:87]
	s_branch .LBB159_312
.LBB159_311:
	v_mov_b32_e32 v86, 0
.LBB159_312:
	v_add_f64 v[87:88], v[46:47], v[78:79]
	v_add_f64 v[89:90], v[48:49], v[80:81]
	v_add_f64 v[91:92], v[42:43], v[74:75]
	v_add_f64 v[93:94], v[44:45], v[76:77]
	v_cvt_f32_f64_e32 v87, v[87:88]
	v_cvt_f32_f64_e32 v88, v[89:90]
	;; [unrolled: 1-line block ×4, first 2 shown]
	v_min3_f32 v87, v87, v88, v161
	v_min_f32_e32 v88, v89, v90
	v_min3_f32 v86, v86, v88, v87
	v_lshlrev_b64 v[88:89], 3, v[134:135]
	v_cvt_f64_f32_e32 v[86:87], v86
	v_add_co_u32 v88, vcc_lo, v82, v88
	v_add_co_ci_u32_e64 v89, null, v83, v89, vcc_lo
	global_store_dwordx2 v[88:89], v[86:87], off
	s_or_b32 exec_lo, exec_lo, s11
	s_and_b32 s12, s4, s8
	s_and_saveexec_b32 s11, s12
	s_cbranch_execz .LBB159_294
.LBB159_313:
	v_cmp_ne_u32_e32 vcc_lo, 1, v144
	s_cbranch_vccnz .LBB159_315
; %bb.314:
	v_lshlrev_b64 v[86:87], 3, v[136:137]
	v_add_co_u32 v86, vcc_lo, v84, v86
	v_add_co_ci_u32_e64 v87, null, v85, v87, vcc_lo
	global_load_dwordx2 v[86:87], v[86:87], off
	s_waitcnt vmcnt(0)
	v_mul_f64 v[86:87], s[16:17], v[86:87]
	v_cvt_f32_f64_e32 v86, v[86:87]
	s_branch .LBB159_316
.LBB159_315:
	v_mov_b32_e32 v86, 0
.LBB159_316:
	v_add_f64 v[87:88], v[38:39], v[78:79]
	v_add_f64 v[89:90], v[40:41], v[80:81]
	;; [unrolled: 1-line block ×4, first 2 shown]
	v_cvt_f32_f64_e32 v87, v[87:88]
	v_cvt_f32_f64_e32 v88, v[89:90]
	v_cvt_f32_f64_e32 v89, v[91:92]
	v_cvt_f32_f64_e32 v90, v[93:94]
	v_min3_f32 v87, v87, v88, v160
	v_min_f32_e32 v88, v89, v90
	v_min3_f32 v86, v86, v88, v87
	v_lshlrev_b64 v[88:89], 3, v[136:137]
	v_cvt_f64_f32_e32 v[86:87], v86
	v_add_co_u32 v88, vcc_lo, v82, v88
	v_add_co_ci_u32_e64 v89, null, v83, v89, vcc_lo
	global_store_dwordx2 v[88:89], v[86:87], off
	s_or_b32 exec_lo, exec_lo, s11
	s_and_b32 s12, s5, s8
	s_and_saveexec_b32 s11, s12
	s_cbranch_execz .LBB159_295
.LBB159_317:
	v_cmp_ne_u32_e32 vcc_lo, 1, v144
	s_cbranch_vccnz .LBB159_319
; %bb.318:
	v_lshlrev_b64 v[86:87], 3, v[138:139]
	v_add_co_u32 v86, vcc_lo, v84, v86
	v_add_co_ci_u32_e64 v87, null, v85, v87, vcc_lo
	global_load_dwordx2 v[86:87], v[86:87], off
	s_waitcnt vmcnt(0)
	v_mul_f64 v[86:87], s[16:17], v[86:87]
	v_cvt_f32_f64_e32 v86, v[86:87]
	s_branch .LBB159_320
.LBB159_319:
	v_mov_b32_e32 v86, 0
.LBB159_320:
	v_add_f64 v[87:88], v[30:31], v[78:79]
	v_add_f64 v[89:90], v[32:33], v[80:81]
	;; [unrolled: 1-line block ×4, first 2 shown]
	v_cvt_f32_f64_e32 v87, v[87:88]
	v_cvt_f32_f64_e32 v88, v[89:90]
	v_cvt_f32_f64_e32 v89, v[91:92]
	v_cvt_f32_f64_e32 v90, v[93:94]
	v_min3_f32 v87, v87, v88, v159
	v_min_f32_e32 v88, v89, v90
	v_min3_f32 v86, v86, v88, v87
	v_lshlrev_b64 v[88:89], 3, v[138:139]
	v_cvt_f64_f32_e32 v[86:87], v86
	v_add_co_u32 v88, vcc_lo, v82, v88
	v_add_co_ci_u32_e64 v89, null, v83, v89, vcc_lo
	global_store_dwordx2 v[88:89], v[86:87], off
	s_or_b32 exec_lo, exec_lo, s11
	s_and_b32 s12, s6, s8
	s_and_saveexec_b32 s11, s12
	s_cbranch_execz .LBB159_296
.LBB159_321:
	v_cmp_ne_u32_e32 vcc_lo, 1, v144
	s_cbranch_vccnz .LBB159_323
; %bb.322:
	v_lshlrev_b64 v[86:87], 3, v[140:141]
	v_add_co_u32 v86, vcc_lo, v84, v86
	v_add_co_ci_u32_e64 v87, null, v85, v87, vcc_lo
	global_load_dwordx2 v[86:87], v[86:87], off
	s_waitcnt vmcnt(0)
	v_mul_f64 v[86:87], s[16:17], v[86:87]
	v_cvt_f32_f64_e32 v86, v[86:87]
	s_branch .LBB159_324
.LBB159_323:
	v_mov_b32_e32 v86, 0
.LBB159_324:
	v_add_f64 v[87:88], v[22:23], v[78:79]
	v_add_f64 v[89:90], v[24:25], v[80:81]
	;; [unrolled: 1-line block ×4, first 2 shown]
	v_cvt_f32_f64_e32 v87, v[87:88]
	v_cvt_f32_f64_e32 v88, v[89:90]
	;; [unrolled: 1-line block ×4, first 2 shown]
	v_min3_f32 v87, v87, v88, v158
	v_min_f32_e32 v88, v89, v90
	v_min3_f32 v86, v86, v88, v87
	v_lshlrev_b64 v[88:89], 3, v[140:141]
	v_cvt_f64_f32_e32 v[86:87], v86
	v_add_co_u32 v88, vcc_lo, v82, v88
	v_add_co_ci_u32_e64 v89, null, v83, v89, vcc_lo
	global_store_dwordx2 v[88:89], v[86:87], off
	s_or_b32 exec_lo, exec_lo, s11
	s_and_b32 s11, s7, s8
	s_and_saveexec_b32 s8, s11
	s_cbranch_execz .LBB159_329
.LBB159_325:
	v_cmp_ne_u32_e32 vcc_lo, 1, v144
	s_cbranch_vccnz .LBB159_327
; %bb.326:
	v_lshlrev_b64 v[86:87], 3, v[142:143]
	v_add_co_u32 v84, vcc_lo, v84, v86
	v_add_co_ci_u32_e64 v85, null, v85, v87, vcc_lo
	global_load_dwordx2 v[84:85], v[84:85], off
	s_waitcnt vmcnt(0)
	v_mul_f64 v[84:85], s[16:17], v[84:85]
	v_cvt_f32_f64_e32 v84, v[84:85]
	s_branch .LBB159_328
.LBB159_327:
	v_mov_b32_e32 v84, 0
.LBB159_328:
	v_add_f64 v[78:79], v[6:7], v[78:79]
	v_add_f64 v[80:81], v[8:9], v[80:81]
	v_add_f64 v[74:75], v[2:3], v[74:75]
	v_add_f64 v[76:77], v[4:5], v[76:77]
	v_cvt_f32_f64_e32 v78, v[78:79]
	v_cvt_f32_f64_e32 v79, v[80:81]
	;; [unrolled: 1-line block ×4, first 2 shown]
	v_min3_f32 v76, v78, v79, v157
	v_min_f32_e32 v74, v74, v75
	v_min3_f32 v74, v84, v74, v76
	v_lshlrev_b64 v[76:77], 3, v[142:143]
	v_cvt_f64_f32_e32 v[74:75], v74
	v_add_co_u32 v76, vcc_lo, v82, v76
	v_add_co_ci_u32_e64 v77, null, v83, v77, vcc_lo
	global_store_dwordx2 v[76:77], v[74:75], off
.LBB159_329:
	s_or_b32 exec_lo, exec_lo, s8
	v_add_nc_u32_e32 v78, 56, v146
	v_mad_i64_i32 v[74:75], null, v78, s15, 0
	v_mad_i64_i32 v[76:77], null, v78, s14, 0
	v_cmp_gt_i32_e64 s8, s13, v78
	v_lshlrev_b64 v[74:75], 3, v[74:75]
	v_lshlrev_b64 v[78:79], 3, v[76:77]
	v_add_co_u32 v76, vcc_lo, s18, v74
	v_add_co_ci_u32_e64 v77, null, s19, v75, vcc_lo
	v_add_co_u32 v74, vcc_lo, s10, v78
	v_add_co_ci_u32_e64 v75, null, s9, v79, vcc_lo
	s_and_b32 s9, s0, s8
	s_and_saveexec_b32 s0, s9
	s_cbranch_execnz .LBB159_338
; %bb.330:
	s_or_b32 exec_lo, exec_lo, s0
	s_and_b32 s1, s1, s8
	s_and_saveexec_b32 s0, s1
	s_cbranch_execnz .LBB159_342
.LBB159_331:
	s_or_b32 exec_lo, exec_lo, s0
	s_and_b32 s1, s2, s8
	s_and_saveexec_b32 s0, s1
	s_cbranch_execnz .LBB159_346
.LBB159_332:
	s_or_b32 exec_lo, exec_lo, s0
	s_and_b32 s1, s3, s8
	s_and_saveexec_b32 s0, s1
	s_cbranch_execnz .LBB159_350
.LBB159_333:
	s_or_b32 exec_lo, exec_lo, s0
	s_and_b32 s1, s4, s8
	s_and_saveexec_b32 s0, s1
	s_cbranch_execnz .LBB159_354
.LBB159_334:
	s_or_b32 exec_lo, exec_lo, s0
	s_and_b32 s1, s5, s8
	s_and_saveexec_b32 s0, s1
	s_cbranch_execnz .LBB159_358
.LBB159_335:
	s_or_b32 exec_lo, exec_lo, s0
	s_and_b32 s1, s6, s8
	s_and_saveexec_b32 s0, s1
	s_cbranch_execnz .LBB159_362
.LBB159_336:
	s_or_b32 exec_lo, exec_lo, s0
	s_and_b32 s0, s7, s8
	s_and_saveexec_b32 s1, s0
	s_cbranch_execnz .LBB159_366
.LBB159_337:
	s_endpgm
.LBB159_338:
	v_cmp_ne_u32_e32 vcc_lo, 1, v144
	v_lshlrev_b64 v[0:1], 3, v[0:1]
	s_cbranch_vccnz .LBB159_340
; %bb.339:
	v_add_co_u32 v78, vcc_lo, v76, v0
	v_add_co_ci_u32_e64 v79, null, v77, v1, vcc_lo
	global_load_dwordx2 v[78:79], v[78:79], off
	s_waitcnt vmcnt(0)
	v_mul_f64 v[78:79], s[16:17], v[78:79]
	v_cvt_f32_f64_e32 v78, v[78:79]
	s_branch .LBB159_341
.LBB159_340:
	v_mov_b32_e32 v78, 0
.LBB159_341:
	v_add_f64 v[70:71], v[70:71], v[14:15]
	v_add_f64 v[72:73], v[72:73], v[16:17]
	;; [unrolled: 1-line block ×4, first 2 shown]
	v_add_co_u32 v0, vcc_lo, v74, v0
	v_add_co_ci_u32_e64 v1, null, v75, v1, vcc_lo
	v_cvt_f32_f64_e32 v70, v[70:71]
	v_cvt_f32_f64_e32 v71, v[72:73]
	;; [unrolled: 1-line block ×4, first 2 shown]
	v_min3_f32 v68, v70, v71, v156
	v_min_f32_e32 v66, v66, v67
	v_min3_f32 v66, v78, v66, v68
	v_cvt_f64_f32_e32 v[66:67], v66
	global_store_dwordx2 v[0:1], v[66:67], off
	s_or_b32 exec_lo, exec_lo, s0
	s_and_b32 s1, s1, s8
	s_and_saveexec_b32 s0, s1
	s_cbranch_execz .LBB159_331
.LBB159_342:
	v_cmp_ne_u32_e32 vcc_lo, 1, v144
	v_lshlrev_b64 v[0:1], 3, v[130:131]
	s_cbranch_vccnz .LBB159_344
; %bb.343:
	v_add_co_u32 v66, vcc_lo, v76, v0
	v_add_co_ci_u32_e64 v67, null, v77, v1, vcc_lo
	global_load_dwordx2 v[66:67], v[66:67], off
	s_waitcnt vmcnt(0)
	v_mul_f64 v[66:67], s[16:17], v[66:67]
	v_cvt_f32_f64_e32 v66, v[66:67]
	s_branch .LBB159_345
.LBB159_344:
	v_mov_b32_e32 v66, 0
.LBB159_345:
	v_add_f64 v[62:63], v[62:63], v[14:15]
	v_add_f64 v[64:65], v[64:65], v[16:17]
	;; [unrolled: 1-line block ×4, first 2 shown]
	v_add_co_u32 v0, vcc_lo, v74, v0
	v_add_co_ci_u32_e64 v1, null, v75, v1, vcc_lo
	v_cvt_f32_f64_e32 v62, v[62:63]
	v_cvt_f32_f64_e32 v63, v[64:65]
	;; [unrolled: 1-line block ×4, first 2 shown]
	v_min3_f32 v60, v62, v63, v155
	v_min_f32_e32 v58, v58, v59
	v_min3_f32 v58, v66, v58, v60
	v_cvt_f64_f32_e32 v[58:59], v58
	global_store_dwordx2 v[0:1], v[58:59], off
	s_or_b32 exec_lo, exec_lo, s0
	s_and_b32 s1, s2, s8
	s_and_saveexec_b32 s0, s1
	s_cbranch_execz .LBB159_332
.LBB159_346:
	v_cmp_ne_u32_e32 vcc_lo, 1, v144
	v_lshlrev_b64 v[0:1], 3, v[132:133]
	s_cbranch_vccnz .LBB159_348
; %bb.347:
	v_add_co_u32 v58, vcc_lo, v76, v0
	v_add_co_ci_u32_e64 v59, null, v77, v1, vcc_lo
	global_load_dwordx2 v[58:59], v[58:59], off
	s_waitcnt vmcnt(0)
	v_mul_f64 v[58:59], s[16:17], v[58:59]
	v_cvt_f32_f64_e32 v58, v[58:59]
	s_branch .LBB159_349
.LBB159_348:
	v_mov_b32_e32 v58, 0
.LBB159_349:
	v_add_f64 v[54:55], v[54:55], v[14:15]
	v_add_f64 v[56:57], v[56:57], v[16:17]
	v_add_f64 v[50:51], v[50:51], v[10:11]
	v_add_f64 v[52:53], v[52:53], v[12:13]
	v_add_co_u32 v0, vcc_lo, v74, v0
	v_add_co_ci_u32_e64 v1, null, v75, v1, vcc_lo
	v_cvt_f32_f64_e32 v54, v[54:55]
	v_cvt_f32_f64_e32 v55, v[56:57]
	;; [unrolled: 1-line block ×4, first 2 shown]
	v_min3_f32 v52, v54, v55, v154
	v_min_f32_e32 v50, v50, v51
	v_min3_f32 v50, v58, v50, v52
	v_cvt_f64_f32_e32 v[50:51], v50
	global_store_dwordx2 v[0:1], v[50:51], off
	s_or_b32 exec_lo, exec_lo, s0
	s_and_b32 s1, s3, s8
	s_and_saveexec_b32 s0, s1
	s_cbranch_execz .LBB159_333
.LBB159_350:
	v_cmp_ne_u32_e32 vcc_lo, 1, v144
	v_lshlrev_b64 v[0:1], 3, v[134:135]
	s_cbranch_vccnz .LBB159_352
; %bb.351:
	v_add_co_u32 v50, vcc_lo, v76, v0
	v_add_co_ci_u32_e64 v51, null, v77, v1, vcc_lo
	global_load_dwordx2 v[50:51], v[50:51], off
	s_waitcnt vmcnt(0)
	v_mul_f64 v[50:51], s[16:17], v[50:51]
	v_cvt_f32_f64_e32 v50, v[50:51]
	s_branch .LBB159_353
.LBB159_352:
	v_mov_b32_e32 v50, 0
.LBB159_353:
	v_add_f64 v[46:47], v[46:47], v[14:15]
	v_add_f64 v[48:49], v[48:49], v[16:17]
	;; [unrolled: 1-line block ×4, first 2 shown]
	v_add_co_u32 v0, vcc_lo, v74, v0
	v_add_co_ci_u32_e64 v1, null, v75, v1, vcc_lo
	v_cvt_f32_f64_e32 v46, v[46:47]
	v_cvt_f32_f64_e32 v47, v[48:49]
	;; [unrolled: 1-line block ×4, first 2 shown]
	v_min3_f32 v44, v46, v47, v153
	v_min_f32_e32 v42, v42, v43
	v_min3_f32 v42, v50, v42, v44
	v_cvt_f64_f32_e32 v[42:43], v42
	global_store_dwordx2 v[0:1], v[42:43], off
	s_or_b32 exec_lo, exec_lo, s0
	s_and_b32 s1, s4, s8
	s_and_saveexec_b32 s0, s1
	s_cbranch_execz .LBB159_334
.LBB159_354:
	v_cmp_ne_u32_e32 vcc_lo, 1, v144
	v_lshlrev_b64 v[0:1], 3, v[136:137]
	s_cbranch_vccnz .LBB159_356
; %bb.355:
	v_add_co_u32 v42, vcc_lo, v76, v0
	v_add_co_ci_u32_e64 v43, null, v77, v1, vcc_lo
	global_load_dwordx2 v[42:43], v[42:43], off
	s_waitcnt vmcnt(0)
	v_mul_f64 v[42:43], s[16:17], v[42:43]
	v_cvt_f32_f64_e32 v42, v[42:43]
	s_branch .LBB159_357
.LBB159_356:
	v_mov_b32_e32 v42, 0
.LBB159_357:
	v_add_f64 v[38:39], v[38:39], v[14:15]
	v_add_f64 v[40:41], v[40:41], v[16:17]
	;; [unrolled: 1-line block ×4, first 2 shown]
	v_add_co_u32 v0, vcc_lo, v74, v0
	v_add_co_ci_u32_e64 v1, null, v75, v1, vcc_lo
	v_cvt_f32_f64_e32 v38, v[38:39]
	v_cvt_f32_f64_e32 v39, v[40:41]
	;; [unrolled: 1-line block ×4, first 2 shown]
	v_min3_f32 v36, v38, v39, v152
	v_min_f32_e32 v34, v34, v35
	v_min3_f32 v34, v42, v34, v36
	v_cvt_f64_f32_e32 v[34:35], v34
	global_store_dwordx2 v[0:1], v[34:35], off
	s_or_b32 exec_lo, exec_lo, s0
	s_and_b32 s1, s5, s8
	s_and_saveexec_b32 s0, s1
	s_cbranch_execz .LBB159_335
.LBB159_358:
	v_cmp_ne_u32_e32 vcc_lo, 1, v144
	v_lshlrev_b64 v[0:1], 3, v[138:139]
	s_cbranch_vccnz .LBB159_360
; %bb.359:
	v_add_co_u32 v34, vcc_lo, v76, v0
	v_add_co_ci_u32_e64 v35, null, v77, v1, vcc_lo
	global_load_dwordx2 v[34:35], v[34:35], off
	s_waitcnt vmcnt(0)
	v_mul_f64 v[34:35], s[16:17], v[34:35]
	v_cvt_f32_f64_e32 v34, v[34:35]
	s_branch .LBB159_361
.LBB159_360:
	v_mov_b32_e32 v34, 0
.LBB159_361:
	v_add_f64 v[30:31], v[30:31], v[14:15]
	v_add_f64 v[32:33], v[32:33], v[16:17]
	;; [unrolled: 1-line block ×4, first 2 shown]
	v_add_co_u32 v0, vcc_lo, v74, v0
	v_add_co_ci_u32_e64 v1, null, v75, v1, vcc_lo
	v_cvt_f32_f64_e32 v30, v[30:31]
	v_cvt_f32_f64_e32 v31, v[32:33]
	;; [unrolled: 1-line block ×4, first 2 shown]
	v_min3_f32 v28, v30, v31, v151
	v_min_f32_e32 v26, v26, v27
	v_min3_f32 v26, v34, v26, v28
	v_cvt_f64_f32_e32 v[26:27], v26
	global_store_dwordx2 v[0:1], v[26:27], off
	s_or_b32 exec_lo, exec_lo, s0
	s_and_b32 s1, s6, s8
	s_and_saveexec_b32 s0, s1
	s_cbranch_execz .LBB159_336
.LBB159_362:
	v_cmp_ne_u32_e32 vcc_lo, 1, v144
	v_lshlrev_b64 v[0:1], 3, v[140:141]
	s_cbranch_vccnz .LBB159_364
; %bb.363:
	v_add_co_u32 v26, vcc_lo, v76, v0
	v_add_co_ci_u32_e64 v27, null, v77, v1, vcc_lo
	global_load_dwordx2 v[26:27], v[26:27], off
	s_waitcnt vmcnt(0)
	v_mul_f64 v[26:27], s[16:17], v[26:27]
	v_cvt_f32_f64_e32 v26, v[26:27]
	s_branch .LBB159_365
.LBB159_364:
	v_mov_b32_e32 v26, 0
.LBB159_365:
	v_add_f64 v[22:23], v[22:23], v[14:15]
	v_add_f64 v[24:25], v[24:25], v[16:17]
	;; [unrolled: 1-line block ×4, first 2 shown]
	v_add_co_u32 v0, vcc_lo, v74, v0
	v_add_co_ci_u32_e64 v1, null, v75, v1, vcc_lo
	v_cvt_f32_f64_e32 v22, v[22:23]
	v_cvt_f32_f64_e32 v23, v[24:25]
	;; [unrolled: 1-line block ×4, first 2 shown]
	v_min3_f32 v20, v22, v23, v150
	v_min_f32_e32 v18, v18, v19
	v_min3_f32 v18, v26, v18, v20
	v_cvt_f64_f32_e32 v[18:19], v18
	global_store_dwordx2 v[0:1], v[18:19], off
	s_or_b32 exec_lo, exec_lo, s0
	s_and_b32 s0, s7, s8
	s_and_saveexec_b32 s1, s0
	s_cbranch_execz .LBB159_337
.LBB159_366:
	v_cmp_ne_u32_e32 vcc_lo, 1, v144
	v_lshlrev_b64 v[0:1], 3, v[142:143]
	s_cbranch_vccnz .LBB159_368
; %bb.367:
	v_add_co_u32 v18, vcc_lo, v76, v0
	v_add_co_ci_u32_e64 v19, null, v77, v1, vcc_lo
	global_load_dwordx2 v[18:19], v[18:19], off
	s_waitcnt vmcnt(0)
	v_mul_f64 v[18:19], s[16:17], v[18:19]
	v_cvt_f32_f64_e32 v18, v[18:19]
	s_branch .LBB159_369
.LBB159_368:
	v_mov_b32_e32 v18, 0
.LBB159_369:
	v_add_f64 v[6:7], v[6:7], v[14:15]
	v_add_f64 v[8:9], v[8:9], v[16:17]
	;; [unrolled: 1-line block ×4, first 2 shown]
	v_add_co_u32 v0, vcc_lo, v74, v0
	v_add_co_ci_u32_e64 v1, null, v75, v1, vcc_lo
	v_cvt_f32_f64_e32 v6, v[6:7]
	v_cvt_f32_f64_e32 v7, v[8:9]
	;; [unrolled: 1-line block ×4, first 2 shown]
	v_min3_f32 v4, v6, v7, v149
	v_min_f32_e32 v2, v2, v3
	v_min3_f32 v2, v18, v2, v4
	v_cvt_f64_f32_e32 v[2:3], v2
	global_store_dwordx2 v[0:1], v[2:3], off
	s_endpgm
	.section	.rodata,"a",@progbits
	.p2align	6, 0x0
	.amdhsa_kernel _ZN12_GLOBAL__N_120geam_min_plus_kernelId15HIP_vector_typeIdLj2EEdLi32ELi8ELi256ELi64ELi4ELi64ELi4ELi4ELi64ELc78ELc78ELb0ELb1ELb1EPKdS3_dEEviiiT16_PT17_ilS7_ilS5_S7_ilPT18_ili26rocblas_geam_ex_operation_
		.amdhsa_group_segment_fixed_size 20480
		.amdhsa_private_segment_fixed_size 0
		.amdhsa_kernarg_size 136
		.amdhsa_user_sgpr_count 6
		.amdhsa_user_sgpr_private_segment_buffer 1
		.amdhsa_user_sgpr_dispatch_ptr 0
		.amdhsa_user_sgpr_queue_ptr 0
		.amdhsa_user_sgpr_kernarg_segment_ptr 1
		.amdhsa_user_sgpr_dispatch_id 0
		.amdhsa_user_sgpr_flat_scratch_init 0
		.amdhsa_user_sgpr_private_segment_size 0
		.amdhsa_wavefront_size32 1
		.amdhsa_uses_dynamic_stack 0
		.amdhsa_system_sgpr_private_segment_wavefront_offset 0
		.amdhsa_system_sgpr_workgroup_id_x 1
		.amdhsa_system_sgpr_workgroup_id_y 0
		.amdhsa_system_sgpr_workgroup_id_z 1
		.amdhsa_system_sgpr_workgroup_info 0
		.amdhsa_system_vgpr_workitem_id 1
		.amdhsa_next_free_vgpr 223
		.amdhsa_next_free_sgpr 32
		.amdhsa_reserve_vcc 1
		.amdhsa_reserve_flat_scratch 0
		.amdhsa_float_round_mode_32 0
		.amdhsa_float_round_mode_16_64 0
		.amdhsa_float_denorm_mode_32 3
		.amdhsa_float_denorm_mode_16_64 3
		.amdhsa_dx10_clamp 1
		.amdhsa_ieee_mode 1
		.amdhsa_fp16_overflow 0
		.amdhsa_workgroup_processor_mode 1
		.amdhsa_memory_ordered 1
		.amdhsa_forward_progress 1
		.amdhsa_shared_vgpr_count 0
		.amdhsa_exception_fp_ieee_invalid_op 0
		.amdhsa_exception_fp_denorm_src 0
		.amdhsa_exception_fp_ieee_div_zero 0
		.amdhsa_exception_fp_ieee_overflow 0
		.amdhsa_exception_fp_ieee_underflow 0
		.amdhsa_exception_fp_ieee_inexact 0
		.amdhsa_exception_int_div_zero 0
	.end_amdhsa_kernel
	.section	.text._ZN12_GLOBAL__N_120geam_min_plus_kernelId15HIP_vector_typeIdLj2EEdLi32ELi8ELi256ELi64ELi4ELi64ELi4ELi4ELi64ELc78ELc78ELb0ELb1ELb1EPKdS3_dEEviiiT16_PT17_ilS7_ilS5_S7_ilPT18_ili26rocblas_geam_ex_operation_,"axG",@progbits,_ZN12_GLOBAL__N_120geam_min_plus_kernelId15HIP_vector_typeIdLj2EEdLi32ELi8ELi256ELi64ELi4ELi64ELi4ELi4ELi64ELc78ELc78ELb0ELb1ELb1EPKdS3_dEEviiiT16_PT17_ilS7_ilS5_S7_ilPT18_ili26rocblas_geam_ex_operation_,comdat
.Lfunc_end159:
	.size	_ZN12_GLOBAL__N_120geam_min_plus_kernelId15HIP_vector_typeIdLj2EEdLi32ELi8ELi256ELi64ELi4ELi64ELi4ELi4ELi64ELc78ELc78ELb0ELb1ELb1EPKdS3_dEEviiiT16_PT17_ilS7_ilS5_S7_ilPT18_ili26rocblas_geam_ex_operation_, .Lfunc_end159-_ZN12_GLOBAL__N_120geam_min_plus_kernelId15HIP_vector_typeIdLj2EEdLi32ELi8ELi256ELi64ELi4ELi64ELi4ELi4ELi64ELc78ELc78ELb0ELb1ELb1EPKdS3_dEEviiiT16_PT17_ilS7_ilS5_S7_ilPT18_ili26rocblas_geam_ex_operation_
                                        ; -- End function
	.set _ZN12_GLOBAL__N_120geam_min_plus_kernelId15HIP_vector_typeIdLj2EEdLi32ELi8ELi256ELi64ELi4ELi64ELi4ELi4ELi64ELc78ELc78ELb0ELb1ELb1EPKdS3_dEEviiiT16_PT17_ilS7_ilS5_S7_ilPT18_ili26rocblas_geam_ex_operation_.num_vgpr, 223
	.set _ZN12_GLOBAL__N_120geam_min_plus_kernelId15HIP_vector_typeIdLj2EEdLi32ELi8ELi256ELi64ELi4ELi64ELi4ELi4ELi64ELc78ELc78ELb0ELb1ELb1EPKdS3_dEEviiiT16_PT17_ilS7_ilS5_S7_ilPT18_ili26rocblas_geam_ex_operation_.num_agpr, 0
	.set _ZN12_GLOBAL__N_120geam_min_plus_kernelId15HIP_vector_typeIdLj2EEdLi32ELi8ELi256ELi64ELi4ELi64ELi4ELi4ELi64ELc78ELc78ELb0ELb1ELb1EPKdS3_dEEviiiT16_PT17_ilS7_ilS5_S7_ilPT18_ili26rocblas_geam_ex_operation_.numbered_sgpr, 32
	.set _ZN12_GLOBAL__N_120geam_min_plus_kernelId15HIP_vector_typeIdLj2EEdLi32ELi8ELi256ELi64ELi4ELi64ELi4ELi4ELi64ELc78ELc78ELb0ELb1ELb1EPKdS3_dEEviiiT16_PT17_ilS7_ilS5_S7_ilPT18_ili26rocblas_geam_ex_operation_.num_named_barrier, 0
	.set _ZN12_GLOBAL__N_120geam_min_plus_kernelId15HIP_vector_typeIdLj2EEdLi32ELi8ELi256ELi64ELi4ELi64ELi4ELi4ELi64ELc78ELc78ELb0ELb1ELb1EPKdS3_dEEviiiT16_PT17_ilS7_ilS5_S7_ilPT18_ili26rocblas_geam_ex_operation_.private_seg_size, 0
	.set _ZN12_GLOBAL__N_120geam_min_plus_kernelId15HIP_vector_typeIdLj2EEdLi32ELi8ELi256ELi64ELi4ELi64ELi4ELi4ELi64ELc78ELc78ELb0ELb1ELb1EPKdS3_dEEviiiT16_PT17_ilS7_ilS5_S7_ilPT18_ili26rocblas_geam_ex_operation_.uses_vcc, 1
	.set _ZN12_GLOBAL__N_120geam_min_plus_kernelId15HIP_vector_typeIdLj2EEdLi32ELi8ELi256ELi64ELi4ELi64ELi4ELi4ELi64ELc78ELc78ELb0ELb1ELb1EPKdS3_dEEviiiT16_PT17_ilS7_ilS5_S7_ilPT18_ili26rocblas_geam_ex_operation_.uses_flat_scratch, 0
	.set _ZN12_GLOBAL__N_120geam_min_plus_kernelId15HIP_vector_typeIdLj2EEdLi32ELi8ELi256ELi64ELi4ELi64ELi4ELi4ELi64ELc78ELc78ELb0ELb1ELb1EPKdS3_dEEviiiT16_PT17_ilS7_ilS5_S7_ilPT18_ili26rocblas_geam_ex_operation_.has_dyn_sized_stack, 0
	.set _ZN12_GLOBAL__N_120geam_min_plus_kernelId15HIP_vector_typeIdLj2EEdLi32ELi8ELi256ELi64ELi4ELi64ELi4ELi4ELi64ELc78ELc78ELb0ELb1ELb1EPKdS3_dEEviiiT16_PT17_ilS7_ilS5_S7_ilPT18_ili26rocblas_geam_ex_operation_.has_recursion, 0
	.set _ZN12_GLOBAL__N_120geam_min_plus_kernelId15HIP_vector_typeIdLj2EEdLi32ELi8ELi256ELi64ELi4ELi64ELi4ELi4ELi64ELc78ELc78ELb0ELb1ELb1EPKdS3_dEEviiiT16_PT17_ilS7_ilS5_S7_ilPT18_ili26rocblas_geam_ex_operation_.has_indirect_call, 0
	.section	.AMDGPU.csdata,"",@progbits
; Kernel info:
; codeLenInByte = 29700
; TotalNumSgprs: 34
; NumVgprs: 223
; ScratchSize: 0
; MemoryBound: 1
; FloatMode: 240
; IeeeMode: 1
; LDSByteSize: 20480 bytes/workgroup (compile time only)
; SGPRBlocks: 0
; VGPRBlocks: 27
; NumSGPRsForWavesPerEU: 34
; NumVGPRsForWavesPerEU: 223
; Occupancy: 4
; WaveLimiterHint : 0
; COMPUTE_PGM_RSRC2:SCRATCH_EN: 0
; COMPUTE_PGM_RSRC2:USER_SGPR: 6
; COMPUTE_PGM_RSRC2:TRAP_HANDLER: 0
; COMPUTE_PGM_RSRC2:TGID_X_EN: 1
; COMPUTE_PGM_RSRC2:TGID_Y_EN: 0
; COMPUTE_PGM_RSRC2:TGID_Z_EN: 1
; COMPUTE_PGM_RSRC2:TIDIG_COMP_CNT: 1
	.section	.text._ZN12_GLOBAL__N_120geam_min_plus_kernelId15HIP_vector_typeIdLj2EEdLi32ELi8ELi256ELi64ELi4ELi64ELi4ELi4ELi64ELc78ELc78ELb1ELb1ELb1EdKddEEviiiT16_PT17_ilS6_ilS4_S6_ilPT18_ili26rocblas_geam_ex_operation_,"axG",@progbits,_ZN12_GLOBAL__N_120geam_min_plus_kernelId15HIP_vector_typeIdLj2EEdLi32ELi8ELi256ELi64ELi4ELi64ELi4ELi4ELi64ELc78ELc78ELb1ELb1ELb1EdKddEEviiiT16_PT17_ilS6_ilS4_S6_ilPT18_ili26rocblas_geam_ex_operation_,comdat
	.globl	_ZN12_GLOBAL__N_120geam_min_plus_kernelId15HIP_vector_typeIdLj2EEdLi32ELi8ELi256ELi64ELi4ELi64ELi4ELi4ELi64ELc78ELc78ELb1ELb1ELb1EdKddEEviiiT16_PT17_ilS6_ilS4_S6_ilPT18_ili26rocblas_geam_ex_operation_ ; -- Begin function _ZN12_GLOBAL__N_120geam_min_plus_kernelId15HIP_vector_typeIdLj2EEdLi32ELi8ELi256ELi64ELi4ELi64ELi4ELi4ELi64ELc78ELc78ELb1ELb1ELb1EdKddEEviiiT16_PT17_ilS6_ilS4_S6_ilPT18_ili26rocblas_geam_ex_operation_
	.p2align	8
	.type	_ZN12_GLOBAL__N_120geam_min_plus_kernelId15HIP_vector_typeIdLj2EEdLi32ELi8ELi256ELi64ELi4ELi64ELi4ELi4ELi64ELc78ELc78ELb1ELb1ELb1EdKddEEviiiT16_PT17_ilS6_ilS4_S6_ilPT18_ili26rocblas_geam_ex_operation_,@function
_ZN12_GLOBAL__N_120geam_min_plus_kernelId15HIP_vector_typeIdLj2EEdLi32ELi8ELi256ELi64ELi4ELi64ELi4ELi4ELi64ELc78ELc78ELb1ELb1ELb1EdKddEEviiiT16_PT17_ilS6_ilS4_S6_ilPT18_ili26rocblas_geam_ex_operation_: ; @_ZN12_GLOBAL__N_120geam_min_plus_kernelId15HIP_vector_typeIdLj2EEdLi32ELi8ELi256ELi64ELi4ELi64ELi4ELi4ELi64ELc78ELc78ELb1ELb1ELb1EdKddEEviiiT16_PT17_ilS6_ilS4_S6_ilPT18_ili26rocblas_geam_ex_operation_
; %bb.0:
	s_clause 0x1
	s_load_dwordx4 s[8:11], s[4:5], 0x10
	s_load_dwordx4 s[0:3], s[4:5], 0x28
	s_mov_b64 s[22:23], 0
	s_waitcnt lgkmcnt(0)
	v_cmp_eq_f64_e64 s12, s[8:9], 0
	s_and_b32 vcc_lo, exec_lo, s12
	s_cbranch_vccnz .LBB160_2
; %bb.1:
	s_mul_i32 s1, s1, s7
	s_mul_hi_u32 s8, s0, s7
	s_mul_i32 s0, s0, s7
	s_add_i32 s1, s8, s1
	s_lshl_b64 s[0:1], s[0:1], 3
	s_add_u32 s22, s10, s0
	s_addc_u32 s23, s11, s1
.LBB160_2:
	s_clause 0x1
	s_load_dwordx4 s[8:11], s[4:5], 0x40
	s_load_dwordx2 s[0:1], s[4:5], 0x50
	s_andn2_b32 vcc_lo, exec_lo, s12
	s_mov_b32 s12, -1
	s_cbranch_vccnz .LBB160_4
; %bb.3:
	s_mov_b32 s12, 0
.LBB160_4:
	s_mov_b64 s[20:21], 0
	s_andn2_b32 vcc_lo, exec_lo, s12
	s_mov_b64 s[24:25], 0
	s_cbranch_vccnz .LBB160_6
; %bb.5:
	s_waitcnt lgkmcnt(0)
	s_mul_i32 s9, s9, s7
	s_mul_hi_u32 s12, s8, s7
	s_mul_i32 s8, s8, s7
	s_add_i32 s9, s12, s9
	s_lshl_b64 s[8:9], s[8:9], 3
	s_add_u32 s24, s2, s8
	s_addc_u32 s25, s3, s9
.LBB160_6:
	s_waitcnt lgkmcnt(0)
	v_cmp_eq_f64_e64 s2, s[10:11], 0
	v_cmp_neq_f64_e64 s26, s[10:11], 0
	s_load_dwordx4 s[16:19], s[4:5], 0x60
	s_and_b32 vcc_lo, exec_lo, s2
	s_cbranch_vccnz .LBB160_8
; %bb.7:
	s_waitcnt lgkmcnt(0)
	s_mul_i32 s2, s17, s7
	s_mul_hi_u32 s3, s16, s7
	s_add_i32 s3, s3, s2
	s_mul_i32 s2, s16, s7
	s_lshl_b64 s[2:3], s[2:3], 3
	s_add_u32 s20, s0, s2
	s_addc_u32 s21, s1, s3
.LBB160_8:
	s_load_dwordx4 s[12:15], s[4:5], 0x0
	s_waitcnt lgkmcnt(0)
	s_load_dword s16, s[4:5], 0x20
	v_lshl_add_u32 v10, v1, 5, v0
	v_lshrrev_b32_e32 v146, 6, v10
	v_and_b32_e32 v12, 63, v10
	s_add_i32 s0, s12, -1
	s_waitcnt lgkmcnt(0)
	v_mad_i64_i32 v[3:4], null, s16, v146, 0
	s_ashr_i32 s1, s0, 31
	s_lshr_b32 s1, s1, 24
	s_add_i32 s0, s0, s1
	s_ashr_i32 s0, s0, 8
	v_lshlrev_b64 v[4:5], 3, v[3:4]
	s_add_i32 s1, s0, 1
	s_not_b32 s0, s0
	v_cvt_f32_u32_e32 v2, s1
	v_mov_b32_e32 v3, 0x7fefffff
	v_add_co_u32 v11, vcc_lo, s22, v4
	v_rcp_iflag_f32_e32 v2, v2
	v_add_co_ci_u32_e64 v13, null, s23, v5, vcc_lo
	v_mul_f32_e32 v2, 0x4f7ffffe, v2
	v_cvt_u32_f32_e32 v2, v2
	v_readfirstlane_b32 s2, v2
	v_mov_b32_e32 v2, -1
	v_mov_b32_e32 v5, v3
	s_mul_i32 s0, s0, s2
	v_mov_b32_e32 v4, v2
	s_mul_hi_u32 s0, s2, s0
	s_add_i32 s2, s2, s0
	s_mul_hi_u32 s0, s6, s2
	s_mul_i32 s2, s0, s1
	s_add_i32 s3, s0, 1
	s_sub_i32 s2, s6, s2
	s_sub_i32 s8, s2, s1
	s_cmp_ge_u32 s2, s1
	s_cselect_b32 s0, s3, s0
	s_cselect_b32 s2, s8, s2
	s_add_i32 s3, s0, 1
	s_cmp_ge_u32 s2, s1
	s_cselect_b32 s8, s3, s0
	v_cmp_le_i32_e64 s3, s14, v146
	s_mul_i32 s0, s8, s1
	s_sub_i32 s0, s6, s0
	s_lshl_b32 s15, s0, 8
	v_or_b32_e32 v66, s15, v12
	v_cmp_le_i32_e32 vcc_lo, s12, v66
	v_ashrrev_i32_e32 v67, 31, v66
	s_nor_b32 s0, vcc_lo, s3
	s_and_saveexec_b32 s1, s0
	s_cbranch_execz .LBB160_10
; %bb.9:
	v_lshlrev_b64 v[4:5], 3, v[66:67]
	v_add_co_u32 v4, s0, v11, v4
	v_add_co_ci_u32_e64 v5, null, v13, v5, s0
	global_load_dwordx2 v[4:5], v[4:5], off
.LBB160_10:
	s_or_b32 exec_lo, exec_lo, s1
	v_or_b32_e32 v6, 64, v66
	v_cmp_le_i32_e64 s0, s12, v6
	s_nor_b32 s1, s0, s3
	s_and_saveexec_b32 s2, s1
	s_cbranch_execz .LBB160_12
; %bb.11:
	v_lshlrev_b64 v[2:3], 3, v[66:67]
	v_add_co_u32 v2, s1, v11, v2
	v_add_co_ci_u32_e64 v3, null, v13, v3, s1
	global_load_dwordx2 v[2:3], v[2:3], off offset:512
.LBB160_12:
	s_or_b32 exec_lo, exec_lo, s2
	v_or_b32_e32 v8, 0x80, v66
	v_mov_b32_e32 v7, 0x7fefffff
	v_mov_b32_e32 v6, -1
	s_ashr_i32 s17, s16, 31
	v_cmp_le_i32_e64 s1, s12, v8
	v_mov_b32_e32 v9, v7
	v_mov_b32_e32 v8, v6
	s_nor_b32 s2, s1, s3
	s_and_saveexec_b32 s6, s2
	s_cbranch_execz .LBB160_14
; %bb.13:
	v_lshlrev_b64 v[8:9], 3, v[66:67]
	v_add_co_u32 v8, s2, v11, v8
	v_add_co_ci_u32_e64 v9, null, v13, v9, s2
	global_load_dwordx2 v[8:9], v[8:9], off offset:1024
.LBB160_14:
	s_or_b32 exec_lo, exec_lo, s6
	v_or_b32_e32 v14, 0xc0, v66
	v_cmp_le_i32_e64 s2, s12, v14
	s_nor_b32 s3, s2, s3
	s_and_saveexec_b32 s6, s3
	s_cbranch_execz .LBB160_16
; %bb.15:
	v_lshlrev_b64 v[6:7], 3, v[66:67]
	v_add_co_u32 v6, s3, v11, v6
	v_add_co_ci_u32_e64 v7, null, v13, v7, s3
	global_load_dwordx2 v[6:7], v[6:7], off offset:1536
.LBB160_16:
	s_or_b32 exec_lo, exec_lo, s6
	s_load_dword s9, s[4:5], 0x38
	v_lshrrev_b32_e32 v13, 2, v10
	s_lshl_b32 s27, s8, 6
	v_and_b32_e32 v149, 3, v0
	v_mov_b32_e32 v70, -1
	v_mov_b32_e32 v71, 0x7fefffff
	v_add_nc_u32_e32 v79, s27, v13
	v_cmp_gt_i32_e64 s6, s14, v149
	v_mov_b32_e32 v10, v70
	v_lshlrev_b32_e32 v78, 3, v149
	v_cmp_gt_i32_e64 s8, s13, v79
	v_cmp_le_i32_e64 s3, s13, v79
	v_mov_b32_e32 v11, v71
	s_and_b32 s6, s6, s8
	s_and_saveexec_b32 s8, s6
	s_cbranch_execz .LBB160_18
; %bb.17:
	s_waitcnt lgkmcnt(0)
	v_mad_i64_i32 v[10:11], null, v79, s9, 0
	v_lshlrev_b64 v[10:11], 3, v[10:11]
	v_add_co_u32 v10, s6, s24, v10
	v_add_co_ci_u32_e64 v11, null, s25, v11, s6
	v_add_co_u32 v10, s6, v10, v78
	v_add_co_ci_u32_e64 v11, null, 0, v11, s6
	global_load_dwordx2 v[10:11], v[10:11], off
.LBB160_18:
	s_or_b32 exec_lo, exec_lo, s8
	v_add_nc_u32_e32 v16, 4, v146
	v_mad_i64_i32 v[14:15], null, s16, v16, 0
	v_cmp_le_i32_e64 s6, s14, v16
	v_lshlrev_b64 v[14:15], 3, v[14:15]
	v_add_co_u32 v14, s8, s22, v14
	v_add_co_ci_u32_e64 v15, null, s23, v15, s8
	s_nor_b32 s8, vcc_lo, s6
	s_and_saveexec_b32 s28, s8
	s_cbranch_execz .LBB160_20
; %bb.19:
	v_lshlrev_b64 v[16:17], 3, v[66:67]
	v_add_co_u32 v16, s8, v14, v16
	v_add_co_ci_u32_e64 v17, null, v15, v17, s8
	global_load_dwordx2 v[70:71], v[16:17], off
.LBB160_20:
	s_or_b32 exec_lo, exec_lo, s28
	v_mov_b32_e32 v73, 0x7fefffff
	v_mov_b32_e32 v72, -1
	s_nor_b32 s8, s0, s6
	v_mov_b32_e32 v75, v73
	v_mov_b32_e32 v74, v72
	s_and_saveexec_b32 s28, s8
	s_cbranch_execz .LBB160_22
; %bb.21:
	v_lshlrev_b64 v[16:17], 3, v[66:67]
	v_add_co_u32 v16, s8, v14, v16
	v_add_co_ci_u32_e64 v17, null, v15, v17, s8
	global_load_dwordx2 v[74:75], v[16:17], off offset:512
.LBB160_22:
	s_or_b32 exec_lo, exec_lo, s28
	s_nor_b32 s8, s1, s6
	s_and_saveexec_b32 s28, s8
	s_cbranch_execz .LBB160_24
; %bb.23:
	v_lshlrev_b64 v[16:17], 3, v[66:67]
	v_add_co_u32 v16, s8, v14, v16
	v_add_co_ci_u32_e64 v17, null, v15, v17, s8
	global_load_dwordx2 v[72:73], v[16:17], off offset:1024
.LBB160_24:
	s_or_b32 exec_lo, exec_lo, s28
	v_mov_b32_e32 v69, 0x7fefffff
	v_mov_b32_e32 v68, -1
	s_nor_b32 s6, s2, s6
	v_mov_b32_e32 v77, v69
	v_mov_b32_e32 v76, v68
	s_and_saveexec_b32 s8, s6
	s_cbranch_execz .LBB160_26
; %bb.25:
	v_lshlrev_b64 v[16:17], 3, v[66:67]
	v_add_co_u32 v14, s6, v14, v16
	v_add_co_ci_u32_e64 v15, null, v15, v17, s6
	global_load_dwordx2 v[76:77], v[14:15], off offset:1536
.LBB160_26:
	s_or_b32 exec_lo, exec_lo, s8
	v_or_b32_e32 v14, 4, v149
	s_xor_b32 s28, s3, -1
	v_cmp_gt_i32_e64 s6, s14, v14
	s_and_b32 s3, s6, s28
	s_and_saveexec_b32 s6, s3
	s_cbranch_execz .LBB160_28
; %bb.27:
	s_waitcnt lgkmcnt(0)
	v_mad_i64_i32 v[14:15], null, v79, s9, 0
	v_lshlrev_b64 v[14:15], 3, v[14:15]
	v_add_co_u32 v14, s3, s24, v14
	v_add_co_ci_u32_e64 v15, null, s25, v15, s3
	v_add_co_u32 v14, s3, v14, v78
	v_add_co_ci_u32_e64 v15, null, 0, v15, s3
	global_load_dwordx2 v[68:69], v[14:15], off offset:32
.LBB160_28:
	s_or_b32 exec_lo, exec_lo, s6
	v_lshlrev_b32_e32 v12, 5, v12
	v_lshl_or_b32 v80, v13, 5, v78
	v_lshlrev_b32_e32 v148, 5, v0
	v_lshlrev_b32_e32 v147, 5, v1
	s_cmp_lt_i32 s14, 9
	v_lshl_add_u32 v150, v146, 3, v12
	s_waitcnt vmcnt(0)
	ds_write2st64_b64 v150, v[4:5], v[2:3] offset1:4
	ds_write2st64_b64 v150, v[8:9], v[6:7] offset0:8 offset1:12
	ds_write_b64 v80, v[10:11] offset:16384
	s_waitcnt lgkmcnt(0)
	s_barrier
	buffer_gl0_inv
	ds_read_b128 v[10:13], v148 offset:1024
	ds_read_b128 v[14:17], v148 offset:2048
	;; [unrolled: 1-line block ×14, first 2 shown]
	ds_read_b128 v[81:84], v148
	ds_read_b128 v[2:5], v148 offset:16
	ds_read_b128 v[85:88], v147 offset:16384
	;; [unrolled: 1-line block ×3, first 2 shown]
	s_waitcnt lgkmcnt(1)
	v_add_f64 v[89:90], v[83:84], v[87:88]
	v_add_f64 v[91:92], v[81:82], v[85:86]
	s_waitcnt lgkmcnt(0)
	v_add_f64 v[151:152], v[4:5], v[8:9]
	v_add_f64 v[153:154], v[2:3], v[6:7]
	v_cvt_f32_f64_e32 v89, v[89:90]
	v_cvt_f32_f64_e32 v91, v[91:92]
	v_cvt_f32_f64_e32 v151, v[151:152]
	v_cvt_f32_f64_e32 v145, v[153:154]
	v_min3_f32 v144, v91, v89, 0x7f800000
	v_add_f64 v[89:90], v[12:13], v[87:88]
	v_add_f64 v[91:92], v[10:11], v[85:86]
	v_min3_f32 v224, v145, v151, v144
	v_cvt_f32_f64_e32 v89, v[89:90]
	v_cvt_f32_f64_e32 v91, v[91:92]
	v_min3_f32 v143, v91, v89, 0x7f800000
	v_add_f64 v[89:90], v[16:17], v[87:88]
	v_add_f64 v[91:92], v[14:15], v[85:86]
	v_cvt_f32_f64_e32 v89, v[89:90]
	v_cvt_f32_f64_e32 v91, v[91:92]
	v_min3_f32 v142, v91, v89, 0x7f800000
	v_add_f64 v[89:90], v[20:21], v[87:88]
	v_add_f64 v[91:92], v[18:19], v[85:86]
	;; [unrolled: 5-line block ×5, first 2 shown]
	v_add_f64 v[87:88], v[36:37], v[87:88]
	v_add_f64 v[85:86], v[34:35], v[85:86]
	v_cvt_f32_f64_e32 v89, v[89:90]
	v_cvt_f32_f64_e32 v91, v[91:92]
	;; [unrolled: 1-line block ×4, first 2 shown]
	v_add_f64 v[87:88], v[81:82], v[38:39]
	v_min3_f32 v138, v91, v89, 0x7f800000
	v_min3_f32 v137, v85, v86, 0x7f800000
	v_add_f64 v[85:86], v[83:84], v[40:41]
	v_cvt_f32_f64_e32 v87, v[87:88]
	v_cvt_f32_f64_e32 v85, v[85:86]
	v_min3_f32 v136, v87, v85, 0x7f800000
	v_add_f64 v[85:86], v[12:13], v[40:41]
	v_add_f64 v[87:88], v[10:11], v[38:39]
	v_cvt_f32_f64_e32 v85, v[85:86]
	v_cvt_f32_f64_e32 v87, v[87:88]
	v_min3_f32 v135, v87, v85, 0x7f800000
	v_add_f64 v[85:86], v[16:17], v[40:41]
	;; [unrolled: 5-line block ×6, first 2 shown]
	v_add_f64 v[87:88], v[30:31], v[38:39]
	v_add_f64 v[40:41], v[36:37], v[40:41]
	;; [unrolled: 1-line block ×3, first 2 shown]
	v_cvt_f32_f64_e32 v85, v[85:86]
	v_cvt_f32_f64_e32 v87, v[87:88]
	v_cvt_f32_f64_e32 v38, v[38:39]
	v_cvt_f32_f64_e32 v39, v[40:41]
	v_add_f64 v[40:41], v[81:82], v[42:43]
	v_min3_f32 v130, v87, v85, 0x7f800000
	v_min3_f32 v129, v38, v39, 0x7f800000
	v_add_f64 v[38:39], v[83:84], v[44:45]
	v_cvt_f32_f64_e32 v40, v[40:41]
	v_cvt_f32_f64_e32 v38, v[38:39]
	v_min3_f32 v128, v40, v38, 0x7f800000
	v_add_f64 v[38:39], v[12:13], v[44:45]
	v_add_f64 v[40:41], v[10:11], v[42:43]
	v_cvt_f32_f64_e32 v38, v[38:39]
	v_cvt_f32_f64_e32 v40, v[40:41]
	v_min3_f32 v127, v40, v38, 0x7f800000
	v_add_f64 v[38:39], v[16:17], v[44:45]
	;; [unrolled: 5-line block ×33, first 2 shown]
	v_add_f64 v[40:41], v[10:11], v[58:59]
	v_add_f64 v[12:13], v[12:13], v[64:65]
	;; [unrolled: 1-line block ×3, first 2 shown]
	v_cvt_f32_f64_e32 v38, v[38:39]
	v_cvt_f32_f64_e32 v40, v[40:41]
	;; [unrolled: 1-line block ×4, first 2 shown]
	v_add_f64 v[12:13], v[14:15], v[62:63]
	v_min3_f32 v95, v40, v38, 0x7f800000
	v_add_f64 v[38:39], v[16:17], v[60:61]
	v_add_f64 v[40:41], v[14:15], v[58:59]
	v_min3_f32 v87, v10, v11, 0x7f800000
	v_add_f64 v[10:11], v[16:17], v[64:65]
	v_cvt_f32_f64_e32 v12, v[12:13]
	v_cvt_f32_f64_e32 v38, v[38:39]
	;; [unrolled: 1-line block ×4, first 2 shown]
	v_min3_f32 v94, v40, v38, 0x7f800000
	v_add_f64 v[38:39], v[20:21], v[60:61]
	v_add_f64 v[40:41], v[18:19], v[58:59]
	v_min3_f32 v86, v12, v10, 0x7f800000
	v_add_f64 v[10:11], v[20:21], v[64:65]
	v_add_f64 v[12:13], v[18:19], v[62:63]
	v_cvt_f32_f64_e32 v38, v[38:39]
	v_cvt_f32_f64_e32 v40, v[40:41]
	v_cvt_f32_f64_e32 v10, v[10:11]
	v_cvt_f32_f64_e32 v12, v[12:13]
	v_min3_f32 v93, v40, v38, 0x7f800000
	v_add_f64 v[38:39], v[24:25], v[60:61]
	v_add_f64 v[40:41], v[22:23], v[58:59]
	v_min3_f32 v85, v12, v10, 0x7f800000
	v_add_f64 v[10:11], v[24:25], v[64:65]
	v_add_f64 v[12:13], v[22:23], v[62:63]
	v_cvt_f32_f64_e32 v38, v[38:39]
	v_cvt_f32_f64_e32 v40, v[40:41]
	;; [unrolled: 1-line block ×4, first 2 shown]
	v_min3_f32 v92, v40, v38, 0x7f800000
	v_add_f64 v[38:39], v[28:29], v[60:61]
	v_add_f64 v[40:41], v[26:27], v[58:59]
	v_cvt_f32_f64_e32 v38, v[38:39]
	v_cvt_f32_f64_e32 v40, v[40:41]
	v_min3_f32 v91, v40, v38, 0x7f800000
	v_add_f64 v[38:39], v[32:33], v[60:61]
	v_add_f64 v[40:41], v[30:31], v[58:59]
	v_cvt_f32_f64_e32 v38, v[38:39]
	v_cvt_f32_f64_e32 v40, v[40:41]
	v_min3_f32 v90, v40, v38, 0x7f800000
	v_add_f64 v[38:39], v[36:37], v[60:61]
	v_add_f64 v[40:41], v[34:35], v[58:59]
	v_cvt_f32_f64_e32 v38, v[38:39]
	v_cvt_f32_f64_e32 v40, v[40:41]
	v_min3_f32 v89, v40, v38, 0x7f800000
	v_add_f64 v[38:39], v[83:84], v[64:65]
	v_min3_f32 v84, v12, v10, 0x7f800000
	v_add_f64 v[10:11], v[28:29], v[64:65]
	v_add_f64 v[12:13], v[26:27], v[62:63]
	;; [unrolled: 1-line block ×3, first 2 shown]
	v_cvt_f32_f64_e32 v38, v[38:39]
	v_cvt_f32_f64_e32 v10, v[10:11]
	;; [unrolled: 1-line block ×4, first 2 shown]
	v_min3_f32 v83, v12, v10, 0x7f800000
	v_add_f64 v[10:11], v[32:33], v[64:65]
	v_add_f64 v[12:13], v[30:31], v[62:63]
	v_min3_f32 v88, v40, v38, 0x7f800000
	v_cvt_f32_f64_e32 v10, v[10:11]
	v_cvt_f32_f64_e32 v12, v[12:13]
	v_min3_f32 v82, v12, v10, 0x7f800000
	v_add_f64 v[10:11], v[36:37], v[64:65]
	v_add_f64 v[12:13], v[34:35], v[62:63]
	v_cvt_f32_f64_e32 v10, v[10:11]
	v_cvt_f32_f64_e32 v12, v[12:13]
	v_min3_f32 v81, v12, v10, 0x7f800000
	ds_read_b128 v[34:37], v148 offset:1040
	ds_read_b128 v[30:33], v148 offset:2064
	;; [unrolled: 1-line block ×14, first 2 shown]
	ds_write2st64_b64 v150, v[70:71], v[74:75] offset0:16 offset1:20
	ds_write2st64_b64 v150, v[72:73], v[76:77] offset0:24 offset1:28
	ds_write_b64 v80, v[68:69] offset:18432
	s_waitcnt lgkmcnt(0)
	s_barrier
	buffer_gl0_inv
	v_add_f64 v[144:145], v[36:37], v[8:9]
	v_add_f64 v[151:152], v[34:35], v[6:7]
	v_cvt_f32_f64_e32 v144, v[144:145]
	v_cvt_f32_f64_e32 v151, v[151:152]
	v_min3_f32 v223, v151, v144, v143
	v_add_f64 v[143:144], v[32:33], v[8:9]
	v_add_f64 v[151:152], v[30:31], v[6:7]
	v_cvt_f32_f64_e32 v143, v[143:144]
	v_cvt_f32_f64_e32 v145, v[151:152]
	v_min3_f32 v222, v145, v143, v142
	;; [unrolled: 5-line block ×5, first 2 shown]
	v_add_f64 v[139:140], v[16:17], v[8:9]
	v_add_f64 v[141:142], v[14:15], v[6:7]
	v_add_f64 v[8:9], v[12:13], v[8:9]
	v_add_f64 v[6:7], v[10:11], v[6:7]
	v_cvt_f32_f64_e32 v139, v[139:140]
	v_cvt_f32_f64_e32 v141, v[141:142]
	v_cvt_f32_f64_e32 v6, v[6:7]
	v_cvt_f32_f64_e32 v7, v[8:9]
	v_add_f64 v[8:9], v[2:3], v[62:63]
	v_min3_f32 v218, v141, v139, v138
	v_min3_f32 v217, v6, v7, v137
	v_add_f64 v[6:7], v[4:5], v[64:65]
	v_cvt_f32_f64_e32 v8, v[8:9]
	v_cvt_f32_f64_e32 v6, v[6:7]
	v_min3_f32 v216, v8, v6, v136
	v_add_f64 v[6:7], v[36:37], v[64:65]
	v_add_f64 v[8:9], v[34:35], v[62:63]
	v_cvt_f32_f64_e32 v6, v[6:7]
	v_cvt_f32_f64_e32 v8, v[8:9]
	v_min3_f32 v215, v8, v6, v135
	v_add_f64 v[6:7], v[32:33], v[64:65]
	;; [unrolled: 5-line block ×40, first 2 shown]
	v_add_f64 v[8:9], v[2:3], v[42:43]
	v_add_f64 v[4:5], v[4:5], v[40:41]
	;; [unrolled: 1-line block ×3, first 2 shown]
	v_cvt_f32_f64_e32 v6, v[6:7]
	v_cvt_f32_f64_e32 v8, v[8:9]
	;; [unrolled: 1-line block ×4, first 2 shown]
	v_add_f64 v[4:5], v[34:35], v[38:39]
	v_min3_f32 v166, v8, v6, v96
	v_add_f64 v[6:7], v[36:37], v[44:45]
	v_add_f64 v[8:9], v[34:35], v[42:43]
	v_min3_f32 v158, v2, v3, v88
	v_add_f64 v[2:3], v[36:37], v[40:41]
	v_cvt_f32_f64_e32 v4, v[4:5]
	v_cvt_f32_f64_e32 v6, v[6:7]
	v_cvt_f32_f64_e32 v8, v[8:9]
	v_cvt_f32_f64_e32 v2, v[2:3]
	v_min3_f32 v165, v8, v6, v95
	v_add_f64 v[6:7], v[32:33], v[44:45]
	v_add_f64 v[8:9], v[30:31], v[42:43]
	v_min3_f32 v157, v4, v2, v87
	v_add_f64 v[2:3], v[32:33], v[40:41]
	v_add_f64 v[4:5], v[30:31], v[38:39]
	v_cvt_f32_f64_e32 v6, v[6:7]
	v_cvt_f32_f64_e32 v8, v[8:9]
	v_cvt_f32_f64_e32 v2, v[2:3]
	v_cvt_f32_f64_e32 v4, v[4:5]
	v_min3_f32 v164, v8, v6, v94
	v_add_f64 v[6:7], v[28:29], v[44:45]
	v_add_f64 v[8:9], v[26:27], v[42:43]
	v_min3_f32 v156, v4, v2, v86
	v_add_f64 v[2:3], v[28:29], v[40:41]
	;; [unrolled: 10-line block ×6, first 2 shown]
	v_add_f64 v[4:5], v[10:11], v[38:39]
	v_cvt_f32_f64_e32 v6, v[6:7]
	v_cvt_f32_f64_e32 v8, v[8:9]
	;; [unrolled: 1-line block ×4, first 2 shown]
	v_min3_f32 v159, v8, v6, v89
	v_min3_f32 v151, v4, v2, v81
	s_cbranch_scc1 .LBB160_51
; %bb.29:
	v_add_nc_u32_e32 v4, v147, v0
	v_mad_i64_i32 v[2:3], null, s9, v79, 0
	v_lshlrev_b64 v[132:133], 3, v[66:67]
	v_add_nc_u32_e32 v173, 0x4000, v80
	v_lshrrev_b32_e32 v4, 6, v4
	v_or_b32_e32 v174, 0x4000, v147
	v_or_b32_e32 v175, 0x2000, v150
	v_add_nc_u32_e32 v176, 0x4800, v80
	v_lshlrev_b64 v[2:3], 3, v[2:3]
	v_add_nc_u32_e32 v5, 8, v4
	v_add_nc_u32_e32 v6, 12, v4
	v_lshl_or_b32 v177, v0, 5, 0x2000
	v_add_nc_u32_e32 v179, 0x4800, v147
	v_mov_b32_e32 v134, -1
	v_mad_i64_i32 v[4:5], null, v5, s16, 0
	v_add_co_u32 v7, s3, v2, v78
	v_add_co_ci_u32_e64 v8, null, 0, v3, s3
	v_mad_i64_i32 v[2:3], null, v6, s16, 0
	v_add_co_u32 v6, s3, s24, v7
	v_lshlrev_b64 v[4:5], 3, v[4:5]
	v_add_co_ci_u32_e64 v7, null, s25, v8, s3
	v_add_co_u32 v130, s3, v6, 64
	v_lshlrev_b64 v[2:3], 3, v[2:3]
	v_add_co_ci_u32_e64 v131, null, 0, v7, s3
	v_add_co_u32 v180, s3, s22, v4
	v_add_co_ci_u32_e64 v181, null, s23, v5, s3
	v_add_co_u32 v182, s3, s22, v2
	v_add_co_ci_u32_e64 v183, null, s23, v3, s3
	v_mov_b32_e32 v135, 0x7fefffff
	s_add_i32 s22, s14, -8
	s_lshl_b64 s[8:9], s[16:17], 6
	s_mov_b32 s16, 0
	s_branch .LBB160_31
.LBB160_30:                             ;   in Loop: Header=BB160_31 Depth=1
	s_or_b32 exec_lo, exec_lo, s3
	v_add_f64 v[225:226], v[100:101], v[128:129]
	v_add_f64 v[227:228], v[98:99], v[126:127]
	v_add_co_u32 v130, s3, v130, 64
	v_add_co_ci_u32_e64 v131, null, 0, v131, s3
	v_add_co_u32 v180, s3, v180, s8
	v_add_co_ci_u32_e64 v181, null, s9, v181, s3
	;; [unrolled: 2-line block ×3, first 2 shown]
	s_add_i32 s16, s16, 8
	s_cmp_ge_i32 s16, s22
	v_cvt_f32_f64_e32 v225, v[225:226]
	v_cvt_f32_f64_e32 v227, v[227:228]
	v_min3_f32 v224, v227, v225, v224
	v_add_f64 v[225:226], v[96:97], v[128:129]
	v_add_f64 v[227:228], v[94:95], v[126:127]
	v_cvt_f32_f64_e32 v225, v[225:226]
	v_cvt_f32_f64_e32 v227, v[227:228]
	v_min3_f32 v223, v227, v225, v223
	v_add_f64 v[225:226], v[92:93], v[128:129]
	v_add_f64 v[227:228], v[90:91], v[126:127]
	;; [unrolled: 5-line block ×6, first 2 shown]
	v_add_f64 v[128:129], v[68:69], v[128:129]
	v_add_f64 v[126:127], v[66:67], v[126:127]
	v_cvt_f32_f64_e32 v225, v[225:226]
	v_cvt_f32_f64_e32 v227, v[227:228]
	;; [unrolled: 1-line block ×4, first 2 shown]
	v_min3_f32 v218, v227, v225, v218
	v_add_f64 v[225:226], v[98:99], v[122:123]
	v_min3_f32 v126, v126, v127, v217
	v_add_f64 v[127:128], v[100:101], v[124:125]
	v_cvt_f32_f64_e32 v129, v[225:226]
	v_cvt_f32_f64_e32 v127, v[127:128]
	v_min3_f32 v127, v129, v127, v216
	v_add_f64 v[128:129], v[96:97], v[124:125]
	v_add_f64 v[216:217], v[94:95], v[122:123]
	v_cvt_f32_f64_e32 v128, v[128:129]
	v_cvt_f32_f64_e32 v216, v[216:217]
	v_min3_f32 v215, v216, v128, v215
	v_add_f64 v[128:129], v[92:93], v[124:125]
	;; [unrolled: 5-line block ×6, first 2 shown]
	v_add_f64 v[216:217], v[70:71], v[122:123]
	v_add_f64 v[124:125], v[68:69], v[124:125]
	;; [unrolled: 1-line block ×3, first 2 shown]
	v_cvt_f32_f64_e32 v128, v[128:129]
	v_cvt_f32_f64_e32 v216, v[216:217]
	;; [unrolled: 1-line block ×4, first 2 shown]
	v_add_f64 v[124:125], v[98:99], v[118:119]
	v_min3_f32 v210, v216, v128, v210
	v_add_f64 v[128:129], v[86:87], v[110:111]
	v_min3_f32 v209, v122, v123, v209
	v_add_f64 v[122:123], v[100:101], v[120:121]
	v_cvt_f32_f64_e32 v124, v[124:125]
	v_cvt_f32_f64_e32 v122, v[122:123]
	v_min3_f32 v208, v124, v122, v208
	v_add_f64 v[122:123], v[96:97], v[120:121]
	v_add_f64 v[124:125], v[94:95], v[118:119]
	v_cvt_f32_f64_e32 v122, v[122:123]
	v_cvt_f32_f64_e32 v124, v[124:125]
	v_min3_f32 v207, v124, v122, v207
	v_add_f64 v[122:123], v[92:93], v[120:121]
	;; [unrolled: 5-line block ×6, first 2 shown]
	v_add_f64 v[124:125], v[70:71], v[118:119]
	v_add_f64 v[120:121], v[68:69], v[120:121]
	;; [unrolled: 1-line block ×3, first 2 shown]
	v_cvt_f32_f64_e32 v122, v[122:123]
	v_cvt_f32_f64_e32 v124, v[124:125]
	;; [unrolled: 1-line block ×4, first 2 shown]
	v_add_f64 v[120:121], v[98:99], v[114:115]
	v_min3_f32 v202, v124, v122, v202
	v_min3_f32 v201, v118, v119, v201
	v_add_f64 v[118:119], v[100:101], v[116:117]
	v_cvt_f32_f64_e32 v120, v[120:121]
	v_cvt_f32_f64_e32 v118, v[118:119]
	v_min3_f32 v200, v120, v118, v200
	v_add_f64 v[118:119], v[96:97], v[116:117]
	v_add_f64 v[120:121], v[94:95], v[114:115]
	v_cvt_f32_f64_e32 v118, v[118:119]
	v_cvt_f32_f64_e32 v120, v[120:121]
	v_min3_f32 v199, v120, v118, v199
	v_add_f64 v[118:119], v[92:93], v[116:117]
	;; [unrolled: 5-line block ×3, first 2 shown]
	v_add_f64 v[120:121], v[86:87], v[114:115]
	v_cvt_f32_f64_e32 v118, v[118:119]
	v_cvt_f32_f64_e32 v120, v[120:121]
	v_add_f64 v[121:122], v[82:83], v[114:115]
	v_min3_f32 v118, v120, v118, v197
	v_add_f64 v[119:120], v[84:85], v[116:117]
	v_cvt_f32_f64_e32 v121, v[121:122]
	v_add_f64 v[122:123], v[78:79], v[114:115]
	v_cvt_f32_f64_e32 v119, v[119:120]
	v_cvt_f32_f64_e32 v122, v[122:123]
	v_add_f64 v[123:124], v[70:71], v[114:115]
	v_add_f64 v[114:115], v[66:67], v[114:115]
	v_min3_f32 v119, v121, v119, v196
	v_add_f64 v[120:121], v[80:81], v[116:117]
	v_cvt_f32_f64_e32 v123, v[123:124]
	v_cvt_f32_f64_e32 v114, v[114:115]
	v_add_f64 v[124:125], v[94:95], v[110:111]
	v_cvt_f32_f64_e32 v120, v[120:121]
	v_min3_f32 v120, v122, v120, v195
	v_add_f64 v[121:122], v[72:73], v[116:117]
	v_add_f64 v[116:117], v[68:69], v[116:117]
	v_cvt_f32_f64_e32 v121, v[121:122]
	v_cvt_f32_f64_e32 v115, v[116:117]
	v_add_f64 v[116:117], v[100:101], v[112:113]
	v_min3_f32 v121, v123, v121, v194
	v_add_f64 v[122:123], v[98:99], v[110:111]
	v_min3_f32 v115, v114, v115, v193
	v_cvt_f32_f64_e32 v116, v[116:117]
	v_cvt_f32_f64_e32 v114, v[122:123]
	v_add_f64 v[122:123], v[96:97], v[112:113]
	v_min3_f32 v116, v114, v116, v192
	v_cvt_f32_f64_e32 v114, v[124:125]
	v_cvt_f32_f64_e32 v117, v[122:123]
	v_add_f64 v[122:123], v[92:93], v[112:113]
	v_add_f64 v[124:125], v[90:91], v[110:111]
	v_min3_f32 v117, v114, v117, v191
	v_cvt_f32_f64_e32 v122, v[122:123]
	v_cvt_f32_f64_e32 v114, v[124:125]
	v_add_f64 v[123:124], v[88:89], v[112:113]
	v_min3_f32 v122, v114, v122, v190
	v_cvt_f32_f64_e32 v114, v[128:129]
	v_cvt_f32_f64_e32 v123, v[123:124]
	v_add_f64 v[124:125], v[84:85], v[112:113]
	v_add_f64 v[128:129], v[82:83], v[110:111]
	v_min3_f32 v123, v114, v123, v189
	v_cvt_f32_f64_e32 v124, v[124:125]
	v_cvt_f32_f64_e32 v114, v[128:129]
	v_add_f64 v[128:129], v[80:81], v[112:113]
	v_min3_f32 v124, v114, v124, v188
	v_add_f64 v[188:189], v[78:79], v[110:111]
	v_cvt_f32_f64_e32 v125, v[128:129]
	v_add_f64 v[128:129], v[72:73], v[112:113]
	v_add_f64 v[112:113], v[68:69], v[112:113]
	v_cvt_f32_f64_e32 v114, v[188:189]
	v_cvt_f32_f64_e32 v128, v[128:129]
	v_min3_f32 v125, v114, v125, v187
	v_add_f64 v[187:188], v[70:71], v[110:111]
	v_add_f64 v[110:111], v[66:67], v[110:111]
	v_cvt_f32_f64_e32 v114, v[187:188]
	v_cvt_f32_f64_e32 v110, v[110:111]
	;; [unrolled: 1-line block ×3, first 2 shown]
	v_min3_f32 v114, v114, v128, v186
	v_add_f64 v[128:129], v[98:99], v[106:107]
	v_min3_f32 v112, v110, v111, v185
	v_add_f64 v[110:111], v[100:101], v[108:109]
	v_cvt_f32_f64_e32 v113, v[128:129]
	v_add_f64 v[128:129], v[94:95], v[106:107]
	v_cvt_f32_f64_e32 v110, v[110:111]
	v_cvt_f32_f64_e32 v128, v[128:129]
	v_min3_f32 v113, v113, v110, v184
	v_add_f64 v[110:111], v[96:97], v[108:109]
	v_add_f64 v[184:185], v[90:91], v[106:107]
	v_cvt_f32_f64_e32 v110, v[110:111]
	v_cvt_f32_f64_e32 v129, v[184:185]
	v_add_f64 v[184:185], v[86:87], v[106:107]
	v_min3_f32 v128, v128, v110, v178
	v_add_f64 v[110:111], v[92:93], v[108:109]
	v_cvt_f32_f64_e32 v110, v[110:111]
	v_min3_f32 v129, v129, v110, v172
	v_add_f64 v[110:111], v[88:89], v[108:109]
	v_cvt_f32_f64_e32 v172, v[184:185]
	v_add_f64 v[184:185], v[82:83], v[106:107]
	v_cvt_f32_f64_e32 v110, v[110:111]
	v_min3_f32 v171, v172, v110, v171
	v_add_f64 v[110:111], v[84:85], v[108:109]
	v_cvt_f32_f64_e32 v172, v[184:185]
	;; [unrolled: 5-line block ×3, first 2 shown]
	v_add_f64 v[184:185], v[70:71], v[106:107]
	v_add_f64 v[106:107], v[66:67], v[106:107]
	v_cvt_f32_f64_e32 v110, v[110:111]
	v_cvt_f32_f64_e32 v106, v[106:107]
	v_min3_f32 v169, v172, v110, v169
	v_add_f64 v[110:111], v[72:73], v[108:109]
	v_add_f64 v[108:109], v[68:69], v[108:109]
	v_cvt_f32_f64_e32 v172, v[184:185]
	v_cvt_f32_f64_e32 v110, v[110:111]
	;; [unrolled: 1-line block ×3, first 2 shown]
	v_add_f64 v[108:109], v[98:99], v[102:103]
	v_add_f64 v[98:99], v[98:99], v[74:75]
	v_min3_f32 v168, v172, v110, v168
	v_min3_f32 v167, v106, v107, v167
	v_add_f64 v[106:107], v[100:101], v[104:105]
	v_cvt_f32_f64_e32 v108, v[108:109]
	v_add_f64 v[100:101], v[100:101], v[76:77]
	v_cvt_f32_f64_e32 v98, v[98:99]
	v_cvt_f32_f64_e32 v106, v[106:107]
	;; [unrolled: 1-line block ×3, first 2 shown]
	v_min3_f32 v166, v108, v106, v166
	v_add_f64 v[106:107], v[96:97], v[104:105]
	v_add_f64 v[108:109], v[94:95], v[102:103]
	;; [unrolled: 1-line block ×4, first 2 shown]
	v_min3_f32 v98, v98, v99, v158
	v_add_f64 v[99:100], v[10:11], v[46:47]
	v_cvt_f32_f64_e32 v106, v[106:107]
	v_cvt_f32_f64_e32 v108, v[108:109]
	v_add_f64 v[109:110], v[90:91], v[102:103]
	v_add_f64 v[90:91], v[90:91], v[74:75]
	v_cvt_f32_f64_e32 v94, v[94:95]
	v_cvt_f32_f64_e32 v95, v[96:97]
	v_min3_f32 v106, v108, v106, v165
	v_add_f64 v[107:108], v[92:93], v[104:105]
	v_cvt_f32_f64_e32 v109, v[109:110]
	v_add_f64 v[110:111], v[86:87], v[102:103]
	v_add_f64 v[86:87], v[86:87], v[74:75]
	;; [unrolled: 1-line block ×3, first 2 shown]
	v_cvt_f32_f64_e32 v90, v[90:91]
	v_min3_f32 v94, v94, v95, v157
	v_add_f64 v[95:96], v[6:7], v[50:51]
	v_cvt_f32_f64_e32 v107, v[107:108]
	v_cvt_f32_f64_e32 v110, v[110:111]
	;; [unrolled: 1-line block ×4, first 2 shown]
	v_min3_f32 v107, v109, v107, v164
	v_add_f64 v[108:109], v[88:89], v[104:105]
	v_add_f64 v[88:89], v[88:89], v[76:77]
	v_min3_f32 v90, v90, v91, v156
	v_add_f64 v[91:92], v[26:27], v[50:51]
	v_cvt_f32_f64_e32 v108, v[108:109]
	v_cvt_f32_f64_e32 v87, v[88:89]
	v_min3_f32 v108, v110, v108, v163
	v_add_f64 v[109:110], v[84:85], v[104:105]
	v_add_f64 v[163:164], v[82:83], v[102:103]
	;; [unrolled: 1-line block ×4, first 2 shown]
	v_min3_f32 v86, v86, v87, v155
	v_add_f64 v[87:88], v[14:15], v[54:55]
	v_cvt_f32_f64_e32 v109, v[109:110]
	v_cvt_f32_f64_e32 v111, v[163:164]
	;; [unrolled: 1-line block ×4, first 2 shown]
	v_min3_f32 v109, v111, v109, v162
	v_add_f64 v[110:111], v[80:81], v[104:105]
	v_add_f64 v[162:163], v[78:79], v[102:103]
	;; [unrolled: 1-line block ×4, first 2 shown]
	v_min3_f32 v82, v82, v83, v154
	v_add_f64 v[83:84], v[10:11], v[58:59]
	v_cvt_f32_f64_e32 v110, v[110:111]
	v_cvt_f32_f64_e32 v162, v[162:163]
	v_add_f64 v[163:164], v[70:71], v[102:103]
	v_add_f64 v[102:103], v[66:67], v[102:103]
	v_add_f64 v[66:67], v[66:67], v[74:75]
	v_add_f64 v[70:71], v[70:71], v[74:75]
	v_add_f64 v[74:75], v[26:27], v[62:63]
	v_cvt_f32_f64_e32 v78, v[78:79]
	v_cvt_f32_f64_e32 v79, v[80:81]
	v_min3_f32 v110, v162, v110, v161
	v_add_f64 v[161:162], v[72:73], v[104:105]
	v_add_f64 v[104:105], v[68:69], v[104:105]
	;; [unrolled: 1-line block ×4, first 2 shown]
	v_cvt_f32_f64_e32 v66, v[66:67]
	v_cvt_f32_f64_e32 v70, v[70:71]
	v_add_f64 v[76:77], v[14:15], v[62:63]
	v_min3_f32 v78, v78, v79, v153
	v_add_f64 v[79:80], v[26:27], v[58:59]
	v_cvt_f32_f64_e32 v102, v[102:103]
	v_cvt_f32_f64_e32 v111, v[163:164]
	;; [unrolled: 1-line block ×6, first 2 shown]
	v_add_f64 v[68:69], v[34:35], v[62:63]
	v_min3_f32 v111, v111, v161, v160
	v_min3_f32 v102, v102, v103, v159
	;; [unrolled: 1-line block ×3, first 2 shown]
	v_add_f64 v[66:67], v[36:37], v[64:65]
	v_cvt_f32_f64_e32 v68, v[68:69]
	v_min3_f32 v71, v70, v71, v152
	v_add_f64 v[69:70], v[30:31], v[62:63]
	v_cvt_f32_f64_e32 v66, v[66:67]
	v_cvt_f32_f64_e32 v69, v[69:70]
	;; [unrolled: 1-line block ×3, first 2 shown]
	v_add_f64 v[74:75], v[18:19], v[62:63]
	v_min3_f32 v66, v68, v66, v224
	v_add_f64 v[67:68], v[32:33], v[64:65]
	v_cvt_f32_f64_e32 v72, v[74:75]
	v_add_f64 v[74:75], v[16:17], v[64:65]
	v_cvt_f32_f64_e32 v67, v[67:68]
	v_min3_f32 v67, v69, v67, v223
	v_add_f64 v[68:69], v[28:29], v[64:65]
	v_cvt_f32_f64_e32 v68, v[68:69]
	v_min3_f32 v68, v70, v68, v222
	v_add_f64 v[69:70], v[20:21], v[64:65]
	v_cvt_f32_f64_e32 v69, v[69:70]
	v_cvt_f32_f64_e32 v70, v[76:77]
	v_add_f64 v[76:77], v[10:11], v[62:63]
	v_min3_f32 v69, v72, v69, v221
	v_cvt_f32_f64_e32 v72, v[74:75]
	v_add_f64 v[74:75], v[12:13], v[64:65]
	v_min3_f32 v70, v70, v72, v220
	v_cvt_f32_f64_e32 v72, v[76:77]
	v_cvt_f32_f64_e32 v74, v[74:75]
	v_add_f64 v[76:77], v[6:7], v[62:63]
	v_add_f64 v[62:63], v[2:3], v[62:63]
	v_min3_f32 v72, v72, v74, v219
	v_add_f64 v[74:75], v[8:9], v[64:65]
	v_add_f64 v[64:65], v[4:5], v[64:65]
	v_cvt_f32_f64_e32 v76, v[76:77]
	v_cvt_f32_f64_e32 v62, v[62:63]
	;; [unrolled: 1-line block ×4, first 2 shown]
	v_min3_f32 v74, v76, v74, v218
	v_min3_f32 v62, v62, v63, v126
	v_add_f64 v[63:64], v[36:37], v[60:61]
	v_add_f64 v[75:76], v[34:35], v[58:59]
	v_cvt_f32_f64_e32 v63, v[63:64]
	v_cvt_f32_f64_e32 v65, v[75:76]
	v_add_f64 v[75:76], v[30:31], v[58:59]
	v_min3_f32 v63, v65, v63, v127
	v_add_f64 v[64:65], v[32:33], v[60:61]
	v_cvt_f32_f64_e32 v75, v[75:76]
	v_cvt_f32_f64_e32 v64, v[64:65]
	;; [unrolled: 1-line block ×3, first 2 shown]
	v_add_f64 v[79:80], v[18:19], v[58:59]
	v_min3_f32 v64, v75, v64, v215
	v_add_f64 v[75:76], v[28:29], v[60:61]
	v_cvt_f32_f64_e32 v77, v[79:80]
	v_add_f64 v[79:80], v[14:15], v[58:59]
	v_cvt_f32_f64_e32 v75, v[75:76]
	v_cvt_f32_f64_e32 v79, v[79:80]
	v_min3_f32 v65, v65, v75, v214
	v_add_f64 v[75:76], v[20:21], v[60:61]
	v_cvt_f32_f64_e32 v75, v[75:76]
	v_min3_f32 v75, v77, v75, v213
	v_add_f64 v[76:77], v[16:17], v[60:61]
	v_cvt_f32_f64_e32 v76, v[76:77]
	v_cvt_f32_f64_e32 v77, v[83:84]
	v_add_f64 v[83:84], v[6:7], v[58:59]
	v_add_f64 v[58:59], v[2:3], v[58:59]
	v_min3_f32 v76, v79, v76, v212
	v_add_f64 v[79:80], v[12:13], v[60:61]
	v_cvt_f32_f64_e32 v81, v[83:84]
	v_cvt_f32_f64_e32 v58, v[58:59]
	v_add_f64 v[83:84], v[26:27], v[54:55]
	v_cvt_f32_f64_e32 v79, v[79:80]
	v_min3_f32 v77, v77, v79, v211
	v_add_f64 v[79:80], v[8:9], v[60:61]
	v_add_f64 v[60:61], v[4:5], v[60:61]
	v_cvt_f32_f64_e32 v79, v[79:80]
	v_cvt_f32_f64_e32 v59, v[60:61]
	v_min3_f32 v79, v81, v79, v210
	v_min3_f32 v58, v58, v59, v209
	v_add_f64 v[59:60], v[36:37], v[56:57]
	v_add_f64 v[80:81], v[34:35], v[54:55]
	v_cvt_f32_f64_e32 v59, v[59:60]
	v_cvt_f32_f64_e32 v61, v[80:81]
	v_add_f64 v[80:81], v[30:31], v[54:55]
	v_min3_f32 v59, v61, v59, v208
	v_add_f64 v[60:61], v[32:33], v[56:57]
	v_cvt_f32_f64_e32 v80, v[80:81]
	v_cvt_f32_f64_e32 v60, v[60:61]
	;; [unrolled: 1-line block ×3, first 2 shown]
	v_add_f64 v[83:84], v[18:19], v[54:55]
	v_min3_f32 v60, v80, v60, v207
	v_add_f64 v[80:81], v[28:29], v[56:57]
	v_cvt_f32_f64_e32 v83, v[83:84]
	v_cvt_f32_f64_e32 v80, v[80:81]
	v_min3_f32 v61, v61, v80, v206
	v_add_f64 v[80:81], v[20:21], v[56:57]
	v_cvt_f32_f64_e32 v80, v[80:81]
	v_cvt_f32_f64_e32 v81, v[87:88]
	v_add_f64 v[87:88], v[10:11], v[54:55]
	v_min3_f32 v80, v83, v80, v205
	v_add_f64 v[83:84], v[16:17], v[56:57]
	v_cvt_f32_f64_e32 v85, v[87:88]
	v_add_f64 v[87:88], v[6:7], v[54:55]
	v_add_f64 v[54:55], v[2:3], v[54:55]
	v_cvt_f32_f64_e32 v83, v[83:84]
	v_cvt_f32_f64_e32 v87, v[87:88]
	;; [unrolled: 1-line block ×3, first 2 shown]
	v_min3_f32 v81, v81, v83, v204
	v_add_f64 v[83:84], v[12:13], v[56:57]
	v_cvt_f32_f64_e32 v83, v[83:84]
	v_min3_f32 v83, v85, v83, v203
	v_add_f64 v[84:85], v[8:9], v[56:57]
	v_add_f64 v[56:57], v[4:5], v[56:57]
	v_cvt_f32_f64_e32 v84, v[84:85]
	v_cvt_f32_f64_e32 v55, v[56:57]
	v_min3_f32 v84, v87, v84, v202
	v_min3_f32 v54, v54, v55, v201
	v_add_f64 v[55:56], v[36:37], v[52:53]
	v_add_f64 v[87:88], v[34:35], v[50:51]
	v_cvt_f32_f64_e32 v55, v[55:56]
	v_cvt_f32_f64_e32 v57, v[87:88]
	v_add_f64 v[87:88], v[30:31], v[50:51]
	v_min3_f32 v55, v57, v55, v200
	v_add_f64 v[56:57], v[32:33], v[52:53]
	v_cvt_f32_f64_e32 v85, v[87:88]
	v_add_f64 v[87:88], v[28:29], v[52:53]
	v_cvt_f32_f64_e32 v56, v[56:57]
	v_cvt_f32_f64_e32 v57, v[91:92]
	v_add_f64 v[91:92], v[18:19], v[50:51]
	v_min3_f32 v56, v85, v56, v199
	v_cvt_f32_f64_e32 v85, v[87:88]
	v_add_f64 v[87:88], v[20:21], v[52:53]
	v_min3_f32 v57, v57, v85, v198
	v_cvt_f32_f64_e32 v85, v[91:92]
	v_cvt_f32_f64_e32 v87, v[87:88]
	v_add_f64 v[91:92], v[14:15], v[50:51]
	v_min3_f32 v85, v85, v87, v118
	v_add_f64 v[87:88], v[16:17], v[52:53]
	v_cvt_f32_f64_e32 v89, v[91:92]
	v_add_f64 v[91:92], v[10:11], v[50:51]
	v_add_f64 v[50:51], v[2:3], v[50:51]
	v_cvt_f32_f64_e32 v87, v[87:88]
	v_cvt_f32_f64_e32 v91, v[91:92]
	;; [unrolled: 1-line block ×3, first 2 shown]
	v_min3_f32 v87, v89, v87, v119
	v_add_f64 v[88:89], v[12:13], v[52:53]
	v_cvt_f32_f64_e32 v88, v[88:89]
	v_cvt_f32_f64_e32 v89, v[95:96]
	v_add_f64 v[95:96], v[26:27], v[46:47]
	v_min3_f32 v88, v91, v88, v120
	v_add_f64 v[91:92], v[8:9], v[52:53]
	v_add_f64 v[52:53], v[4:5], v[52:53]
	v_cvt_f32_f64_e32 v91, v[91:92]
	v_cvt_f32_f64_e32 v51, v[52:53]
	v_min3_f32 v89, v89, v91, v121
	v_min3_f32 v50, v50, v51, v115
	v_add_f64 v[51:52], v[36:37], v[48:49]
	v_add_f64 v[91:92], v[34:35], v[46:47]
	v_cvt_f32_f64_e32 v51, v[51:52]
	v_cvt_f32_f64_e32 v53, v[91:92]
	v_add_f64 v[91:92], v[30:31], v[46:47]
	v_min3_f32 v51, v53, v51, v116
	v_add_f64 v[52:53], v[32:33], v[48:49]
	v_cvt_f32_f64_e32 v91, v[91:92]
	v_cvt_f32_f64_e32 v52, v[52:53]
	;; [unrolled: 1-line block ×3, first 2 shown]
	v_add_f64 v[95:96], v[18:19], v[46:47]
	v_min3_f32 v52, v91, v52, v117
	v_add_f64 v[91:92], v[28:29], v[48:49]
	v_cvt_f32_f64_e32 v93, v[95:96]
	v_add_f64 v[95:96], v[14:15], v[46:47]
	v_cvt_f32_f64_e32 v91, v[91:92]
	v_cvt_f32_f64_e32 v95, v[95:96]
	v_min3_f32 v53, v53, v91, v122
	v_add_f64 v[91:92], v[20:21], v[48:49]
	v_cvt_f32_f64_e32 v91, v[91:92]
	v_min3_f32 v91, v93, v91, v123
	v_add_f64 v[92:93], v[16:17], v[48:49]
	v_cvt_f32_f64_e32 v92, v[92:93]
	v_cvt_f32_f64_e32 v93, v[99:100]
	v_add_f64 v[99:100], v[6:7], v[46:47]
	v_add_f64 v[46:47], v[2:3], v[46:47]
	v_min3_f32 v92, v95, v92, v124
	v_add_f64 v[95:96], v[12:13], v[48:49]
	v_cvt_f32_f64_e32 v46, v[46:47]
	v_cvt_f32_f64_e32 v95, v[95:96]
	v_min3_f32 v151, v93, v95, v125
	v_add_f64 v[95:96], v[8:9], v[48:49]
	v_add_f64 v[48:49], v[4:5], v[48:49]
	v_cvt_f32_f64_e32 v93, v[99:100]
	v_add_f64 v[99:100], v[26:27], v[42:43]
	v_cvt_f32_f64_e32 v95, v[95:96]
	v_cvt_f32_f64_e32 v47, v[48:49]
	v_min3_f32 v152, v93, v95, v114
	v_min3_f32 v46, v46, v47, v112
	v_add_f64 v[47:48], v[36:37], v[44:45]
	v_add_f64 v[95:96], v[34:35], v[42:43]
	v_cvt_f32_f64_e32 v47, v[47:48]
	v_cvt_f32_f64_e32 v49, v[95:96]
	v_add_f64 v[95:96], v[30:31], v[42:43]
	v_min3_f32 v47, v49, v47, v113
	v_add_f64 v[48:49], v[32:33], v[44:45]
	v_cvt_f32_f64_e32 v93, v[95:96]
	v_add_f64 v[95:96], v[28:29], v[44:45]
	v_cvt_f32_f64_e32 v48, v[48:49]
	v_cvt_f32_f64_e32 v49, v[99:100]
	v_add_f64 v[99:100], v[18:19], v[42:43]
	v_min3_f32 v48, v93, v48, v128
	v_cvt_f32_f64_e32 v93, v[95:96]
	v_add_f64 v[95:96], v[20:21], v[44:45]
	v_min3_f32 v49, v49, v93, v129
	v_cvt_f32_f64_e32 v93, v[99:100]
	v_cvt_f32_f64_e32 v95, v[95:96]
	v_add_f64 v[99:100], v[14:15], v[42:43]
	v_min3_f32 v153, v93, v95, v171
	v_add_f64 v[95:96], v[16:17], v[44:45]
	v_cvt_f32_f64_e32 v93, v[99:100]
	v_add_f64 v[99:100], v[10:11], v[42:43]
	v_cvt_f32_f64_e32 v95, v[95:96]
	v_min3_f32 v154, v93, v95, v170
	v_add_f64 v[95:96], v[12:13], v[44:45]
	v_cvt_f32_f64_e32 v93, v[99:100]
	v_add_f64 v[99:100], v[6:7], v[42:43]
	v_add_f64 v[42:43], v[2:3], v[42:43]
	v_cvt_f32_f64_e32 v95, v[95:96]
	v_cvt_f32_f64_e32 v42, v[42:43]
	v_min3_f32 v155, v93, v95, v169
	v_add_f64 v[95:96], v[8:9], v[44:45]
	v_add_f64 v[44:45], v[4:5], v[44:45]
	v_cvt_f32_f64_e32 v93, v[99:100]
	v_add_f64 v[99:100], v[26:27], v[38:39]
	v_add_f64 v[26:27], v[26:27], v[22:23]
	v_cvt_f32_f64_e32 v95, v[95:96]
	v_cvt_f32_f64_e32 v43, v[44:45]
	;; [unrolled: 1-line block ×3, first 2 shown]
	v_min3_f32 v156, v93, v95, v168
	v_min3_f32 v42, v42, v43, v167
	v_add_f64 v[43:44], v[36:37], v[40:41]
	v_add_f64 v[95:96], v[34:35], v[38:39]
	;; [unrolled: 1-line block ×4, first 2 shown]
	v_cvt_f32_f64_e32 v43, v[43:44]
	v_cvt_f32_f64_e32 v45, v[95:96]
	v_add_f64 v[95:96], v[30:31], v[38:39]
	v_add_f64 v[30:31], v[30:31], v[22:23]
	v_cvt_f32_f64_e32 v34, v[34:35]
	v_cvt_f32_f64_e32 v35, v[36:37]
	v_min3_f32 v43, v45, v43, v166
	v_add_f64 v[44:45], v[32:33], v[40:41]
	v_cvt_f32_f64_e32 v93, v[95:96]
	v_add_f64 v[95:96], v[28:29], v[40:41]
	v_add_f64 v[32:33], v[32:33], v[24:25]
	;; [unrolled: 1-line block ×3, first 2 shown]
	v_cvt_f32_f64_e32 v30, v[30:31]
	v_min3_f32 v196, v34, v35, v98
	v_cvt_f32_f64_e32 v44, v[44:45]
	v_cvt_f32_f64_e32 v45, v[99:100]
	v_add_f64 v[99:100], v[18:19], v[38:39]
	v_add_f64 v[18:19], v[18:19], v[22:23]
	v_cvt_f32_f64_e32 v31, v[32:33]
	v_cvt_f32_f64_e32 v27, v[28:29]
	v_min3_f32 v44, v93, v44, v106
	v_cvt_f32_f64_e32 v93, v[95:96]
	v_add_f64 v[95:96], v[20:21], v[40:41]
	v_add_f64 v[20:21], v[20:21], v[24:25]
	v_cvt_f32_f64_e32 v18, v[18:19]
	v_min3_f32 v197, v30, v31, v94
	v_min3_f32 v198, v26, v27, v90
	;; [unrolled: 1-line block ×3, first 2 shown]
	v_cvt_f32_f64_e32 v93, v[99:100]
	v_cvt_f32_f64_e32 v95, v[95:96]
	v_add_f64 v[99:100], v[14:15], v[38:39]
	v_add_f64 v[14:15], v[14:15], v[22:23]
	v_cvt_f32_f64_e32 v19, v[20:21]
	v_min3_f32 v157, v93, v95, v108
	v_add_f64 v[95:96], v[16:17], v[40:41]
	v_cvt_f32_f64_e32 v93, v[99:100]
	v_add_f64 v[99:100], v[10:11], v[38:39]
	v_add_f64 v[16:17], v[16:17], v[24:25]
	;; [unrolled: 1-line block ×3, first 2 shown]
	v_cvt_f32_f64_e32 v14, v[14:15]
	v_min3_f32 v199, v18, v19, v86
	v_cvt_f32_f64_e32 v95, v[95:96]
	v_cvt_f32_f64_e32 v15, v[16:17]
	;; [unrolled: 1-line block ×3, first 2 shown]
	v_min3_f32 v158, v93, v95, v109
	v_add_f64 v[95:96], v[12:13], v[40:41]
	v_cvt_f32_f64_e32 v93, v[99:100]
	v_add_f64 v[99:100], v[6:7], v[38:39]
	v_add_f64 v[38:39], v[2:3], v[38:39]
	;; [unrolled: 1-line block ×5, first 2 shown]
	v_min3_f32 v200, v14, v15, v82
	v_cvt_f32_f64_e32 v95, v[95:96]
	v_cvt_f32_f64_e32 v38, v[38:39]
	;; [unrolled: 1-line block ×5, first 2 shown]
	v_min3_f32 v159, v93, v95, v110
	v_add_f64 v[95:96], v[8:9], v[40:41]
	v_add_f64 v[40:41], v[4:5], v[40:41]
	;; [unrolled: 1-line block ×4, first 2 shown]
	v_cvt_f32_f64_e32 v93, v[99:100]
	v_min3_f32 v201, v10, v11, v78
	v_cvt_f32_f64_e32 v95, v[95:96]
	v_cvt_f32_f64_e32 v39, v[40:41]
	;; [unrolled: 1-line block ×4, first 2 shown]
	v_min3_f32 v172, v93, v95, v111
	v_min3_f32 v178, v38, v39, v102
	;; [unrolled: 1-line block ×4, first 2 shown]
	ds_read_b128 v[6:9], v148 offset:1024
	ds_read_b128 v[10:13], v148 offset:2048
	;; [unrolled: 1-line block ×14, first 2 shown]
	ds_read_b128 v[97:100], v174
	ds_read_b128 v[34:37], v174 offset:16
	ds_read_b128 v[192:195], v148
	ds_read_b128 v[2:5], v148 offset:16
	s_waitcnt lgkmcnt(1)
	v_add_f64 v[101:102], v[194:195], v[99:100]
	v_add_f64 v[103:104], v[192:193], v[97:98]
	v_cvt_f32_f64_e32 v73, v[101:102]
	v_cvt_f32_f64_e32 v71, v[103:104]
	v_add_f64 v[101:102], v[8:9], v[99:100]
	v_add_f64 v[103:104], v[6:7], v[97:98]
	v_min3_f32 v129, v71, v73, v66
	v_cvt_f32_f64_e32 v71, v[101:102]
	v_cvt_f32_f64_e32 v66, v[103:104]
	v_add_f64 v[101:102], v[10:11], v[97:98]
	v_min3_f32 v128, v66, v71, v67
	v_add_f64 v[66:67], v[12:13], v[99:100]
	v_cvt_f32_f64_e32 v71, v[101:102]
	v_add_f64 v[101:102], v[14:15], v[97:98]
	v_cvt_f32_f64_e32 v66, v[66:67]
	v_min3_f32 v127, v71, v66, v68
	v_add_f64 v[66:67], v[16:17], v[99:100]
	v_cvt_f32_f64_e32 v68, v[101:102]
	v_cvt_f32_f64_e32 v66, v[66:67]
	v_min3_f32 v126, v68, v66, v69
	v_add_f64 v[66:67], v[20:21], v[99:100]
	v_add_f64 v[68:69], v[18:19], v[97:98]
	v_cvt_f32_f64_e32 v66, v[66:67]
	v_cvt_f32_f64_e32 v68, v[68:69]
	v_min3_f32 v125, v68, v66, v70
	v_add_f64 v[66:67], v[24:25], v[99:100]
	;; [unrolled: 5-line block ×11, first 2 shown]
	v_add_f64 v[64:65], v[26:27], v[38:39]
	v_add_f64 v[40:41], v[32:33], v[40:41]
	;; [unrolled: 1-line block ×3, first 2 shown]
	v_cvt_f32_f64_e32 v62, v[62:63]
	v_cvt_f32_f64_e32 v64, v[64:65]
	;; [unrolled: 1-line block ×4, first 2 shown]
	v_add_f64 v[40:41], v[192:193], v[93:94]
	v_min3_f32 v115, v64, v62, v79
	v_min3_f32 v114, v38, v39, v58
	v_add_f64 v[38:39], v[194:195], v[95:96]
	v_cvt_f32_f64_e32 v40, v[40:41]
	v_cvt_f32_f64_e32 v38, v[38:39]
	v_min3_f32 v113, v40, v38, v59
	v_add_f64 v[38:39], v[8:9], v[95:96]
	v_add_f64 v[40:41], v[6:7], v[93:94]
	v_cvt_f32_f64_e32 v38, v[38:39]
	v_cvt_f32_f64_e32 v40, v[40:41]
	v_min3_f32 v112, v40, v38, v60
	v_add_f64 v[38:39], v[12:13], v[95:96]
	;; [unrolled: 5-line block ×23, first 2 shown]
	v_add_f64 v[40:41], v[30:31], v[164:165]
	s_waitcnt lgkmcnt(0)
	v_add_f64 v[151:152], v[4:5], v[36:37]
	v_cvt_f32_f64_e32 v38, v[38:39]
	v_cvt_f32_f64_e32 v40, v[40:41]
	;; [unrolled: 1-line block ×3, first 2 shown]
	v_min3_f32 v90, v40, v38, v46
	v_add_f64 v[38:39], v[194:195], v[170:171]
	v_add_f64 v[40:41], v[192:193], v[168:169]
	v_cvt_f32_f64_e32 v38, v[38:39]
	v_cvt_f32_f64_e32 v40, v[40:41]
	v_min3_f32 v89, v40, v38, v47
	v_add_f64 v[38:39], v[8:9], v[170:171]
	v_add_f64 v[40:41], v[6:7], v[168:169]
	v_cvt_f32_f64_e32 v38, v[38:39]
	v_cvt_f32_f64_e32 v40, v[40:41]
	;; [unrolled: 5-line block ×5, first 2 shown]
	v_min3_f32 v85, v40, v38, v154
	v_add_f64 v[38:39], v[24:25], v[170:171]
	v_add_f64 v[40:41], v[22:23], v[168:169]
	;; [unrolled: 1-line block ×3, first 2 shown]
	v_cvt_f32_f64_e32 v38, v[38:39]
	v_cvt_f32_f64_e32 v40, v[40:41]
	;; [unrolled: 1-line block ×3, first 2 shown]
	v_min3_f32 v84, v40, v38, v155
	v_add_f64 v[38:39], v[28:29], v[170:171]
	v_add_f64 v[40:41], v[26:27], v[168:169]
	v_min3_f32 v224, v153, v151, v129
	v_cvt_f32_f64_e32 v38, v[38:39]
	v_cvt_f32_f64_e32 v40, v[40:41]
	v_min3_f32 v83, v40, v38, v156
	v_add_f64 v[38:39], v[32:33], v[170:171]
	v_add_f64 v[40:41], v[30:31], v[168:169]
	v_cvt_f32_f64_e32 v38, v[38:39]
	v_cvt_f32_f64_e32 v40, v[40:41]
	v_min3_f32 v82, v40, v38, v42
	v_add_f64 v[38:39], v[194:195], v[186:187]
	v_add_f64 v[40:41], v[192:193], v[184:185]
	;; [unrolled: 5-line block ×3, first 2 shown]
	v_add_f64 v[8:9], v[8:9], v[190:191]
	v_add_f64 v[6:7], v[6:7], v[188:189]
	v_cvt_f32_f64_e32 v38, v[38:39]
	v_cvt_f32_f64_e32 v40, v[40:41]
	;; [unrolled: 1-line block ×4, first 2 shown]
	v_add_f64 v[8:9], v[10:11], v[188:189]
	v_min3_f32 v80, v40, v38, v44
	v_add_f64 v[38:39], v[12:13], v[186:187]
	v_add_f64 v[40:41], v[10:11], v[184:185]
	v_min3_f32 v72, v6, v7, v197
	v_add_f64 v[6:7], v[12:13], v[190:191]
	v_cvt_f32_f64_e32 v8, v[8:9]
	v_cvt_f32_f64_e32 v38, v[38:39]
	v_cvt_f32_f64_e32 v40, v[40:41]
	v_cvt_f32_f64_e32 v6, v[6:7]
	v_min3_f32 v79, v40, v38, v45
	v_add_f64 v[38:39], v[16:17], v[186:187]
	v_add_f64 v[40:41], v[14:15], v[184:185]
	v_min3_f32 v71, v8, v6, v198
	v_add_f64 v[6:7], v[16:17], v[190:191]
	v_add_f64 v[8:9], v[14:15], v[188:189]
	v_cvt_f32_f64_e32 v38, v[38:39]
	v_cvt_f32_f64_e32 v40, v[40:41]
	v_cvt_f32_f64_e32 v6, v[6:7]
	v_cvt_f32_f64_e32 v8, v[8:9]
	v_min3_f32 v78, v40, v38, v157
	v_add_f64 v[38:39], v[20:21], v[186:187]
	v_add_f64 v[40:41], v[18:19], v[184:185]
	v_min3_f32 v70, v8, v6, v199
	v_add_f64 v[6:7], v[20:21], v[190:191]
	v_add_f64 v[8:9], v[18:19], v[188:189]
	v_cvt_f32_f64_e32 v38, v[38:39]
	v_cvt_f32_f64_e32 v40, v[40:41]
	v_cvt_f32_f64_e32 v6, v[6:7]
	v_cvt_f32_f64_e32 v8, v[8:9]
	v_min3_f32 v77, v40, v38, v158
	v_add_f64 v[38:39], v[24:25], v[186:187]
	v_add_f64 v[40:41], v[22:23], v[184:185]
	v_min3_f32 v69, v8, v6, v200
	v_add_f64 v[6:7], v[24:25], v[190:191]
	v_add_f64 v[8:9], v[22:23], v[188:189]
	v_cvt_f32_f64_e32 v38, v[38:39]
	v_cvt_f32_f64_e32 v40, v[40:41]
	v_cvt_f32_f64_e32 v6, v[6:7]
	v_cvt_f32_f64_e32 v8, v[8:9]
	v_min3_f32 v76, v40, v38, v159
	v_add_f64 v[38:39], v[28:29], v[186:187]
	v_add_f64 v[40:41], v[26:27], v[184:185]
	v_min3_f32 v68, v8, v6, v201
	v_add_f64 v[6:7], v[28:29], v[190:191]
	v_add_f64 v[8:9], v[26:27], v[188:189]
	v_cvt_f32_f64_e32 v38, v[38:39]
	v_cvt_f32_f64_e32 v40, v[40:41]
	v_cvt_f32_f64_e32 v6, v[6:7]
	v_cvt_f32_f64_e32 v8, v[8:9]
	v_min3_f32 v75, v40, v38, v172
	v_add_f64 v[38:39], v[32:33], v[186:187]
	v_add_f64 v[40:41], v[30:31], v[184:185]
	v_min3_f32 v67, v8, v6, v202
	v_add_f64 v[6:7], v[32:33], v[190:191]
	v_add_f64 v[8:9], v[30:31], v[188:189]
	v_cvt_f32_f64_e32 v38, v[38:39]
	v_cvt_f32_f64_e32 v40, v[40:41]
	;; [unrolled: 1-line block ×4, first 2 shown]
	v_min3_f32 v74, v40, v38, v178
	v_add_f64 v[38:39], v[194:195], v[190:191]
	v_add_f64 v[40:41], v[192:193], v[188:189]
	v_min3_f32 v66, v8, v6, v203
	v_cvt_f32_f64_e32 v38, v[38:39]
	v_cvt_f32_f64_e32 v40, v[40:41]
	v_min3_f32 v73, v40, v38, v196
	ds_read_b128 v[22:25], v148 offset:1040
	ds_read_b128 v[18:21], v148 offset:2064
	;; [unrolled: 1-line block ×14, first 2 shown]
	s_waitcnt vmcnt(0)
	ds_write2st64_b64 v175, v[138:139], v[140:141] offset1:4
	ds_write2st64_b64 v175, v[142:143], v[144:145] offset0:8 offset1:12
	ds_write_b64 v176, v[136:137]
	s_waitcnt lgkmcnt(0)
	s_barrier
	buffer_gl0_inv
	v_add_f64 v[151:152], v[24:25], v[36:37]
	v_add_f64 v[153:154], v[22:23], v[34:35]
	v_cvt_f32_f64_e32 v151, v[151:152]
	v_cvt_f32_f64_e32 v129, v[153:154]
	v_min3_f32 v223, v129, v151, v128
	v_add_f64 v[128:129], v[20:21], v[36:37]
	v_add_f64 v[151:152], v[18:19], v[34:35]
	v_cvt_f32_f64_e32 v128, v[128:129]
	v_cvt_f32_f64_e32 v151, v[151:152]
	v_min3_f32 v222, v151, v128, v127
	;; [unrolled: 5-line block ×5, first 2 shown]
	v_add_f64 v[124:125], v[32:33], v[36:37]
	v_add_f64 v[126:127], v[30:31], v[34:35]
	;; [unrolled: 1-line block ×4, first 2 shown]
	v_cvt_f32_f64_e32 v124, v[124:125]
	v_cvt_f32_f64_e32 v126, v[126:127]
	;; [unrolled: 1-line block ×4, first 2 shown]
	v_add_f64 v[36:37], v[2:3], v[62:63]
	v_min3_f32 v218, v126, v124, v123
	v_min3_f32 v217, v34, v35, v122
	v_add_f64 v[34:35], v[4:5], v[64:65]
	v_cvt_f32_f64_e32 v36, v[36:37]
	v_cvt_f32_f64_e32 v34, v[34:35]
	v_min3_f32 v216, v36, v34, v121
	v_add_f64 v[34:35], v[24:25], v[64:65]
	v_add_f64 v[36:37], v[22:23], v[62:63]
	v_cvt_f32_f64_e32 v34, v[34:35]
	v_cvt_f32_f64_e32 v36, v[36:37]
	v_min3_f32 v215, v36, v34, v120
	v_add_f64 v[34:35], v[20:21], v[64:65]
	v_add_f64 v[36:37], v[18:19], v[62:63]
	v_cvt_f32_f64_e32 v34, v[34:35]
	v_cvt_f32_f64_e32 v36, v[36:37]
	v_min3_f32 v214, v36, v34, v119
	v_add_f64 v[34:35], v[16:17], v[64:65]
	v_add_f64 v[36:37], v[14:15], v[62:63]
	v_cvt_f32_f64_e32 v34, v[34:35]
	v_cvt_f32_f64_e32 v36, v[36:37]
	v_min3_f32 v213, v36, v34, v118
	v_add_f64 v[34:35], v[12:13], v[64:65]
	v_add_f64 v[36:37], v[10:11], v[62:63]
	v_cvt_f32_f64_e32 v34, v[34:35]
	v_cvt_f32_f64_e32 v36, v[36:37]
	v_min3_f32 v212, v36, v34, v117
	v_add_f64 v[34:35], v[8:9], v[64:65]
	v_add_f64 v[36:37], v[6:7], v[62:63]
	v_cvt_f32_f64_e32 v34, v[34:35]
	v_cvt_f32_f64_e32 v36, v[36:37]
	v_min3_f32 v211, v36, v34, v116
	v_add_f64 v[34:35], v[32:33], v[64:65]
	v_add_f64 v[36:37], v[30:31], v[62:63]
	v_cvt_f32_f64_e32 v34, v[34:35]
	v_cvt_f32_f64_e32 v36, v[36:37]
	v_min3_f32 v210, v36, v34, v115
	v_add_f64 v[34:35], v[28:29], v[64:65]
	v_add_f64 v[36:37], v[26:27], v[62:63]
	v_cvt_f32_f64_e32 v34, v[34:35]
	v_cvt_f32_f64_e32 v36, v[36:37]
	v_min3_f32 v209, v36, v34, v114
	v_add_f64 v[34:35], v[4:5], v[60:61]
	v_add_f64 v[36:37], v[2:3], v[58:59]
	v_cvt_f32_f64_e32 v34, v[34:35]
	v_cvt_f32_f64_e32 v36, v[36:37]
	v_min3_f32 v208, v36, v34, v113
	v_add_f64 v[34:35], v[24:25], v[60:61]
	v_add_f64 v[36:37], v[22:23], v[58:59]
	v_cvt_f32_f64_e32 v34, v[34:35]
	v_cvt_f32_f64_e32 v36, v[36:37]
	v_min3_f32 v207, v36, v34, v112
	v_add_f64 v[34:35], v[20:21], v[60:61]
	v_add_f64 v[36:37], v[18:19], v[58:59]
	v_cvt_f32_f64_e32 v34, v[34:35]
	v_cvt_f32_f64_e32 v36, v[36:37]
	v_min3_f32 v206, v36, v34, v111
	v_add_f64 v[34:35], v[16:17], v[60:61]
	v_add_f64 v[36:37], v[14:15], v[58:59]
	v_cvt_f32_f64_e32 v34, v[34:35]
	v_cvt_f32_f64_e32 v36, v[36:37]
	v_min3_f32 v205, v36, v34, v110
	v_add_f64 v[34:35], v[12:13], v[60:61]
	v_add_f64 v[36:37], v[10:11], v[58:59]
	v_cvt_f32_f64_e32 v34, v[34:35]
	v_cvt_f32_f64_e32 v36, v[36:37]
	v_min3_f32 v204, v36, v34, v109
	v_add_f64 v[34:35], v[8:9], v[60:61]
	v_add_f64 v[36:37], v[6:7], v[58:59]
	v_cvt_f32_f64_e32 v34, v[34:35]
	v_cvt_f32_f64_e32 v36, v[36:37]
	v_min3_f32 v203, v36, v34, v108
	v_add_f64 v[34:35], v[32:33], v[60:61]
	v_add_f64 v[36:37], v[30:31], v[58:59]
	v_cvt_f32_f64_e32 v34, v[34:35]
	v_cvt_f32_f64_e32 v36, v[36:37]
	v_min3_f32 v202, v36, v34, v107
	v_add_f64 v[34:35], v[28:29], v[60:61]
	v_add_f64 v[36:37], v[26:27], v[58:59]
	v_cvt_f32_f64_e32 v34, v[34:35]
	v_cvt_f32_f64_e32 v36, v[36:37]
	v_min3_f32 v201, v36, v34, v106
	v_add_f64 v[34:35], v[4:5], v[56:57]
	v_add_f64 v[36:37], v[2:3], v[54:55]
	v_cvt_f32_f64_e32 v34, v[34:35]
	v_cvt_f32_f64_e32 v36, v[36:37]
	v_min3_f32 v200, v36, v34, v105
	v_add_f64 v[34:35], v[24:25], v[56:57]
	v_add_f64 v[36:37], v[22:23], v[54:55]
	v_cvt_f32_f64_e32 v34, v[34:35]
	v_cvt_f32_f64_e32 v36, v[36:37]
	v_min3_f32 v199, v36, v34, v104
	v_add_f64 v[34:35], v[20:21], v[56:57]
	v_add_f64 v[36:37], v[18:19], v[54:55]
	v_cvt_f32_f64_e32 v34, v[34:35]
	v_cvt_f32_f64_e32 v36, v[36:37]
	v_min3_f32 v198, v36, v34, v103
	v_add_f64 v[34:35], v[16:17], v[56:57]
	v_add_f64 v[36:37], v[14:15], v[54:55]
	v_cvt_f32_f64_e32 v34, v[34:35]
	v_cvt_f32_f64_e32 v36, v[36:37]
	v_min3_f32 v197, v36, v34, v102
	v_add_f64 v[34:35], v[12:13], v[56:57]
	v_add_f64 v[36:37], v[10:11], v[54:55]
	v_cvt_f32_f64_e32 v34, v[34:35]
	v_cvt_f32_f64_e32 v36, v[36:37]
	v_min3_f32 v196, v36, v34, v101
	v_add_f64 v[34:35], v[8:9], v[56:57]
	v_add_f64 v[36:37], v[6:7], v[54:55]
	v_cvt_f32_f64_e32 v34, v[34:35]
	v_cvt_f32_f64_e32 v36, v[36:37]
	v_min3_f32 v195, v36, v34, v100
	v_add_f64 v[34:35], v[32:33], v[56:57]
	v_add_f64 v[36:37], v[30:31], v[54:55]
	v_cvt_f32_f64_e32 v34, v[34:35]
	v_cvt_f32_f64_e32 v36, v[36:37]
	v_min3_f32 v194, v36, v34, v99
	v_add_f64 v[34:35], v[28:29], v[56:57]
	v_add_f64 v[36:37], v[26:27], v[54:55]
	v_cvt_f32_f64_e32 v34, v[34:35]
	v_cvt_f32_f64_e32 v36, v[36:37]
	v_min3_f32 v193, v36, v34, v98
	v_add_f64 v[34:35], v[4:5], v[52:53]
	v_add_f64 v[36:37], v[2:3], v[50:51]
	v_cvt_f32_f64_e32 v34, v[34:35]
	v_cvt_f32_f64_e32 v36, v[36:37]
	v_min3_f32 v192, v36, v34, v97
	v_add_f64 v[34:35], v[24:25], v[52:53]
	v_add_f64 v[36:37], v[22:23], v[50:51]
	v_cvt_f32_f64_e32 v34, v[34:35]
	v_cvt_f32_f64_e32 v36, v[36:37]
	v_min3_f32 v191, v36, v34, v96
	v_add_f64 v[34:35], v[20:21], v[52:53]
	v_add_f64 v[36:37], v[18:19], v[50:51]
	v_cvt_f32_f64_e32 v34, v[34:35]
	v_cvt_f32_f64_e32 v36, v[36:37]
	v_min3_f32 v190, v36, v34, v95
	v_add_f64 v[34:35], v[16:17], v[52:53]
	v_add_f64 v[36:37], v[14:15], v[50:51]
	v_cvt_f32_f64_e32 v34, v[34:35]
	v_cvt_f32_f64_e32 v36, v[36:37]
	v_min3_f32 v189, v36, v34, v94
	v_add_f64 v[34:35], v[12:13], v[52:53]
	v_add_f64 v[36:37], v[10:11], v[50:51]
	v_cvt_f32_f64_e32 v34, v[34:35]
	v_cvt_f32_f64_e32 v36, v[36:37]
	v_min3_f32 v188, v36, v34, v93
	v_add_f64 v[34:35], v[8:9], v[52:53]
	v_add_f64 v[36:37], v[6:7], v[50:51]
	v_cvt_f32_f64_e32 v34, v[34:35]
	v_cvt_f32_f64_e32 v36, v[36:37]
	v_min3_f32 v187, v36, v34, v92
	v_add_f64 v[34:35], v[32:33], v[52:53]
	v_add_f64 v[36:37], v[30:31], v[50:51]
	v_cvt_f32_f64_e32 v34, v[34:35]
	v_cvt_f32_f64_e32 v36, v[36:37]
	v_min3_f32 v186, v36, v34, v91
	v_add_f64 v[34:35], v[28:29], v[52:53]
	v_add_f64 v[36:37], v[26:27], v[50:51]
	v_cvt_f32_f64_e32 v34, v[34:35]
	v_cvt_f32_f64_e32 v36, v[36:37]
	v_min3_f32 v185, v36, v34, v90
	v_add_f64 v[34:35], v[4:5], v[48:49]
	v_add_f64 v[36:37], v[2:3], v[46:47]
	v_cvt_f32_f64_e32 v34, v[34:35]
	v_cvt_f32_f64_e32 v36, v[36:37]
	v_min3_f32 v184, v36, v34, v89
	v_add_f64 v[34:35], v[24:25], v[48:49]
	v_add_f64 v[36:37], v[22:23], v[46:47]
	v_cvt_f32_f64_e32 v34, v[34:35]
	v_cvt_f32_f64_e32 v36, v[36:37]
	v_min3_f32 v178, v36, v34, v88
	v_add_f64 v[34:35], v[20:21], v[48:49]
	v_add_f64 v[36:37], v[18:19], v[46:47]
	v_cvt_f32_f64_e32 v34, v[34:35]
	v_cvt_f32_f64_e32 v36, v[36:37]
	v_min3_f32 v172, v36, v34, v87
	v_add_f64 v[34:35], v[16:17], v[48:49]
	v_add_f64 v[36:37], v[14:15], v[46:47]
	v_cvt_f32_f64_e32 v34, v[34:35]
	v_cvt_f32_f64_e32 v36, v[36:37]
	v_min3_f32 v171, v36, v34, v86
	v_add_f64 v[34:35], v[12:13], v[48:49]
	v_add_f64 v[36:37], v[10:11], v[46:47]
	v_cvt_f32_f64_e32 v34, v[34:35]
	v_cvt_f32_f64_e32 v36, v[36:37]
	v_min3_f32 v170, v36, v34, v85
	v_add_f64 v[34:35], v[8:9], v[48:49]
	v_add_f64 v[36:37], v[6:7], v[46:47]
	v_cvt_f32_f64_e32 v34, v[34:35]
	v_cvt_f32_f64_e32 v36, v[36:37]
	v_min3_f32 v169, v36, v34, v84
	v_add_f64 v[34:35], v[32:33], v[48:49]
	v_add_f64 v[36:37], v[30:31], v[46:47]
	v_cvt_f32_f64_e32 v34, v[34:35]
	v_cvt_f32_f64_e32 v36, v[36:37]
	v_min3_f32 v168, v36, v34, v83
	v_add_f64 v[34:35], v[28:29], v[48:49]
	v_add_f64 v[36:37], v[26:27], v[46:47]
	v_cvt_f32_f64_e32 v34, v[34:35]
	v_cvt_f32_f64_e32 v36, v[36:37]
	v_min3_f32 v167, v36, v34, v82
	v_add_f64 v[34:35], v[4:5], v[44:45]
	v_add_f64 v[36:37], v[2:3], v[42:43]
	v_add_f64 v[4:5], v[4:5], v[40:41]
	v_add_f64 v[2:3], v[2:3], v[38:39]
	v_cvt_f32_f64_e32 v34, v[34:35]
	v_cvt_f32_f64_e32 v36, v[36:37]
	v_cvt_f32_f64_e32 v2, v[2:3]
	v_cvt_f32_f64_e32 v3, v[4:5]
	v_add_f64 v[4:5], v[22:23], v[38:39]
	v_min3_f32 v166, v36, v34, v81
	v_add_f64 v[34:35], v[24:25], v[44:45]
	v_add_f64 v[36:37], v[22:23], v[42:43]
	v_min3_f32 v158, v2, v3, v73
	v_add_f64 v[2:3], v[24:25], v[40:41]
	v_cvt_f32_f64_e32 v4, v[4:5]
	v_cvt_f32_f64_e32 v34, v[34:35]
	v_cvt_f32_f64_e32 v36, v[36:37]
	v_cvt_f32_f64_e32 v2, v[2:3]
	v_min3_f32 v165, v36, v34, v80
	v_add_f64 v[34:35], v[20:21], v[44:45]
	v_add_f64 v[36:37], v[18:19], v[42:43]
	v_min3_f32 v157, v4, v2, v72
	v_add_f64 v[2:3], v[20:21], v[40:41]
	v_add_f64 v[4:5], v[18:19], v[38:39]
	v_cvt_f32_f64_e32 v34, v[34:35]
	v_cvt_f32_f64_e32 v36, v[36:37]
	v_cvt_f32_f64_e32 v2, v[2:3]
	v_cvt_f32_f64_e32 v4, v[4:5]
	v_min3_f32 v164, v36, v34, v79
	v_add_f64 v[34:35], v[16:17], v[44:45]
	v_add_f64 v[36:37], v[14:15], v[42:43]
	v_min3_f32 v156, v4, v2, v71
	v_add_f64 v[2:3], v[16:17], v[40:41]
	;; [unrolled: 10-line block ×6, first 2 shown]
	v_add_f64 v[4:5], v[26:27], v[38:39]
	v_cvt_f32_f64_e32 v34, v[34:35]
	v_cvt_f32_f64_e32 v36, v[36:37]
	;; [unrolled: 1-line block ×4, first 2 shown]
	v_min3_f32 v159, v36, v34, v74
	v_min3_f32 v151, v4, v2, v66
	s_cbranch_scc1 .LBB160_51
.LBB160_31:                             ; =>This Inner Loop Header: Depth=1
	v_add_nc_u32_e32 v226, s16, v146
	v_mov_b32_e32 v137, v135
	v_mov_b32_e32 v136, v134
	v_add_nc_u32_e32 v2, 8, v226
	v_cmp_le_i32_e64 s3, s14, v2
	s_nor_b32 s6, vcc_lo, s3
	s_and_saveexec_b32 s17, s6
	s_cbranch_execz .LBB160_33
; %bb.32:                               ;   in Loop: Header=BB160_31 Depth=1
	v_add_co_u32 v2, s6, v180, v132
	v_add_co_ci_u32_e64 v3, null, v181, v133, s6
	global_load_dwordx2 v[136:137], v[2:3], off
.LBB160_33:                             ;   in Loop: Header=BB160_31 Depth=1
	s_or_b32 exec_lo, exec_lo, s17
	v_mov_b32_e32 v139, v135
	v_mov_b32_e32 v138, v134
	s_nor_b32 s6, s0, s3
	s_and_saveexec_b32 s17, s6
	s_cbranch_execz .LBB160_35
; %bb.34:                               ;   in Loop: Header=BB160_31 Depth=1
	v_add_co_u32 v2, s6, v180, v132
	v_add_co_ci_u32_e64 v3, null, v181, v133, s6
	global_load_dwordx2 v[138:139], v[2:3], off offset:512
.LBB160_35:                             ;   in Loop: Header=BB160_31 Depth=1
	s_or_b32 exec_lo, exec_lo, s17
	v_mov_b32_e32 v141, v135
	v_mov_b32_e32 v140, v134
	s_nor_b32 s6, s1, s3
	s_and_saveexec_b32 s17, s6
	s_cbranch_execz .LBB160_37
; %bb.36:                               ;   in Loop: Header=BB160_31 Depth=1
	v_add_co_u32 v2, s6, v180, v132
	v_add_co_ci_u32_e64 v3, null, v181, v133, s6
	global_load_dwordx2 v[140:141], v[2:3], off offset:1024
.LBB160_37:                             ;   in Loop: Header=BB160_31 Depth=1
	;; [unrolled: 11-line block ×3, first 2 shown]
	s_or_b32 exec_lo, exec_lo, s6
	v_add_nc_u32_e32 v225, s16, v149
	v_mov_b32_e32 v145, v135
	v_mov_b32_e32 v144, v134
	v_add_nc_u32_e32 v2, 8, v225
	v_cmp_gt_i32_e64 s3, s14, v2
	s_and_b32 s6, s3, s28
	s_and_saveexec_b32 s3, s6
	s_cbranch_execz .LBB160_41
; %bb.40:                               ;   in Loop: Header=BB160_31 Depth=1
	global_load_dwordx2 v[144:145], v[130:131], off
.LBB160_41:                             ;   in Loop: Header=BB160_31 Depth=1
	s_or_b32 exec_lo, exec_lo, s3
	ds_read_b128 v[126:129], v179
	ds_read_b128 v[62:65], v179 offset:16
	ds_read_b128 v[98:101], v177
	ds_read_b128 v[34:37], v177 offset:16
	ds_read_b128 v[94:97], v177 offset:1024
	;; [unrolled: 1-line block ×29, first 2 shown]
	v_add_nc_u32_e32 v226, 12, v226
	s_waitcnt vmcnt(0)
	ds_write2st64_b64 v150, v[136:137], v[138:139] offset1:4
	ds_write2st64_b64 v150, v[140:141], v[142:143] offset0:8 offset1:12
	v_mov_b32_e32 v139, v135
	v_mov_b32_e32 v138, v134
	ds_write_b64 v173, v[144:145]
	v_cmp_le_i32_e64 s3, s14, v226
	s_waitcnt lgkmcnt(0)
	s_barrier
	buffer_gl0_inv
	s_nor_b32 s6, vcc_lo, s3
	s_and_saveexec_b32 s17, s6
	s_cbranch_execz .LBB160_43
; %bb.42:                               ;   in Loop: Header=BB160_31 Depth=1
	v_add_co_u32 v136, s6, v182, v132
	v_add_co_ci_u32_e64 v137, null, v183, v133, s6
	global_load_dwordx2 v[138:139], v[136:137], off
.LBB160_43:                             ;   in Loop: Header=BB160_31 Depth=1
	s_or_b32 exec_lo, exec_lo, s17
	v_mov_b32_e32 v141, v135
	v_mov_b32_e32 v140, v134
	s_nor_b32 s6, s0, s3
	s_and_saveexec_b32 s17, s6
	s_cbranch_execz .LBB160_45
; %bb.44:                               ;   in Loop: Header=BB160_31 Depth=1
	v_add_co_u32 v136, s6, v182, v132
	v_add_co_ci_u32_e64 v137, null, v183, v133, s6
	global_load_dwordx2 v[140:141], v[136:137], off offset:512
.LBB160_45:                             ;   in Loop: Header=BB160_31 Depth=1
	s_or_b32 exec_lo, exec_lo, s17
	v_mov_b32_e32 v143, v135
	v_mov_b32_e32 v142, v134
	s_nor_b32 s6, s1, s3
	s_and_saveexec_b32 s17, s6
	s_cbranch_execz .LBB160_47
; %bb.46:                               ;   in Loop: Header=BB160_31 Depth=1
	v_add_co_u32 v136, s6, v182, v132
	v_add_co_ci_u32_e64 v137, null, v183, v133, s6
	global_load_dwordx2 v[142:143], v[136:137], off offset:1024
.LBB160_47:                             ;   in Loop: Header=BB160_31 Depth=1
	;; [unrolled: 11-line block ×3, first 2 shown]
	s_or_b32 exec_lo, exec_lo, s6
	v_add_nc_u32_e32 v136, 12, v225
	v_cmp_gt_i32_e64 s3, s14, v136
	v_mov_b32_e32 v137, v135
	v_mov_b32_e32 v136, v134
	s_and_b32 s6, s3, s28
	s_and_saveexec_b32 s3, s6
	s_cbranch_execz .LBB160_30
; %bb.50:                               ;   in Loop: Header=BB160_31 Depth=1
	global_load_dwordx2 v[136:137], v[130:131], off offset:32
	s_branch .LBB160_30
.LBB160_51:
	s_clause 0x2
	s_load_dwordx2 s[0:1], s[4:5], 0x78
	s_load_dword s14, s[4:5], 0x58
	s_load_dword s9, s[4:5], 0x70
	ds_read_b128 v[70:73], v148 offset:8192
	ds_read_b128 v[66:69], v148 offset:8208
	ds_read_b128 v[126:129], v147 offset:18432
	ds_read_b128 v[122:125], v147 offset:18448
	ds_read_b128 v[62:65], v148 offset:9216
	ds_read_b128 v[58:61], v148 offset:9232
	ds_read_b128 v[54:57], v148 offset:10240
	ds_read_b128 v[50:53], v148 offset:10256
	ds_read_b128 v[46:49], v148 offset:11264
	ds_read_b128 v[42:45], v148 offset:11280
	ds_read_b128 v[38:41], v148 offset:12288
	ds_read_b128 v[34:37], v148 offset:12304
	ds_read_b128 v[30:33], v148 offset:13312
	ds_read_b128 v[26:29], v148 offset:13328
	ds_read_b128 v[22:25], v148 offset:14336
	ds_read_b128 v[18:21], v148 offset:14352
	v_add_nc_u32_e32 v145, s27, v1
	ds_read_b128 v[6:9], v148 offset:15360
	ds_read_b128 v[2:5], v148 offset:15376
	;; [unrolled: 1-line block ×16, first 2 shown]
	v_add_nc_u32_e32 v0, s15, v0
	v_cmp_gt_i32_e64 s8, s13, v145
	v_cndmask_b32_e64 v144, 0, 1, s26
	v_ashrrev_i32_e32 v1, 31, v0
	s_waitcnt lgkmcnt(0)
	s_mul_i32 s1, s1, s7
	v_mad_i64_i32 v[130:131], null, v145, s14, 0
	v_mad_i64_i32 v[132:133], null, v145, s9, 0
	s_mul_hi_u32 s2, s0, s7
	s_mul_i32 s0, s0, s7
	s_add_i32 s1, s2, s1
	s_lshl_b64 s[0:1], s[0:1], 3
	v_lshlrev_b64 v[130:131], 3, v[130:131]
	v_lshlrev_b64 v[132:133], 3, v[132:133]
	s_add_u32 s16, s18, s0
	s_addc_u32 s15, s19, s1
	v_cmp_gt_i32_e64 s0, s12, v0
	v_add_co_u32 v148, vcc_lo, s20, v130
	v_add_co_ci_u32_e64 v149, null, s21, v131, vcc_lo
	v_add_co_u32 v146, vcc_lo, s16, v132
	v_add_co_ci_u32_e64 v147, null, s15, v133, vcc_lo
	s_and_b32 s2, s0, s8
	s_and_saveexec_b32 s1, s2
	s_cbranch_execz .LBB160_56
; %bb.52:
	s_andn2_b32 vcc_lo, exec_lo, s26
	s_cbranch_vccnz .LBB160_54
; %bb.53:
	v_lshlrev_b64 v[130:131], 3, v[0:1]
	v_add_co_u32 v130, vcc_lo, v148, v130
	v_add_co_ci_u32_e64 v131, null, v149, v131, vcc_lo
	global_load_dwordx2 v[130:131], v[130:131], off
	s_waitcnt vmcnt(0)
	v_mul_f64 v[130:131], s[10:11], v[130:131]
	v_cvt_f32_f64_e32 v130, v[130:131]
	s_branch .LBB160_55
.LBB160_54:
	v_mov_b32_e32 v130, 0
.LBB160_55:
	v_add_f64 v[131:132], v[70:71], v[126:127]
	v_add_f64 v[133:134], v[72:73], v[128:129]
	;; [unrolled: 1-line block ×4, first 2 shown]
	v_cvt_f32_f64_e32 v131, v[131:132]
	v_cvt_f32_f64_e32 v132, v[133:134]
	;; [unrolled: 1-line block ×4, first 2 shown]
	v_min3_f32 v131, v131, v132, v224
	v_min_f32_e32 v132, v133, v134
	v_min3_f32 v130, v130, v132, v131
	v_lshlrev_b64 v[132:133], 3, v[0:1]
	v_cvt_f64_f32_e32 v[130:131], v130
	v_add_co_u32 v132, vcc_lo, v146, v132
	v_add_co_ci_u32_e64 v133, null, v147, v133, vcc_lo
	global_store_dwordx2 v[132:133], v[130:131], off
.LBB160_56:
	s_or_b32 exec_lo, exec_lo, s1
	v_add_nc_u32_e32 v130, 32, v0
	v_cmp_gt_i32_e64 s1, s12, v130
	v_ashrrev_i32_e32 v131, 31, v130
	s_and_b32 s3, s1, s8
	s_and_saveexec_b32 s2, s3
	s_cbranch_execz .LBB160_61
; %bb.57:
	v_cmp_ne_u32_e32 vcc_lo, 1, v144
	s_cbranch_vccnz .LBB160_59
; %bb.58:
	v_lshlrev_b64 v[132:133], 3, v[130:131]
	v_add_co_u32 v132, vcc_lo, v148, v132
	v_add_co_ci_u32_e64 v133, null, v149, v133, vcc_lo
	global_load_dwordx2 v[132:133], v[132:133], off
	s_waitcnt vmcnt(0)
	v_mul_f64 v[132:133], s[10:11], v[132:133]
	v_cvt_f32_f64_e32 v132, v[132:133]
	s_branch .LBB160_60
.LBB160_59:
	v_mov_b32_e32 v132, 0
.LBB160_60:
	v_add_f64 v[133:134], v[62:63], v[126:127]
	v_add_f64 v[135:136], v[64:65], v[128:129]
	v_add_f64 v[137:138], v[58:59], v[122:123]
	v_add_f64 v[139:140], v[60:61], v[124:125]
	v_cvt_f32_f64_e32 v133, v[133:134]
	v_cvt_f32_f64_e32 v134, v[135:136]
	v_cvt_f32_f64_e32 v135, v[137:138]
	v_cvt_f32_f64_e32 v136, v[139:140]
	v_min3_f32 v133, v133, v134, v223
	v_min_f32_e32 v134, v135, v136
	v_min3_f32 v132, v132, v134, v133
	v_lshlrev_b64 v[134:135], 3, v[130:131]
	v_cvt_f64_f32_e32 v[132:133], v132
	v_add_co_u32 v134, vcc_lo, v146, v134
	v_add_co_ci_u32_e64 v135, null, v147, v135, vcc_lo
	global_store_dwordx2 v[134:135], v[132:133], off
.LBB160_61:
	s_or_b32 exec_lo, exec_lo, s2
	v_add_nc_u32_e32 v132, 64, v0
	v_cmp_gt_i32_e64 s2, s12, v132
	v_ashrrev_i32_e32 v133, 31, v132
	s_and_b32 s4, s2, s8
	s_and_saveexec_b32 s3, s4
	s_cbranch_execz .LBB160_66
; %bb.62:
	v_cmp_ne_u32_e32 vcc_lo, 1, v144
	s_cbranch_vccnz .LBB160_64
; %bb.63:
	v_lshlrev_b64 v[134:135], 3, v[132:133]
	v_add_co_u32 v134, vcc_lo, v148, v134
	v_add_co_ci_u32_e64 v135, null, v149, v135, vcc_lo
	global_load_dwordx2 v[134:135], v[134:135], off
	s_waitcnt vmcnt(0)
	v_mul_f64 v[134:135], s[10:11], v[134:135]
	v_cvt_f32_f64_e32 v134, v[134:135]
	s_branch .LBB160_65
.LBB160_64:
	v_mov_b32_e32 v134, 0
.LBB160_65:
	v_add_f64 v[135:136], v[54:55], v[126:127]
	v_add_f64 v[137:138], v[56:57], v[128:129]
	v_add_f64 v[139:140], v[50:51], v[122:123]
	v_add_f64 v[141:142], v[52:53], v[124:125]
	v_cvt_f32_f64_e32 v135, v[135:136]
	v_cvt_f32_f64_e32 v136, v[137:138]
	v_cvt_f32_f64_e32 v137, v[139:140]
	v_cvt_f32_f64_e32 v138, v[141:142]
	v_min3_f32 v135, v135, v136, v222
	v_min_f32_e32 v136, v137, v138
	v_min3_f32 v134, v134, v136, v135
	v_lshlrev_b64 v[136:137], 3, v[132:133]
	v_cvt_f64_f32_e32 v[134:135], v134
	v_add_co_u32 v136, vcc_lo, v146, v136
	v_add_co_ci_u32_e64 v137, null, v147, v137, vcc_lo
	global_store_dwordx2 v[136:137], v[134:135], off
.LBB160_66:
	;; [unrolled: 39-line block ×5, first 2 shown]
	s_or_b32 exec_lo, exec_lo, s6
	v_add_nc_u32_e32 v140, 0xc0, v0
	v_cmp_gt_i32_e64 s6, s12, v140
	v_ashrrev_i32_e32 v141, 31, v140
	s_and_b32 s17, s6, s8
	s_and_saveexec_b32 s7, s17
	s_cbranch_execz .LBB160_86
; %bb.82:
	v_cmp_ne_u32_e32 vcc_lo, 1, v144
	s_cbranch_vccnz .LBB160_84
; %bb.83:
	v_lshlrev_b64 v[142:143], 3, v[140:141]
	v_add_co_u32 v142, vcc_lo, v148, v142
	v_add_co_ci_u32_e64 v143, null, v149, v143, vcc_lo
	global_load_dwordx2 v[142:143], v[142:143], off
	s_waitcnt vmcnt(0)
	v_mul_f64 v[142:143], s[10:11], v[142:143]
	v_cvt_f32_f64_e32 v142, v[142:143]
	s_branch .LBB160_85
.LBB160_84:
	v_mov_b32_e32 v142, 0
.LBB160_85:
	v_add_f64 v[173:174], v[22:23], v[126:127]
	v_add_f64 v[175:176], v[24:25], v[128:129]
	;; [unrolled: 1-line block ×4, first 2 shown]
	v_cvt_f32_f64_e32 v143, v[173:174]
	v_cvt_f32_f64_e32 v150, v[175:176]
	;; [unrolled: 1-line block ×4, first 2 shown]
	v_min3_f32 v143, v143, v150, v218
	v_min_f32_e32 v150, v173, v174
	v_lshlrev_b64 v[173:174], 3, v[140:141]
	v_min3_f32 v142, v142, v150, v143
	v_add_co_u32 v173, vcc_lo, v146, v173
	v_add_co_ci_u32_e64 v174, null, v147, v174, vcc_lo
	v_cvt_f64_f32_e32 v[142:143], v142
	global_store_dwordx2 v[173:174], v[142:143], off
.LBB160_86:
	s_or_b32 exec_lo, exec_lo, s7
	v_add_nc_u32_e32 v142, 0xe0, v0
	v_cmp_gt_i32_e64 s7, s12, v142
	v_ashrrev_i32_e32 v143, 31, v142
	s_and_b32 s12, s7, s8
	s_and_saveexec_b32 s8, s12
	s_cbranch_execz .LBB160_91
; %bb.87:
	v_cmp_ne_u32_e32 vcc_lo, 1, v144
	s_cbranch_vccnz .LBB160_89
; %bb.88:
	v_lshlrev_b64 v[173:174], 3, v[142:143]
	v_add_co_u32 v148, vcc_lo, v148, v173
	v_add_co_ci_u32_e64 v149, null, v149, v174, vcc_lo
	global_load_dwordx2 v[148:149], v[148:149], off
	s_waitcnt vmcnt(0)
	v_mul_f64 v[148:149], s[10:11], v[148:149]
	v_cvt_f32_f64_e32 v148, v[148:149]
	s_branch .LBB160_90
.LBB160_89:
	v_mov_b32_e32 v148, 0
.LBB160_90:
	v_add_f64 v[126:127], v[6:7], v[126:127]
	v_add_f64 v[128:129], v[8:9], v[128:129]
	;; [unrolled: 1-line block ×4, first 2 shown]
	v_cvt_f32_f64_e32 v126, v[126:127]
	v_cvt_f32_f64_e32 v127, v[128:129]
	;; [unrolled: 1-line block ×4, first 2 shown]
	v_min3_f32 v124, v126, v127, v217
	v_min_f32_e32 v122, v122, v123
	v_min3_f32 v122, v148, v122, v124
	v_lshlrev_b64 v[124:125], 3, v[142:143]
	v_cvt_f64_f32_e32 v[122:123], v122
	v_add_co_u32 v124, vcc_lo, v146, v124
	v_add_co_ci_u32_e64 v125, null, v147, v125, vcc_lo
	global_store_dwordx2 v[124:125], v[122:123], off
.LBB160_91:
	s_or_b32 exec_lo, exec_lo, s8
	v_add_nc_u32_e32 v126, 8, v145
	v_mad_i64_i32 v[122:123], null, v126, s14, 0
	v_mad_i64_i32 v[124:125], null, v126, s9, 0
	v_cmp_gt_i32_e64 s8, s13, v126
	v_lshlrev_b64 v[122:123], 3, v[122:123]
	s_and_b32 s17, s0, s8
	v_lshlrev_b64 v[126:127], 3, v[124:125]
	v_add_co_u32 v124, vcc_lo, s20, v122
	v_add_co_ci_u32_e64 v125, null, s21, v123, vcc_lo
	v_add_co_u32 v122, vcc_lo, s16, v126
	v_add_co_ci_u32_e64 v123, null, s15, v127, vcc_lo
	s_and_saveexec_b32 s12, s17
	s_cbranch_execnz .LBB160_99
; %bb.92:
	s_or_b32 exec_lo, exec_lo, s12
	s_and_b32 s17, s1, s8
	s_and_saveexec_b32 s12, s17
	s_cbranch_execnz .LBB160_103
.LBB160_93:
	s_or_b32 exec_lo, exec_lo, s12
	s_and_b32 s17, s2, s8
	s_and_saveexec_b32 s12, s17
	s_cbranch_execnz .LBB160_107
.LBB160_94:
	s_or_b32 exec_lo, exec_lo, s12
	s_and_b32 s17, s3, s8
	s_and_saveexec_b32 s12, s17
	s_cbranch_execnz .LBB160_111
.LBB160_95:
	s_or_b32 exec_lo, exec_lo, s12
	s_and_b32 s17, s4, s8
	s_and_saveexec_b32 s12, s17
	s_cbranch_execnz .LBB160_115
.LBB160_96:
	s_or_b32 exec_lo, exec_lo, s12
	s_and_b32 s17, s5, s8
	s_and_saveexec_b32 s12, s17
	s_cbranch_execnz .LBB160_119
.LBB160_97:
	s_or_b32 exec_lo, exec_lo, s12
	s_and_b32 s17, s6, s8
	s_and_saveexec_b32 s12, s17
	s_cbranch_execnz .LBB160_123
.LBB160_98:
	s_or_b32 exec_lo, exec_lo, s12
	s_and_b32 s12, s7, s8
	s_and_saveexec_b32 s8, s12
	s_cbranch_execnz .LBB160_127
	s_branch .LBB160_131
.LBB160_99:
	v_cmp_ne_u32_e32 vcc_lo, 1, v144
	s_cbranch_vccnz .LBB160_101
; %bb.100:
	v_lshlrev_b64 v[126:127], 3, v[0:1]
	v_add_co_u32 v126, vcc_lo, v124, v126
	v_add_co_ci_u32_e64 v127, null, v125, v127, vcc_lo
	global_load_dwordx2 v[126:127], v[126:127], off
	s_waitcnt vmcnt(0)
	v_mul_f64 v[126:127], s[10:11], v[126:127]
	v_cvt_f32_f64_e32 v126, v[126:127]
	s_branch .LBB160_102
.LBB160_101:
	v_mov_b32_e32 v126, 0
.LBB160_102:
	v_add_f64 v[127:128], v[70:71], v[118:119]
	v_add_f64 v[146:147], v[72:73], v[120:121]
	;; [unrolled: 1-line block ×4, first 2 shown]
	v_cvt_f32_f64_e32 v127, v[127:128]
	v_cvt_f32_f64_e32 v128, v[146:147]
	;; [unrolled: 1-line block ×4, first 2 shown]
	v_min3_f32 v127, v127, v128, v216
	v_min_f32_e32 v128, v129, v146
	v_min3_f32 v126, v126, v128, v127
	v_lshlrev_b64 v[128:129], 3, v[0:1]
	v_cvt_f64_f32_e32 v[126:127], v126
	v_add_co_u32 v128, vcc_lo, v122, v128
	v_add_co_ci_u32_e64 v129, null, v123, v129, vcc_lo
	global_store_dwordx2 v[128:129], v[126:127], off
	s_or_b32 exec_lo, exec_lo, s12
	s_and_b32 s17, s1, s8
	s_and_saveexec_b32 s12, s17
	s_cbranch_execz .LBB160_93
.LBB160_103:
	v_cmp_ne_u32_e32 vcc_lo, 1, v144
	s_cbranch_vccnz .LBB160_105
; %bb.104:
	v_lshlrev_b64 v[126:127], 3, v[130:131]
	v_add_co_u32 v126, vcc_lo, v124, v126
	v_add_co_ci_u32_e64 v127, null, v125, v127, vcc_lo
	global_load_dwordx2 v[126:127], v[126:127], off
	s_waitcnt vmcnt(0)
	v_mul_f64 v[126:127], s[10:11], v[126:127]
	v_cvt_f32_f64_e32 v126, v[126:127]
	s_branch .LBB160_106
.LBB160_105:
	v_mov_b32_e32 v126, 0
.LBB160_106:
	v_add_f64 v[127:128], v[62:63], v[118:119]
	v_add_f64 v[146:147], v[64:65], v[120:121]
	;; [unrolled: 1-line block ×4, first 2 shown]
	v_cvt_f32_f64_e32 v127, v[127:128]
	v_cvt_f32_f64_e32 v128, v[146:147]
	;; [unrolled: 1-line block ×4, first 2 shown]
	v_min3_f32 v127, v127, v128, v215
	v_min_f32_e32 v128, v129, v146
	v_min3_f32 v126, v126, v128, v127
	v_lshlrev_b64 v[128:129], 3, v[130:131]
	v_cvt_f64_f32_e32 v[126:127], v126
	v_add_co_u32 v128, vcc_lo, v122, v128
	v_add_co_ci_u32_e64 v129, null, v123, v129, vcc_lo
	global_store_dwordx2 v[128:129], v[126:127], off
	s_or_b32 exec_lo, exec_lo, s12
	s_and_b32 s17, s2, s8
	s_and_saveexec_b32 s12, s17
	s_cbranch_execz .LBB160_94
.LBB160_107:
	v_cmp_ne_u32_e32 vcc_lo, 1, v144
	s_cbranch_vccnz .LBB160_109
; %bb.108:
	v_lshlrev_b64 v[126:127], 3, v[132:133]
	v_add_co_u32 v126, vcc_lo, v124, v126
	v_add_co_ci_u32_e64 v127, null, v125, v127, vcc_lo
	global_load_dwordx2 v[126:127], v[126:127], off
	s_waitcnt vmcnt(0)
	v_mul_f64 v[126:127], s[10:11], v[126:127]
	v_cvt_f32_f64_e32 v126, v[126:127]
	s_branch .LBB160_110
.LBB160_109:
	v_mov_b32_e32 v126, 0
.LBB160_110:
	v_add_f64 v[127:128], v[54:55], v[118:119]
	v_add_f64 v[146:147], v[56:57], v[120:121]
	;; [unrolled: 1-line block ×4, first 2 shown]
	v_cvt_f32_f64_e32 v127, v[127:128]
	v_cvt_f32_f64_e32 v128, v[146:147]
	;; [unrolled: 1-line block ×4, first 2 shown]
	v_min3_f32 v127, v127, v128, v214
	v_min_f32_e32 v128, v129, v146
	v_min3_f32 v126, v126, v128, v127
	v_lshlrev_b64 v[128:129], 3, v[132:133]
	v_cvt_f64_f32_e32 v[126:127], v126
	v_add_co_u32 v128, vcc_lo, v122, v128
	v_add_co_ci_u32_e64 v129, null, v123, v129, vcc_lo
	global_store_dwordx2 v[128:129], v[126:127], off
	s_or_b32 exec_lo, exec_lo, s12
	s_and_b32 s17, s3, s8
	s_and_saveexec_b32 s12, s17
	s_cbranch_execz .LBB160_95
.LBB160_111:
	v_cmp_ne_u32_e32 vcc_lo, 1, v144
	s_cbranch_vccnz .LBB160_113
; %bb.112:
	v_lshlrev_b64 v[126:127], 3, v[134:135]
	v_add_co_u32 v126, vcc_lo, v124, v126
	v_add_co_ci_u32_e64 v127, null, v125, v127, vcc_lo
	global_load_dwordx2 v[126:127], v[126:127], off
	s_waitcnt vmcnt(0)
	v_mul_f64 v[126:127], s[10:11], v[126:127]
	v_cvt_f32_f64_e32 v126, v[126:127]
	s_branch .LBB160_114
.LBB160_113:
	v_mov_b32_e32 v126, 0
.LBB160_114:
	v_add_f64 v[127:128], v[46:47], v[118:119]
	v_add_f64 v[146:147], v[48:49], v[120:121]
	;; [unrolled: 1-line block ×4, first 2 shown]
	v_cvt_f32_f64_e32 v127, v[127:128]
	v_cvt_f32_f64_e32 v128, v[146:147]
	;; [unrolled: 1-line block ×4, first 2 shown]
	v_min3_f32 v127, v127, v128, v213
	v_min_f32_e32 v128, v129, v146
	v_min3_f32 v126, v126, v128, v127
	v_lshlrev_b64 v[128:129], 3, v[134:135]
	v_cvt_f64_f32_e32 v[126:127], v126
	v_add_co_u32 v128, vcc_lo, v122, v128
	v_add_co_ci_u32_e64 v129, null, v123, v129, vcc_lo
	global_store_dwordx2 v[128:129], v[126:127], off
	s_or_b32 exec_lo, exec_lo, s12
	s_and_b32 s17, s4, s8
	s_and_saveexec_b32 s12, s17
	s_cbranch_execz .LBB160_96
.LBB160_115:
	v_cmp_ne_u32_e32 vcc_lo, 1, v144
	s_cbranch_vccnz .LBB160_117
; %bb.116:
	v_lshlrev_b64 v[126:127], 3, v[136:137]
	v_add_co_u32 v126, vcc_lo, v124, v126
	v_add_co_ci_u32_e64 v127, null, v125, v127, vcc_lo
	global_load_dwordx2 v[126:127], v[126:127], off
	s_waitcnt vmcnt(0)
	v_mul_f64 v[126:127], s[10:11], v[126:127]
	v_cvt_f32_f64_e32 v126, v[126:127]
	s_branch .LBB160_118
.LBB160_117:
	v_mov_b32_e32 v126, 0
.LBB160_118:
	v_add_f64 v[127:128], v[38:39], v[118:119]
	v_add_f64 v[146:147], v[40:41], v[120:121]
	;; [unrolled: 1-line block ×4, first 2 shown]
	v_cvt_f32_f64_e32 v127, v[127:128]
	v_cvt_f32_f64_e32 v128, v[146:147]
	;; [unrolled: 1-line block ×4, first 2 shown]
	v_min3_f32 v127, v127, v128, v212
	v_min_f32_e32 v128, v129, v146
	v_min3_f32 v126, v126, v128, v127
	v_lshlrev_b64 v[128:129], 3, v[136:137]
	v_cvt_f64_f32_e32 v[126:127], v126
	v_add_co_u32 v128, vcc_lo, v122, v128
	v_add_co_ci_u32_e64 v129, null, v123, v129, vcc_lo
	global_store_dwordx2 v[128:129], v[126:127], off
	s_or_b32 exec_lo, exec_lo, s12
	s_and_b32 s17, s5, s8
	s_and_saveexec_b32 s12, s17
	s_cbranch_execz .LBB160_97
.LBB160_119:
	v_cmp_ne_u32_e32 vcc_lo, 1, v144
	s_cbranch_vccnz .LBB160_121
; %bb.120:
	v_lshlrev_b64 v[126:127], 3, v[138:139]
	v_add_co_u32 v126, vcc_lo, v124, v126
	v_add_co_ci_u32_e64 v127, null, v125, v127, vcc_lo
	global_load_dwordx2 v[126:127], v[126:127], off
	s_waitcnt vmcnt(0)
	v_mul_f64 v[126:127], s[10:11], v[126:127]
	v_cvt_f32_f64_e32 v126, v[126:127]
	s_branch .LBB160_122
.LBB160_121:
	v_mov_b32_e32 v126, 0
.LBB160_122:
	v_add_f64 v[127:128], v[30:31], v[118:119]
	v_add_f64 v[146:147], v[32:33], v[120:121]
	;; [unrolled: 1-line block ×4, first 2 shown]
	v_cvt_f32_f64_e32 v127, v[127:128]
	v_cvt_f32_f64_e32 v128, v[146:147]
	;; [unrolled: 1-line block ×4, first 2 shown]
	v_min3_f32 v127, v127, v128, v211
	v_min_f32_e32 v128, v129, v146
	v_min3_f32 v126, v126, v128, v127
	v_lshlrev_b64 v[128:129], 3, v[138:139]
	v_cvt_f64_f32_e32 v[126:127], v126
	v_add_co_u32 v128, vcc_lo, v122, v128
	v_add_co_ci_u32_e64 v129, null, v123, v129, vcc_lo
	global_store_dwordx2 v[128:129], v[126:127], off
	s_or_b32 exec_lo, exec_lo, s12
	s_and_b32 s17, s6, s8
	s_and_saveexec_b32 s12, s17
	s_cbranch_execz .LBB160_98
.LBB160_123:
	v_cmp_ne_u32_e32 vcc_lo, 1, v144
	s_cbranch_vccnz .LBB160_125
; %bb.124:
	v_lshlrev_b64 v[126:127], 3, v[140:141]
	v_add_co_u32 v126, vcc_lo, v124, v126
	v_add_co_ci_u32_e64 v127, null, v125, v127, vcc_lo
	global_load_dwordx2 v[126:127], v[126:127], off
	s_waitcnt vmcnt(0)
	v_mul_f64 v[126:127], s[10:11], v[126:127]
	v_cvt_f32_f64_e32 v126, v[126:127]
	s_branch .LBB160_126
.LBB160_125:
	v_mov_b32_e32 v126, 0
.LBB160_126:
	v_add_f64 v[127:128], v[22:23], v[118:119]
	v_add_f64 v[146:147], v[24:25], v[120:121]
	;; [unrolled: 1-line block ×4, first 2 shown]
	v_cvt_f32_f64_e32 v127, v[127:128]
	v_cvt_f32_f64_e32 v128, v[146:147]
	;; [unrolled: 1-line block ×4, first 2 shown]
	v_min3_f32 v127, v127, v128, v210
	v_min_f32_e32 v128, v129, v146
	v_min3_f32 v126, v126, v128, v127
	v_lshlrev_b64 v[128:129], 3, v[140:141]
	v_cvt_f64_f32_e32 v[126:127], v126
	v_add_co_u32 v128, vcc_lo, v122, v128
	v_add_co_ci_u32_e64 v129, null, v123, v129, vcc_lo
	global_store_dwordx2 v[128:129], v[126:127], off
	s_or_b32 exec_lo, exec_lo, s12
	s_and_b32 s12, s7, s8
	s_and_saveexec_b32 s8, s12
	s_cbranch_execz .LBB160_131
.LBB160_127:
	v_cmp_ne_u32_e32 vcc_lo, 1, v144
	s_cbranch_vccnz .LBB160_129
; %bb.128:
	v_lshlrev_b64 v[126:127], 3, v[142:143]
	v_add_co_u32 v124, vcc_lo, v124, v126
	v_add_co_ci_u32_e64 v125, null, v125, v127, vcc_lo
	global_load_dwordx2 v[124:125], v[124:125], off
	s_waitcnt vmcnt(0)
	v_mul_f64 v[124:125], s[10:11], v[124:125]
	v_cvt_f32_f64_e32 v124, v[124:125]
	s_branch .LBB160_130
.LBB160_129:
	v_mov_b32_e32 v124, 0
.LBB160_130:
	v_add_f64 v[118:119], v[6:7], v[118:119]
	v_add_f64 v[120:121], v[8:9], v[120:121]
	;; [unrolled: 1-line block ×4, first 2 shown]
	v_cvt_f32_f64_e32 v118, v[118:119]
	v_cvt_f32_f64_e32 v119, v[120:121]
	;; [unrolled: 1-line block ×4, first 2 shown]
	v_min3_f32 v116, v118, v119, v209
	v_min_f32_e32 v114, v114, v115
	v_min3_f32 v114, v124, v114, v116
	v_lshlrev_b64 v[116:117], 3, v[142:143]
	v_cvt_f64_f32_e32 v[114:115], v114
	v_add_co_u32 v116, vcc_lo, v122, v116
	v_add_co_ci_u32_e64 v117, null, v123, v117, vcc_lo
	global_store_dwordx2 v[116:117], v[114:115], off
.LBB160_131:
	s_or_b32 exec_lo, exec_lo, s8
	v_add_nc_u32_e32 v118, 16, v145
	v_mad_i64_i32 v[114:115], null, v118, s14, 0
	v_mad_i64_i32 v[116:117], null, v118, s9, 0
	v_cmp_gt_i32_e64 s8, s13, v118
	v_lshlrev_b64 v[114:115], 3, v[114:115]
	s_and_b32 s17, s0, s8
	v_lshlrev_b64 v[118:119], 3, v[116:117]
	v_add_co_u32 v116, vcc_lo, s20, v114
	v_add_co_ci_u32_e64 v117, null, s21, v115, vcc_lo
	v_add_co_u32 v114, vcc_lo, s16, v118
	v_add_co_ci_u32_e64 v115, null, s15, v119, vcc_lo
	s_and_saveexec_b32 s12, s17
	s_cbranch_execnz .LBB160_139
; %bb.132:
	s_or_b32 exec_lo, exec_lo, s12
	s_and_b32 s17, s1, s8
	s_and_saveexec_b32 s12, s17
	s_cbranch_execnz .LBB160_143
.LBB160_133:
	s_or_b32 exec_lo, exec_lo, s12
	s_and_b32 s17, s2, s8
	s_and_saveexec_b32 s12, s17
	s_cbranch_execnz .LBB160_147
.LBB160_134:
	s_or_b32 exec_lo, exec_lo, s12
	s_and_b32 s17, s3, s8
	s_and_saveexec_b32 s12, s17
	s_cbranch_execnz .LBB160_151
.LBB160_135:
	s_or_b32 exec_lo, exec_lo, s12
	s_and_b32 s17, s4, s8
	s_and_saveexec_b32 s12, s17
	s_cbranch_execnz .LBB160_155
.LBB160_136:
	s_or_b32 exec_lo, exec_lo, s12
	s_and_b32 s17, s5, s8
	s_and_saveexec_b32 s12, s17
	s_cbranch_execnz .LBB160_159
.LBB160_137:
	s_or_b32 exec_lo, exec_lo, s12
	s_and_b32 s17, s6, s8
	s_and_saveexec_b32 s12, s17
	s_cbranch_execnz .LBB160_163
.LBB160_138:
	s_or_b32 exec_lo, exec_lo, s12
	s_and_b32 s12, s7, s8
	s_and_saveexec_b32 s8, s12
	s_cbranch_execnz .LBB160_167
	s_branch .LBB160_171
.LBB160_139:
	v_cmp_ne_u32_e32 vcc_lo, 1, v144
	s_cbranch_vccnz .LBB160_141
; %bb.140:
	v_lshlrev_b64 v[118:119], 3, v[0:1]
	v_add_co_u32 v118, vcc_lo, v116, v118
	v_add_co_ci_u32_e64 v119, null, v117, v119, vcc_lo
	global_load_dwordx2 v[118:119], v[118:119], off
	s_waitcnt vmcnt(0)
	v_mul_f64 v[118:119], s[10:11], v[118:119]
	v_cvt_f32_f64_e32 v118, v[118:119]
	s_branch .LBB160_142
.LBB160_141:
	v_mov_b32_e32 v118, 0
.LBB160_142:
	v_add_f64 v[119:120], v[70:71], v[110:111]
	v_add_f64 v[121:122], v[72:73], v[112:113]
	;; [unrolled: 1-line block ×4, first 2 shown]
	v_cvt_f32_f64_e32 v119, v[119:120]
	v_cvt_f32_f64_e32 v120, v[121:122]
	;; [unrolled: 1-line block ×4, first 2 shown]
	v_min3_f32 v119, v119, v120, v208
	v_min_f32_e32 v120, v121, v122
	v_min3_f32 v118, v118, v120, v119
	v_lshlrev_b64 v[120:121], 3, v[0:1]
	v_cvt_f64_f32_e32 v[118:119], v118
	v_add_co_u32 v120, vcc_lo, v114, v120
	v_add_co_ci_u32_e64 v121, null, v115, v121, vcc_lo
	global_store_dwordx2 v[120:121], v[118:119], off
	s_or_b32 exec_lo, exec_lo, s12
	s_and_b32 s17, s1, s8
	s_and_saveexec_b32 s12, s17
	s_cbranch_execz .LBB160_133
.LBB160_143:
	v_cmp_ne_u32_e32 vcc_lo, 1, v144
	s_cbranch_vccnz .LBB160_145
; %bb.144:
	v_lshlrev_b64 v[118:119], 3, v[130:131]
	v_add_co_u32 v118, vcc_lo, v116, v118
	v_add_co_ci_u32_e64 v119, null, v117, v119, vcc_lo
	global_load_dwordx2 v[118:119], v[118:119], off
	s_waitcnt vmcnt(0)
	v_mul_f64 v[118:119], s[10:11], v[118:119]
	v_cvt_f32_f64_e32 v118, v[118:119]
	s_branch .LBB160_146
.LBB160_145:
	v_mov_b32_e32 v118, 0
.LBB160_146:
	v_add_f64 v[119:120], v[62:63], v[110:111]
	v_add_f64 v[121:122], v[64:65], v[112:113]
	;; [unrolled: 1-line block ×4, first 2 shown]
	v_cvt_f32_f64_e32 v119, v[119:120]
	v_cvt_f32_f64_e32 v120, v[121:122]
	;; [unrolled: 1-line block ×4, first 2 shown]
	v_min3_f32 v119, v119, v120, v207
	v_min_f32_e32 v120, v121, v122
	v_min3_f32 v118, v118, v120, v119
	v_lshlrev_b64 v[120:121], 3, v[130:131]
	v_cvt_f64_f32_e32 v[118:119], v118
	v_add_co_u32 v120, vcc_lo, v114, v120
	v_add_co_ci_u32_e64 v121, null, v115, v121, vcc_lo
	global_store_dwordx2 v[120:121], v[118:119], off
	s_or_b32 exec_lo, exec_lo, s12
	s_and_b32 s17, s2, s8
	s_and_saveexec_b32 s12, s17
	s_cbranch_execz .LBB160_134
.LBB160_147:
	v_cmp_ne_u32_e32 vcc_lo, 1, v144
	s_cbranch_vccnz .LBB160_149
; %bb.148:
	v_lshlrev_b64 v[118:119], 3, v[132:133]
	v_add_co_u32 v118, vcc_lo, v116, v118
	v_add_co_ci_u32_e64 v119, null, v117, v119, vcc_lo
	global_load_dwordx2 v[118:119], v[118:119], off
	s_waitcnt vmcnt(0)
	v_mul_f64 v[118:119], s[10:11], v[118:119]
	v_cvt_f32_f64_e32 v118, v[118:119]
	s_branch .LBB160_150
.LBB160_149:
	v_mov_b32_e32 v118, 0
.LBB160_150:
	v_add_f64 v[119:120], v[54:55], v[110:111]
	v_add_f64 v[121:122], v[56:57], v[112:113]
	;; [unrolled: 1-line block ×4, first 2 shown]
	v_cvt_f32_f64_e32 v119, v[119:120]
	v_cvt_f32_f64_e32 v120, v[121:122]
	;; [unrolled: 1-line block ×4, first 2 shown]
	v_min3_f32 v119, v119, v120, v206
	v_min_f32_e32 v120, v121, v122
	v_min3_f32 v118, v118, v120, v119
	v_lshlrev_b64 v[120:121], 3, v[132:133]
	v_cvt_f64_f32_e32 v[118:119], v118
	v_add_co_u32 v120, vcc_lo, v114, v120
	v_add_co_ci_u32_e64 v121, null, v115, v121, vcc_lo
	global_store_dwordx2 v[120:121], v[118:119], off
	s_or_b32 exec_lo, exec_lo, s12
	s_and_b32 s17, s3, s8
	s_and_saveexec_b32 s12, s17
	s_cbranch_execz .LBB160_135
.LBB160_151:
	v_cmp_ne_u32_e32 vcc_lo, 1, v144
	s_cbranch_vccnz .LBB160_153
; %bb.152:
	v_lshlrev_b64 v[118:119], 3, v[134:135]
	v_add_co_u32 v118, vcc_lo, v116, v118
	v_add_co_ci_u32_e64 v119, null, v117, v119, vcc_lo
	global_load_dwordx2 v[118:119], v[118:119], off
	s_waitcnt vmcnt(0)
	v_mul_f64 v[118:119], s[10:11], v[118:119]
	v_cvt_f32_f64_e32 v118, v[118:119]
	s_branch .LBB160_154
.LBB160_153:
	v_mov_b32_e32 v118, 0
.LBB160_154:
	v_add_f64 v[119:120], v[46:47], v[110:111]
	v_add_f64 v[121:122], v[48:49], v[112:113]
	;; [unrolled: 1-line block ×4, first 2 shown]
	v_cvt_f32_f64_e32 v119, v[119:120]
	v_cvt_f32_f64_e32 v120, v[121:122]
	;; [unrolled: 1-line block ×4, first 2 shown]
	v_min3_f32 v119, v119, v120, v205
	v_min_f32_e32 v120, v121, v122
	v_min3_f32 v118, v118, v120, v119
	v_lshlrev_b64 v[120:121], 3, v[134:135]
	v_cvt_f64_f32_e32 v[118:119], v118
	v_add_co_u32 v120, vcc_lo, v114, v120
	v_add_co_ci_u32_e64 v121, null, v115, v121, vcc_lo
	global_store_dwordx2 v[120:121], v[118:119], off
	s_or_b32 exec_lo, exec_lo, s12
	s_and_b32 s17, s4, s8
	s_and_saveexec_b32 s12, s17
	s_cbranch_execz .LBB160_136
.LBB160_155:
	v_cmp_ne_u32_e32 vcc_lo, 1, v144
	s_cbranch_vccnz .LBB160_157
; %bb.156:
	v_lshlrev_b64 v[118:119], 3, v[136:137]
	v_add_co_u32 v118, vcc_lo, v116, v118
	v_add_co_ci_u32_e64 v119, null, v117, v119, vcc_lo
	global_load_dwordx2 v[118:119], v[118:119], off
	s_waitcnt vmcnt(0)
	v_mul_f64 v[118:119], s[10:11], v[118:119]
	v_cvt_f32_f64_e32 v118, v[118:119]
	s_branch .LBB160_158
.LBB160_157:
	v_mov_b32_e32 v118, 0
.LBB160_158:
	v_add_f64 v[119:120], v[38:39], v[110:111]
	v_add_f64 v[121:122], v[40:41], v[112:113]
	v_add_f64 v[123:124], v[34:35], v[106:107]
	v_add_f64 v[125:126], v[36:37], v[108:109]
	v_cvt_f32_f64_e32 v119, v[119:120]
	v_cvt_f32_f64_e32 v120, v[121:122]
	;; [unrolled: 1-line block ×4, first 2 shown]
	v_min3_f32 v119, v119, v120, v204
	v_min_f32_e32 v120, v121, v122
	v_min3_f32 v118, v118, v120, v119
	v_lshlrev_b64 v[120:121], 3, v[136:137]
	v_cvt_f64_f32_e32 v[118:119], v118
	v_add_co_u32 v120, vcc_lo, v114, v120
	v_add_co_ci_u32_e64 v121, null, v115, v121, vcc_lo
	global_store_dwordx2 v[120:121], v[118:119], off
	s_or_b32 exec_lo, exec_lo, s12
	s_and_b32 s17, s5, s8
	s_and_saveexec_b32 s12, s17
	s_cbranch_execz .LBB160_137
.LBB160_159:
	v_cmp_ne_u32_e32 vcc_lo, 1, v144
	s_cbranch_vccnz .LBB160_161
; %bb.160:
	v_lshlrev_b64 v[118:119], 3, v[138:139]
	v_add_co_u32 v118, vcc_lo, v116, v118
	v_add_co_ci_u32_e64 v119, null, v117, v119, vcc_lo
	global_load_dwordx2 v[118:119], v[118:119], off
	s_waitcnt vmcnt(0)
	v_mul_f64 v[118:119], s[10:11], v[118:119]
	v_cvt_f32_f64_e32 v118, v[118:119]
	s_branch .LBB160_162
.LBB160_161:
	v_mov_b32_e32 v118, 0
.LBB160_162:
	v_add_f64 v[119:120], v[30:31], v[110:111]
	v_add_f64 v[121:122], v[32:33], v[112:113]
	;; [unrolled: 1-line block ×4, first 2 shown]
	v_cvt_f32_f64_e32 v119, v[119:120]
	v_cvt_f32_f64_e32 v120, v[121:122]
	;; [unrolled: 1-line block ×4, first 2 shown]
	v_min3_f32 v119, v119, v120, v203
	v_min_f32_e32 v120, v121, v122
	v_min3_f32 v118, v118, v120, v119
	v_lshlrev_b64 v[120:121], 3, v[138:139]
	v_cvt_f64_f32_e32 v[118:119], v118
	v_add_co_u32 v120, vcc_lo, v114, v120
	v_add_co_ci_u32_e64 v121, null, v115, v121, vcc_lo
	global_store_dwordx2 v[120:121], v[118:119], off
	s_or_b32 exec_lo, exec_lo, s12
	s_and_b32 s17, s6, s8
	s_and_saveexec_b32 s12, s17
	s_cbranch_execz .LBB160_138
.LBB160_163:
	v_cmp_ne_u32_e32 vcc_lo, 1, v144
	s_cbranch_vccnz .LBB160_165
; %bb.164:
	v_lshlrev_b64 v[118:119], 3, v[140:141]
	v_add_co_u32 v118, vcc_lo, v116, v118
	v_add_co_ci_u32_e64 v119, null, v117, v119, vcc_lo
	global_load_dwordx2 v[118:119], v[118:119], off
	s_waitcnt vmcnt(0)
	v_mul_f64 v[118:119], s[10:11], v[118:119]
	v_cvt_f32_f64_e32 v118, v[118:119]
	s_branch .LBB160_166
.LBB160_165:
	v_mov_b32_e32 v118, 0
.LBB160_166:
	v_add_f64 v[119:120], v[22:23], v[110:111]
	v_add_f64 v[121:122], v[24:25], v[112:113]
	;; [unrolled: 1-line block ×4, first 2 shown]
	v_cvt_f32_f64_e32 v119, v[119:120]
	v_cvt_f32_f64_e32 v120, v[121:122]
	;; [unrolled: 1-line block ×4, first 2 shown]
	v_min3_f32 v119, v119, v120, v202
	v_min_f32_e32 v120, v121, v122
	v_min3_f32 v118, v118, v120, v119
	v_lshlrev_b64 v[120:121], 3, v[140:141]
	v_cvt_f64_f32_e32 v[118:119], v118
	v_add_co_u32 v120, vcc_lo, v114, v120
	v_add_co_ci_u32_e64 v121, null, v115, v121, vcc_lo
	global_store_dwordx2 v[120:121], v[118:119], off
	s_or_b32 exec_lo, exec_lo, s12
	s_and_b32 s12, s7, s8
	s_and_saveexec_b32 s8, s12
	s_cbranch_execz .LBB160_171
.LBB160_167:
	v_cmp_ne_u32_e32 vcc_lo, 1, v144
	s_cbranch_vccnz .LBB160_169
; %bb.168:
	v_lshlrev_b64 v[118:119], 3, v[142:143]
	v_add_co_u32 v116, vcc_lo, v116, v118
	v_add_co_ci_u32_e64 v117, null, v117, v119, vcc_lo
	global_load_dwordx2 v[116:117], v[116:117], off
	s_waitcnt vmcnt(0)
	v_mul_f64 v[116:117], s[10:11], v[116:117]
	v_cvt_f32_f64_e32 v116, v[116:117]
	s_branch .LBB160_170
.LBB160_169:
	v_mov_b32_e32 v116, 0
.LBB160_170:
	v_add_f64 v[110:111], v[6:7], v[110:111]
	v_add_f64 v[112:113], v[8:9], v[112:113]
	;; [unrolled: 1-line block ×4, first 2 shown]
	v_cvt_f32_f64_e32 v110, v[110:111]
	v_cvt_f32_f64_e32 v111, v[112:113]
	;; [unrolled: 1-line block ×4, first 2 shown]
	v_min3_f32 v108, v110, v111, v201
	v_min_f32_e32 v106, v106, v107
	v_min3_f32 v106, v116, v106, v108
	v_lshlrev_b64 v[108:109], 3, v[142:143]
	v_cvt_f64_f32_e32 v[106:107], v106
	v_add_co_u32 v108, vcc_lo, v114, v108
	v_add_co_ci_u32_e64 v109, null, v115, v109, vcc_lo
	global_store_dwordx2 v[108:109], v[106:107], off
.LBB160_171:
	s_or_b32 exec_lo, exec_lo, s8
	v_add_nc_u32_e32 v110, 24, v145
	v_mad_i64_i32 v[106:107], null, v110, s14, 0
	v_mad_i64_i32 v[108:109], null, v110, s9, 0
	v_cmp_gt_i32_e64 s8, s13, v110
	v_lshlrev_b64 v[106:107], 3, v[106:107]
	s_and_b32 s17, s0, s8
	v_lshlrev_b64 v[110:111], 3, v[108:109]
	v_add_co_u32 v108, vcc_lo, s20, v106
	v_add_co_ci_u32_e64 v109, null, s21, v107, vcc_lo
	v_add_co_u32 v106, vcc_lo, s16, v110
	v_add_co_ci_u32_e64 v107, null, s15, v111, vcc_lo
	s_and_saveexec_b32 s12, s17
	s_cbranch_execnz .LBB160_179
; %bb.172:
	s_or_b32 exec_lo, exec_lo, s12
	s_and_b32 s17, s1, s8
	s_and_saveexec_b32 s12, s17
	s_cbranch_execnz .LBB160_183
.LBB160_173:
	s_or_b32 exec_lo, exec_lo, s12
	s_and_b32 s17, s2, s8
	s_and_saveexec_b32 s12, s17
	s_cbranch_execnz .LBB160_187
.LBB160_174:
	s_or_b32 exec_lo, exec_lo, s12
	s_and_b32 s17, s3, s8
	s_and_saveexec_b32 s12, s17
	s_cbranch_execnz .LBB160_191
.LBB160_175:
	s_or_b32 exec_lo, exec_lo, s12
	s_and_b32 s17, s4, s8
	s_and_saveexec_b32 s12, s17
	s_cbranch_execnz .LBB160_195
.LBB160_176:
	s_or_b32 exec_lo, exec_lo, s12
	s_and_b32 s17, s5, s8
	s_and_saveexec_b32 s12, s17
	s_cbranch_execnz .LBB160_199
.LBB160_177:
	s_or_b32 exec_lo, exec_lo, s12
	s_and_b32 s17, s6, s8
	s_and_saveexec_b32 s12, s17
	s_cbranch_execnz .LBB160_203
.LBB160_178:
	s_or_b32 exec_lo, exec_lo, s12
	s_and_b32 s12, s7, s8
	s_and_saveexec_b32 s8, s12
	s_cbranch_execnz .LBB160_207
	s_branch .LBB160_211
.LBB160_179:
	v_cmp_ne_u32_e32 vcc_lo, 1, v144
	s_cbranch_vccnz .LBB160_181
; %bb.180:
	v_lshlrev_b64 v[110:111], 3, v[0:1]
	v_add_co_u32 v110, vcc_lo, v108, v110
	v_add_co_ci_u32_e64 v111, null, v109, v111, vcc_lo
	global_load_dwordx2 v[110:111], v[110:111], off
	s_waitcnt vmcnt(0)
	v_mul_f64 v[110:111], s[10:11], v[110:111]
	v_cvt_f32_f64_e32 v110, v[110:111]
	s_branch .LBB160_182
.LBB160_181:
	v_mov_b32_e32 v110, 0
.LBB160_182:
	v_add_f64 v[111:112], v[70:71], v[102:103]
	v_add_f64 v[113:114], v[72:73], v[104:105]
	;; [unrolled: 1-line block ×4, first 2 shown]
	v_cvt_f32_f64_e32 v111, v[111:112]
	v_cvt_f32_f64_e32 v112, v[113:114]
	;; [unrolled: 1-line block ×4, first 2 shown]
	v_min3_f32 v111, v111, v112, v200
	v_min_f32_e32 v112, v113, v114
	v_min3_f32 v110, v110, v112, v111
	v_lshlrev_b64 v[112:113], 3, v[0:1]
	v_cvt_f64_f32_e32 v[110:111], v110
	v_add_co_u32 v112, vcc_lo, v106, v112
	v_add_co_ci_u32_e64 v113, null, v107, v113, vcc_lo
	global_store_dwordx2 v[112:113], v[110:111], off
	s_or_b32 exec_lo, exec_lo, s12
	s_and_b32 s17, s1, s8
	s_and_saveexec_b32 s12, s17
	s_cbranch_execz .LBB160_173
.LBB160_183:
	v_cmp_ne_u32_e32 vcc_lo, 1, v144
	s_cbranch_vccnz .LBB160_185
; %bb.184:
	v_lshlrev_b64 v[110:111], 3, v[130:131]
	v_add_co_u32 v110, vcc_lo, v108, v110
	v_add_co_ci_u32_e64 v111, null, v109, v111, vcc_lo
	global_load_dwordx2 v[110:111], v[110:111], off
	s_waitcnt vmcnt(0)
	v_mul_f64 v[110:111], s[10:11], v[110:111]
	v_cvt_f32_f64_e32 v110, v[110:111]
	s_branch .LBB160_186
.LBB160_185:
	v_mov_b32_e32 v110, 0
.LBB160_186:
	v_add_f64 v[111:112], v[62:63], v[102:103]
	v_add_f64 v[113:114], v[64:65], v[104:105]
	;; [unrolled: 1-line block ×4, first 2 shown]
	v_cvt_f32_f64_e32 v111, v[111:112]
	v_cvt_f32_f64_e32 v112, v[113:114]
	;; [unrolled: 1-line block ×4, first 2 shown]
	v_min3_f32 v111, v111, v112, v199
	v_min_f32_e32 v112, v113, v114
	v_min3_f32 v110, v110, v112, v111
	v_lshlrev_b64 v[112:113], 3, v[130:131]
	v_cvt_f64_f32_e32 v[110:111], v110
	v_add_co_u32 v112, vcc_lo, v106, v112
	v_add_co_ci_u32_e64 v113, null, v107, v113, vcc_lo
	global_store_dwordx2 v[112:113], v[110:111], off
	s_or_b32 exec_lo, exec_lo, s12
	s_and_b32 s17, s2, s8
	s_and_saveexec_b32 s12, s17
	s_cbranch_execz .LBB160_174
.LBB160_187:
	v_cmp_ne_u32_e32 vcc_lo, 1, v144
	s_cbranch_vccnz .LBB160_189
; %bb.188:
	v_lshlrev_b64 v[110:111], 3, v[132:133]
	v_add_co_u32 v110, vcc_lo, v108, v110
	v_add_co_ci_u32_e64 v111, null, v109, v111, vcc_lo
	global_load_dwordx2 v[110:111], v[110:111], off
	s_waitcnt vmcnt(0)
	v_mul_f64 v[110:111], s[10:11], v[110:111]
	v_cvt_f32_f64_e32 v110, v[110:111]
	s_branch .LBB160_190
.LBB160_189:
	v_mov_b32_e32 v110, 0
.LBB160_190:
	v_add_f64 v[111:112], v[54:55], v[102:103]
	v_add_f64 v[113:114], v[56:57], v[104:105]
	;; [unrolled: 1-line block ×4, first 2 shown]
	v_cvt_f32_f64_e32 v111, v[111:112]
	v_cvt_f32_f64_e32 v112, v[113:114]
	;; [unrolled: 1-line block ×4, first 2 shown]
	v_min3_f32 v111, v111, v112, v198
	v_min_f32_e32 v112, v113, v114
	v_min3_f32 v110, v110, v112, v111
	v_lshlrev_b64 v[112:113], 3, v[132:133]
	v_cvt_f64_f32_e32 v[110:111], v110
	v_add_co_u32 v112, vcc_lo, v106, v112
	v_add_co_ci_u32_e64 v113, null, v107, v113, vcc_lo
	global_store_dwordx2 v[112:113], v[110:111], off
	s_or_b32 exec_lo, exec_lo, s12
	s_and_b32 s17, s3, s8
	s_and_saveexec_b32 s12, s17
	s_cbranch_execz .LBB160_175
.LBB160_191:
	v_cmp_ne_u32_e32 vcc_lo, 1, v144
	s_cbranch_vccnz .LBB160_193
; %bb.192:
	v_lshlrev_b64 v[110:111], 3, v[134:135]
	v_add_co_u32 v110, vcc_lo, v108, v110
	v_add_co_ci_u32_e64 v111, null, v109, v111, vcc_lo
	global_load_dwordx2 v[110:111], v[110:111], off
	s_waitcnt vmcnt(0)
	v_mul_f64 v[110:111], s[10:11], v[110:111]
	v_cvt_f32_f64_e32 v110, v[110:111]
	s_branch .LBB160_194
.LBB160_193:
	v_mov_b32_e32 v110, 0
.LBB160_194:
	v_add_f64 v[111:112], v[46:47], v[102:103]
	v_add_f64 v[113:114], v[48:49], v[104:105]
	;; [unrolled: 1-line block ×4, first 2 shown]
	v_cvt_f32_f64_e32 v111, v[111:112]
	v_cvt_f32_f64_e32 v112, v[113:114]
	;; [unrolled: 1-line block ×4, first 2 shown]
	v_min3_f32 v111, v111, v112, v197
	v_min_f32_e32 v112, v113, v114
	v_min3_f32 v110, v110, v112, v111
	v_lshlrev_b64 v[112:113], 3, v[134:135]
	v_cvt_f64_f32_e32 v[110:111], v110
	v_add_co_u32 v112, vcc_lo, v106, v112
	v_add_co_ci_u32_e64 v113, null, v107, v113, vcc_lo
	global_store_dwordx2 v[112:113], v[110:111], off
	s_or_b32 exec_lo, exec_lo, s12
	s_and_b32 s17, s4, s8
	s_and_saveexec_b32 s12, s17
	s_cbranch_execz .LBB160_176
.LBB160_195:
	v_cmp_ne_u32_e32 vcc_lo, 1, v144
	s_cbranch_vccnz .LBB160_197
; %bb.196:
	v_lshlrev_b64 v[110:111], 3, v[136:137]
	v_add_co_u32 v110, vcc_lo, v108, v110
	v_add_co_ci_u32_e64 v111, null, v109, v111, vcc_lo
	global_load_dwordx2 v[110:111], v[110:111], off
	s_waitcnt vmcnt(0)
	v_mul_f64 v[110:111], s[10:11], v[110:111]
	v_cvt_f32_f64_e32 v110, v[110:111]
	s_branch .LBB160_198
.LBB160_197:
	v_mov_b32_e32 v110, 0
.LBB160_198:
	v_add_f64 v[111:112], v[38:39], v[102:103]
	v_add_f64 v[113:114], v[40:41], v[104:105]
	;; [unrolled: 1-line block ×4, first 2 shown]
	v_cvt_f32_f64_e32 v111, v[111:112]
	v_cvt_f32_f64_e32 v112, v[113:114]
	v_cvt_f32_f64_e32 v113, v[115:116]
	v_cvt_f32_f64_e32 v114, v[117:118]
	v_min3_f32 v111, v111, v112, v196
	v_min_f32_e32 v112, v113, v114
	v_min3_f32 v110, v110, v112, v111
	v_lshlrev_b64 v[112:113], 3, v[136:137]
	v_cvt_f64_f32_e32 v[110:111], v110
	v_add_co_u32 v112, vcc_lo, v106, v112
	v_add_co_ci_u32_e64 v113, null, v107, v113, vcc_lo
	global_store_dwordx2 v[112:113], v[110:111], off
	s_or_b32 exec_lo, exec_lo, s12
	s_and_b32 s17, s5, s8
	s_and_saveexec_b32 s12, s17
	s_cbranch_execz .LBB160_177
.LBB160_199:
	v_cmp_ne_u32_e32 vcc_lo, 1, v144
	s_cbranch_vccnz .LBB160_201
; %bb.200:
	v_lshlrev_b64 v[110:111], 3, v[138:139]
	v_add_co_u32 v110, vcc_lo, v108, v110
	v_add_co_ci_u32_e64 v111, null, v109, v111, vcc_lo
	global_load_dwordx2 v[110:111], v[110:111], off
	s_waitcnt vmcnt(0)
	v_mul_f64 v[110:111], s[10:11], v[110:111]
	v_cvt_f32_f64_e32 v110, v[110:111]
	s_branch .LBB160_202
.LBB160_201:
	v_mov_b32_e32 v110, 0
.LBB160_202:
	v_add_f64 v[111:112], v[30:31], v[102:103]
	v_add_f64 v[113:114], v[32:33], v[104:105]
	;; [unrolled: 1-line block ×4, first 2 shown]
	v_cvt_f32_f64_e32 v111, v[111:112]
	v_cvt_f32_f64_e32 v112, v[113:114]
	;; [unrolled: 1-line block ×4, first 2 shown]
	v_min3_f32 v111, v111, v112, v195
	v_min_f32_e32 v112, v113, v114
	v_min3_f32 v110, v110, v112, v111
	v_lshlrev_b64 v[112:113], 3, v[138:139]
	v_cvt_f64_f32_e32 v[110:111], v110
	v_add_co_u32 v112, vcc_lo, v106, v112
	v_add_co_ci_u32_e64 v113, null, v107, v113, vcc_lo
	global_store_dwordx2 v[112:113], v[110:111], off
	s_or_b32 exec_lo, exec_lo, s12
	s_and_b32 s17, s6, s8
	s_and_saveexec_b32 s12, s17
	s_cbranch_execz .LBB160_178
.LBB160_203:
	v_cmp_ne_u32_e32 vcc_lo, 1, v144
	s_cbranch_vccnz .LBB160_205
; %bb.204:
	v_lshlrev_b64 v[110:111], 3, v[140:141]
	v_add_co_u32 v110, vcc_lo, v108, v110
	v_add_co_ci_u32_e64 v111, null, v109, v111, vcc_lo
	global_load_dwordx2 v[110:111], v[110:111], off
	s_waitcnt vmcnt(0)
	v_mul_f64 v[110:111], s[10:11], v[110:111]
	v_cvt_f32_f64_e32 v110, v[110:111]
	s_branch .LBB160_206
.LBB160_205:
	v_mov_b32_e32 v110, 0
.LBB160_206:
	v_add_f64 v[111:112], v[22:23], v[102:103]
	v_add_f64 v[113:114], v[24:25], v[104:105]
	v_add_f64 v[115:116], v[18:19], v[98:99]
	v_add_f64 v[117:118], v[20:21], v[100:101]
	v_cvt_f32_f64_e32 v111, v[111:112]
	v_cvt_f32_f64_e32 v112, v[113:114]
	;; [unrolled: 1-line block ×4, first 2 shown]
	v_min3_f32 v111, v111, v112, v194
	v_min_f32_e32 v112, v113, v114
	v_min3_f32 v110, v110, v112, v111
	v_lshlrev_b64 v[112:113], 3, v[140:141]
	v_cvt_f64_f32_e32 v[110:111], v110
	v_add_co_u32 v112, vcc_lo, v106, v112
	v_add_co_ci_u32_e64 v113, null, v107, v113, vcc_lo
	global_store_dwordx2 v[112:113], v[110:111], off
	s_or_b32 exec_lo, exec_lo, s12
	s_and_b32 s12, s7, s8
	s_and_saveexec_b32 s8, s12
	s_cbranch_execz .LBB160_211
.LBB160_207:
	v_cmp_ne_u32_e32 vcc_lo, 1, v144
	s_cbranch_vccnz .LBB160_209
; %bb.208:
	v_lshlrev_b64 v[110:111], 3, v[142:143]
	v_add_co_u32 v108, vcc_lo, v108, v110
	v_add_co_ci_u32_e64 v109, null, v109, v111, vcc_lo
	global_load_dwordx2 v[108:109], v[108:109], off
	s_waitcnt vmcnt(0)
	v_mul_f64 v[108:109], s[10:11], v[108:109]
	v_cvt_f32_f64_e32 v108, v[108:109]
	s_branch .LBB160_210
.LBB160_209:
	v_mov_b32_e32 v108, 0
.LBB160_210:
	v_add_f64 v[102:103], v[6:7], v[102:103]
	v_add_f64 v[104:105], v[8:9], v[104:105]
	;; [unrolled: 1-line block ×4, first 2 shown]
	v_cvt_f32_f64_e32 v102, v[102:103]
	v_cvt_f32_f64_e32 v103, v[104:105]
	;; [unrolled: 1-line block ×4, first 2 shown]
	v_min3_f32 v100, v102, v103, v193
	v_min_f32_e32 v98, v98, v99
	v_min3_f32 v98, v108, v98, v100
	v_lshlrev_b64 v[100:101], 3, v[142:143]
	v_cvt_f64_f32_e32 v[98:99], v98
	v_add_co_u32 v100, vcc_lo, v106, v100
	v_add_co_ci_u32_e64 v101, null, v107, v101, vcc_lo
	global_store_dwordx2 v[100:101], v[98:99], off
.LBB160_211:
	s_or_b32 exec_lo, exec_lo, s8
	v_add_nc_u32_e32 v102, 32, v145
	v_mad_i64_i32 v[98:99], null, v102, s14, 0
	v_mad_i64_i32 v[100:101], null, v102, s9, 0
	v_cmp_gt_i32_e64 s8, s13, v102
	v_lshlrev_b64 v[98:99], 3, v[98:99]
	s_and_b32 s17, s0, s8
	v_lshlrev_b64 v[102:103], 3, v[100:101]
	v_add_co_u32 v100, vcc_lo, s20, v98
	v_add_co_ci_u32_e64 v101, null, s21, v99, vcc_lo
	v_add_co_u32 v98, vcc_lo, s16, v102
	v_add_co_ci_u32_e64 v99, null, s15, v103, vcc_lo
	s_and_saveexec_b32 s12, s17
	s_cbranch_execnz .LBB160_219
; %bb.212:
	s_or_b32 exec_lo, exec_lo, s12
	s_and_b32 s17, s1, s8
	s_and_saveexec_b32 s12, s17
	s_cbranch_execnz .LBB160_223
.LBB160_213:
	s_or_b32 exec_lo, exec_lo, s12
	s_and_b32 s17, s2, s8
	s_and_saveexec_b32 s12, s17
	s_cbranch_execnz .LBB160_227
.LBB160_214:
	s_or_b32 exec_lo, exec_lo, s12
	s_and_b32 s17, s3, s8
	s_and_saveexec_b32 s12, s17
	s_cbranch_execnz .LBB160_231
.LBB160_215:
	s_or_b32 exec_lo, exec_lo, s12
	s_and_b32 s17, s4, s8
	s_and_saveexec_b32 s12, s17
	s_cbranch_execnz .LBB160_235
.LBB160_216:
	s_or_b32 exec_lo, exec_lo, s12
	s_and_b32 s17, s5, s8
	s_and_saveexec_b32 s12, s17
	s_cbranch_execnz .LBB160_239
.LBB160_217:
	s_or_b32 exec_lo, exec_lo, s12
	s_and_b32 s17, s6, s8
	s_and_saveexec_b32 s12, s17
	s_cbranch_execnz .LBB160_243
.LBB160_218:
	s_or_b32 exec_lo, exec_lo, s12
	s_and_b32 s12, s7, s8
	s_and_saveexec_b32 s8, s12
	s_cbranch_execnz .LBB160_247
	s_branch .LBB160_251
.LBB160_219:
	v_cmp_ne_u32_e32 vcc_lo, 1, v144
	s_cbranch_vccnz .LBB160_221
; %bb.220:
	v_lshlrev_b64 v[102:103], 3, v[0:1]
	v_add_co_u32 v102, vcc_lo, v100, v102
	v_add_co_ci_u32_e64 v103, null, v101, v103, vcc_lo
	global_load_dwordx2 v[102:103], v[102:103], off
	s_waitcnt vmcnt(0)
	v_mul_f64 v[102:103], s[10:11], v[102:103]
	v_cvt_f32_f64_e32 v102, v[102:103]
	s_branch .LBB160_222
.LBB160_221:
	v_mov_b32_e32 v102, 0
.LBB160_222:
	v_add_f64 v[103:104], v[70:71], v[94:95]
	v_add_f64 v[105:106], v[72:73], v[96:97]
	;; [unrolled: 1-line block ×4, first 2 shown]
	v_cvt_f32_f64_e32 v103, v[103:104]
	v_cvt_f32_f64_e32 v104, v[105:106]
	;; [unrolled: 1-line block ×4, first 2 shown]
	v_min3_f32 v103, v103, v104, v192
	v_min_f32_e32 v104, v105, v106
	v_min3_f32 v102, v102, v104, v103
	v_lshlrev_b64 v[104:105], 3, v[0:1]
	v_cvt_f64_f32_e32 v[102:103], v102
	v_add_co_u32 v104, vcc_lo, v98, v104
	v_add_co_ci_u32_e64 v105, null, v99, v105, vcc_lo
	global_store_dwordx2 v[104:105], v[102:103], off
	s_or_b32 exec_lo, exec_lo, s12
	s_and_b32 s17, s1, s8
	s_and_saveexec_b32 s12, s17
	s_cbranch_execz .LBB160_213
.LBB160_223:
	v_cmp_ne_u32_e32 vcc_lo, 1, v144
	s_cbranch_vccnz .LBB160_225
; %bb.224:
	v_lshlrev_b64 v[102:103], 3, v[130:131]
	v_add_co_u32 v102, vcc_lo, v100, v102
	v_add_co_ci_u32_e64 v103, null, v101, v103, vcc_lo
	global_load_dwordx2 v[102:103], v[102:103], off
	s_waitcnt vmcnt(0)
	v_mul_f64 v[102:103], s[10:11], v[102:103]
	v_cvt_f32_f64_e32 v102, v[102:103]
	s_branch .LBB160_226
.LBB160_225:
	v_mov_b32_e32 v102, 0
.LBB160_226:
	v_add_f64 v[103:104], v[62:63], v[94:95]
	v_add_f64 v[105:106], v[64:65], v[96:97]
	;; [unrolled: 1-line block ×4, first 2 shown]
	v_cvt_f32_f64_e32 v103, v[103:104]
	v_cvt_f32_f64_e32 v104, v[105:106]
	v_cvt_f32_f64_e32 v105, v[107:108]
	v_cvt_f32_f64_e32 v106, v[109:110]
	v_min3_f32 v103, v103, v104, v191
	v_min_f32_e32 v104, v105, v106
	v_min3_f32 v102, v102, v104, v103
	v_lshlrev_b64 v[104:105], 3, v[130:131]
	v_cvt_f64_f32_e32 v[102:103], v102
	v_add_co_u32 v104, vcc_lo, v98, v104
	v_add_co_ci_u32_e64 v105, null, v99, v105, vcc_lo
	global_store_dwordx2 v[104:105], v[102:103], off
	s_or_b32 exec_lo, exec_lo, s12
	s_and_b32 s17, s2, s8
	s_and_saveexec_b32 s12, s17
	s_cbranch_execz .LBB160_214
.LBB160_227:
	v_cmp_ne_u32_e32 vcc_lo, 1, v144
	s_cbranch_vccnz .LBB160_229
; %bb.228:
	v_lshlrev_b64 v[102:103], 3, v[132:133]
	v_add_co_u32 v102, vcc_lo, v100, v102
	v_add_co_ci_u32_e64 v103, null, v101, v103, vcc_lo
	global_load_dwordx2 v[102:103], v[102:103], off
	s_waitcnt vmcnt(0)
	v_mul_f64 v[102:103], s[10:11], v[102:103]
	v_cvt_f32_f64_e32 v102, v[102:103]
	s_branch .LBB160_230
.LBB160_229:
	v_mov_b32_e32 v102, 0
.LBB160_230:
	v_add_f64 v[103:104], v[54:55], v[94:95]
	v_add_f64 v[105:106], v[56:57], v[96:97]
	;; [unrolled: 1-line block ×4, first 2 shown]
	v_cvt_f32_f64_e32 v103, v[103:104]
	v_cvt_f32_f64_e32 v104, v[105:106]
	;; [unrolled: 1-line block ×4, first 2 shown]
	v_min3_f32 v103, v103, v104, v190
	v_min_f32_e32 v104, v105, v106
	v_min3_f32 v102, v102, v104, v103
	v_lshlrev_b64 v[104:105], 3, v[132:133]
	v_cvt_f64_f32_e32 v[102:103], v102
	v_add_co_u32 v104, vcc_lo, v98, v104
	v_add_co_ci_u32_e64 v105, null, v99, v105, vcc_lo
	global_store_dwordx2 v[104:105], v[102:103], off
	s_or_b32 exec_lo, exec_lo, s12
	s_and_b32 s17, s3, s8
	s_and_saveexec_b32 s12, s17
	s_cbranch_execz .LBB160_215
.LBB160_231:
	v_cmp_ne_u32_e32 vcc_lo, 1, v144
	s_cbranch_vccnz .LBB160_233
; %bb.232:
	v_lshlrev_b64 v[102:103], 3, v[134:135]
	v_add_co_u32 v102, vcc_lo, v100, v102
	v_add_co_ci_u32_e64 v103, null, v101, v103, vcc_lo
	global_load_dwordx2 v[102:103], v[102:103], off
	s_waitcnt vmcnt(0)
	v_mul_f64 v[102:103], s[10:11], v[102:103]
	v_cvt_f32_f64_e32 v102, v[102:103]
	s_branch .LBB160_234
.LBB160_233:
	v_mov_b32_e32 v102, 0
.LBB160_234:
	v_add_f64 v[103:104], v[46:47], v[94:95]
	v_add_f64 v[105:106], v[48:49], v[96:97]
	;; [unrolled: 1-line block ×4, first 2 shown]
	v_cvt_f32_f64_e32 v103, v[103:104]
	v_cvt_f32_f64_e32 v104, v[105:106]
	;; [unrolled: 1-line block ×4, first 2 shown]
	v_min3_f32 v103, v103, v104, v189
	v_min_f32_e32 v104, v105, v106
	v_min3_f32 v102, v102, v104, v103
	v_lshlrev_b64 v[104:105], 3, v[134:135]
	v_cvt_f64_f32_e32 v[102:103], v102
	v_add_co_u32 v104, vcc_lo, v98, v104
	v_add_co_ci_u32_e64 v105, null, v99, v105, vcc_lo
	global_store_dwordx2 v[104:105], v[102:103], off
	s_or_b32 exec_lo, exec_lo, s12
	s_and_b32 s17, s4, s8
	s_and_saveexec_b32 s12, s17
	s_cbranch_execz .LBB160_216
.LBB160_235:
	v_cmp_ne_u32_e32 vcc_lo, 1, v144
	s_cbranch_vccnz .LBB160_237
; %bb.236:
	v_lshlrev_b64 v[102:103], 3, v[136:137]
	v_add_co_u32 v102, vcc_lo, v100, v102
	v_add_co_ci_u32_e64 v103, null, v101, v103, vcc_lo
	global_load_dwordx2 v[102:103], v[102:103], off
	s_waitcnt vmcnt(0)
	v_mul_f64 v[102:103], s[10:11], v[102:103]
	v_cvt_f32_f64_e32 v102, v[102:103]
	s_branch .LBB160_238
.LBB160_237:
	v_mov_b32_e32 v102, 0
.LBB160_238:
	v_add_f64 v[103:104], v[38:39], v[94:95]
	v_add_f64 v[105:106], v[40:41], v[96:97]
	;; [unrolled: 1-line block ×4, first 2 shown]
	v_cvt_f32_f64_e32 v103, v[103:104]
	v_cvt_f32_f64_e32 v104, v[105:106]
	;; [unrolled: 1-line block ×4, first 2 shown]
	v_min3_f32 v103, v103, v104, v188
	v_min_f32_e32 v104, v105, v106
	v_min3_f32 v102, v102, v104, v103
	v_lshlrev_b64 v[104:105], 3, v[136:137]
	v_cvt_f64_f32_e32 v[102:103], v102
	v_add_co_u32 v104, vcc_lo, v98, v104
	v_add_co_ci_u32_e64 v105, null, v99, v105, vcc_lo
	global_store_dwordx2 v[104:105], v[102:103], off
	s_or_b32 exec_lo, exec_lo, s12
	s_and_b32 s17, s5, s8
	s_and_saveexec_b32 s12, s17
	s_cbranch_execz .LBB160_217
.LBB160_239:
	v_cmp_ne_u32_e32 vcc_lo, 1, v144
	s_cbranch_vccnz .LBB160_241
; %bb.240:
	v_lshlrev_b64 v[102:103], 3, v[138:139]
	v_add_co_u32 v102, vcc_lo, v100, v102
	v_add_co_ci_u32_e64 v103, null, v101, v103, vcc_lo
	global_load_dwordx2 v[102:103], v[102:103], off
	s_waitcnt vmcnt(0)
	v_mul_f64 v[102:103], s[10:11], v[102:103]
	v_cvt_f32_f64_e32 v102, v[102:103]
	s_branch .LBB160_242
.LBB160_241:
	v_mov_b32_e32 v102, 0
.LBB160_242:
	v_add_f64 v[103:104], v[30:31], v[94:95]
	v_add_f64 v[105:106], v[32:33], v[96:97]
	v_add_f64 v[107:108], v[26:27], v[90:91]
	v_add_f64 v[109:110], v[28:29], v[92:93]
	v_cvt_f32_f64_e32 v103, v[103:104]
	v_cvt_f32_f64_e32 v104, v[105:106]
	;; [unrolled: 1-line block ×4, first 2 shown]
	v_min3_f32 v103, v103, v104, v187
	v_min_f32_e32 v104, v105, v106
	v_min3_f32 v102, v102, v104, v103
	v_lshlrev_b64 v[104:105], 3, v[138:139]
	v_cvt_f64_f32_e32 v[102:103], v102
	v_add_co_u32 v104, vcc_lo, v98, v104
	v_add_co_ci_u32_e64 v105, null, v99, v105, vcc_lo
	global_store_dwordx2 v[104:105], v[102:103], off
	s_or_b32 exec_lo, exec_lo, s12
	s_and_b32 s17, s6, s8
	s_and_saveexec_b32 s12, s17
	s_cbranch_execz .LBB160_218
.LBB160_243:
	v_cmp_ne_u32_e32 vcc_lo, 1, v144
	s_cbranch_vccnz .LBB160_245
; %bb.244:
	v_lshlrev_b64 v[102:103], 3, v[140:141]
	v_add_co_u32 v102, vcc_lo, v100, v102
	v_add_co_ci_u32_e64 v103, null, v101, v103, vcc_lo
	global_load_dwordx2 v[102:103], v[102:103], off
	s_waitcnt vmcnt(0)
	v_mul_f64 v[102:103], s[10:11], v[102:103]
	v_cvt_f32_f64_e32 v102, v[102:103]
	s_branch .LBB160_246
.LBB160_245:
	v_mov_b32_e32 v102, 0
.LBB160_246:
	v_add_f64 v[103:104], v[22:23], v[94:95]
	v_add_f64 v[105:106], v[24:25], v[96:97]
	v_add_f64 v[107:108], v[18:19], v[90:91]
	v_add_f64 v[109:110], v[20:21], v[92:93]
	v_cvt_f32_f64_e32 v103, v[103:104]
	v_cvt_f32_f64_e32 v104, v[105:106]
	;; [unrolled: 1-line block ×4, first 2 shown]
	v_min3_f32 v103, v103, v104, v186
	v_min_f32_e32 v104, v105, v106
	v_min3_f32 v102, v102, v104, v103
	v_lshlrev_b64 v[104:105], 3, v[140:141]
	v_cvt_f64_f32_e32 v[102:103], v102
	v_add_co_u32 v104, vcc_lo, v98, v104
	v_add_co_ci_u32_e64 v105, null, v99, v105, vcc_lo
	global_store_dwordx2 v[104:105], v[102:103], off
	s_or_b32 exec_lo, exec_lo, s12
	s_and_b32 s12, s7, s8
	s_and_saveexec_b32 s8, s12
	s_cbranch_execz .LBB160_251
.LBB160_247:
	v_cmp_ne_u32_e32 vcc_lo, 1, v144
	s_cbranch_vccnz .LBB160_249
; %bb.248:
	v_lshlrev_b64 v[102:103], 3, v[142:143]
	v_add_co_u32 v100, vcc_lo, v100, v102
	v_add_co_ci_u32_e64 v101, null, v101, v103, vcc_lo
	global_load_dwordx2 v[100:101], v[100:101], off
	s_waitcnt vmcnt(0)
	v_mul_f64 v[100:101], s[10:11], v[100:101]
	v_cvt_f32_f64_e32 v100, v[100:101]
	s_branch .LBB160_250
.LBB160_249:
	v_mov_b32_e32 v100, 0
.LBB160_250:
	v_add_f64 v[94:95], v[6:7], v[94:95]
	v_add_f64 v[96:97], v[8:9], v[96:97]
	;; [unrolled: 1-line block ×4, first 2 shown]
	v_cvt_f32_f64_e32 v94, v[94:95]
	v_cvt_f32_f64_e32 v95, v[96:97]
	;; [unrolled: 1-line block ×4, first 2 shown]
	v_min3_f32 v92, v94, v95, v185
	v_min_f32_e32 v90, v90, v91
	v_min3_f32 v90, v100, v90, v92
	v_lshlrev_b64 v[92:93], 3, v[142:143]
	v_cvt_f64_f32_e32 v[90:91], v90
	v_add_co_u32 v92, vcc_lo, v98, v92
	v_add_co_ci_u32_e64 v93, null, v99, v93, vcc_lo
	global_store_dwordx2 v[92:93], v[90:91], off
.LBB160_251:
	s_or_b32 exec_lo, exec_lo, s8
	v_add_nc_u32_e32 v94, 40, v145
	v_mad_i64_i32 v[90:91], null, v94, s14, 0
	v_mad_i64_i32 v[92:93], null, v94, s9, 0
	v_cmp_gt_i32_e64 s8, s13, v94
	v_lshlrev_b64 v[90:91], 3, v[90:91]
	s_and_b32 s17, s0, s8
	v_lshlrev_b64 v[94:95], 3, v[92:93]
	v_add_co_u32 v92, vcc_lo, s20, v90
	v_add_co_ci_u32_e64 v93, null, s21, v91, vcc_lo
	v_add_co_u32 v90, vcc_lo, s16, v94
	v_add_co_ci_u32_e64 v91, null, s15, v95, vcc_lo
	s_and_saveexec_b32 s12, s17
	s_cbranch_execnz .LBB160_259
; %bb.252:
	s_or_b32 exec_lo, exec_lo, s12
	s_and_b32 s17, s1, s8
	s_and_saveexec_b32 s12, s17
	s_cbranch_execnz .LBB160_263
.LBB160_253:
	s_or_b32 exec_lo, exec_lo, s12
	s_and_b32 s17, s2, s8
	s_and_saveexec_b32 s12, s17
	s_cbranch_execnz .LBB160_267
.LBB160_254:
	s_or_b32 exec_lo, exec_lo, s12
	s_and_b32 s17, s3, s8
	s_and_saveexec_b32 s12, s17
	s_cbranch_execnz .LBB160_271
.LBB160_255:
	s_or_b32 exec_lo, exec_lo, s12
	s_and_b32 s17, s4, s8
	s_and_saveexec_b32 s12, s17
	s_cbranch_execnz .LBB160_275
.LBB160_256:
	s_or_b32 exec_lo, exec_lo, s12
	s_and_b32 s17, s5, s8
	s_and_saveexec_b32 s12, s17
	s_cbranch_execnz .LBB160_279
.LBB160_257:
	s_or_b32 exec_lo, exec_lo, s12
	s_and_b32 s17, s6, s8
	s_and_saveexec_b32 s12, s17
	s_cbranch_execnz .LBB160_283
.LBB160_258:
	s_or_b32 exec_lo, exec_lo, s12
	s_and_b32 s12, s7, s8
	s_and_saveexec_b32 s8, s12
	s_cbranch_execnz .LBB160_287
	s_branch .LBB160_291
.LBB160_259:
	v_cmp_ne_u32_e32 vcc_lo, 1, v144
	s_cbranch_vccnz .LBB160_261
; %bb.260:
	v_lshlrev_b64 v[94:95], 3, v[0:1]
	v_add_co_u32 v94, vcc_lo, v92, v94
	v_add_co_ci_u32_e64 v95, null, v93, v95, vcc_lo
	global_load_dwordx2 v[94:95], v[94:95], off
	s_waitcnt vmcnt(0)
	v_mul_f64 v[94:95], s[10:11], v[94:95]
	v_cvt_f32_f64_e32 v94, v[94:95]
	s_branch .LBB160_262
.LBB160_261:
	v_mov_b32_e32 v94, 0
.LBB160_262:
	v_add_f64 v[95:96], v[70:71], v[86:87]
	v_add_f64 v[97:98], v[72:73], v[88:89]
	;; [unrolled: 1-line block ×4, first 2 shown]
	v_cvt_f32_f64_e32 v95, v[95:96]
	v_cvt_f32_f64_e32 v96, v[97:98]
	;; [unrolled: 1-line block ×4, first 2 shown]
	v_min3_f32 v95, v95, v96, v184
	v_min_f32_e32 v96, v97, v98
	v_min3_f32 v94, v94, v96, v95
	v_lshlrev_b64 v[96:97], 3, v[0:1]
	v_cvt_f64_f32_e32 v[94:95], v94
	v_add_co_u32 v96, vcc_lo, v90, v96
	v_add_co_ci_u32_e64 v97, null, v91, v97, vcc_lo
	global_store_dwordx2 v[96:97], v[94:95], off
	s_or_b32 exec_lo, exec_lo, s12
	s_and_b32 s17, s1, s8
	s_and_saveexec_b32 s12, s17
	s_cbranch_execz .LBB160_253
.LBB160_263:
	v_cmp_ne_u32_e32 vcc_lo, 1, v144
	s_cbranch_vccnz .LBB160_265
; %bb.264:
	v_lshlrev_b64 v[94:95], 3, v[130:131]
	v_add_co_u32 v94, vcc_lo, v92, v94
	v_add_co_ci_u32_e64 v95, null, v93, v95, vcc_lo
	global_load_dwordx2 v[94:95], v[94:95], off
	s_waitcnt vmcnt(0)
	v_mul_f64 v[94:95], s[10:11], v[94:95]
	v_cvt_f32_f64_e32 v94, v[94:95]
	s_branch .LBB160_266
.LBB160_265:
	v_mov_b32_e32 v94, 0
.LBB160_266:
	v_add_f64 v[95:96], v[62:63], v[86:87]
	v_add_f64 v[97:98], v[64:65], v[88:89]
	;; [unrolled: 1-line block ×4, first 2 shown]
	v_cvt_f32_f64_e32 v95, v[95:96]
	v_cvt_f32_f64_e32 v96, v[97:98]
	;; [unrolled: 1-line block ×4, first 2 shown]
	v_min3_f32 v95, v95, v96, v178
	v_min_f32_e32 v96, v97, v98
	v_min3_f32 v94, v94, v96, v95
	v_lshlrev_b64 v[96:97], 3, v[130:131]
	v_cvt_f64_f32_e32 v[94:95], v94
	v_add_co_u32 v96, vcc_lo, v90, v96
	v_add_co_ci_u32_e64 v97, null, v91, v97, vcc_lo
	global_store_dwordx2 v[96:97], v[94:95], off
	s_or_b32 exec_lo, exec_lo, s12
	s_and_b32 s17, s2, s8
	s_and_saveexec_b32 s12, s17
	s_cbranch_execz .LBB160_254
.LBB160_267:
	v_cmp_ne_u32_e32 vcc_lo, 1, v144
	s_cbranch_vccnz .LBB160_269
; %bb.268:
	v_lshlrev_b64 v[94:95], 3, v[132:133]
	v_add_co_u32 v94, vcc_lo, v92, v94
	v_add_co_ci_u32_e64 v95, null, v93, v95, vcc_lo
	global_load_dwordx2 v[94:95], v[94:95], off
	s_waitcnt vmcnt(0)
	v_mul_f64 v[94:95], s[10:11], v[94:95]
	v_cvt_f32_f64_e32 v94, v[94:95]
	s_branch .LBB160_270
.LBB160_269:
	v_mov_b32_e32 v94, 0
.LBB160_270:
	v_add_f64 v[95:96], v[54:55], v[86:87]
	v_add_f64 v[97:98], v[56:57], v[88:89]
	;; [unrolled: 1-line block ×4, first 2 shown]
	v_cvt_f32_f64_e32 v95, v[95:96]
	v_cvt_f32_f64_e32 v96, v[97:98]
	;; [unrolled: 1-line block ×4, first 2 shown]
	v_min3_f32 v95, v95, v96, v172
	v_min_f32_e32 v96, v97, v98
	v_min3_f32 v94, v94, v96, v95
	v_lshlrev_b64 v[96:97], 3, v[132:133]
	v_cvt_f64_f32_e32 v[94:95], v94
	v_add_co_u32 v96, vcc_lo, v90, v96
	v_add_co_ci_u32_e64 v97, null, v91, v97, vcc_lo
	global_store_dwordx2 v[96:97], v[94:95], off
	s_or_b32 exec_lo, exec_lo, s12
	s_and_b32 s17, s3, s8
	s_and_saveexec_b32 s12, s17
	s_cbranch_execz .LBB160_255
.LBB160_271:
	v_cmp_ne_u32_e32 vcc_lo, 1, v144
	s_cbranch_vccnz .LBB160_273
; %bb.272:
	v_lshlrev_b64 v[94:95], 3, v[134:135]
	v_add_co_u32 v94, vcc_lo, v92, v94
	v_add_co_ci_u32_e64 v95, null, v93, v95, vcc_lo
	global_load_dwordx2 v[94:95], v[94:95], off
	s_waitcnt vmcnt(0)
	v_mul_f64 v[94:95], s[10:11], v[94:95]
	v_cvt_f32_f64_e32 v94, v[94:95]
	s_branch .LBB160_274
.LBB160_273:
	v_mov_b32_e32 v94, 0
.LBB160_274:
	v_add_f64 v[95:96], v[46:47], v[86:87]
	v_add_f64 v[97:98], v[48:49], v[88:89]
	;; [unrolled: 1-line block ×4, first 2 shown]
	v_cvt_f32_f64_e32 v95, v[95:96]
	v_cvt_f32_f64_e32 v96, v[97:98]
	;; [unrolled: 1-line block ×4, first 2 shown]
	v_min3_f32 v95, v95, v96, v171
	v_min_f32_e32 v96, v97, v98
	v_min3_f32 v94, v94, v96, v95
	v_lshlrev_b64 v[96:97], 3, v[134:135]
	v_cvt_f64_f32_e32 v[94:95], v94
	v_add_co_u32 v96, vcc_lo, v90, v96
	v_add_co_ci_u32_e64 v97, null, v91, v97, vcc_lo
	global_store_dwordx2 v[96:97], v[94:95], off
	s_or_b32 exec_lo, exec_lo, s12
	s_and_b32 s17, s4, s8
	s_and_saveexec_b32 s12, s17
	s_cbranch_execz .LBB160_256
.LBB160_275:
	v_cmp_ne_u32_e32 vcc_lo, 1, v144
	s_cbranch_vccnz .LBB160_277
; %bb.276:
	v_lshlrev_b64 v[94:95], 3, v[136:137]
	v_add_co_u32 v94, vcc_lo, v92, v94
	v_add_co_ci_u32_e64 v95, null, v93, v95, vcc_lo
	global_load_dwordx2 v[94:95], v[94:95], off
	s_waitcnt vmcnt(0)
	v_mul_f64 v[94:95], s[10:11], v[94:95]
	v_cvt_f32_f64_e32 v94, v[94:95]
	s_branch .LBB160_278
.LBB160_277:
	v_mov_b32_e32 v94, 0
.LBB160_278:
	v_add_f64 v[95:96], v[38:39], v[86:87]
	v_add_f64 v[97:98], v[40:41], v[88:89]
	;; [unrolled: 1-line block ×4, first 2 shown]
	v_cvt_f32_f64_e32 v95, v[95:96]
	v_cvt_f32_f64_e32 v96, v[97:98]
	;; [unrolled: 1-line block ×4, first 2 shown]
	v_min3_f32 v95, v95, v96, v170
	v_min_f32_e32 v96, v97, v98
	v_min3_f32 v94, v94, v96, v95
	v_lshlrev_b64 v[96:97], 3, v[136:137]
	v_cvt_f64_f32_e32 v[94:95], v94
	v_add_co_u32 v96, vcc_lo, v90, v96
	v_add_co_ci_u32_e64 v97, null, v91, v97, vcc_lo
	global_store_dwordx2 v[96:97], v[94:95], off
	s_or_b32 exec_lo, exec_lo, s12
	s_and_b32 s17, s5, s8
	s_and_saveexec_b32 s12, s17
	s_cbranch_execz .LBB160_257
.LBB160_279:
	v_cmp_ne_u32_e32 vcc_lo, 1, v144
	s_cbranch_vccnz .LBB160_281
; %bb.280:
	v_lshlrev_b64 v[94:95], 3, v[138:139]
	v_add_co_u32 v94, vcc_lo, v92, v94
	v_add_co_ci_u32_e64 v95, null, v93, v95, vcc_lo
	global_load_dwordx2 v[94:95], v[94:95], off
	s_waitcnt vmcnt(0)
	v_mul_f64 v[94:95], s[10:11], v[94:95]
	v_cvt_f32_f64_e32 v94, v[94:95]
	s_branch .LBB160_282
.LBB160_281:
	v_mov_b32_e32 v94, 0
.LBB160_282:
	v_add_f64 v[95:96], v[30:31], v[86:87]
	v_add_f64 v[97:98], v[32:33], v[88:89]
	;; [unrolled: 1-line block ×4, first 2 shown]
	v_cvt_f32_f64_e32 v95, v[95:96]
	v_cvt_f32_f64_e32 v96, v[97:98]
	;; [unrolled: 1-line block ×4, first 2 shown]
	v_min3_f32 v95, v95, v96, v169
	v_min_f32_e32 v96, v97, v98
	v_min3_f32 v94, v94, v96, v95
	v_lshlrev_b64 v[96:97], 3, v[138:139]
	v_cvt_f64_f32_e32 v[94:95], v94
	v_add_co_u32 v96, vcc_lo, v90, v96
	v_add_co_ci_u32_e64 v97, null, v91, v97, vcc_lo
	global_store_dwordx2 v[96:97], v[94:95], off
	s_or_b32 exec_lo, exec_lo, s12
	s_and_b32 s17, s6, s8
	s_and_saveexec_b32 s12, s17
	s_cbranch_execz .LBB160_258
.LBB160_283:
	v_cmp_ne_u32_e32 vcc_lo, 1, v144
	s_cbranch_vccnz .LBB160_285
; %bb.284:
	v_lshlrev_b64 v[94:95], 3, v[140:141]
	v_add_co_u32 v94, vcc_lo, v92, v94
	v_add_co_ci_u32_e64 v95, null, v93, v95, vcc_lo
	global_load_dwordx2 v[94:95], v[94:95], off
	s_waitcnt vmcnt(0)
	v_mul_f64 v[94:95], s[10:11], v[94:95]
	v_cvt_f32_f64_e32 v94, v[94:95]
	s_branch .LBB160_286
.LBB160_285:
	v_mov_b32_e32 v94, 0
.LBB160_286:
	v_add_f64 v[95:96], v[22:23], v[86:87]
	v_add_f64 v[97:98], v[24:25], v[88:89]
	;; [unrolled: 1-line block ×4, first 2 shown]
	v_cvt_f32_f64_e32 v95, v[95:96]
	v_cvt_f32_f64_e32 v96, v[97:98]
	;; [unrolled: 1-line block ×4, first 2 shown]
	v_min3_f32 v95, v95, v96, v168
	v_min_f32_e32 v96, v97, v98
	v_min3_f32 v94, v94, v96, v95
	v_lshlrev_b64 v[96:97], 3, v[140:141]
	v_cvt_f64_f32_e32 v[94:95], v94
	v_add_co_u32 v96, vcc_lo, v90, v96
	v_add_co_ci_u32_e64 v97, null, v91, v97, vcc_lo
	global_store_dwordx2 v[96:97], v[94:95], off
	s_or_b32 exec_lo, exec_lo, s12
	s_and_b32 s12, s7, s8
	s_and_saveexec_b32 s8, s12
	s_cbranch_execz .LBB160_291
.LBB160_287:
	v_cmp_ne_u32_e32 vcc_lo, 1, v144
	s_cbranch_vccnz .LBB160_289
; %bb.288:
	v_lshlrev_b64 v[94:95], 3, v[142:143]
	v_add_co_u32 v92, vcc_lo, v92, v94
	v_add_co_ci_u32_e64 v93, null, v93, v95, vcc_lo
	global_load_dwordx2 v[92:93], v[92:93], off
	s_waitcnt vmcnt(0)
	v_mul_f64 v[92:93], s[10:11], v[92:93]
	v_cvt_f32_f64_e32 v92, v[92:93]
	s_branch .LBB160_290
.LBB160_289:
	v_mov_b32_e32 v92, 0
.LBB160_290:
	v_add_f64 v[86:87], v[6:7], v[86:87]
	v_add_f64 v[88:89], v[8:9], v[88:89]
	;; [unrolled: 1-line block ×4, first 2 shown]
	v_cvt_f32_f64_e32 v86, v[86:87]
	v_cvt_f32_f64_e32 v87, v[88:89]
	;; [unrolled: 1-line block ×4, first 2 shown]
	v_min3_f32 v84, v86, v87, v167
	v_min_f32_e32 v82, v82, v83
	v_min3_f32 v82, v92, v82, v84
	v_lshlrev_b64 v[84:85], 3, v[142:143]
	v_cvt_f64_f32_e32 v[82:83], v82
	v_add_co_u32 v84, vcc_lo, v90, v84
	v_add_co_ci_u32_e64 v85, null, v91, v85, vcc_lo
	global_store_dwordx2 v[84:85], v[82:83], off
.LBB160_291:
	s_or_b32 exec_lo, exec_lo, s8
	v_add_nc_u32_e32 v86, 48, v145
	v_mad_i64_i32 v[82:83], null, v86, s14, 0
	v_mad_i64_i32 v[84:85], null, v86, s9, 0
	v_cmp_gt_i32_e64 s8, s13, v86
	v_lshlrev_b64 v[82:83], 3, v[82:83]
	s_and_b32 s17, s0, s8
	v_lshlrev_b64 v[86:87], 3, v[84:85]
	v_add_co_u32 v84, vcc_lo, s20, v82
	v_add_co_ci_u32_e64 v85, null, s21, v83, vcc_lo
	v_add_co_u32 v82, vcc_lo, s16, v86
	v_add_co_ci_u32_e64 v83, null, s15, v87, vcc_lo
	s_and_saveexec_b32 s12, s17
	s_cbranch_execnz .LBB160_299
; %bb.292:
	s_or_b32 exec_lo, exec_lo, s12
	s_and_b32 s17, s1, s8
	s_and_saveexec_b32 s12, s17
	s_cbranch_execnz .LBB160_303
.LBB160_293:
	s_or_b32 exec_lo, exec_lo, s12
	s_and_b32 s17, s2, s8
	s_and_saveexec_b32 s12, s17
	s_cbranch_execnz .LBB160_307
.LBB160_294:
	s_or_b32 exec_lo, exec_lo, s12
	s_and_b32 s17, s3, s8
	s_and_saveexec_b32 s12, s17
	s_cbranch_execnz .LBB160_311
.LBB160_295:
	s_or_b32 exec_lo, exec_lo, s12
	s_and_b32 s17, s4, s8
	s_and_saveexec_b32 s12, s17
	s_cbranch_execnz .LBB160_315
.LBB160_296:
	s_or_b32 exec_lo, exec_lo, s12
	s_and_b32 s17, s5, s8
	s_and_saveexec_b32 s12, s17
	s_cbranch_execnz .LBB160_319
.LBB160_297:
	s_or_b32 exec_lo, exec_lo, s12
	s_and_b32 s17, s6, s8
	s_and_saveexec_b32 s12, s17
	s_cbranch_execnz .LBB160_323
.LBB160_298:
	s_or_b32 exec_lo, exec_lo, s12
	s_and_b32 s12, s7, s8
	s_and_saveexec_b32 s8, s12
	s_cbranch_execnz .LBB160_327
	s_branch .LBB160_331
.LBB160_299:
	v_cmp_ne_u32_e32 vcc_lo, 1, v144
	s_cbranch_vccnz .LBB160_301
; %bb.300:
	v_lshlrev_b64 v[86:87], 3, v[0:1]
	v_add_co_u32 v86, vcc_lo, v84, v86
	v_add_co_ci_u32_e64 v87, null, v85, v87, vcc_lo
	global_load_dwordx2 v[86:87], v[86:87], off
	s_waitcnt vmcnt(0)
	v_mul_f64 v[86:87], s[10:11], v[86:87]
	v_cvt_f32_f64_e32 v86, v[86:87]
	s_branch .LBB160_302
.LBB160_301:
	v_mov_b32_e32 v86, 0
.LBB160_302:
	v_add_f64 v[87:88], v[70:71], v[78:79]
	v_add_f64 v[89:90], v[72:73], v[80:81]
	;; [unrolled: 1-line block ×4, first 2 shown]
	v_cvt_f32_f64_e32 v87, v[87:88]
	v_cvt_f32_f64_e32 v88, v[89:90]
	;; [unrolled: 1-line block ×4, first 2 shown]
	v_min3_f32 v87, v87, v88, v166
	v_min_f32_e32 v88, v89, v90
	v_min3_f32 v86, v86, v88, v87
	v_lshlrev_b64 v[88:89], 3, v[0:1]
	v_cvt_f64_f32_e32 v[86:87], v86
	v_add_co_u32 v88, vcc_lo, v82, v88
	v_add_co_ci_u32_e64 v89, null, v83, v89, vcc_lo
	global_store_dwordx2 v[88:89], v[86:87], off
	s_or_b32 exec_lo, exec_lo, s12
	s_and_b32 s17, s1, s8
	s_and_saveexec_b32 s12, s17
	s_cbranch_execz .LBB160_293
.LBB160_303:
	v_cmp_ne_u32_e32 vcc_lo, 1, v144
	s_cbranch_vccnz .LBB160_305
; %bb.304:
	v_lshlrev_b64 v[86:87], 3, v[130:131]
	v_add_co_u32 v86, vcc_lo, v84, v86
	v_add_co_ci_u32_e64 v87, null, v85, v87, vcc_lo
	global_load_dwordx2 v[86:87], v[86:87], off
	s_waitcnt vmcnt(0)
	v_mul_f64 v[86:87], s[10:11], v[86:87]
	v_cvt_f32_f64_e32 v86, v[86:87]
	s_branch .LBB160_306
.LBB160_305:
	v_mov_b32_e32 v86, 0
.LBB160_306:
	v_add_f64 v[87:88], v[62:63], v[78:79]
	v_add_f64 v[89:90], v[64:65], v[80:81]
	;; [unrolled: 1-line block ×4, first 2 shown]
	v_cvt_f32_f64_e32 v87, v[87:88]
	v_cvt_f32_f64_e32 v88, v[89:90]
	;; [unrolled: 1-line block ×4, first 2 shown]
	v_min3_f32 v87, v87, v88, v165
	v_min_f32_e32 v88, v89, v90
	v_min3_f32 v86, v86, v88, v87
	v_lshlrev_b64 v[88:89], 3, v[130:131]
	v_cvt_f64_f32_e32 v[86:87], v86
	v_add_co_u32 v88, vcc_lo, v82, v88
	v_add_co_ci_u32_e64 v89, null, v83, v89, vcc_lo
	global_store_dwordx2 v[88:89], v[86:87], off
	s_or_b32 exec_lo, exec_lo, s12
	s_and_b32 s17, s2, s8
	s_and_saveexec_b32 s12, s17
	s_cbranch_execz .LBB160_294
.LBB160_307:
	v_cmp_ne_u32_e32 vcc_lo, 1, v144
	s_cbranch_vccnz .LBB160_309
; %bb.308:
	v_lshlrev_b64 v[86:87], 3, v[132:133]
	v_add_co_u32 v86, vcc_lo, v84, v86
	v_add_co_ci_u32_e64 v87, null, v85, v87, vcc_lo
	global_load_dwordx2 v[86:87], v[86:87], off
	s_waitcnt vmcnt(0)
	v_mul_f64 v[86:87], s[10:11], v[86:87]
	v_cvt_f32_f64_e32 v86, v[86:87]
	s_branch .LBB160_310
.LBB160_309:
	v_mov_b32_e32 v86, 0
.LBB160_310:
	v_add_f64 v[87:88], v[54:55], v[78:79]
	v_add_f64 v[89:90], v[56:57], v[80:81]
	;; [unrolled: 1-line block ×4, first 2 shown]
	v_cvt_f32_f64_e32 v87, v[87:88]
	v_cvt_f32_f64_e32 v88, v[89:90]
	;; [unrolled: 1-line block ×4, first 2 shown]
	v_min3_f32 v87, v87, v88, v164
	v_min_f32_e32 v88, v89, v90
	v_min3_f32 v86, v86, v88, v87
	v_lshlrev_b64 v[88:89], 3, v[132:133]
	v_cvt_f64_f32_e32 v[86:87], v86
	v_add_co_u32 v88, vcc_lo, v82, v88
	v_add_co_ci_u32_e64 v89, null, v83, v89, vcc_lo
	global_store_dwordx2 v[88:89], v[86:87], off
	s_or_b32 exec_lo, exec_lo, s12
	s_and_b32 s17, s3, s8
	s_and_saveexec_b32 s12, s17
	s_cbranch_execz .LBB160_295
.LBB160_311:
	v_cmp_ne_u32_e32 vcc_lo, 1, v144
	s_cbranch_vccnz .LBB160_313
; %bb.312:
	v_lshlrev_b64 v[86:87], 3, v[134:135]
	v_add_co_u32 v86, vcc_lo, v84, v86
	v_add_co_ci_u32_e64 v87, null, v85, v87, vcc_lo
	global_load_dwordx2 v[86:87], v[86:87], off
	s_waitcnt vmcnt(0)
	v_mul_f64 v[86:87], s[10:11], v[86:87]
	v_cvt_f32_f64_e32 v86, v[86:87]
	s_branch .LBB160_314
.LBB160_313:
	v_mov_b32_e32 v86, 0
.LBB160_314:
	v_add_f64 v[87:88], v[46:47], v[78:79]
	v_add_f64 v[89:90], v[48:49], v[80:81]
	v_add_f64 v[91:92], v[42:43], v[74:75]
	v_add_f64 v[93:94], v[44:45], v[76:77]
	v_cvt_f32_f64_e32 v87, v[87:88]
	v_cvt_f32_f64_e32 v88, v[89:90]
	v_cvt_f32_f64_e32 v89, v[91:92]
	v_cvt_f32_f64_e32 v90, v[93:94]
	v_min3_f32 v87, v87, v88, v163
	v_min_f32_e32 v88, v89, v90
	v_min3_f32 v86, v86, v88, v87
	v_lshlrev_b64 v[88:89], 3, v[134:135]
	v_cvt_f64_f32_e32 v[86:87], v86
	v_add_co_u32 v88, vcc_lo, v82, v88
	v_add_co_ci_u32_e64 v89, null, v83, v89, vcc_lo
	global_store_dwordx2 v[88:89], v[86:87], off
	s_or_b32 exec_lo, exec_lo, s12
	s_and_b32 s17, s4, s8
	s_and_saveexec_b32 s12, s17
	s_cbranch_execz .LBB160_296
.LBB160_315:
	v_cmp_ne_u32_e32 vcc_lo, 1, v144
	s_cbranch_vccnz .LBB160_317
; %bb.316:
	v_lshlrev_b64 v[86:87], 3, v[136:137]
	v_add_co_u32 v86, vcc_lo, v84, v86
	v_add_co_ci_u32_e64 v87, null, v85, v87, vcc_lo
	global_load_dwordx2 v[86:87], v[86:87], off
	s_waitcnt vmcnt(0)
	v_mul_f64 v[86:87], s[10:11], v[86:87]
	v_cvt_f32_f64_e32 v86, v[86:87]
	s_branch .LBB160_318
.LBB160_317:
	v_mov_b32_e32 v86, 0
.LBB160_318:
	v_add_f64 v[87:88], v[38:39], v[78:79]
	v_add_f64 v[89:90], v[40:41], v[80:81]
	;; [unrolled: 1-line block ×4, first 2 shown]
	v_cvt_f32_f64_e32 v87, v[87:88]
	v_cvt_f32_f64_e32 v88, v[89:90]
	;; [unrolled: 1-line block ×4, first 2 shown]
	v_min3_f32 v87, v87, v88, v162
	v_min_f32_e32 v88, v89, v90
	v_min3_f32 v86, v86, v88, v87
	v_lshlrev_b64 v[88:89], 3, v[136:137]
	v_cvt_f64_f32_e32 v[86:87], v86
	v_add_co_u32 v88, vcc_lo, v82, v88
	v_add_co_ci_u32_e64 v89, null, v83, v89, vcc_lo
	global_store_dwordx2 v[88:89], v[86:87], off
	s_or_b32 exec_lo, exec_lo, s12
	s_and_b32 s17, s5, s8
	s_and_saveexec_b32 s12, s17
	s_cbranch_execz .LBB160_297
.LBB160_319:
	v_cmp_ne_u32_e32 vcc_lo, 1, v144
	s_cbranch_vccnz .LBB160_321
; %bb.320:
	v_lshlrev_b64 v[86:87], 3, v[138:139]
	v_add_co_u32 v86, vcc_lo, v84, v86
	v_add_co_ci_u32_e64 v87, null, v85, v87, vcc_lo
	global_load_dwordx2 v[86:87], v[86:87], off
	s_waitcnt vmcnt(0)
	v_mul_f64 v[86:87], s[10:11], v[86:87]
	v_cvt_f32_f64_e32 v86, v[86:87]
	s_branch .LBB160_322
.LBB160_321:
	v_mov_b32_e32 v86, 0
.LBB160_322:
	v_add_f64 v[87:88], v[30:31], v[78:79]
	v_add_f64 v[89:90], v[32:33], v[80:81]
	;; [unrolled: 1-line block ×4, first 2 shown]
	v_cvt_f32_f64_e32 v87, v[87:88]
	v_cvt_f32_f64_e32 v88, v[89:90]
	v_cvt_f32_f64_e32 v89, v[91:92]
	v_cvt_f32_f64_e32 v90, v[93:94]
	v_min3_f32 v87, v87, v88, v161
	v_min_f32_e32 v88, v89, v90
	v_min3_f32 v86, v86, v88, v87
	v_lshlrev_b64 v[88:89], 3, v[138:139]
	v_cvt_f64_f32_e32 v[86:87], v86
	v_add_co_u32 v88, vcc_lo, v82, v88
	v_add_co_ci_u32_e64 v89, null, v83, v89, vcc_lo
	global_store_dwordx2 v[88:89], v[86:87], off
	s_or_b32 exec_lo, exec_lo, s12
	s_and_b32 s17, s6, s8
	s_and_saveexec_b32 s12, s17
	s_cbranch_execz .LBB160_298
.LBB160_323:
	v_cmp_ne_u32_e32 vcc_lo, 1, v144
	s_cbranch_vccnz .LBB160_325
; %bb.324:
	v_lshlrev_b64 v[86:87], 3, v[140:141]
	v_add_co_u32 v86, vcc_lo, v84, v86
	v_add_co_ci_u32_e64 v87, null, v85, v87, vcc_lo
	global_load_dwordx2 v[86:87], v[86:87], off
	s_waitcnt vmcnt(0)
	v_mul_f64 v[86:87], s[10:11], v[86:87]
	v_cvt_f32_f64_e32 v86, v[86:87]
	s_branch .LBB160_326
.LBB160_325:
	v_mov_b32_e32 v86, 0
.LBB160_326:
	v_add_f64 v[87:88], v[22:23], v[78:79]
	v_add_f64 v[89:90], v[24:25], v[80:81]
	;; [unrolled: 1-line block ×4, first 2 shown]
	v_cvt_f32_f64_e32 v87, v[87:88]
	v_cvt_f32_f64_e32 v88, v[89:90]
	;; [unrolled: 1-line block ×4, first 2 shown]
	v_min3_f32 v87, v87, v88, v160
	v_min_f32_e32 v88, v89, v90
	v_min3_f32 v86, v86, v88, v87
	v_lshlrev_b64 v[88:89], 3, v[140:141]
	v_cvt_f64_f32_e32 v[86:87], v86
	v_add_co_u32 v88, vcc_lo, v82, v88
	v_add_co_ci_u32_e64 v89, null, v83, v89, vcc_lo
	global_store_dwordx2 v[88:89], v[86:87], off
	s_or_b32 exec_lo, exec_lo, s12
	s_and_b32 s12, s7, s8
	s_and_saveexec_b32 s8, s12
	s_cbranch_execz .LBB160_331
.LBB160_327:
	v_cmp_ne_u32_e32 vcc_lo, 1, v144
	s_cbranch_vccnz .LBB160_329
; %bb.328:
	v_lshlrev_b64 v[86:87], 3, v[142:143]
	v_add_co_u32 v84, vcc_lo, v84, v86
	v_add_co_ci_u32_e64 v85, null, v85, v87, vcc_lo
	global_load_dwordx2 v[84:85], v[84:85], off
	s_waitcnt vmcnt(0)
	v_mul_f64 v[84:85], s[10:11], v[84:85]
	v_cvt_f32_f64_e32 v84, v[84:85]
	s_branch .LBB160_330
.LBB160_329:
	v_mov_b32_e32 v84, 0
.LBB160_330:
	v_add_f64 v[78:79], v[6:7], v[78:79]
	v_add_f64 v[80:81], v[8:9], v[80:81]
	;; [unrolled: 1-line block ×4, first 2 shown]
	v_cvt_f32_f64_e32 v78, v[78:79]
	v_cvt_f32_f64_e32 v79, v[80:81]
	;; [unrolled: 1-line block ×4, first 2 shown]
	v_min3_f32 v76, v78, v79, v159
	v_min_f32_e32 v74, v74, v75
	v_min3_f32 v74, v84, v74, v76
	v_lshlrev_b64 v[76:77], 3, v[142:143]
	v_cvt_f64_f32_e32 v[74:75], v74
	v_add_co_u32 v76, vcc_lo, v82, v76
	v_add_co_ci_u32_e64 v77, null, v83, v77, vcc_lo
	global_store_dwordx2 v[76:77], v[74:75], off
.LBB160_331:
	s_or_b32 exec_lo, exec_lo, s8
	v_add_nc_u32_e32 v78, 56, v145
	v_mad_i64_i32 v[74:75], null, v78, s14, 0
	v_mad_i64_i32 v[76:77], null, v78, s9, 0
	v_cmp_gt_i32_e64 s8, s13, v78
	v_lshlrev_b64 v[74:75], 3, v[74:75]
	s_and_b32 s9, s0, s8
	v_lshlrev_b64 v[78:79], 3, v[76:77]
	v_add_co_u32 v76, vcc_lo, s20, v74
	v_add_co_ci_u32_e64 v77, null, s21, v75, vcc_lo
	v_add_co_u32 v74, vcc_lo, s16, v78
	v_add_co_ci_u32_e64 v75, null, s15, v79, vcc_lo
	s_and_saveexec_b32 s0, s9
	s_cbranch_execnz .LBB160_340
; %bb.332:
	s_or_b32 exec_lo, exec_lo, s0
	s_and_b32 s1, s1, s8
	s_and_saveexec_b32 s0, s1
	s_cbranch_execnz .LBB160_344
.LBB160_333:
	s_or_b32 exec_lo, exec_lo, s0
	s_and_b32 s1, s2, s8
	s_and_saveexec_b32 s0, s1
	s_cbranch_execnz .LBB160_348
.LBB160_334:
	s_or_b32 exec_lo, exec_lo, s0
	s_and_b32 s1, s3, s8
	s_and_saveexec_b32 s0, s1
	s_cbranch_execnz .LBB160_352
.LBB160_335:
	s_or_b32 exec_lo, exec_lo, s0
	s_and_b32 s1, s4, s8
	s_and_saveexec_b32 s0, s1
	s_cbranch_execnz .LBB160_356
.LBB160_336:
	s_or_b32 exec_lo, exec_lo, s0
	s_and_b32 s1, s5, s8
	s_and_saveexec_b32 s0, s1
	s_cbranch_execnz .LBB160_360
.LBB160_337:
	s_or_b32 exec_lo, exec_lo, s0
	s_and_b32 s1, s6, s8
	s_and_saveexec_b32 s0, s1
	s_cbranch_execnz .LBB160_364
.LBB160_338:
	s_or_b32 exec_lo, exec_lo, s0
	s_and_b32 s0, s7, s8
	s_and_saveexec_b32 s1, s0
	s_cbranch_execnz .LBB160_368
.LBB160_339:
	s_endpgm
.LBB160_340:
	v_cmp_ne_u32_e32 vcc_lo, 1, v144
	v_lshlrev_b64 v[0:1], 3, v[0:1]
	s_cbranch_vccnz .LBB160_342
; %bb.341:
	v_add_co_u32 v78, vcc_lo, v76, v0
	v_add_co_ci_u32_e64 v79, null, v77, v1, vcc_lo
	global_load_dwordx2 v[78:79], v[78:79], off
	s_waitcnt vmcnt(0)
	v_mul_f64 v[78:79], s[10:11], v[78:79]
	v_cvt_f32_f64_e32 v78, v[78:79]
	s_branch .LBB160_343
.LBB160_342:
	v_mov_b32_e32 v78, 0
.LBB160_343:
	v_add_f64 v[70:71], v[70:71], v[14:15]
	v_add_f64 v[72:73], v[72:73], v[16:17]
	;; [unrolled: 1-line block ×4, first 2 shown]
	v_add_co_u32 v0, vcc_lo, v74, v0
	v_add_co_ci_u32_e64 v1, null, v75, v1, vcc_lo
	v_cvt_f32_f64_e32 v70, v[70:71]
	v_cvt_f32_f64_e32 v71, v[72:73]
	;; [unrolled: 1-line block ×4, first 2 shown]
	v_min3_f32 v68, v70, v71, v158
	v_min_f32_e32 v66, v66, v67
	v_min3_f32 v66, v78, v66, v68
	v_cvt_f64_f32_e32 v[66:67], v66
	global_store_dwordx2 v[0:1], v[66:67], off
	s_or_b32 exec_lo, exec_lo, s0
	s_and_b32 s1, s1, s8
	s_and_saveexec_b32 s0, s1
	s_cbranch_execz .LBB160_333
.LBB160_344:
	v_cmp_ne_u32_e32 vcc_lo, 1, v144
	v_lshlrev_b64 v[0:1], 3, v[130:131]
	s_cbranch_vccnz .LBB160_346
; %bb.345:
	v_add_co_u32 v66, vcc_lo, v76, v0
	v_add_co_ci_u32_e64 v67, null, v77, v1, vcc_lo
	global_load_dwordx2 v[66:67], v[66:67], off
	s_waitcnt vmcnt(0)
	v_mul_f64 v[66:67], s[10:11], v[66:67]
	v_cvt_f32_f64_e32 v66, v[66:67]
	s_branch .LBB160_347
.LBB160_346:
	v_mov_b32_e32 v66, 0
.LBB160_347:
	v_add_f64 v[62:63], v[62:63], v[14:15]
	v_add_f64 v[64:65], v[64:65], v[16:17]
	v_add_f64 v[58:59], v[58:59], v[10:11]
	v_add_f64 v[60:61], v[60:61], v[12:13]
	v_add_co_u32 v0, vcc_lo, v74, v0
	v_add_co_ci_u32_e64 v1, null, v75, v1, vcc_lo
	v_cvt_f32_f64_e32 v62, v[62:63]
	v_cvt_f32_f64_e32 v63, v[64:65]
	;; [unrolled: 1-line block ×4, first 2 shown]
	v_min3_f32 v60, v62, v63, v157
	v_min_f32_e32 v58, v58, v59
	v_min3_f32 v58, v66, v58, v60
	v_cvt_f64_f32_e32 v[58:59], v58
	global_store_dwordx2 v[0:1], v[58:59], off
	s_or_b32 exec_lo, exec_lo, s0
	s_and_b32 s1, s2, s8
	s_and_saveexec_b32 s0, s1
	s_cbranch_execz .LBB160_334
.LBB160_348:
	v_cmp_ne_u32_e32 vcc_lo, 1, v144
	v_lshlrev_b64 v[0:1], 3, v[132:133]
	s_cbranch_vccnz .LBB160_350
; %bb.349:
	v_add_co_u32 v58, vcc_lo, v76, v0
	v_add_co_ci_u32_e64 v59, null, v77, v1, vcc_lo
	global_load_dwordx2 v[58:59], v[58:59], off
	s_waitcnt vmcnt(0)
	v_mul_f64 v[58:59], s[10:11], v[58:59]
	v_cvt_f32_f64_e32 v58, v[58:59]
	s_branch .LBB160_351
.LBB160_350:
	v_mov_b32_e32 v58, 0
.LBB160_351:
	v_add_f64 v[54:55], v[54:55], v[14:15]
	v_add_f64 v[56:57], v[56:57], v[16:17]
	;; [unrolled: 1-line block ×4, first 2 shown]
	v_add_co_u32 v0, vcc_lo, v74, v0
	v_add_co_ci_u32_e64 v1, null, v75, v1, vcc_lo
	v_cvt_f32_f64_e32 v54, v[54:55]
	v_cvt_f32_f64_e32 v55, v[56:57]
	;; [unrolled: 1-line block ×4, first 2 shown]
	v_min3_f32 v52, v54, v55, v156
	v_min_f32_e32 v50, v50, v51
	v_min3_f32 v50, v58, v50, v52
	v_cvt_f64_f32_e32 v[50:51], v50
	global_store_dwordx2 v[0:1], v[50:51], off
	s_or_b32 exec_lo, exec_lo, s0
	s_and_b32 s1, s3, s8
	s_and_saveexec_b32 s0, s1
	s_cbranch_execz .LBB160_335
.LBB160_352:
	v_cmp_ne_u32_e32 vcc_lo, 1, v144
	v_lshlrev_b64 v[0:1], 3, v[134:135]
	s_cbranch_vccnz .LBB160_354
; %bb.353:
	v_add_co_u32 v50, vcc_lo, v76, v0
	v_add_co_ci_u32_e64 v51, null, v77, v1, vcc_lo
	global_load_dwordx2 v[50:51], v[50:51], off
	s_waitcnt vmcnt(0)
	v_mul_f64 v[50:51], s[10:11], v[50:51]
	v_cvt_f32_f64_e32 v50, v[50:51]
	s_branch .LBB160_355
.LBB160_354:
	v_mov_b32_e32 v50, 0
.LBB160_355:
	v_add_f64 v[46:47], v[46:47], v[14:15]
	v_add_f64 v[48:49], v[48:49], v[16:17]
	v_add_f64 v[42:43], v[42:43], v[10:11]
	v_add_f64 v[44:45], v[44:45], v[12:13]
	v_add_co_u32 v0, vcc_lo, v74, v0
	v_add_co_ci_u32_e64 v1, null, v75, v1, vcc_lo
	v_cvt_f32_f64_e32 v46, v[46:47]
	v_cvt_f32_f64_e32 v47, v[48:49]
	;; [unrolled: 1-line block ×4, first 2 shown]
	v_min3_f32 v44, v46, v47, v155
	v_min_f32_e32 v42, v42, v43
	v_min3_f32 v42, v50, v42, v44
	v_cvt_f64_f32_e32 v[42:43], v42
	global_store_dwordx2 v[0:1], v[42:43], off
	s_or_b32 exec_lo, exec_lo, s0
	s_and_b32 s1, s4, s8
	s_and_saveexec_b32 s0, s1
	s_cbranch_execz .LBB160_336
.LBB160_356:
	v_cmp_ne_u32_e32 vcc_lo, 1, v144
	v_lshlrev_b64 v[0:1], 3, v[136:137]
	s_cbranch_vccnz .LBB160_358
; %bb.357:
	v_add_co_u32 v42, vcc_lo, v76, v0
	v_add_co_ci_u32_e64 v43, null, v77, v1, vcc_lo
	global_load_dwordx2 v[42:43], v[42:43], off
	s_waitcnt vmcnt(0)
	v_mul_f64 v[42:43], s[10:11], v[42:43]
	v_cvt_f32_f64_e32 v42, v[42:43]
	s_branch .LBB160_359
.LBB160_358:
	v_mov_b32_e32 v42, 0
.LBB160_359:
	v_add_f64 v[38:39], v[38:39], v[14:15]
	v_add_f64 v[40:41], v[40:41], v[16:17]
	;; [unrolled: 1-line block ×4, first 2 shown]
	v_add_co_u32 v0, vcc_lo, v74, v0
	v_add_co_ci_u32_e64 v1, null, v75, v1, vcc_lo
	v_cvt_f32_f64_e32 v38, v[38:39]
	v_cvt_f32_f64_e32 v39, v[40:41]
	;; [unrolled: 1-line block ×4, first 2 shown]
	v_min3_f32 v36, v38, v39, v154
	v_min_f32_e32 v34, v34, v35
	v_min3_f32 v34, v42, v34, v36
	v_cvt_f64_f32_e32 v[34:35], v34
	global_store_dwordx2 v[0:1], v[34:35], off
	s_or_b32 exec_lo, exec_lo, s0
	s_and_b32 s1, s5, s8
	s_and_saveexec_b32 s0, s1
	s_cbranch_execz .LBB160_337
.LBB160_360:
	v_cmp_ne_u32_e32 vcc_lo, 1, v144
	v_lshlrev_b64 v[0:1], 3, v[138:139]
	s_cbranch_vccnz .LBB160_362
; %bb.361:
	v_add_co_u32 v34, vcc_lo, v76, v0
	v_add_co_ci_u32_e64 v35, null, v77, v1, vcc_lo
	global_load_dwordx2 v[34:35], v[34:35], off
	s_waitcnt vmcnt(0)
	v_mul_f64 v[34:35], s[10:11], v[34:35]
	v_cvt_f32_f64_e32 v34, v[34:35]
	s_branch .LBB160_363
.LBB160_362:
	v_mov_b32_e32 v34, 0
.LBB160_363:
	v_add_f64 v[30:31], v[30:31], v[14:15]
	v_add_f64 v[32:33], v[32:33], v[16:17]
	;; [unrolled: 1-line block ×4, first 2 shown]
	v_add_co_u32 v0, vcc_lo, v74, v0
	v_add_co_ci_u32_e64 v1, null, v75, v1, vcc_lo
	v_cvt_f32_f64_e32 v30, v[30:31]
	v_cvt_f32_f64_e32 v31, v[32:33]
	v_cvt_f32_f64_e32 v26, v[26:27]
	v_cvt_f32_f64_e32 v27, v[28:29]
	v_min3_f32 v28, v30, v31, v153
	v_min_f32_e32 v26, v26, v27
	v_min3_f32 v26, v34, v26, v28
	v_cvt_f64_f32_e32 v[26:27], v26
	global_store_dwordx2 v[0:1], v[26:27], off
	s_or_b32 exec_lo, exec_lo, s0
	s_and_b32 s1, s6, s8
	s_and_saveexec_b32 s0, s1
	s_cbranch_execz .LBB160_338
.LBB160_364:
	v_cmp_ne_u32_e32 vcc_lo, 1, v144
	v_lshlrev_b64 v[0:1], 3, v[140:141]
	s_cbranch_vccnz .LBB160_366
; %bb.365:
	v_add_co_u32 v26, vcc_lo, v76, v0
	v_add_co_ci_u32_e64 v27, null, v77, v1, vcc_lo
	global_load_dwordx2 v[26:27], v[26:27], off
	s_waitcnt vmcnt(0)
	v_mul_f64 v[26:27], s[10:11], v[26:27]
	v_cvt_f32_f64_e32 v26, v[26:27]
	s_branch .LBB160_367
.LBB160_366:
	v_mov_b32_e32 v26, 0
.LBB160_367:
	v_add_f64 v[22:23], v[22:23], v[14:15]
	v_add_f64 v[24:25], v[24:25], v[16:17]
	;; [unrolled: 1-line block ×4, first 2 shown]
	v_add_co_u32 v0, vcc_lo, v74, v0
	v_add_co_ci_u32_e64 v1, null, v75, v1, vcc_lo
	v_cvt_f32_f64_e32 v22, v[22:23]
	v_cvt_f32_f64_e32 v23, v[24:25]
	;; [unrolled: 1-line block ×4, first 2 shown]
	v_min3_f32 v20, v22, v23, v152
	v_min_f32_e32 v18, v18, v19
	v_min3_f32 v18, v26, v18, v20
	v_cvt_f64_f32_e32 v[18:19], v18
	global_store_dwordx2 v[0:1], v[18:19], off
	s_or_b32 exec_lo, exec_lo, s0
	s_and_b32 s0, s7, s8
	s_and_saveexec_b32 s1, s0
	s_cbranch_execz .LBB160_339
.LBB160_368:
	v_cmp_ne_u32_e32 vcc_lo, 1, v144
	v_lshlrev_b64 v[0:1], 3, v[142:143]
	s_cbranch_vccnz .LBB160_370
; %bb.369:
	v_add_co_u32 v18, vcc_lo, v76, v0
	v_add_co_ci_u32_e64 v19, null, v77, v1, vcc_lo
	global_load_dwordx2 v[18:19], v[18:19], off
	s_waitcnt vmcnt(0)
	v_mul_f64 v[18:19], s[10:11], v[18:19]
	v_cvt_f32_f64_e32 v18, v[18:19]
	s_branch .LBB160_371
.LBB160_370:
	v_mov_b32_e32 v18, 0
.LBB160_371:
	v_add_f64 v[6:7], v[6:7], v[14:15]
	v_add_f64 v[8:9], v[8:9], v[16:17]
	;; [unrolled: 1-line block ×4, first 2 shown]
	v_add_co_u32 v0, vcc_lo, v74, v0
	v_add_co_ci_u32_e64 v1, null, v75, v1, vcc_lo
	v_cvt_f32_f64_e32 v6, v[6:7]
	v_cvt_f32_f64_e32 v7, v[8:9]
	;; [unrolled: 1-line block ×4, first 2 shown]
	v_min3_f32 v4, v6, v7, v151
	v_min_f32_e32 v2, v2, v3
	v_min3_f32 v2, v18, v2, v4
	v_cvt_f64_f32_e32 v[2:3], v2
	global_store_dwordx2 v[0:1], v[2:3], off
	s_endpgm
	.section	.rodata,"a",@progbits
	.p2align	6, 0x0
	.amdhsa_kernel _ZN12_GLOBAL__N_120geam_min_plus_kernelId15HIP_vector_typeIdLj2EEdLi32ELi8ELi256ELi64ELi4ELi64ELi4ELi4ELi64ELc78ELc78ELb1ELb1ELb1EdKddEEviiiT16_PT17_ilS6_ilS4_S6_ilPT18_ili26rocblas_geam_ex_operation_
		.amdhsa_group_segment_fixed_size 20480
		.amdhsa_private_segment_fixed_size 0
		.amdhsa_kernarg_size 136
		.amdhsa_user_sgpr_count 6
		.amdhsa_user_sgpr_private_segment_buffer 1
		.amdhsa_user_sgpr_dispatch_ptr 0
		.amdhsa_user_sgpr_queue_ptr 0
		.amdhsa_user_sgpr_kernarg_segment_ptr 1
		.amdhsa_user_sgpr_dispatch_id 0
		.amdhsa_user_sgpr_flat_scratch_init 0
		.amdhsa_user_sgpr_private_segment_size 0
		.amdhsa_wavefront_size32 1
		.amdhsa_uses_dynamic_stack 0
		.amdhsa_system_sgpr_private_segment_wavefront_offset 0
		.amdhsa_system_sgpr_workgroup_id_x 1
		.amdhsa_system_sgpr_workgroup_id_y 0
		.amdhsa_system_sgpr_workgroup_id_z 1
		.amdhsa_system_sgpr_workgroup_info 0
		.amdhsa_system_vgpr_workitem_id 1
		.amdhsa_next_free_vgpr 229
		.amdhsa_next_free_sgpr 29
		.amdhsa_reserve_vcc 1
		.amdhsa_reserve_flat_scratch 0
		.amdhsa_float_round_mode_32 0
		.amdhsa_float_round_mode_16_64 0
		.amdhsa_float_denorm_mode_32 3
		.amdhsa_float_denorm_mode_16_64 3
		.amdhsa_dx10_clamp 1
		.amdhsa_ieee_mode 1
		.amdhsa_fp16_overflow 0
		.amdhsa_workgroup_processor_mode 1
		.amdhsa_memory_ordered 1
		.amdhsa_forward_progress 1
		.amdhsa_shared_vgpr_count 0
		.amdhsa_exception_fp_ieee_invalid_op 0
		.amdhsa_exception_fp_denorm_src 0
		.amdhsa_exception_fp_ieee_div_zero 0
		.amdhsa_exception_fp_ieee_overflow 0
		.amdhsa_exception_fp_ieee_underflow 0
		.amdhsa_exception_fp_ieee_inexact 0
		.amdhsa_exception_int_div_zero 0
	.end_amdhsa_kernel
	.section	.text._ZN12_GLOBAL__N_120geam_min_plus_kernelId15HIP_vector_typeIdLj2EEdLi32ELi8ELi256ELi64ELi4ELi64ELi4ELi4ELi64ELc78ELc78ELb1ELb1ELb1EdKddEEviiiT16_PT17_ilS6_ilS4_S6_ilPT18_ili26rocblas_geam_ex_operation_,"axG",@progbits,_ZN12_GLOBAL__N_120geam_min_plus_kernelId15HIP_vector_typeIdLj2EEdLi32ELi8ELi256ELi64ELi4ELi64ELi4ELi4ELi64ELc78ELc78ELb1ELb1ELb1EdKddEEviiiT16_PT17_ilS6_ilS4_S6_ilPT18_ili26rocblas_geam_ex_operation_,comdat
.Lfunc_end160:
	.size	_ZN12_GLOBAL__N_120geam_min_plus_kernelId15HIP_vector_typeIdLj2EEdLi32ELi8ELi256ELi64ELi4ELi64ELi4ELi4ELi64ELc78ELc78ELb1ELb1ELb1EdKddEEviiiT16_PT17_ilS6_ilS4_S6_ilPT18_ili26rocblas_geam_ex_operation_, .Lfunc_end160-_ZN12_GLOBAL__N_120geam_min_plus_kernelId15HIP_vector_typeIdLj2EEdLi32ELi8ELi256ELi64ELi4ELi64ELi4ELi4ELi64ELc78ELc78ELb1ELb1ELb1EdKddEEviiiT16_PT17_ilS6_ilS4_S6_ilPT18_ili26rocblas_geam_ex_operation_
                                        ; -- End function
	.set _ZN12_GLOBAL__N_120geam_min_plus_kernelId15HIP_vector_typeIdLj2EEdLi32ELi8ELi256ELi64ELi4ELi64ELi4ELi4ELi64ELc78ELc78ELb1ELb1ELb1EdKddEEviiiT16_PT17_ilS6_ilS4_S6_ilPT18_ili26rocblas_geam_ex_operation_.num_vgpr, 229
	.set _ZN12_GLOBAL__N_120geam_min_plus_kernelId15HIP_vector_typeIdLj2EEdLi32ELi8ELi256ELi64ELi4ELi64ELi4ELi4ELi64ELc78ELc78ELb1ELb1ELb1EdKddEEviiiT16_PT17_ilS6_ilS4_S6_ilPT18_ili26rocblas_geam_ex_operation_.num_agpr, 0
	.set _ZN12_GLOBAL__N_120geam_min_plus_kernelId15HIP_vector_typeIdLj2EEdLi32ELi8ELi256ELi64ELi4ELi64ELi4ELi4ELi64ELc78ELc78ELb1ELb1ELb1EdKddEEviiiT16_PT17_ilS6_ilS4_S6_ilPT18_ili26rocblas_geam_ex_operation_.numbered_sgpr, 29
	.set _ZN12_GLOBAL__N_120geam_min_plus_kernelId15HIP_vector_typeIdLj2EEdLi32ELi8ELi256ELi64ELi4ELi64ELi4ELi4ELi64ELc78ELc78ELb1ELb1ELb1EdKddEEviiiT16_PT17_ilS6_ilS4_S6_ilPT18_ili26rocblas_geam_ex_operation_.num_named_barrier, 0
	.set _ZN12_GLOBAL__N_120geam_min_plus_kernelId15HIP_vector_typeIdLj2EEdLi32ELi8ELi256ELi64ELi4ELi64ELi4ELi4ELi64ELc78ELc78ELb1ELb1ELb1EdKddEEviiiT16_PT17_ilS6_ilS4_S6_ilPT18_ili26rocblas_geam_ex_operation_.private_seg_size, 0
	.set _ZN12_GLOBAL__N_120geam_min_plus_kernelId15HIP_vector_typeIdLj2EEdLi32ELi8ELi256ELi64ELi4ELi64ELi4ELi4ELi64ELc78ELc78ELb1ELb1ELb1EdKddEEviiiT16_PT17_ilS6_ilS4_S6_ilPT18_ili26rocblas_geam_ex_operation_.uses_vcc, 1
	.set _ZN12_GLOBAL__N_120geam_min_plus_kernelId15HIP_vector_typeIdLj2EEdLi32ELi8ELi256ELi64ELi4ELi64ELi4ELi4ELi64ELc78ELc78ELb1ELb1ELb1EdKddEEviiiT16_PT17_ilS6_ilS4_S6_ilPT18_ili26rocblas_geam_ex_operation_.uses_flat_scratch, 0
	.set _ZN12_GLOBAL__N_120geam_min_plus_kernelId15HIP_vector_typeIdLj2EEdLi32ELi8ELi256ELi64ELi4ELi64ELi4ELi4ELi64ELc78ELc78ELb1ELb1ELb1EdKddEEviiiT16_PT17_ilS6_ilS4_S6_ilPT18_ili26rocblas_geam_ex_operation_.has_dyn_sized_stack, 0
	.set _ZN12_GLOBAL__N_120geam_min_plus_kernelId15HIP_vector_typeIdLj2EEdLi32ELi8ELi256ELi64ELi4ELi64ELi4ELi4ELi64ELc78ELc78ELb1ELb1ELb1EdKddEEviiiT16_PT17_ilS6_ilS4_S6_ilPT18_ili26rocblas_geam_ex_operation_.has_recursion, 0
	.set _ZN12_GLOBAL__N_120geam_min_plus_kernelId15HIP_vector_typeIdLj2EEdLi32ELi8ELi256ELi64ELi4ELi64ELi4ELi4ELi64ELc78ELc78ELb1ELb1ELb1EdKddEEviiiT16_PT17_ilS6_ilS4_S6_ilPT18_ili26rocblas_geam_ex_operation_.has_indirect_call, 0
	.section	.AMDGPU.csdata,"",@progbits
; Kernel info:
; codeLenInByte = 29172
; TotalNumSgprs: 31
; NumVgprs: 229
; ScratchSize: 0
; MemoryBound: 0
; FloatMode: 240
; IeeeMode: 1
; LDSByteSize: 20480 bytes/workgroup (compile time only)
; SGPRBlocks: 0
; VGPRBlocks: 28
; NumSGPRsForWavesPerEU: 31
; NumVGPRsForWavesPerEU: 229
; Occupancy: 4
; WaveLimiterHint : 0
; COMPUTE_PGM_RSRC2:SCRATCH_EN: 0
; COMPUTE_PGM_RSRC2:USER_SGPR: 6
; COMPUTE_PGM_RSRC2:TRAP_HANDLER: 0
; COMPUTE_PGM_RSRC2:TGID_X_EN: 1
; COMPUTE_PGM_RSRC2:TGID_Y_EN: 0
; COMPUTE_PGM_RSRC2:TGID_Z_EN: 1
; COMPUTE_PGM_RSRC2:TIDIG_COMP_CNT: 1
	.section	.text._ZN12_GLOBAL__N_120geam_min_plus_kernelId15HIP_vector_typeIdLj2EEdLi32ELi8ELi256ELi64ELi4ELi64ELi4ELi4ELi64ELc78ELc78ELb0ELb1ELb1EdKddEEviiiT16_PT17_ilS6_ilS4_S6_ilPT18_ili26rocblas_geam_ex_operation_,"axG",@progbits,_ZN12_GLOBAL__N_120geam_min_plus_kernelId15HIP_vector_typeIdLj2EEdLi32ELi8ELi256ELi64ELi4ELi64ELi4ELi4ELi64ELc78ELc78ELb0ELb1ELb1EdKddEEviiiT16_PT17_ilS6_ilS4_S6_ilPT18_ili26rocblas_geam_ex_operation_,comdat
	.globl	_ZN12_GLOBAL__N_120geam_min_plus_kernelId15HIP_vector_typeIdLj2EEdLi32ELi8ELi256ELi64ELi4ELi64ELi4ELi4ELi64ELc78ELc78ELb0ELb1ELb1EdKddEEviiiT16_PT17_ilS6_ilS4_S6_ilPT18_ili26rocblas_geam_ex_operation_ ; -- Begin function _ZN12_GLOBAL__N_120geam_min_plus_kernelId15HIP_vector_typeIdLj2EEdLi32ELi8ELi256ELi64ELi4ELi64ELi4ELi4ELi64ELc78ELc78ELb0ELb1ELb1EdKddEEviiiT16_PT17_ilS6_ilS4_S6_ilPT18_ili26rocblas_geam_ex_operation_
	.p2align	8
	.type	_ZN12_GLOBAL__N_120geam_min_plus_kernelId15HIP_vector_typeIdLj2EEdLi32ELi8ELi256ELi64ELi4ELi64ELi4ELi4ELi64ELc78ELc78ELb0ELb1ELb1EdKddEEviiiT16_PT17_ilS6_ilS4_S6_ilPT18_ili26rocblas_geam_ex_operation_,@function
_ZN12_GLOBAL__N_120geam_min_plus_kernelId15HIP_vector_typeIdLj2EEdLi32ELi8ELi256ELi64ELi4ELi64ELi4ELi4ELi64ELc78ELc78ELb0ELb1ELb1EdKddEEviiiT16_PT17_ilS6_ilS4_S6_ilPT18_ili26rocblas_geam_ex_operation_: ; @_ZN12_GLOBAL__N_120geam_min_plus_kernelId15HIP_vector_typeIdLj2EEdLi32ELi8ELi256ELi64ELi4ELi64ELi4ELi4ELi64ELc78ELc78ELb0ELb1ELb1EdKddEEviiiT16_PT17_ilS6_ilS4_S6_ilPT18_ili26rocblas_geam_ex_operation_
; %bb.0:
	s_clause 0x1
	s_load_dwordx4 s[20:23], s[4:5], 0x10
	s_load_dwordx4 s[0:3], s[4:5], 0x28
	s_mov_b64 s[24:25], 0
	s_waitcnt lgkmcnt(0)
	v_cmp_eq_f64_e64 s12, s[20:21], 0
	s_and_b32 vcc_lo, exec_lo, s12
	s_cbranch_vccnz .LBB161_2
; %bb.1:
	s_mul_i32 s1, s1, s7
	s_mul_hi_u32 s8, s0, s7
	s_mul_i32 s0, s0, s7
	s_add_i32 s1, s8, s1
	s_lshl_b64 s[0:1], s[0:1], 3
	s_add_u32 s24, s22, s0
	s_addc_u32 s25, s23, s1
.LBB161_2:
	s_clause 0x1
	s_load_dwordx4 s[8:11], s[4:5], 0x40
	s_load_dwordx2 s[0:1], s[4:5], 0x50
	s_andn2_b32 vcc_lo, exec_lo, s12
	s_mov_b32 s12, -1
	s_cbranch_vccnz .LBB161_4
; %bb.3:
	s_mov_b32 s12, 0
.LBB161_4:
	s_mov_b64 s[22:23], 0
	s_andn2_b32 vcc_lo, exec_lo, s12
	s_mov_b64 s[26:27], 0
	s_cbranch_vccnz .LBB161_6
; %bb.5:
	s_waitcnt lgkmcnt(0)
	s_mul_i32 s9, s9, s7
	s_mul_hi_u32 s12, s8, s7
	s_mul_i32 s8, s8, s7
	s_add_i32 s9, s12, s9
	s_lshl_b64 s[8:9], s[8:9], 3
	s_add_u32 s26, s2, s8
	s_addc_u32 s27, s3, s9
.LBB161_6:
	s_waitcnt lgkmcnt(0)
	v_cmp_eq_f64_e64 s2, s[10:11], 0
	v_cmp_neq_f64_e64 s9, s[10:11], 0
	s_load_dwordx4 s[16:19], s[4:5], 0x60
	s_and_b32 vcc_lo, exec_lo, s2
	s_cbranch_vccnz .LBB161_8
; %bb.7:
	s_waitcnt lgkmcnt(0)
	s_mul_i32 s2, s17, s7
	s_mul_hi_u32 s3, s16, s7
	s_add_i32 s3, s3, s2
	s_mul_i32 s2, s16, s7
	s_lshl_b64 s[2:3], s[2:3], 3
	s_add_u32 s22, s0, s2
	s_addc_u32 s23, s1, s3
.LBB161_8:
	s_load_dwordx4 s[12:15], s[4:5], 0x0
	s_waitcnt lgkmcnt(0)
	s_load_dword s17, s[4:5], 0x20
	v_lshl_add_u32 v10, v1, 5, v0
	v_cmp_eq_f64_e64 s29, s[20:21], 0
	v_lshrrev_b32_e32 v144, 6, v10
	v_and_b32_e32 v12, 63, v10
	s_add_i32 s0, s12, -1
	s_ashr_i32 s1, s0, 31
	s_lshr_b32 s1, s1, 24
	s_add_i32 s0, s0, s1
	s_ashr_i32 s0, s0, 8
	s_add_i32 s1, s0, 1
	s_not_b32 s0, s0
	v_cvt_f32_u32_e32 v2, s1
	v_rcp_iflag_f32_e32 v2, v2
	v_mul_f32_e32 v2, 0x4f7ffffe, v2
	v_cvt_u32_f32_e32 v2, v2
	v_readfirstlane_b32 s2, v2
	s_mul_i32 s0, s0, s2
	s_mul_hi_u32 s0, s2, s0
	s_add_i32 s2, s2, s0
	s_mul_hi_u32 s0, s6, s2
	s_mul_i32 s2, s0, s1
	s_add_i32 s3, s0, 1
	s_sub_i32 s2, s6, s2
	s_sub_i32 s8, s2, s1
	s_cmp_ge_u32 s2, s1
	s_cselect_b32 s0, s3, s0
	s_cselect_b32 s2, s8, s2
	s_add_i32 s3, s0, 1
	s_cmp_ge_u32 s2, s1
	s_cselect_b32 s8, s3, s0
	s_add_i32 s28, s14, -1
	s_mul_i32 s0, s8, s1
	v_min_i32_e32 v2, s28, v144
	s_sub_i32 s0, s6, s0
	v_cmp_le_i32_e64 s3, s14, v144
	s_lshl_b32 s15, s0, 8
	s_waitcnt lgkmcnt(0)
	v_mad_i64_i32 v[2:3], null, s17, v2, 0
	v_or_b32_e32 v66, s15, v12
	v_cmp_le_i32_e32 vcc_lo, s12, v66
	v_lshlrev_b64 v[4:5], 3, v[2:3]
	v_ashrrev_i32_e32 v67, 31, v66
	s_or_b32 s1, vcc_lo, s3
	v_add_co_u32 v11, s0, s24, v4
	v_cndmask_b32_e64 v3, 0, 0x7fefffff, s1
	v_cndmask_b32_e64 v2, 0, -1, s1
	v_add_co_ci_u32_e64 v13, null, s25, v5, s0
	s_nor_b32 s0, s29, s1
	s_and_saveexec_b32 s1, s0
	s_cbranch_execz .LBB161_10
; %bb.9:
	v_lshlrev_b64 v[2:3], 3, v[66:67]
	v_add_co_u32 v2, s0, v11, v2
	v_add_co_ci_u32_e64 v3, null, v13, v3, s0
	global_load_dwordx2 v[2:3], v[2:3], off
	s_waitcnt vmcnt(0)
	v_mul_f64 v[2:3], s[20:21], v[2:3]
.LBB161_10:
	s_or_b32 exec_lo, exec_lo, s1
	v_or_b32_e32 v4, 64, v66
	v_cmp_le_i32_e64 s0, s12, v4
	s_or_b32 s1, s0, s3
	v_cndmask_b32_e64 v5, 0, 0x7fefffff, s1
	v_cndmask_b32_e64 v4, 0, -1, s1
	s_nor_b32 s1, s29, s1
	s_and_saveexec_b32 s2, s1
	s_cbranch_execz .LBB161_12
; %bb.11:
	v_lshlrev_b64 v[4:5], 3, v[66:67]
	v_add_co_u32 v4, s1, v11, v4
	v_add_co_ci_u32_e64 v5, null, v13, v5, s1
	global_load_dwordx2 v[4:5], v[4:5], off offset:512
	s_waitcnt vmcnt(0)
	v_mul_f64 v[4:5], s[20:21], v[4:5]
.LBB161_12:
	s_or_b32 exec_lo, exec_lo, s2
	v_or_b32_e32 v6, 0x80, v66
	v_cmp_le_i32_e64 s1, s12, v6
	s_or_b32 s2, s1, s3
	v_cndmask_b32_e64 v7, 0, 0x7fefffff, s2
	v_cndmask_b32_e64 v6, 0, -1, s2
	s_nor_b32 s2, s29, s2
	s_and_saveexec_b32 s6, s2
	s_cbranch_execz .LBB161_14
; %bb.13:
	v_lshlrev_b64 v[6:7], 3, v[66:67]
	v_add_co_u32 v6, s2, v11, v6
	v_add_co_ci_u32_e64 v7, null, v13, v7, s2
	global_load_dwordx2 v[6:7], v[6:7], off offset:1024
	s_waitcnt vmcnt(0)
	v_mul_f64 v[6:7], s[20:21], v[6:7]
.LBB161_14:
	;; [unrolled: 17-line block ×3, first 2 shown]
	s_or_b32 exec_lo, exec_lo, s6
	v_lshrrev_b32_e32 v13, 2, v10
	s_load_dword s30, s[4:5], 0x38
	s_lshl_b32 s16, s8, 6
	v_and_b32_e32 v147, 3, v0
	v_add_nc_u32_e32 v78, s16, v13
	v_cmp_le_i32_e64 s6, s14, v147
	v_cmp_le_i32_e64 s3, s13, v78
	s_or_b32 s6, s6, s3
	v_cndmask_b32_e64 v11, 0, 0x7fefffff, s6
	v_cndmask_b32_e64 v10, 0, -1, s6
	s_nor_b32 s6, s29, s6
	s_and_saveexec_b32 s8, s6
	s_cbranch_execz .LBB161_18
; %bb.17:
	s_waitcnt lgkmcnt(0)
	v_mad_i64_i32 v[10:11], null, v78, s30, 0
	v_min_u32_e32 v14, s28, v147
	v_lshlrev_b32_e32 v14, 3, v14
	v_lshlrev_b64 v[10:11], 3, v[10:11]
	v_add_co_u32 v10, s6, s26, v10
	v_add_co_ci_u32_e64 v11, null, s27, v11, s6
	v_add_co_u32 v10, s6, v10, v14
	v_add_co_ci_u32_e64 v11, null, 0, v11, s6
	global_load_dwordx2 v[10:11], v[10:11], off
	s_waitcnt vmcnt(0)
	v_mul_f64 v[10:11], s[20:21], v[10:11]
.LBB161_18:
	s_or_b32 exec_lo, exec_lo, s8
	v_add_nc_u32_e32 v16, 4, v144
	v_min_i32_e32 v14, s28, v16
	v_cmp_le_i32_e64 s6, s14, v16
	v_mad_i64_i32 v[14:15], null, s17, v14, 0
	s_or_b32 s31, vcc_lo, s6
	v_cndmask_b32_e64 v71, 0, 0x7fefffff, s31
	v_cndmask_b32_e64 v70, 0, -1, s31
	v_lshlrev_b64 v[14:15], 3, v[14:15]
	v_add_co_u32 v14, s8, s24, v14
	v_add_co_ci_u32_e64 v15, null, s25, v15, s8
	s_nor_b32 s8, s29, s31
	s_and_saveexec_b32 s31, s8
	s_cbranch_execz .LBB161_20
; %bb.19:
	v_lshlrev_b64 v[16:17], 3, v[66:67]
	v_add_co_u32 v16, s8, v14, v16
	v_add_co_ci_u32_e64 v17, null, v15, v17, s8
	global_load_dwordx2 v[16:17], v[16:17], off
	s_waitcnt vmcnt(0)
	v_mul_f64 v[70:71], s[20:21], v[16:17]
.LBB161_20:
	s_or_b32 exec_lo, exec_lo, s31
	s_or_b32 s8, s0, s6
	v_cndmask_b32_e64 v73, 0, 0x7fefffff, s8
	v_cndmask_b32_e64 v72, 0, -1, s8
	s_nor_b32 s8, s29, s8
	s_and_saveexec_b32 s31, s8
	s_cbranch_execz .LBB161_22
; %bb.21:
	v_lshlrev_b64 v[16:17], 3, v[66:67]
	v_add_co_u32 v16, s8, v14, v16
	v_add_co_ci_u32_e64 v17, null, v15, v17, s8
	global_load_dwordx2 v[16:17], v[16:17], off offset:512
	s_waitcnt vmcnt(0)
	v_mul_f64 v[72:73], s[20:21], v[16:17]
.LBB161_22:
	s_or_b32 exec_lo, exec_lo, s31
	s_or_b32 s8, s1, s6
	v_cndmask_b32_e64 v75, 0, 0x7fefffff, s8
	v_cndmask_b32_e64 v74, 0, -1, s8
	s_nor_b32 s8, s29, s8
	s_and_saveexec_b32 s31, s8
	s_cbranch_execz .LBB161_24
; %bb.23:
	v_lshlrev_b64 v[16:17], 3, v[66:67]
	v_add_co_u32 v16, s8, v14, v16
	v_add_co_ci_u32_e64 v17, null, v15, v17, s8
	global_load_dwordx2 v[16:17], v[16:17], off offset:1024
	s_waitcnt vmcnt(0)
	v_mul_f64 v[74:75], s[20:21], v[16:17]
.LBB161_24:
	;; [unrolled: 15-line block ×3, first 2 shown]
	s_or_b32 exec_lo, exec_lo, s8
	v_or_b32_e32 v14, 4, v147
	v_cmp_le_i32_e64 s6, s14, v14
	s_or_b32 s6, s6, s3
	v_cndmask_b32_e64 v69, 0, 0x7fefffff, s6
	v_cndmask_b32_e64 v68, 0, -1, s6
	s_nor_b32 s6, s29, s6
	s_and_saveexec_b32 s8, s6
	s_cbranch_execz .LBB161_28
; %bb.27:
	s_waitcnt lgkmcnt(0)
	v_mad_i64_i32 v[15:16], null, v78, s30, 0
	v_min_u32_e32 v17, s28, v14
	v_lshlrev_b64 v[14:15], 3, v[15:16]
	v_lshlrev_b32_e32 v16, 3, v17
	v_add_co_u32 v14, s6, s26, v14
	v_add_co_ci_u32_e64 v15, null, s27, v15, s6
	v_add_co_u32 v14, s6, v14, v16
	v_add_co_ci_u32_e64 v15, null, 0, v15, s6
	global_load_dwordx2 v[14:15], v[14:15], off
	s_waitcnt vmcnt(0)
	v_mul_f64 v[68:69], s[20:21], v[14:15]
.LBB161_28:
	s_or_b32 exec_lo, exec_lo, s8
	v_lshlrev_b32_e32 v12, 5, v12
	v_lshlrev_b32_e32 v79, 3, v147
	;; [unrolled: 1-line block ×4, first 2 shown]
	s_cmp_lt_i32 s14, 9
	v_lshl_add_u32 v148, v144, 3, v12
	v_lshl_or_b32 v80, v13, 5, v79
	ds_write2st64_b64 v148, v[2:3], v[4:5] offset1:4
	ds_write2st64_b64 v148, v[6:7], v[8:9] offset0:8 offset1:12
	ds_write_b64 v80, v[10:11] offset:16384
	s_waitcnt lgkmcnt(0)
	s_barrier
	buffer_gl0_inv
	ds_read_b128 v[10:13], v146 offset:1024
	ds_read_b128 v[14:17], v146 offset:2048
	;; [unrolled: 1-line block ×14, first 2 shown]
	ds_read_b128 v[81:84], v146
	ds_read_b128 v[2:5], v146 offset:16
	ds_read_b128 v[85:88], v145 offset:16384
	;; [unrolled: 1-line block ×3, first 2 shown]
	s_waitcnt lgkmcnt(1)
	v_add_f64 v[89:90], v[83:84], v[87:88]
	v_add_f64 v[91:92], v[81:82], v[85:86]
	s_waitcnt lgkmcnt(0)
	v_add_f64 v[150:151], v[4:5], v[8:9]
	v_add_f64 v[152:153], v[2:3], v[6:7]
	v_cvt_f32_f64_e32 v89, v[89:90]
	v_cvt_f32_f64_e32 v91, v[91:92]
	v_cvt_f32_f64_e32 v150, v[150:151]
	v_cvt_f32_f64_e32 v152, v[152:153]
	v_min3_f32 v149, v91, v89, 0x7f800000
	v_add_f64 v[89:90], v[12:13], v[87:88]
	v_add_f64 v[91:92], v[10:11], v[85:86]
	v_min3_f32 v218, v152, v150, v149
	v_cvt_f32_f64_e32 v89, v[89:90]
	v_cvt_f32_f64_e32 v91, v[91:92]
	v_min3_f32 v143, v91, v89, 0x7f800000
	v_add_f64 v[89:90], v[16:17], v[87:88]
	v_add_f64 v[91:92], v[14:15], v[85:86]
	v_cvt_f32_f64_e32 v89, v[89:90]
	v_cvt_f32_f64_e32 v91, v[91:92]
	v_min3_f32 v142, v91, v89, 0x7f800000
	v_add_f64 v[89:90], v[20:21], v[87:88]
	v_add_f64 v[91:92], v[18:19], v[85:86]
	;; [unrolled: 5-line block ×5, first 2 shown]
	v_add_f64 v[87:88], v[36:37], v[87:88]
	v_add_f64 v[85:86], v[34:35], v[85:86]
	v_cvt_f32_f64_e32 v89, v[89:90]
	v_cvt_f32_f64_e32 v91, v[91:92]
	;; [unrolled: 1-line block ×4, first 2 shown]
	v_add_f64 v[87:88], v[81:82], v[38:39]
	v_min3_f32 v138, v91, v89, 0x7f800000
	v_min3_f32 v137, v85, v86, 0x7f800000
	v_add_f64 v[85:86], v[83:84], v[40:41]
	v_cvt_f32_f64_e32 v87, v[87:88]
	v_cvt_f32_f64_e32 v85, v[85:86]
	v_min3_f32 v136, v87, v85, 0x7f800000
	v_add_f64 v[85:86], v[12:13], v[40:41]
	v_add_f64 v[87:88], v[10:11], v[38:39]
	v_cvt_f32_f64_e32 v85, v[85:86]
	v_cvt_f32_f64_e32 v87, v[87:88]
	v_min3_f32 v135, v87, v85, 0x7f800000
	v_add_f64 v[85:86], v[16:17], v[40:41]
	;; [unrolled: 5-line block ×6, first 2 shown]
	v_add_f64 v[87:88], v[30:31], v[38:39]
	v_add_f64 v[40:41], v[36:37], v[40:41]
	;; [unrolled: 1-line block ×3, first 2 shown]
	v_cvt_f32_f64_e32 v85, v[85:86]
	v_cvt_f32_f64_e32 v87, v[87:88]
	;; [unrolled: 1-line block ×4, first 2 shown]
	v_add_f64 v[40:41], v[81:82], v[42:43]
	v_min3_f32 v130, v87, v85, 0x7f800000
	v_min3_f32 v129, v38, v39, 0x7f800000
	v_add_f64 v[38:39], v[83:84], v[44:45]
	v_cvt_f32_f64_e32 v40, v[40:41]
	v_cvt_f32_f64_e32 v38, v[38:39]
	v_min3_f32 v128, v40, v38, 0x7f800000
	v_add_f64 v[38:39], v[12:13], v[44:45]
	v_add_f64 v[40:41], v[10:11], v[42:43]
	v_cvt_f32_f64_e32 v38, v[38:39]
	v_cvt_f32_f64_e32 v40, v[40:41]
	v_min3_f32 v127, v40, v38, 0x7f800000
	v_add_f64 v[38:39], v[16:17], v[44:45]
	;; [unrolled: 5-line block ×33, first 2 shown]
	v_add_f64 v[40:41], v[10:11], v[58:59]
	v_add_f64 v[12:13], v[12:13], v[64:65]
	;; [unrolled: 1-line block ×3, first 2 shown]
	v_cvt_f32_f64_e32 v38, v[38:39]
	v_cvt_f32_f64_e32 v40, v[40:41]
	;; [unrolled: 1-line block ×4, first 2 shown]
	v_add_f64 v[12:13], v[14:15], v[62:63]
	v_min3_f32 v95, v40, v38, 0x7f800000
	v_add_f64 v[38:39], v[16:17], v[60:61]
	v_add_f64 v[40:41], v[14:15], v[58:59]
	v_min3_f32 v87, v10, v11, 0x7f800000
	v_add_f64 v[10:11], v[16:17], v[64:65]
	v_cvt_f32_f64_e32 v12, v[12:13]
	v_cvt_f32_f64_e32 v38, v[38:39]
	;; [unrolled: 1-line block ×4, first 2 shown]
	v_min3_f32 v94, v40, v38, 0x7f800000
	v_add_f64 v[38:39], v[20:21], v[60:61]
	v_add_f64 v[40:41], v[18:19], v[58:59]
	v_min3_f32 v86, v12, v10, 0x7f800000
	v_add_f64 v[10:11], v[20:21], v[64:65]
	v_add_f64 v[12:13], v[18:19], v[62:63]
	v_cvt_f32_f64_e32 v38, v[38:39]
	v_cvt_f32_f64_e32 v40, v[40:41]
	;; [unrolled: 1-line block ×4, first 2 shown]
	v_min3_f32 v93, v40, v38, 0x7f800000
	v_add_f64 v[38:39], v[24:25], v[60:61]
	v_add_f64 v[40:41], v[22:23], v[58:59]
	v_min3_f32 v85, v12, v10, 0x7f800000
	v_add_f64 v[10:11], v[24:25], v[64:65]
	v_add_f64 v[12:13], v[22:23], v[62:63]
	v_cvt_f32_f64_e32 v38, v[38:39]
	v_cvt_f32_f64_e32 v40, v[40:41]
	;; [unrolled: 1-line block ×4, first 2 shown]
	v_min3_f32 v92, v40, v38, 0x7f800000
	v_add_f64 v[38:39], v[28:29], v[60:61]
	v_add_f64 v[40:41], v[26:27], v[58:59]
	v_cvt_f32_f64_e32 v38, v[38:39]
	v_cvt_f32_f64_e32 v40, v[40:41]
	v_min3_f32 v91, v40, v38, 0x7f800000
	v_add_f64 v[38:39], v[32:33], v[60:61]
	v_add_f64 v[40:41], v[30:31], v[58:59]
	v_cvt_f32_f64_e32 v38, v[38:39]
	v_cvt_f32_f64_e32 v40, v[40:41]
	;; [unrolled: 5-line block ×3, first 2 shown]
	v_min3_f32 v89, v40, v38, 0x7f800000
	v_add_f64 v[38:39], v[83:84], v[64:65]
	v_min3_f32 v84, v12, v10, 0x7f800000
	v_add_f64 v[10:11], v[28:29], v[64:65]
	v_add_f64 v[12:13], v[26:27], v[62:63]
	;; [unrolled: 1-line block ×3, first 2 shown]
	v_cvt_f32_f64_e32 v38, v[38:39]
	v_cvt_f32_f64_e32 v10, v[10:11]
	;; [unrolled: 1-line block ×4, first 2 shown]
	v_min3_f32 v83, v12, v10, 0x7f800000
	v_add_f64 v[10:11], v[32:33], v[64:65]
	v_add_f64 v[12:13], v[30:31], v[62:63]
	v_min3_f32 v88, v40, v38, 0x7f800000
	v_cvt_f32_f64_e32 v10, v[10:11]
	v_cvt_f32_f64_e32 v12, v[12:13]
	v_min3_f32 v82, v12, v10, 0x7f800000
	v_add_f64 v[10:11], v[36:37], v[64:65]
	v_add_f64 v[12:13], v[34:35], v[62:63]
	v_cvt_f32_f64_e32 v10, v[10:11]
	v_cvt_f32_f64_e32 v12, v[12:13]
	v_min3_f32 v81, v12, v10, 0x7f800000
	ds_read_b128 v[34:37], v146 offset:1040
	ds_read_b128 v[30:33], v146 offset:2064
	;; [unrolled: 1-line block ×14, first 2 shown]
	ds_write2st64_b64 v148, v[70:71], v[72:73] offset0:16 offset1:20
	ds_write2st64_b64 v148, v[74:75], v[76:77] offset0:24 offset1:28
	ds_write_b64 v80, v[68:69] offset:18432
	s_waitcnt lgkmcnt(0)
	s_barrier
	buffer_gl0_inv
	v_add_f64 v[149:150], v[36:37], v[8:9]
	v_add_f64 v[151:152], v[34:35], v[6:7]
	v_cvt_f32_f64_e32 v149, v[149:150]
	v_cvt_f32_f64_e32 v151, v[151:152]
	v_min3_f32 v217, v151, v149, v143
	v_add_f64 v[149:150], v[32:33], v[8:9]
	v_add_f64 v[151:152], v[30:31], v[6:7]
	v_cvt_f32_f64_e32 v149, v[149:150]
	v_cvt_f32_f64_e32 v143, v[151:152]
	v_min3_f32 v216, v143, v149, v142
	;; [unrolled: 5-line block ×5, first 2 shown]
	v_add_f64 v[139:140], v[16:17], v[8:9]
	v_add_f64 v[141:142], v[14:15], v[6:7]
	v_add_f64 v[8:9], v[12:13], v[8:9]
	v_add_f64 v[6:7], v[10:11], v[6:7]
	v_cvt_f32_f64_e32 v139, v[139:140]
	v_cvt_f32_f64_e32 v141, v[141:142]
	v_cvt_f32_f64_e32 v6, v[6:7]
	v_cvt_f32_f64_e32 v7, v[8:9]
	v_add_f64 v[8:9], v[2:3], v[62:63]
	v_min3_f32 v212, v141, v139, v138
	v_min3_f32 v211, v6, v7, v137
	v_add_f64 v[6:7], v[4:5], v[64:65]
	v_cvt_f32_f64_e32 v8, v[8:9]
	v_cvt_f32_f64_e32 v6, v[6:7]
	v_min3_f32 v210, v8, v6, v136
	v_add_f64 v[6:7], v[36:37], v[64:65]
	v_add_f64 v[8:9], v[34:35], v[62:63]
	v_cvt_f32_f64_e32 v6, v[6:7]
	v_cvt_f32_f64_e32 v8, v[8:9]
	v_min3_f32 v209, v8, v6, v135
	v_add_f64 v[6:7], v[32:33], v[64:65]
	;; [unrolled: 5-line block ×40, first 2 shown]
	v_add_f64 v[8:9], v[2:3], v[42:43]
	v_add_f64 v[4:5], v[4:5], v[40:41]
	;; [unrolled: 1-line block ×3, first 2 shown]
	v_cvt_f32_f64_e32 v6, v[6:7]
	v_cvt_f32_f64_e32 v8, v[8:9]
	v_cvt_f32_f64_e32 v2, v[2:3]
	v_cvt_f32_f64_e32 v3, v[4:5]
	v_add_f64 v[4:5], v[34:35], v[38:39]
	v_min3_f32 v164, v8, v6, v96
	v_add_f64 v[6:7], v[36:37], v[44:45]
	v_add_f64 v[8:9], v[34:35], v[42:43]
	v_min3_f32 v156, v2, v3, v88
	v_add_f64 v[2:3], v[36:37], v[40:41]
	v_cvt_f32_f64_e32 v4, v[4:5]
	v_cvt_f32_f64_e32 v6, v[6:7]
	v_cvt_f32_f64_e32 v8, v[8:9]
	v_cvt_f32_f64_e32 v2, v[2:3]
	v_min3_f32 v163, v8, v6, v95
	v_add_f64 v[6:7], v[32:33], v[44:45]
	v_add_f64 v[8:9], v[30:31], v[42:43]
	v_min3_f32 v155, v4, v2, v87
	v_add_f64 v[2:3], v[32:33], v[40:41]
	v_add_f64 v[4:5], v[30:31], v[38:39]
	v_cvt_f32_f64_e32 v6, v[6:7]
	v_cvt_f32_f64_e32 v8, v[8:9]
	v_cvt_f32_f64_e32 v2, v[2:3]
	v_cvt_f32_f64_e32 v4, v[4:5]
	v_min3_f32 v162, v8, v6, v94
	v_add_f64 v[6:7], v[28:29], v[44:45]
	v_add_f64 v[8:9], v[26:27], v[42:43]
	v_min3_f32 v154, v4, v2, v86
	v_add_f64 v[2:3], v[28:29], v[40:41]
	;; [unrolled: 10-line block ×6, first 2 shown]
	v_add_f64 v[4:5], v[10:11], v[38:39]
	v_cvt_f32_f64_e32 v6, v[6:7]
	v_cvt_f32_f64_e32 v8, v[8:9]
	;; [unrolled: 1-line block ×4, first 2 shown]
	v_min3_f32 v157, v8, v6, v89
	v_min3_f32 v149, v4, v2, v81
	s_cbranch_scc1 .LBB161_51
; %bb.29:
	v_mad_i64_i32 v[2:3], null, s30, v78, 0
	v_lshlrev_b64 v[130:131], 3, v[66:67]
	v_add_nc_u32_e32 v170, 0x4000, v80
	v_or_b32_e32 v171, 0x4000, v145
	v_or_b32_e32 v173, 0x2000, v148
	v_add_nc_u32_e32 v174, 0x4800, v80
	v_lshl_or_b32 v175, v0, 5, 0x2000
	v_lshlrev_b64 v[2:3], 3, v[2:3]
	v_lshl_add_u32 v176, v1, 5, 0x4800
	v_add_co_u32 v2, s6, v2, v79
	v_add_co_ci_u32_e64 v3, null, 0, v3, s6
	v_add_co_u32 v2, s6, s26, v2
	v_add_co_ci_u32_e64 v3, null, s27, v3, s6
	s_add_i32 s26, s14, -8
	v_add_co_u32 v132, s6, v2, 64
	v_add_co_ci_u32_e64 v133, null, 0, v3, s6
	s_mov_b32 s27, 0
	s_branch .LBB161_31
.LBB161_30:                             ;   in Loop: Header=BB161_31 Depth=1
	s_or_b32 exec_lo, exec_lo, s6
	v_add_f64 v[219:220], v[100:101], v[128:129]
	v_add_f64 v[221:222], v[98:99], v[126:127]
	v_add_co_u32 v132, s6, v132, 64
	v_add_co_ci_u32_e64 v133, null, 0, v133, s6
	s_add_i32 s27, s27, 8
	s_cmp_ge_i32 s27, s26
	v_cvt_f32_f64_e32 v219, v[219:220]
	v_cvt_f32_f64_e32 v221, v[221:222]
	v_min3_f32 v218, v221, v219, v218
	v_add_f64 v[219:220], v[96:97], v[128:129]
	v_add_f64 v[221:222], v[94:95], v[126:127]
	v_cvt_f32_f64_e32 v219, v[219:220]
	v_cvt_f32_f64_e32 v221, v[221:222]
	v_min3_f32 v217, v221, v219, v217
	v_add_f64 v[219:220], v[92:93], v[128:129]
	v_add_f64 v[221:222], v[90:91], v[126:127]
	;; [unrolled: 5-line block ×6, first 2 shown]
	v_add_f64 v[128:129], v[68:69], v[128:129]
	v_add_f64 v[126:127], v[66:67], v[126:127]
	v_cvt_f32_f64_e32 v219, v[219:220]
	v_cvt_f32_f64_e32 v221, v[221:222]
	;; [unrolled: 1-line block ×4, first 2 shown]
	v_add_f64 v[128:129], v[98:99], v[122:123]
	v_min3_f32 v212, v221, v219, v212
	v_min3_f32 v211, v126, v127, v211
	v_add_f64 v[126:127], v[100:101], v[124:125]
	v_cvt_f32_f64_e32 v128, v[128:129]
	v_cvt_f32_f64_e32 v126, v[126:127]
	v_min3_f32 v210, v128, v126, v210
	v_add_f64 v[126:127], v[96:97], v[124:125]
	v_add_f64 v[128:129], v[94:95], v[122:123]
	v_cvt_f32_f64_e32 v126, v[126:127]
	v_cvt_f32_f64_e32 v128, v[128:129]
	v_min3_f32 v209, v128, v126, v209
	v_add_f64 v[126:127], v[92:93], v[124:125]
	;; [unrolled: 5-line block ×6, first 2 shown]
	v_add_f64 v[128:129], v[70:71], v[122:123]
	v_add_f64 v[124:125], v[68:69], v[124:125]
	;; [unrolled: 1-line block ×3, first 2 shown]
	v_cvt_f32_f64_e32 v126, v[126:127]
	v_cvt_f32_f64_e32 v128, v[128:129]
	;; [unrolled: 1-line block ×4, first 2 shown]
	v_add_f64 v[124:125], v[98:99], v[118:119]
	v_min3_f32 v204, v128, v126, v204
	v_min3_f32 v203, v122, v123, v203
	v_add_f64 v[122:123], v[100:101], v[120:121]
	v_cvt_f32_f64_e32 v124, v[124:125]
	v_add_f64 v[125:126], v[94:95], v[118:119]
	v_cvt_f32_f64_e32 v122, v[122:123]
	v_cvt_f32_f64_e32 v125, v[125:126]
	v_min3_f32 v122, v124, v122, v202
	v_add_f64 v[123:124], v[96:97], v[120:121]
	v_cvt_f32_f64_e32 v123, v[123:124]
	v_min3_f32 v201, v125, v123, v201
	v_add_f64 v[123:124], v[92:93], v[120:121]
	v_add_f64 v[125:126], v[90:91], v[118:119]
	v_cvt_f32_f64_e32 v123, v[123:124]
	v_cvt_f32_f64_e32 v125, v[125:126]
	v_min3_f32 v200, v125, v123, v200
	v_add_f64 v[123:124], v[88:89], v[120:121]
	v_add_f64 v[125:126], v[86:87], v[118:119]
	v_cvt_f32_f64_e32 v123, v[123:124]
	v_cvt_f32_f64_e32 v125, v[125:126]
	v_min3_f32 v199, v125, v123, v199
	v_add_f64 v[123:124], v[84:85], v[120:121]
	v_add_f64 v[125:126], v[82:83], v[118:119]
	v_cvt_f32_f64_e32 v123, v[123:124]
	v_cvt_f32_f64_e32 v125, v[125:126]
	v_min3_f32 v198, v125, v123, v198
	v_add_f64 v[123:124], v[76:77], v[120:121]
	v_add_f64 v[125:126], v[74:75], v[118:119]
	v_cvt_f32_f64_e32 v123, v[123:124]
	v_cvt_f32_f64_e32 v125, v[125:126]
	v_min3_f32 v197, v125, v123, v197
	v_add_f64 v[123:124], v[72:73], v[120:121]
	v_add_f64 v[125:126], v[70:71], v[118:119]
	;; [unrolled: 1-line block ×4, first 2 shown]
	v_cvt_f32_f64_e32 v123, v[123:124]
	v_cvt_f32_f64_e32 v125, v[125:126]
	;; [unrolled: 1-line block ×4, first 2 shown]
	v_add_f64 v[120:121], v[98:99], v[114:115]
	v_min3_f32 v196, v125, v123, v196
	v_add_f64 v[123:124], v[82:83], v[114:115]
	v_add_f64 v[125:126], v[70:71], v[114:115]
	v_min3_f32 v195, v118, v119, v195
	v_add_f64 v[118:119], v[100:101], v[116:117]
	v_cvt_f32_f64_e32 v120, v[120:121]
	v_cvt_f32_f64_e32 v118, v[118:119]
	v_min3_f32 v194, v120, v118, v194
	v_add_f64 v[118:119], v[96:97], v[116:117]
	v_add_f64 v[120:121], v[94:95], v[114:115]
	v_cvt_f32_f64_e32 v118, v[118:119]
	v_cvt_f32_f64_e32 v120, v[120:121]
	v_min3_f32 v193, v120, v118, v193
	v_add_f64 v[118:119], v[92:93], v[116:117]
	;; [unrolled: 5-line block ×3, first 2 shown]
	v_add_f64 v[120:121], v[86:87], v[114:115]
	v_cvt_f32_f64_e32 v118, v[118:119]
	v_cvt_f32_f64_e32 v120, v[120:121]
	;; [unrolled: 1-line block ×3, first 2 shown]
	v_add_f64 v[123:124], v[74:75], v[114:115]
	v_add_f64 v[114:115], v[66:67], v[114:115]
	v_min3_f32 v118, v120, v118, v191
	v_add_f64 v[119:120], v[84:85], v[116:117]
	v_cvt_f32_f64_e32 v123, v[123:124]
	v_cvt_f32_f64_e32 v114, v[114:115]
	;; [unrolled: 1-line block ×3, first 2 shown]
	v_min3_f32 v119, v121, v119, v190
	v_add_f64 v[120:121], v[76:77], v[116:117]
	v_cvt_f32_f64_e32 v120, v[120:121]
	v_cvt_f32_f64_e32 v121, v[125:126]
	v_add_f64 v[125:126], v[90:91], v[110:111]
	v_min3_f32 v120, v123, v120, v189
	v_add_f64 v[123:124], v[72:73], v[116:117]
	v_add_f64 v[116:117], v[68:69], v[116:117]
	v_cvt_f32_f64_e32 v123, v[123:124]
	v_cvt_f32_f64_e32 v115, v[116:117]
	v_min3_f32 v121, v121, v123, v188
	v_min3_f32 v114, v114, v115, v187
	v_add_f64 v[115:116], v[100:101], v[112:113]
	v_add_f64 v[123:124], v[98:99], v[110:111]
	v_cvt_f32_f64_e32 v115, v[115:116]
	v_cvt_f32_f64_e32 v117, v[123:124]
	v_add_f64 v[123:124], v[94:95], v[110:111]
	v_min3_f32 v115, v117, v115, v186
	v_add_f64 v[116:117], v[96:97], v[112:113]
	v_cvt_f32_f64_e32 v123, v[123:124]
	v_cvt_f32_f64_e32 v116, v[116:117]
	;; [unrolled: 1-line block ×3, first 2 shown]
	v_add_f64 v[125:126], v[86:87], v[110:111]
	v_min3_f32 v116, v123, v116, v185
	v_add_f64 v[123:124], v[92:93], v[112:113]
	v_cvt_f32_f64_e32 v125, v[125:126]
	v_add_f64 v[126:127], v[82:83], v[110:111]
	v_cvt_f32_f64_e32 v123, v[123:124]
	v_cvt_f32_f64_e32 v126, v[126:127]
	v_add_f64 v[127:128], v[74:75], v[110:111]
	v_min3_f32 v117, v117, v123, v184
	v_add_f64 v[123:124], v[88:89], v[112:113]
	v_cvt_f32_f64_e32 v127, v[127:128]
	v_cvt_f32_f64_e32 v123, v[123:124]
	v_min3_f32 v123, v125, v123, v183
	v_add_f64 v[124:125], v[84:85], v[112:113]
	v_cvt_f32_f64_e32 v124, v[124:125]
	v_min3_f32 v124, v126, v124, v182
	v_add_f64 v[125:126], v[76:77], v[112:113]
	;; [unrolled: 3-line block ×3, first 2 shown]
	v_add_f64 v[127:128], v[70:71], v[110:111]
	v_add_f64 v[112:113], v[68:69], v[112:113]
	;; [unrolled: 1-line block ×3, first 2 shown]
	v_cvt_f32_f64_e32 v125, v[125:126]
	v_cvt_f32_f64_e32 v127, v[127:128]
	;; [unrolled: 1-line block ×4, first 2 shown]
	v_min3_f32 v125, v127, v125, v180
	v_add_f64 v[126:127], v[98:99], v[106:107]
	v_min3_f32 v112, v110, v111, v179
	v_add_f64 v[110:111], v[100:101], v[108:109]
	v_cvt_f32_f64_e32 v113, v[126:127]
	v_add_f64 v[126:127], v[94:95], v[106:107]
	v_cvt_f32_f64_e32 v110, v[110:111]
	v_cvt_f32_f64_e32 v126, v[126:127]
	v_add_f64 v[127:128], v[90:91], v[106:107]
	v_min3_f32 v113, v113, v110, v178
	v_add_f64 v[110:111], v[96:97], v[108:109]
	v_cvt_f32_f64_e32 v127, v[127:128]
	v_add_f64 v[128:129], v[86:87], v[106:107]
	v_cvt_f32_f64_e32 v110, v[110:111]
	v_cvt_f32_f64_e32 v128, v[128:129]
	v_min3_f32 v126, v126, v110, v177
	v_add_f64 v[110:111], v[92:93], v[108:109]
	v_add_f64 v[177:178], v[82:83], v[106:107]
	v_cvt_f32_f64_e32 v110, v[110:111]
	v_cvt_f32_f64_e32 v129, v[177:178]
	v_min3_f32 v127, v127, v110, v172
	v_add_f64 v[110:111], v[88:89], v[108:109]
	v_cvt_f32_f64_e32 v110, v[110:111]
	v_min3_f32 v128, v128, v110, v169
	v_add_f64 v[110:111], v[84:85], v[108:109]
	;; [unrolled: 3-line block ×3, first 2 shown]
	v_add_f64 v[168:169], v[74:75], v[106:107]
	v_cvt_f32_f64_e32 v110, v[110:111]
	v_cvt_f32_f64_e32 v168, v[168:169]
	v_min3_f32 v167, v168, v110, v167
	v_add_f64 v[110:111], v[72:73], v[108:109]
	v_add_f64 v[168:169], v[70:71], v[106:107]
	;; [unrolled: 1-line block ×4, first 2 shown]
	v_cvt_f32_f64_e32 v110, v[110:111]
	v_cvt_f32_f64_e32 v168, v[168:169]
	;; [unrolled: 1-line block ×4, first 2 shown]
	v_add_f64 v[108:109], v[98:99], v[102:103]
	v_add_f64 v[98:99], v[98:99], v[78:79]
	v_min3_f32 v166, v168, v110, v166
	v_min3_f32 v165, v106, v107, v165
	v_add_f64 v[106:107], v[100:101], v[104:105]
	v_cvt_f32_f64_e32 v108, v[108:109]
	v_add_f64 v[100:101], v[100:101], v[80:81]
	v_cvt_f32_f64_e32 v98, v[98:99]
	v_cvt_f32_f64_e32 v106, v[106:107]
	;; [unrolled: 1-line block ×3, first 2 shown]
	v_min3_f32 v164, v108, v106, v164
	v_add_f64 v[106:107], v[96:97], v[104:105]
	v_add_f64 v[108:109], v[94:95], v[102:103]
	;; [unrolled: 1-line block ×4, first 2 shown]
	v_min3_f32 v98, v98, v99, v156
	v_add_f64 v[99:100], v[10:11], v[46:47]
	v_cvt_f32_f64_e32 v106, v[106:107]
	v_cvt_f32_f64_e32 v108, v[108:109]
	v_add_f64 v[109:110], v[90:91], v[102:103]
	v_add_f64 v[90:91], v[90:91], v[78:79]
	v_cvt_f32_f64_e32 v94, v[94:95]
	v_cvt_f32_f64_e32 v95, v[96:97]
	v_min3_f32 v106, v108, v106, v163
	v_add_f64 v[107:108], v[92:93], v[104:105]
	v_cvt_f32_f64_e32 v109, v[109:110]
	v_add_f64 v[110:111], v[86:87], v[102:103]
	v_add_f64 v[86:87], v[86:87], v[78:79]
	;; [unrolled: 1-line block ×3, first 2 shown]
	v_cvt_f32_f64_e32 v90, v[90:91]
	v_min3_f32 v94, v94, v95, v155
	v_add_f64 v[95:96], v[6:7], v[50:51]
	v_cvt_f32_f64_e32 v107, v[107:108]
	v_cvt_f32_f64_e32 v110, v[110:111]
	;; [unrolled: 1-line block ×4, first 2 shown]
	v_min3_f32 v107, v109, v107, v162
	v_add_f64 v[108:109], v[88:89], v[104:105]
	v_add_f64 v[88:89], v[88:89], v[80:81]
	v_min3_f32 v90, v90, v91, v154
	v_add_f64 v[91:92], v[22:23], v[50:51]
	v_cvt_f32_f64_e32 v108, v[108:109]
	v_cvt_f32_f64_e32 v87, v[88:89]
	v_min3_f32 v108, v110, v108, v161
	v_add_f64 v[109:110], v[84:85], v[104:105]
	v_add_f64 v[161:162], v[82:83], v[102:103]
	;; [unrolled: 1-line block ×4, first 2 shown]
	v_min3_f32 v86, v86, v87, v153
	v_add_f64 v[87:88], v[14:15], v[54:55]
	v_cvt_f32_f64_e32 v109, v[109:110]
	v_cvt_f32_f64_e32 v111, v[161:162]
	v_cvt_f32_f64_e32 v82, v[82:83]
	v_cvt_f32_f64_e32 v83, v[84:85]
	v_min3_f32 v109, v111, v109, v160
	v_add_f64 v[110:111], v[76:77], v[104:105]
	v_add_f64 v[160:161], v[74:75], v[102:103]
	;; [unrolled: 1-line block ×4, first 2 shown]
	v_min3_f32 v82, v82, v83, v152
	v_add_f64 v[83:84], v[6:7], v[58:59]
	v_cvt_f32_f64_e32 v110, v[110:111]
	v_cvt_f32_f64_e32 v160, v[160:161]
	v_add_f64 v[161:162], v[70:71], v[102:103]
	v_add_f64 v[102:103], v[66:67], v[102:103]
	;; [unrolled: 1-line block ×4, first 2 shown]
	v_cvt_f32_f64_e32 v74, v[74:75]
	v_cvt_f32_f64_e32 v75, v[76:77]
	v_add_f64 v[77:78], v[14:15], v[62:63]
	v_min3_f32 v110, v160, v110, v159
	v_add_f64 v[159:160], v[72:73], v[104:105]
	v_add_f64 v[104:105], v[68:69], v[104:105]
	;; [unrolled: 1-line block ×4, first 2 shown]
	v_cvt_f32_f64_e32 v66, v[66:67]
	v_cvt_f32_f64_e32 v70, v[70:71]
	v_min3_f32 v74, v74, v75, v151
	v_add_f64 v[75:76], v[22:23], v[62:63]
	v_cvt_f32_f64_e32 v102, v[102:103]
	v_cvt_f32_f64_e32 v111, v[161:162]
	;; [unrolled: 1-line block ×6, first 2 shown]
	v_add_f64 v[68:69], v[34:35], v[62:63]
	v_min3_f32 v111, v111, v159, v158
	v_min3_f32 v102, v102, v103, v157
	;; [unrolled: 1-line block ×3, first 2 shown]
	v_add_f64 v[66:67], v[36:37], v[64:65]
	v_cvt_f32_f64_e32 v68, v[68:69]
	v_min3_f32 v71, v70, v71, v150
	v_add_f64 v[69:70], v[26:27], v[62:63]
	v_cvt_f32_f64_e32 v66, v[66:67]
	v_cvt_f32_f64_e32 v69, v[69:70]
	;; [unrolled: 1-line block ×3, first 2 shown]
	v_add_f64 v[75:76], v[18:19], v[62:63]
	v_min3_f32 v66, v68, v66, v218
	v_add_f64 v[67:68], v[28:29], v[64:65]
	v_cvt_f32_f64_e32 v72, v[75:76]
	v_add_f64 v[75:76], v[16:17], v[64:65]
	v_cvt_f32_f64_e32 v67, v[67:68]
	v_min3_f32 v67, v69, v67, v217
	v_add_f64 v[68:69], v[24:25], v[64:65]
	v_cvt_f32_f64_e32 v68, v[68:69]
	v_min3_f32 v68, v70, v68, v216
	v_add_f64 v[69:70], v[20:21], v[64:65]
	v_cvt_f32_f64_e32 v69, v[69:70]
	v_cvt_f32_f64_e32 v70, v[77:78]
	v_add_f64 v[77:78], v[10:11], v[62:63]
	v_min3_f32 v69, v72, v69, v215
	v_cvt_f32_f64_e32 v72, v[75:76]
	v_add_f64 v[75:76], v[12:13], v[64:65]
	v_min3_f32 v70, v70, v72, v214
	v_cvt_f32_f64_e32 v72, v[77:78]
	v_cvt_f32_f64_e32 v75, v[75:76]
	v_add_f64 v[77:78], v[6:7], v[62:63]
	v_add_f64 v[62:63], v[2:3], v[62:63]
	v_min3_f32 v72, v72, v75, v213
	v_add_f64 v[75:76], v[8:9], v[64:65]
	v_add_f64 v[64:65], v[4:5], v[64:65]
	v_cvt_f32_f64_e32 v77, v[77:78]
	v_cvt_f32_f64_e32 v62, v[62:63]
	v_add_f64 v[78:79], v[22:23], v[58:59]
	v_cvt_f32_f64_e32 v75, v[75:76]
	v_cvt_f32_f64_e32 v63, v[64:65]
	v_min3_f32 v75, v77, v75, v212
	v_min3_f32 v62, v62, v63, v211
	v_add_f64 v[63:64], v[36:37], v[60:61]
	v_add_f64 v[76:77], v[34:35], v[58:59]
	v_cvt_f32_f64_e32 v63, v[63:64]
	v_cvt_f32_f64_e32 v65, v[76:77]
	v_add_f64 v[76:77], v[26:27], v[58:59]
	v_min3_f32 v63, v65, v63, v210
	v_add_f64 v[64:65], v[28:29], v[60:61]
	v_cvt_f32_f64_e32 v76, v[76:77]
	v_cvt_f32_f64_e32 v64, v[64:65]
	;; [unrolled: 1-line block ×3, first 2 shown]
	v_add_f64 v[78:79], v[18:19], v[58:59]
	v_min3_f32 v64, v76, v64, v209
	v_add_f64 v[76:77], v[24:25], v[60:61]
	v_cvt_f32_f64_e32 v78, v[78:79]
	v_add_f64 v[79:80], v[14:15], v[58:59]
	v_cvt_f32_f64_e32 v76, v[76:77]
	v_cvt_f32_f64_e32 v79, v[79:80]
	v_add_f64 v[80:81], v[10:11], v[58:59]
	v_add_f64 v[58:59], v[2:3], v[58:59]
	v_min3_f32 v65, v65, v76, v208
	v_add_f64 v[76:77], v[20:21], v[60:61]
	v_cvt_f32_f64_e32 v80, v[80:81]
	v_cvt_f32_f64_e32 v81, v[83:84]
	;; [unrolled: 1-line block ×3, first 2 shown]
	v_add_f64 v[83:84], v[22:23], v[54:55]
	v_cvt_f32_f64_e32 v76, v[76:77]
	v_min3_f32 v76, v78, v76, v207
	v_add_f64 v[77:78], v[16:17], v[60:61]
	v_cvt_f32_f64_e32 v77, v[77:78]
	v_min3_f32 v77, v79, v77, v206
	;; [unrolled: 3-line block ×3, first 2 shown]
	v_add_f64 v[79:80], v[8:9], v[60:61]
	v_add_f64 v[60:61], v[4:5], v[60:61]
	v_cvt_f32_f64_e32 v79, v[79:80]
	v_cvt_f32_f64_e32 v59, v[60:61]
	v_min3_f32 v79, v81, v79, v204
	v_min3_f32 v58, v58, v59, v203
	v_add_f64 v[59:60], v[36:37], v[56:57]
	v_add_f64 v[80:81], v[34:35], v[54:55]
	v_cvt_f32_f64_e32 v59, v[59:60]
	v_cvt_f32_f64_e32 v61, v[80:81]
	v_add_f64 v[80:81], v[26:27], v[54:55]
	v_min3_f32 v59, v61, v59, v122
	v_add_f64 v[60:61], v[28:29], v[56:57]
	v_cvt_f32_f64_e32 v80, v[80:81]
	v_cvt_f32_f64_e32 v60, v[60:61]
	;; [unrolled: 1-line block ×3, first 2 shown]
	v_add_f64 v[83:84], v[18:19], v[54:55]
	v_min3_f32 v60, v80, v60, v201
	v_add_f64 v[80:81], v[24:25], v[56:57]
	v_cvt_f32_f64_e32 v83, v[83:84]
	v_cvt_f32_f64_e32 v80, v[80:81]
	v_min3_f32 v61, v61, v80, v200
	v_add_f64 v[80:81], v[20:21], v[56:57]
	v_cvt_f32_f64_e32 v80, v[80:81]
	v_cvt_f32_f64_e32 v81, v[87:88]
	v_add_f64 v[87:88], v[10:11], v[54:55]
	v_min3_f32 v80, v83, v80, v199
	v_add_f64 v[83:84], v[16:17], v[56:57]
	v_cvt_f32_f64_e32 v85, v[87:88]
	v_add_f64 v[87:88], v[6:7], v[54:55]
	v_add_f64 v[54:55], v[2:3], v[54:55]
	v_cvt_f32_f64_e32 v83, v[83:84]
	v_cvt_f32_f64_e32 v87, v[87:88]
	;; [unrolled: 1-line block ×3, first 2 shown]
	v_min3_f32 v81, v81, v83, v198
	v_add_f64 v[83:84], v[12:13], v[56:57]
	v_cvt_f32_f64_e32 v83, v[83:84]
	v_min3_f32 v83, v85, v83, v197
	v_add_f64 v[84:85], v[8:9], v[56:57]
	v_add_f64 v[56:57], v[4:5], v[56:57]
	v_cvt_f32_f64_e32 v84, v[84:85]
	v_cvt_f32_f64_e32 v55, v[56:57]
	v_min3_f32 v84, v87, v84, v196
	v_min3_f32 v54, v54, v55, v195
	v_add_f64 v[55:56], v[36:37], v[52:53]
	v_add_f64 v[87:88], v[34:35], v[50:51]
	v_cvt_f32_f64_e32 v55, v[55:56]
	v_cvt_f32_f64_e32 v57, v[87:88]
	v_add_f64 v[87:88], v[26:27], v[50:51]
	v_min3_f32 v55, v57, v55, v194
	v_add_f64 v[56:57], v[28:29], v[52:53]
	v_cvt_f32_f64_e32 v85, v[87:88]
	v_add_f64 v[87:88], v[24:25], v[52:53]
	v_cvt_f32_f64_e32 v56, v[56:57]
	v_cvt_f32_f64_e32 v57, v[91:92]
	v_add_f64 v[91:92], v[18:19], v[50:51]
	v_min3_f32 v56, v85, v56, v193
	v_cvt_f32_f64_e32 v85, v[87:88]
	v_add_f64 v[87:88], v[20:21], v[52:53]
	v_min3_f32 v57, v57, v85, v192
	v_cvt_f32_f64_e32 v85, v[91:92]
	v_cvt_f32_f64_e32 v87, v[87:88]
	v_add_f64 v[91:92], v[14:15], v[50:51]
	v_min3_f32 v85, v85, v87, v118
	v_add_f64 v[87:88], v[16:17], v[52:53]
	v_cvt_f32_f64_e32 v89, v[91:92]
	v_add_f64 v[91:92], v[10:11], v[50:51]
	v_add_f64 v[50:51], v[2:3], v[50:51]
	v_cvt_f32_f64_e32 v87, v[87:88]
	v_cvt_f32_f64_e32 v91, v[91:92]
	;; [unrolled: 1-line block ×3, first 2 shown]
	v_min3_f32 v87, v89, v87, v119
	v_add_f64 v[88:89], v[12:13], v[52:53]
	v_cvt_f32_f64_e32 v88, v[88:89]
	v_cvt_f32_f64_e32 v89, v[95:96]
	v_add_f64 v[95:96], v[22:23], v[46:47]
	v_min3_f32 v88, v91, v88, v120
	v_add_f64 v[91:92], v[8:9], v[52:53]
	v_add_f64 v[52:53], v[4:5], v[52:53]
	v_cvt_f32_f64_e32 v91, v[91:92]
	v_cvt_f32_f64_e32 v51, v[52:53]
	v_min3_f32 v89, v89, v91, v121
	v_min3_f32 v50, v50, v51, v114
	v_add_f64 v[51:52], v[36:37], v[48:49]
	v_add_f64 v[91:92], v[34:35], v[46:47]
	v_cvt_f32_f64_e32 v51, v[51:52]
	v_cvt_f32_f64_e32 v53, v[91:92]
	v_add_f64 v[91:92], v[26:27], v[46:47]
	v_min3_f32 v51, v53, v51, v115
	v_add_f64 v[52:53], v[28:29], v[48:49]
	v_cvt_f32_f64_e32 v91, v[91:92]
	v_cvt_f32_f64_e32 v52, v[52:53]
	;; [unrolled: 1-line block ×3, first 2 shown]
	v_add_f64 v[95:96], v[18:19], v[46:47]
	v_min3_f32 v52, v91, v52, v116
	v_add_f64 v[91:92], v[24:25], v[48:49]
	v_cvt_f32_f64_e32 v93, v[95:96]
	v_add_f64 v[95:96], v[14:15], v[46:47]
	v_cvt_f32_f64_e32 v91, v[91:92]
	v_cvt_f32_f64_e32 v95, v[95:96]
	v_min3_f32 v53, v53, v91, v117
	v_add_f64 v[91:92], v[20:21], v[48:49]
	v_cvt_f32_f64_e32 v91, v[91:92]
	v_min3_f32 v91, v93, v91, v123
	v_add_f64 v[92:93], v[16:17], v[48:49]
	v_cvt_f32_f64_e32 v92, v[92:93]
	v_cvt_f32_f64_e32 v93, v[99:100]
	v_add_f64 v[99:100], v[6:7], v[46:47]
	v_add_f64 v[46:47], v[2:3], v[46:47]
	v_min3_f32 v92, v95, v92, v124
	v_add_f64 v[95:96], v[12:13], v[48:49]
	v_cvt_f32_f64_e32 v46, v[46:47]
	v_cvt_f32_f64_e32 v95, v[95:96]
	v_min3_f32 v149, v93, v95, v181
	v_add_f64 v[95:96], v[8:9], v[48:49]
	v_add_f64 v[48:49], v[4:5], v[48:49]
	v_cvt_f32_f64_e32 v93, v[99:100]
	v_add_f64 v[99:100], v[22:23], v[42:43]
	v_cvt_f32_f64_e32 v95, v[95:96]
	v_cvt_f32_f64_e32 v47, v[48:49]
	v_min3_f32 v150, v93, v95, v125
	v_min3_f32 v46, v46, v47, v112
	v_add_f64 v[47:48], v[36:37], v[44:45]
	v_add_f64 v[95:96], v[34:35], v[42:43]
	v_cvt_f32_f64_e32 v47, v[47:48]
	v_cvt_f32_f64_e32 v49, v[95:96]
	v_add_f64 v[95:96], v[26:27], v[42:43]
	v_min3_f32 v47, v49, v47, v113
	v_add_f64 v[48:49], v[28:29], v[44:45]
	v_cvt_f32_f64_e32 v93, v[95:96]
	v_add_f64 v[95:96], v[24:25], v[44:45]
	v_cvt_f32_f64_e32 v48, v[48:49]
	v_cvt_f32_f64_e32 v49, v[99:100]
	v_add_f64 v[99:100], v[18:19], v[42:43]
	v_min3_f32 v48, v93, v48, v126
	v_cvt_f32_f64_e32 v93, v[95:96]
	v_add_f64 v[95:96], v[20:21], v[44:45]
	v_min3_f32 v49, v49, v93, v127
	v_cvt_f32_f64_e32 v93, v[99:100]
	v_cvt_f32_f64_e32 v95, v[95:96]
	v_add_f64 v[99:100], v[14:15], v[42:43]
	v_min3_f32 v151, v93, v95, v128
	v_add_f64 v[95:96], v[16:17], v[44:45]
	v_cvt_f32_f64_e32 v93, v[99:100]
	v_add_f64 v[99:100], v[10:11], v[42:43]
	v_cvt_f32_f64_e32 v95, v[95:96]
	v_min3_f32 v152, v93, v95, v129
	v_add_f64 v[95:96], v[12:13], v[44:45]
	v_cvt_f32_f64_e32 v93, v[99:100]
	v_add_f64 v[99:100], v[6:7], v[42:43]
	v_add_f64 v[42:43], v[2:3], v[42:43]
	v_cvt_f32_f64_e32 v95, v[95:96]
	v_cvt_f32_f64_e32 v42, v[42:43]
	v_min3_f32 v153, v93, v95, v167
	v_add_f64 v[95:96], v[8:9], v[44:45]
	v_add_f64 v[44:45], v[4:5], v[44:45]
	v_cvt_f32_f64_e32 v93, v[99:100]
	v_add_f64 v[99:100], v[22:23], v[38:39]
	v_add_f64 v[22:23], v[22:23], v[30:31]
	v_cvt_f32_f64_e32 v95, v[95:96]
	v_cvt_f32_f64_e32 v43, v[44:45]
	;; [unrolled: 1-line block ×3, first 2 shown]
	v_min3_f32 v154, v93, v95, v166
	v_min3_f32 v42, v42, v43, v165
	v_add_f64 v[43:44], v[36:37], v[40:41]
	v_add_f64 v[95:96], v[34:35], v[38:39]
	;; [unrolled: 1-line block ×4, first 2 shown]
	v_cvt_f32_f64_e32 v43, v[43:44]
	v_cvt_f32_f64_e32 v45, v[95:96]
	v_add_f64 v[95:96], v[26:27], v[38:39]
	v_add_f64 v[26:27], v[26:27], v[30:31]
	v_cvt_f32_f64_e32 v34, v[34:35]
	v_cvt_f32_f64_e32 v35, v[36:37]
	v_min3_f32 v43, v45, v43, v164
	v_add_f64 v[44:45], v[28:29], v[40:41]
	v_cvt_f32_f64_e32 v93, v[95:96]
	v_add_f64 v[95:96], v[24:25], v[40:41]
	v_add_f64 v[28:29], v[28:29], v[32:33]
	;; [unrolled: 1-line block ×3, first 2 shown]
	v_cvt_f32_f64_e32 v26, v[26:27]
	v_min3_f32 v190, v34, v35, v98
	v_cvt_f32_f64_e32 v44, v[44:45]
	v_cvt_f32_f64_e32 v45, v[99:100]
	v_add_f64 v[99:100], v[18:19], v[38:39]
	v_add_f64 v[18:19], v[18:19], v[30:31]
	v_cvt_f32_f64_e32 v27, v[28:29]
	v_cvt_f32_f64_e32 v23, v[24:25]
	v_min3_f32 v44, v93, v44, v106
	v_cvt_f32_f64_e32 v93, v[95:96]
	v_add_f64 v[95:96], v[20:21], v[40:41]
	v_add_f64 v[20:21], v[20:21], v[32:33]
	v_cvt_f32_f64_e32 v18, v[18:19]
	v_min3_f32 v191, v26, v27, v94
	v_min3_f32 v192, v22, v23, v90
	;; [unrolled: 1-line block ×3, first 2 shown]
	v_cvt_f32_f64_e32 v93, v[99:100]
	v_cvt_f32_f64_e32 v95, v[95:96]
	v_add_f64 v[99:100], v[14:15], v[38:39]
	v_add_f64 v[14:15], v[14:15], v[30:31]
	v_cvt_f32_f64_e32 v19, v[20:21]
	v_min3_f32 v155, v93, v95, v108
	v_add_f64 v[95:96], v[16:17], v[40:41]
	v_cvt_f32_f64_e32 v93, v[99:100]
	v_add_f64 v[99:100], v[10:11], v[38:39]
	v_add_f64 v[16:17], v[16:17], v[32:33]
	;; [unrolled: 1-line block ×3, first 2 shown]
	v_cvt_f32_f64_e32 v14, v[14:15]
	v_min3_f32 v193, v18, v19, v86
	v_cvt_f32_f64_e32 v95, v[95:96]
	v_cvt_f32_f64_e32 v15, v[16:17]
	;; [unrolled: 1-line block ×3, first 2 shown]
	v_min3_f32 v156, v93, v95, v109
	v_add_f64 v[95:96], v[12:13], v[40:41]
	v_cvt_f32_f64_e32 v93, v[99:100]
	v_add_f64 v[99:100], v[6:7], v[38:39]
	v_add_f64 v[38:39], v[2:3], v[38:39]
	;; [unrolled: 1-line block ×5, first 2 shown]
	v_min3_f32 v194, v14, v15, v82
	v_cvt_f32_f64_e32 v95, v[95:96]
	v_cvt_f32_f64_e32 v38, v[38:39]
	;; [unrolled: 1-line block ×5, first 2 shown]
	v_min3_f32 v157, v93, v95, v110
	v_add_f64 v[95:96], v[8:9], v[40:41]
	v_add_f64 v[40:41], v[4:5], v[40:41]
	;; [unrolled: 1-line block ×4, first 2 shown]
	v_cvt_f32_f64_e32 v93, v[99:100]
	v_min3_f32 v195, v10, v11, v74
	v_cvt_f32_f64_e32 v95, v[95:96]
	v_cvt_f32_f64_e32 v39, v[40:41]
	;; [unrolled: 1-line block ×4, first 2 shown]
	v_min3_f32 v172, v93, v95, v111
	v_min3_f32 v189, v38, v39, v102
	;; [unrolled: 1-line block ×4, first 2 shown]
	ds_read_b128 v[6:9], v146 offset:1024
	ds_read_b128 v[10:13], v146 offset:2048
	;; [unrolled: 1-line block ×14, first 2 shown]
	ds_read_b128 v[97:100], v171
	ds_read_b128 v[34:37], v171 offset:16
	ds_read_b128 v[185:188], v146
	ds_read_b128 v[2:5], v146 offset:16
	s_waitcnt lgkmcnt(1)
	v_add_f64 v[73:74], v[187:188], v[99:100]
	v_add_f64 v[101:102], v[185:186], v[97:98]
	v_cvt_f32_f64_e32 v73, v[73:74]
	v_cvt_f32_f64_e32 v71, v[101:102]
	v_add_f64 v[101:102], v[6:7], v[97:98]
	v_min3_f32 v129, v71, v73, v66
	v_add_f64 v[73:74], v[8:9], v[99:100]
	v_cvt_f32_f64_e32 v66, v[101:102]
	v_cvt_f32_f64_e32 v71, v[73:74]
	v_add_f64 v[73:74], v[10:11], v[97:98]
	v_min3_f32 v128, v66, v71, v67
	v_add_f64 v[66:67], v[12:13], v[99:100]
	v_cvt_f32_f64_e32 v71, v[73:74]
	v_add_f64 v[73:74], v[14:15], v[97:98]
	v_cvt_f32_f64_e32 v66, v[66:67]
	v_min3_f32 v127, v71, v66, v68
	v_add_f64 v[66:67], v[16:17], v[99:100]
	v_cvt_f32_f64_e32 v68, v[73:74]
	v_cvt_f32_f64_e32 v66, v[66:67]
	v_min3_f32 v126, v68, v66, v69
	v_add_f64 v[66:67], v[20:21], v[99:100]
	v_add_f64 v[68:69], v[18:19], v[97:98]
	v_cvt_f32_f64_e32 v66, v[66:67]
	v_cvt_f32_f64_e32 v68, v[68:69]
	v_min3_f32 v125, v68, v66, v70
	v_add_f64 v[66:67], v[24:25], v[99:100]
	;; [unrolled: 5-line block ×11, first 2 shown]
	v_add_f64 v[64:65], v[26:27], v[38:39]
	v_add_f64 v[40:41], v[32:33], v[40:41]
	;; [unrolled: 1-line block ×3, first 2 shown]
	v_cvt_f32_f64_e32 v62, v[62:63]
	v_cvt_f32_f64_e32 v64, v[64:65]
	;; [unrolled: 1-line block ×4, first 2 shown]
	v_add_f64 v[40:41], v[185:186], v[93:94]
	v_min3_f32 v115, v64, v62, v79
	v_min3_f32 v114, v38, v39, v58
	v_add_f64 v[38:39], v[187:188], v[95:96]
	v_cvt_f32_f64_e32 v40, v[40:41]
	v_cvt_f32_f64_e32 v38, v[38:39]
	v_min3_f32 v113, v40, v38, v59
	v_add_f64 v[38:39], v[8:9], v[95:96]
	v_add_f64 v[40:41], v[6:7], v[93:94]
	v_cvt_f32_f64_e32 v38, v[38:39]
	v_cvt_f32_f64_e32 v40, v[40:41]
	v_min3_f32 v112, v40, v38, v60
	v_add_f64 v[38:39], v[12:13], v[95:96]
	;; [unrolled: 5-line block ×23, first 2 shown]
	v_add_f64 v[40:41], v[30:31], v[162:163]
	s_waitcnt lgkmcnt(0)
	v_add_f64 v[149:150], v[4:5], v[36:37]
	v_cvt_f32_f64_e32 v38, v[38:39]
	v_cvt_f32_f64_e32 v40, v[40:41]
	;; [unrolled: 1-line block ×3, first 2 shown]
	v_min3_f32 v90, v40, v38, v46
	v_add_f64 v[38:39], v[187:188], v[168:169]
	v_add_f64 v[40:41], v[185:186], v[166:167]
	v_cvt_f32_f64_e32 v38, v[38:39]
	v_cvt_f32_f64_e32 v40, v[40:41]
	v_min3_f32 v89, v40, v38, v47
	v_add_f64 v[38:39], v[8:9], v[168:169]
	v_add_f64 v[40:41], v[6:7], v[166:167]
	v_cvt_f32_f64_e32 v38, v[38:39]
	v_cvt_f32_f64_e32 v40, v[40:41]
	v_min3_f32 v88, v40, v38, v48
	v_add_f64 v[38:39], v[12:13], v[168:169]
	v_add_f64 v[40:41], v[10:11], v[166:167]
	v_cvt_f32_f64_e32 v38, v[38:39]
	v_cvt_f32_f64_e32 v40, v[40:41]
	v_min3_f32 v87, v40, v38, v49
	v_add_f64 v[38:39], v[16:17], v[168:169]
	v_add_f64 v[40:41], v[14:15], v[166:167]
	v_cvt_f32_f64_e32 v38, v[38:39]
	v_cvt_f32_f64_e32 v40, v[40:41]
	v_min3_f32 v86, v40, v38, v151
	v_add_f64 v[38:39], v[20:21], v[168:169]
	v_add_f64 v[40:41], v[18:19], v[166:167]
	v_cvt_f32_f64_e32 v38, v[38:39]
	v_cvt_f32_f64_e32 v40, v[40:41]
	v_min3_f32 v85, v40, v38, v152
	v_add_f64 v[38:39], v[24:25], v[168:169]
	v_add_f64 v[40:41], v[22:23], v[166:167]
	;; [unrolled: 1-line block ×3, first 2 shown]
	v_cvt_f32_f64_e32 v38, v[38:39]
	v_cvt_f32_f64_e32 v40, v[40:41]
	;; [unrolled: 1-line block ×3, first 2 shown]
	v_min3_f32 v84, v40, v38, v153
	v_add_f64 v[38:39], v[28:29], v[168:169]
	v_add_f64 v[40:41], v[26:27], v[166:167]
	v_min3_f32 v218, v151, v149, v129
	v_cvt_f32_f64_e32 v38, v[38:39]
	v_cvt_f32_f64_e32 v40, v[40:41]
	v_min3_f32 v83, v40, v38, v154
	v_add_f64 v[38:39], v[32:33], v[168:169]
	v_add_f64 v[40:41], v[30:31], v[166:167]
	v_cvt_f32_f64_e32 v38, v[38:39]
	v_cvt_f32_f64_e32 v40, v[40:41]
	v_min3_f32 v82, v40, v38, v42
	v_add_f64 v[38:39], v[187:188], v[179:180]
	v_add_f64 v[40:41], v[185:186], v[177:178]
	;; [unrolled: 5-line block ×3, first 2 shown]
	v_add_f64 v[8:9], v[8:9], v[183:184]
	v_add_f64 v[6:7], v[6:7], v[181:182]
	v_cvt_f32_f64_e32 v38, v[38:39]
	v_cvt_f32_f64_e32 v40, v[40:41]
	;; [unrolled: 1-line block ×4, first 2 shown]
	v_add_f64 v[8:9], v[10:11], v[181:182]
	v_min3_f32 v80, v40, v38, v44
	v_add_f64 v[38:39], v[12:13], v[179:180]
	v_add_f64 v[40:41], v[10:11], v[177:178]
	v_min3_f32 v72, v6, v7, v191
	v_add_f64 v[6:7], v[12:13], v[183:184]
	v_cvt_f32_f64_e32 v8, v[8:9]
	v_cvt_f32_f64_e32 v38, v[38:39]
	v_cvt_f32_f64_e32 v40, v[40:41]
	v_cvt_f32_f64_e32 v6, v[6:7]
	v_min3_f32 v79, v40, v38, v45
	v_add_f64 v[38:39], v[16:17], v[179:180]
	v_add_f64 v[40:41], v[14:15], v[177:178]
	v_min3_f32 v71, v8, v6, v192
	v_add_f64 v[6:7], v[16:17], v[183:184]
	v_add_f64 v[8:9], v[14:15], v[181:182]
	v_cvt_f32_f64_e32 v38, v[38:39]
	v_cvt_f32_f64_e32 v40, v[40:41]
	v_cvt_f32_f64_e32 v6, v[6:7]
	v_cvt_f32_f64_e32 v8, v[8:9]
	v_min3_f32 v78, v40, v38, v155
	v_add_f64 v[38:39], v[20:21], v[179:180]
	v_add_f64 v[40:41], v[18:19], v[177:178]
	v_min3_f32 v70, v8, v6, v193
	v_add_f64 v[6:7], v[20:21], v[183:184]
	;; [unrolled: 10-line block ×5, first 2 shown]
	v_add_f64 v[8:9], v[30:31], v[181:182]
	v_cvt_f32_f64_e32 v38, v[38:39]
	v_cvt_f32_f64_e32 v40, v[40:41]
	;; [unrolled: 1-line block ×4, first 2 shown]
	v_min3_f32 v74, v40, v38, v189
	v_add_f64 v[38:39], v[187:188], v[183:184]
	v_add_f64 v[40:41], v[185:186], v[181:182]
	v_min3_f32 v66, v8, v6, v197
	v_cvt_f32_f64_e32 v38, v[38:39]
	v_cvt_f32_f64_e32 v40, v[40:41]
	v_min3_f32 v73, v40, v38, v190
	ds_read_b128 v[22:25], v146 offset:1040
	ds_read_b128 v[18:21], v146 offset:2064
	ds_read_b128 v[14:17], v146 offset:3088
	ds_read_b128 v[10:13], v146 offset:4112
	ds_read_b128 v[6:9], v146 offset:5136
	ds_read_b128 v[30:33], v146 offset:6160
	ds_read_b128 v[26:29], v146 offset:7184
	ds_read_b128 v[62:65], v171 offset:272
	ds_read_b128 v[58:61], v171 offset:528
	ds_read_b128 v[54:57], v171 offset:784
	ds_read_b128 v[50:53], v171 offset:1040
	ds_read_b128 v[46:49], v171 offset:1296
	ds_read_b128 v[42:45], v171 offset:1552
	ds_read_b128 v[38:41], v171 offset:1808
	ds_write2st64_b64 v173, v[136:137], v[138:139] offset1:4
	ds_write2st64_b64 v173, v[140:141], v[142:143] offset0:8 offset1:12
	ds_write_b64 v174, v[134:135]
	s_waitcnt lgkmcnt(0)
	s_barrier
	buffer_gl0_inv
	v_add_f64 v[149:150], v[24:25], v[36:37]
	v_add_f64 v[151:152], v[22:23], v[34:35]
	v_cvt_f32_f64_e32 v149, v[149:150]
	v_cvt_f32_f64_e32 v129, v[151:152]
	v_min3_f32 v217, v129, v149, v128
	v_add_f64 v[128:129], v[20:21], v[36:37]
	v_add_f64 v[149:150], v[18:19], v[34:35]
	v_cvt_f32_f64_e32 v128, v[128:129]
	v_cvt_f32_f64_e32 v149, v[149:150]
	v_min3_f32 v216, v149, v128, v127
	;; [unrolled: 5-line block ×5, first 2 shown]
	v_add_f64 v[124:125], v[32:33], v[36:37]
	v_add_f64 v[126:127], v[30:31], v[34:35]
	v_add_f64 v[36:37], v[28:29], v[36:37]
	v_add_f64 v[34:35], v[26:27], v[34:35]
	v_cvt_f32_f64_e32 v124, v[124:125]
	v_cvt_f32_f64_e32 v126, v[126:127]
	;; [unrolled: 1-line block ×4, first 2 shown]
	v_add_f64 v[36:37], v[2:3], v[62:63]
	v_min3_f32 v212, v126, v124, v123
	v_min3_f32 v211, v34, v35, v122
	v_add_f64 v[34:35], v[4:5], v[64:65]
	v_cvt_f32_f64_e32 v36, v[36:37]
	v_cvt_f32_f64_e32 v34, v[34:35]
	v_min3_f32 v210, v36, v34, v121
	v_add_f64 v[34:35], v[24:25], v[64:65]
	v_add_f64 v[36:37], v[22:23], v[62:63]
	v_cvt_f32_f64_e32 v34, v[34:35]
	v_cvt_f32_f64_e32 v36, v[36:37]
	v_min3_f32 v209, v36, v34, v120
	v_add_f64 v[34:35], v[20:21], v[64:65]
	;; [unrolled: 5-line block ×40, first 2 shown]
	v_add_f64 v[36:37], v[2:3], v[42:43]
	v_add_f64 v[4:5], v[4:5], v[40:41]
	;; [unrolled: 1-line block ×3, first 2 shown]
	v_cvt_f32_f64_e32 v34, v[34:35]
	v_cvt_f32_f64_e32 v36, v[36:37]
	;; [unrolled: 1-line block ×4, first 2 shown]
	v_add_f64 v[4:5], v[22:23], v[38:39]
	v_min3_f32 v164, v36, v34, v81
	v_add_f64 v[34:35], v[24:25], v[44:45]
	v_add_f64 v[36:37], v[22:23], v[42:43]
	v_min3_f32 v156, v2, v3, v73
	v_add_f64 v[2:3], v[24:25], v[40:41]
	v_cvt_f32_f64_e32 v4, v[4:5]
	v_cvt_f32_f64_e32 v34, v[34:35]
	v_cvt_f32_f64_e32 v36, v[36:37]
	v_cvt_f32_f64_e32 v2, v[2:3]
	v_min3_f32 v163, v36, v34, v80
	v_add_f64 v[34:35], v[20:21], v[44:45]
	v_add_f64 v[36:37], v[18:19], v[42:43]
	v_min3_f32 v155, v4, v2, v72
	v_add_f64 v[2:3], v[20:21], v[40:41]
	v_add_f64 v[4:5], v[18:19], v[38:39]
	v_cvt_f32_f64_e32 v34, v[34:35]
	v_cvt_f32_f64_e32 v36, v[36:37]
	v_cvt_f32_f64_e32 v2, v[2:3]
	v_cvt_f32_f64_e32 v4, v[4:5]
	v_min3_f32 v162, v36, v34, v79
	v_add_f64 v[34:35], v[16:17], v[44:45]
	v_add_f64 v[36:37], v[14:15], v[42:43]
	v_min3_f32 v154, v4, v2, v71
	v_add_f64 v[2:3], v[16:17], v[40:41]
	;; [unrolled: 10-line block ×6, first 2 shown]
	v_add_f64 v[4:5], v[26:27], v[38:39]
	v_cvt_f32_f64_e32 v34, v[34:35]
	v_cvt_f32_f64_e32 v36, v[36:37]
	;; [unrolled: 1-line block ×4, first 2 shown]
	v_min3_f32 v157, v36, v34, v74
	v_min3_f32 v149, v4, v2, v66
	s_cbranch_scc1 .LBB161_51
.LBB161_31:                             ; =>This Inner Loop Header: Depth=1
	v_add_nc_u32_e32 v30, s27, v144
	v_add_nc_u32_e32 v4, 8, v30
	v_min_i32_e32 v2, s28, v4
	v_cmp_le_i32_e64 s6, s14, v4
	v_mad_i64_i32 v[2:3], null, v2, s17, 0
	s_or_b32 s30, vcc_lo, s6
	v_cndmask_b32_e64 v135, 0, 0x7fefffff, s30
	v_cndmask_b32_e64 v134, 0, -1, s30
	v_lshlrev_b64 v[2:3], 3, v[2:3]
	v_add_co_u32 v2, s8, s24, v2
	v_add_co_ci_u32_e64 v3, null, s25, v3, s8
	s_nor_b32 s8, s29, s30
	s_and_saveexec_b32 s30, s8
	s_cbranch_execz .LBB161_33
; %bb.32:                               ;   in Loop: Header=BB161_31 Depth=1
	v_add_co_u32 v4, s8, v2, v130
	v_add_co_ci_u32_e64 v5, null, v3, v131, s8
	global_load_dwordx2 v[4:5], v[4:5], off
	s_waitcnt vmcnt(0)
	v_mul_f64 v[134:135], s[20:21], v[4:5]
.LBB161_33:                             ;   in Loop: Header=BB161_31 Depth=1
	s_or_b32 exec_lo, exec_lo, s30
	s_or_b32 s8, s0, s6
	v_cndmask_b32_e64 v137, 0, 0x7fefffff, s8
	v_cndmask_b32_e64 v136, 0, -1, s8
	s_nor_b32 s8, s29, s8
	s_and_saveexec_b32 s30, s8
	s_cbranch_execz .LBB161_35
; %bb.34:                               ;   in Loop: Header=BB161_31 Depth=1
	v_add_co_u32 v4, s8, v2, v130
	v_add_co_ci_u32_e64 v5, null, v3, v131, s8
	global_load_dwordx2 v[4:5], v[4:5], off offset:512
	s_waitcnt vmcnt(0)
	v_mul_f64 v[136:137], s[20:21], v[4:5]
.LBB161_35:                             ;   in Loop: Header=BB161_31 Depth=1
	s_or_b32 exec_lo, exec_lo, s30
	s_or_b32 s8, s1, s6
	v_cndmask_b32_e64 v139, 0, 0x7fefffff, s8
	v_cndmask_b32_e64 v138, 0, -1, s8
	s_nor_b32 s8, s29, s8
	s_and_saveexec_b32 s30, s8
	s_cbranch_execz .LBB161_37
; %bb.36:                               ;   in Loop: Header=BB161_31 Depth=1
	v_add_co_u32 v4, s8, v2, v130
	v_add_co_ci_u32_e64 v5, null, v3, v131, s8
	global_load_dwordx2 v[4:5], v[4:5], off offset:1024
	s_waitcnt vmcnt(0)
	v_mul_f64 v[138:139], s[20:21], v[4:5]
.LBB161_37:                             ;   in Loop: Header=BB161_31 Depth=1
	;; [unrolled: 14-line block ×3, first 2 shown]
	s_or_b32 exec_lo, exec_lo, s8
	v_add_nc_u32_e32 v219, s27, v147
	v_add_nc_u32_e32 v2, 8, v219
	v_cmp_le_i32_e64 s6, s14, v2
	s_or_b32 s6, s6, s3
	v_cndmask_b32_e64 v143, 0, 0x7fefffff, s6
	v_cndmask_b32_e64 v142, 0, -1, s6
	s_nor_b32 s8, s29, s6
	s_and_saveexec_b32 s6, s8
	s_cbranch_execz .LBB161_41
; %bb.40:                               ;   in Loop: Header=BB161_31 Depth=1
	global_load_dwordx2 v[2:3], v[132:133], off
	s_waitcnt vmcnt(0)
	v_mul_f64 v[142:143], s[20:21], v[2:3]
.LBB161_41:                             ;   in Loop: Header=BB161_31 Depth=1
	s_or_b32 exec_lo, exec_lo, s6
	ds_read_b128 v[126:129], v176
	ds_read_b128 v[62:65], v176 offset:16
	ds_read_b128 v[98:101], v175
	ds_read_b128 v[34:37], v175 offset:16
	ds_read_b128 v[94:97], v175 offset:1024
	;; [unrolled: 1-line block ×17, first 2 shown]
	v_add_nc_u32_e32 v222, 12, v30
	ds_read_b128 v[118:121], v176 offset:512
	ds_read_b128 v[54:57], v176 offset:528
	;; [unrolled: 1-line block ×8, first 2 shown]
	v_min_i32_e32 v30, s28, v222
	v_cmp_le_i32_e64 s6, s14, v222
	v_mad_i64_i32 v[220:221], null, v30, s17, 0
	ds_read_b128 v[102:105], v176 offset:1536
	ds_read_b128 v[38:41], v176 offset:1552
	ds_read_b128 v[78:81], v176 offset:1792
	ds_read_b128 v[30:33], v176 offset:1808
	ds_write2st64_b64 v148, v[134:135], v[136:137] offset1:4
	ds_write2st64_b64 v148, v[138:139], v[140:141] offset0:8 offset1:12
	ds_write_b64 v170, v[142:143]
	s_waitcnt lgkmcnt(0)
	s_barrier
	buffer_gl0_inv
	v_lshlrev_b64 v[220:221], 3, v[220:221]
	v_add_co_u32 v134, s8, s24, v220
	v_add_co_ci_u32_e64 v135, null, s25, v221, s8
	s_or_b32 s8, vcc_lo, s6
	v_cndmask_b32_e64 v137, 0, 0x7fefffff, s8
	v_cndmask_b32_e64 v136, 0, -1, s8
	s_nor_b32 s8, s29, s8
	s_and_saveexec_b32 s30, s8
	s_cbranch_execz .LBB161_43
; %bb.42:                               ;   in Loop: Header=BB161_31 Depth=1
	v_add_co_u32 v136, s8, v134, v130
	v_add_co_ci_u32_e64 v137, null, v135, v131, s8
	global_load_dwordx2 v[136:137], v[136:137], off
	s_waitcnt vmcnt(0)
	v_mul_f64 v[136:137], s[20:21], v[136:137]
.LBB161_43:                             ;   in Loop: Header=BB161_31 Depth=1
	s_or_b32 exec_lo, exec_lo, s30
	s_or_b32 s8, s0, s6
	v_cndmask_b32_e64 v139, 0, 0x7fefffff, s8
	v_cndmask_b32_e64 v138, 0, -1, s8
	s_nor_b32 s8, s29, s8
	s_and_saveexec_b32 s30, s8
	s_cbranch_execz .LBB161_45
; %bb.44:                               ;   in Loop: Header=BB161_31 Depth=1
	v_add_co_u32 v138, s8, v134, v130
	v_add_co_ci_u32_e64 v139, null, v135, v131, s8
	global_load_dwordx2 v[138:139], v[138:139], off offset:512
	s_waitcnt vmcnt(0)
	v_mul_f64 v[138:139], s[20:21], v[138:139]
.LBB161_45:                             ;   in Loop: Header=BB161_31 Depth=1
	s_or_b32 exec_lo, exec_lo, s30
	s_or_b32 s8, s1, s6
	v_cndmask_b32_e64 v141, 0, 0x7fefffff, s8
	v_cndmask_b32_e64 v140, 0, -1, s8
	s_nor_b32 s8, s29, s8
	s_and_saveexec_b32 s30, s8
	s_cbranch_execz .LBB161_47
; %bb.46:                               ;   in Loop: Header=BB161_31 Depth=1
	v_add_co_u32 v140, s8, v134, v130
	v_add_co_ci_u32_e64 v141, null, v135, v131, s8
	global_load_dwordx2 v[140:141], v[140:141], off offset:1024
	s_waitcnt vmcnt(0)
	v_mul_f64 v[140:141], s[20:21], v[140:141]
.LBB161_47:                             ;   in Loop: Header=BB161_31 Depth=1
	;; [unrolled: 14-line block ×3, first 2 shown]
	s_or_b32 exec_lo, exec_lo, s8
	v_add_nc_u32_e32 v134, 12, v219
	v_cmp_le_i32_e64 s6, s14, v134
	s_or_b32 s6, s6, s3
	v_cndmask_b32_e64 v135, 0, 0x7fefffff, s6
	v_cndmask_b32_e64 v134, 0, -1, s6
	s_nor_b32 s8, s29, s6
	s_and_saveexec_b32 s6, s8
	s_cbranch_execz .LBB161_30
; %bb.50:                               ;   in Loop: Header=BB161_31 Depth=1
	global_load_dwordx2 v[134:135], v[132:133], off offset:32
	s_waitcnt vmcnt(0)
	v_mul_f64 v[134:135], s[20:21], v[134:135]
	s_branch .LBB161_30
.LBB161_51:
	s_clause 0x2
	s_load_dwordx2 s[0:1], s[4:5], 0x78
	s_load_dword s17, s[4:5], 0x58
	s_load_dword s14, s[4:5], 0x70
	ds_read_b128 v[70:73], v146 offset:8192
	ds_read_b128 v[66:69], v146 offset:8208
	;; [unrolled: 1-line block ×18, first 2 shown]
	v_add_nc_u32_e32 v146, s16, v1
	ds_read_b128 v[118:121], v145 offset:18688
	ds_read_b128 v[114:117], v145 offset:18704
	;; [unrolled: 1-line block ×14, first 2 shown]
	v_add_nc_u32_e32 v0, s15, v0
	v_cmp_gt_i32_e64 s8, s13, v146
	v_cndmask_b32_e64 v144, 0, 1, s9
	v_ashrrev_i32_e32 v1, 31, v0
	s_waitcnt lgkmcnt(0)
	s_mul_i32 s1, s1, s7
	v_mad_i64_i32 v[130:131], null, v146, s17, 0
	v_mad_i64_i32 v[132:133], null, v146, s14, 0
	s_mul_hi_u32 s2, s0, s7
	s_mul_i32 s0, s0, s7
	s_add_i32 s1, s2, s1
	s_lshl_b64 s[0:1], s[0:1], 3
	v_lshlrev_b64 v[130:131], 3, v[130:131]
	v_lshlrev_b64 v[132:133], 3, v[132:133]
	s_add_u32 s18, s18, s0
	s_addc_u32 s15, s19, s1
	v_cmp_gt_i32_e64 s0, s12, v0
	v_add_co_u32 v148, vcc_lo, s22, v130
	v_add_co_ci_u32_e64 v170, null, s23, v131, vcc_lo
	v_add_co_u32 v145, vcc_lo, s18, v132
	v_add_co_ci_u32_e64 v147, null, s15, v133, vcc_lo
	s_and_b32 s2, s0, s8
	s_and_saveexec_b32 s1, s2
	s_cbranch_execz .LBB161_56
; %bb.52:
	s_andn2_b32 vcc_lo, exec_lo, s9
	s_cbranch_vccnz .LBB161_54
; %bb.53:
	v_lshlrev_b64 v[130:131], 3, v[0:1]
	v_add_co_u32 v130, vcc_lo, v148, v130
	v_add_co_ci_u32_e64 v131, null, v170, v131, vcc_lo
	global_load_dwordx2 v[130:131], v[130:131], off
	s_waitcnt vmcnt(0)
	v_mul_f64 v[130:131], s[10:11], v[130:131]
	v_cvt_f32_f64_e32 v130, v[130:131]
	s_branch .LBB161_55
.LBB161_54:
	v_mov_b32_e32 v130, 0
.LBB161_55:
	v_add_f64 v[131:132], v[70:71], v[126:127]
	v_add_f64 v[133:134], v[72:73], v[128:129]
	;; [unrolled: 1-line block ×4, first 2 shown]
	v_cvt_f32_f64_e32 v131, v[131:132]
	v_cvt_f32_f64_e32 v132, v[133:134]
	;; [unrolled: 1-line block ×4, first 2 shown]
	v_min3_f32 v131, v131, v132, v218
	v_min_f32_e32 v132, v133, v134
	v_min3_f32 v130, v130, v132, v131
	v_lshlrev_b64 v[132:133], 3, v[0:1]
	v_cvt_f64_f32_e32 v[130:131], v130
	v_add_co_u32 v132, vcc_lo, v145, v132
	v_add_co_ci_u32_e64 v133, null, v147, v133, vcc_lo
	global_store_dwordx2 v[132:133], v[130:131], off
.LBB161_56:
	s_or_b32 exec_lo, exec_lo, s1
	v_add_nc_u32_e32 v130, 32, v0
	v_cmp_gt_i32_e64 s1, s12, v130
	v_ashrrev_i32_e32 v131, 31, v130
	s_and_b32 s3, s1, s8
	s_and_saveexec_b32 s2, s3
	s_cbranch_execz .LBB161_61
; %bb.57:
	v_cmp_ne_u32_e32 vcc_lo, 1, v144
	s_cbranch_vccnz .LBB161_59
; %bb.58:
	v_lshlrev_b64 v[132:133], 3, v[130:131]
	v_add_co_u32 v132, vcc_lo, v148, v132
	v_add_co_ci_u32_e64 v133, null, v170, v133, vcc_lo
	global_load_dwordx2 v[132:133], v[132:133], off
	s_waitcnt vmcnt(0)
	v_mul_f64 v[132:133], s[10:11], v[132:133]
	v_cvt_f32_f64_e32 v132, v[132:133]
	s_branch .LBB161_60
.LBB161_59:
	v_mov_b32_e32 v132, 0
.LBB161_60:
	v_add_f64 v[133:134], v[62:63], v[126:127]
	v_add_f64 v[135:136], v[64:65], v[128:129]
	v_add_f64 v[137:138], v[58:59], v[122:123]
	v_add_f64 v[139:140], v[60:61], v[124:125]
	v_cvt_f32_f64_e32 v133, v[133:134]
	v_cvt_f32_f64_e32 v134, v[135:136]
	v_cvt_f32_f64_e32 v135, v[137:138]
	v_cvt_f32_f64_e32 v136, v[139:140]
	v_min3_f32 v133, v133, v134, v217
	v_min_f32_e32 v134, v135, v136
	v_min3_f32 v132, v132, v134, v133
	v_lshlrev_b64 v[134:135], 3, v[130:131]
	v_cvt_f64_f32_e32 v[132:133], v132
	v_add_co_u32 v134, vcc_lo, v145, v134
	v_add_co_ci_u32_e64 v135, null, v147, v135, vcc_lo
	global_store_dwordx2 v[134:135], v[132:133], off
.LBB161_61:
	s_or_b32 exec_lo, exec_lo, s2
	v_add_nc_u32_e32 v132, 64, v0
	v_cmp_gt_i32_e64 s2, s12, v132
	v_ashrrev_i32_e32 v133, 31, v132
	s_and_b32 s4, s2, s8
	s_and_saveexec_b32 s3, s4
	s_cbranch_execz .LBB161_66
; %bb.62:
	v_cmp_ne_u32_e32 vcc_lo, 1, v144
	s_cbranch_vccnz .LBB161_64
; %bb.63:
	v_lshlrev_b64 v[134:135], 3, v[132:133]
	v_add_co_u32 v134, vcc_lo, v148, v134
	v_add_co_ci_u32_e64 v135, null, v170, v135, vcc_lo
	global_load_dwordx2 v[134:135], v[134:135], off
	s_waitcnt vmcnt(0)
	v_mul_f64 v[134:135], s[10:11], v[134:135]
	v_cvt_f32_f64_e32 v134, v[134:135]
	s_branch .LBB161_65
.LBB161_64:
	v_mov_b32_e32 v134, 0
.LBB161_65:
	v_add_f64 v[135:136], v[54:55], v[126:127]
	v_add_f64 v[137:138], v[56:57], v[128:129]
	v_add_f64 v[139:140], v[50:51], v[122:123]
	v_add_f64 v[141:142], v[52:53], v[124:125]
	v_cvt_f32_f64_e32 v135, v[135:136]
	v_cvt_f32_f64_e32 v136, v[137:138]
	v_cvt_f32_f64_e32 v137, v[139:140]
	v_cvt_f32_f64_e32 v138, v[141:142]
	v_min3_f32 v135, v135, v136, v216
	v_min_f32_e32 v136, v137, v138
	v_min3_f32 v134, v134, v136, v135
	v_lshlrev_b64 v[136:137], 3, v[132:133]
	v_cvt_f64_f32_e32 v[134:135], v134
	v_add_co_u32 v136, vcc_lo, v145, v136
	v_add_co_ci_u32_e64 v137, null, v147, v137, vcc_lo
	global_store_dwordx2 v[136:137], v[134:135], off
.LBB161_66:
	;; [unrolled: 39-line block ×5, first 2 shown]
	s_or_b32 exec_lo, exec_lo, s6
	v_add_nc_u32_e32 v140, 0xc0, v0
	v_cmp_gt_i32_e64 s6, s12, v140
	v_ashrrev_i32_e32 v141, 31, v140
	s_and_b32 s9, s6, s8
	s_and_saveexec_b32 s7, s9
	s_cbranch_execz .LBB161_86
; %bb.82:
	v_cmp_ne_u32_e32 vcc_lo, 1, v144
	s_cbranch_vccnz .LBB161_84
; %bb.83:
	v_lshlrev_b64 v[142:143], 3, v[140:141]
	v_add_co_u32 v142, vcc_lo, v148, v142
	v_add_co_ci_u32_e64 v143, null, v170, v143, vcc_lo
	global_load_dwordx2 v[142:143], v[142:143], off
	s_waitcnt vmcnt(0)
	v_mul_f64 v[142:143], s[10:11], v[142:143]
	v_cvt_f32_f64_e32 v142, v[142:143]
	s_branch .LBB161_85
.LBB161_84:
	v_mov_b32_e32 v142, 0
.LBB161_85:
	v_add_f64 v[173:174], v[22:23], v[126:127]
	v_add_f64 v[175:176], v[24:25], v[128:129]
	;; [unrolled: 1-line block ×4, first 2 shown]
	v_cvt_f32_f64_e32 v143, v[173:174]
	v_cvt_f32_f64_e32 v171, v[175:176]
	;; [unrolled: 1-line block ×4, first 2 shown]
	v_min3_f32 v143, v143, v171, v212
	v_min_f32_e32 v171, v173, v174
	v_lshlrev_b64 v[173:174], 3, v[140:141]
	v_min3_f32 v142, v142, v171, v143
	v_add_co_u32 v173, vcc_lo, v145, v173
	v_add_co_ci_u32_e64 v174, null, v147, v174, vcc_lo
	v_cvt_f64_f32_e32 v[142:143], v142
	global_store_dwordx2 v[173:174], v[142:143], off
.LBB161_86:
	s_or_b32 exec_lo, exec_lo, s7
	v_add_nc_u32_e32 v142, 0xe0, v0
	v_cmp_gt_i32_e64 s7, s12, v142
	v_ashrrev_i32_e32 v143, 31, v142
	s_and_b32 s9, s7, s8
	s_and_saveexec_b32 s8, s9
	s_cbranch_execz .LBB161_91
; %bb.87:
	v_cmp_ne_u32_e32 vcc_lo, 1, v144
	s_cbranch_vccnz .LBB161_89
; %bb.88:
	v_lshlrev_b64 v[173:174], 3, v[142:143]
	v_add_co_u32 v173, vcc_lo, v148, v173
	v_add_co_ci_u32_e64 v174, null, v170, v174, vcc_lo
	global_load_dwordx2 v[170:171], v[173:174], off
	s_waitcnt vmcnt(0)
	v_mul_f64 v[170:171], s[10:11], v[170:171]
	v_cvt_f32_f64_e32 v148, v[170:171]
	s_branch .LBB161_90
.LBB161_89:
	v_mov_b32_e32 v148, 0
.LBB161_90:
	v_add_f64 v[126:127], v[6:7], v[126:127]
	v_add_f64 v[128:129], v[8:9], v[128:129]
	;; [unrolled: 1-line block ×4, first 2 shown]
	v_cvt_f32_f64_e32 v126, v[126:127]
	v_cvt_f32_f64_e32 v127, v[128:129]
	;; [unrolled: 1-line block ×4, first 2 shown]
	v_min3_f32 v124, v126, v127, v211
	v_min_f32_e32 v122, v122, v123
	v_min3_f32 v122, v148, v122, v124
	v_lshlrev_b64 v[124:125], 3, v[142:143]
	v_cvt_f64_f32_e32 v[122:123], v122
	v_add_co_u32 v124, vcc_lo, v145, v124
	v_add_co_ci_u32_e64 v125, null, v147, v125, vcc_lo
	global_store_dwordx2 v[124:125], v[122:123], off
.LBB161_91:
	s_or_b32 exec_lo, exec_lo, s8
	v_add_nc_u32_e32 v126, 8, v146
	v_mad_i64_i32 v[122:123], null, v126, s17, 0
	v_mad_i64_i32 v[124:125], null, v126, s14, 0
	v_cmp_gt_i32_e64 s8, s13, v126
	v_lshlrev_b64 v[122:123], 3, v[122:123]
	s_and_b32 s12, s0, s8
	v_lshlrev_b64 v[126:127], 3, v[124:125]
	v_add_co_u32 v124, vcc_lo, s22, v122
	v_add_co_ci_u32_e64 v125, null, s23, v123, vcc_lo
	v_add_co_u32 v122, vcc_lo, s18, v126
	v_add_co_ci_u32_e64 v123, null, s15, v127, vcc_lo
	s_and_saveexec_b32 s9, s12
	s_cbranch_execnz .LBB161_99
; %bb.92:
	s_or_b32 exec_lo, exec_lo, s9
	s_and_b32 s12, s1, s8
	s_and_saveexec_b32 s9, s12
	s_cbranch_execnz .LBB161_103
.LBB161_93:
	s_or_b32 exec_lo, exec_lo, s9
	s_and_b32 s12, s2, s8
	s_and_saveexec_b32 s9, s12
	s_cbranch_execnz .LBB161_107
.LBB161_94:
	s_or_b32 exec_lo, exec_lo, s9
	s_and_b32 s12, s3, s8
	s_and_saveexec_b32 s9, s12
	s_cbranch_execnz .LBB161_111
.LBB161_95:
	s_or_b32 exec_lo, exec_lo, s9
	s_and_b32 s12, s4, s8
	s_and_saveexec_b32 s9, s12
	s_cbranch_execnz .LBB161_115
.LBB161_96:
	s_or_b32 exec_lo, exec_lo, s9
	s_and_b32 s12, s5, s8
	s_and_saveexec_b32 s9, s12
	s_cbranch_execnz .LBB161_119
.LBB161_97:
	s_or_b32 exec_lo, exec_lo, s9
	s_and_b32 s12, s6, s8
	s_and_saveexec_b32 s9, s12
	s_cbranch_execnz .LBB161_123
.LBB161_98:
	s_or_b32 exec_lo, exec_lo, s9
	s_and_b32 s9, s7, s8
	s_and_saveexec_b32 s8, s9
	s_cbranch_execnz .LBB161_127
	s_branch .LBB161_131
.LBB161_99:
	v_cmp_ne_u32_e32 vcc_lo, 1, v144
	s_cbranch_vccnz .LBB161_101
; %bb.100:
	v_lshlrev_b64 v[126:127], 3, v[0:1]
	v_add_co_u32 v126, vcc_lo, v124, v126
	v_add_co_ci_u32_e64 v127, null, v125, v127, vcc_lo
	global_load_dwordx2 v[126:127], v[126:127], off
	s_waitcnt vmcnt(0)
	v_mul_f64 v[126:127], s[10:11], v[126:127]
	v_cvt_f32_f64_e32 v126, v[126:127]
	s_branch .LBB161_102
.LBB161_101:
	v_mov_b32_e32 v126, 0
.LBB161_102:
	v_add_f64 v[127:128], v[70:71], v[118:119]
	v_add_f64 v[147:148], v[72:73], v[120:121]
	;; [unrolled: 1-line block ×4, first 2 shown]
	v_cvt_f32_f64_e32 v127, v[127:128]
	v_cvt_f32_f64_e32 v128, v[147:148]
	;; [unrolled: 1-line block ×4, first 2 shown]
	v_min3_f32 v127, v127, v128, v210
	v_min_f32_e32 v128, v129, v145
	v_min3_f32 v126, v126, v128, v127
	v_lshlrev_b64 v[128:129], 3, v[0:1]
	v_cvt_f64_f32_e32 v[126:127], v126
	v_add_co_u32 v128, vcc_lo, v122, v128
	v_add_co_ci_u32_e64 v129, null, v123, v129, vcc_lo
	global_store_dwordx2 v[128:129], v[126:127], off
	s_or_b32 exec_lo, exec_lo, s9
	s_and_b32 s12, s1, s8
	s_and_saveexec_b32 s9, s12
	s_cbranch_execz .LBB161_93
.LBB161_103:
	v_cmp_ne_u32_e32 vcc_lo, 1, v144
	s_cbranch_vccnz .LBB161_105
; %bb.104:
	v_lshlrev_b64 v[126:127], 3, v[130:131]
	v_add_co_u32 v126, vcc_lo, v124, v126
	v_add_co_ci_u32_e64 v127, null, v125, v127, vcc_lo
	global_load_dwordx2 v[126:127], v[126:127], off
	s_waitcnt vmcnt(0)
	v_mul_f64 v[126:127], s[10:11], v[126:127]
	v_cvt_f32_f64_e32 v126, v[126:127]
	s_branch .LBB161_106
.LBB161_105:
	v_mov_b32_e32 v126, 0
.LBB161_106:
	v_add_f64 v[127:128], v[62:63], v[118:119]
	v_add_f64 v[147:148], v[64:65], v[120:121]
	;; [unrolled: 1-line block ×4, first 2 shown]
	v_cvt_f32_f64_e32 v127, v[127:128]
	v_cvt_f32_f64_e32 v128, v[147:148]
	;; [unrolled: 1-line block ×4, first 2 shown]
	v_min3_f32 v127, v127, v128, v209
	v_min_f32_e32 v128, v129, v145
	v_min3_f32 v126, v126, v128, v127
	v_lshlrev_b64 v[128:129], 3, v[130:131]
	v_cvt_f64_f32_e32 v[126:127], v126
	v_add_co_u32 v128, vcc_lo, v122, v128
	v_add_co_ci_u32_e64 v129, null, v123, v129, vcc_lo
	global_store_dwordx2 v[128:129], v[126:127], off
	s_or_b32 exec_lo, exec_lo, s9
	s_and_b32 s12, s2, s8
	s_and_saveexec_b32 s9, s12
	s_cbranch_execz .LBB161_94
.LBB161_107:
	v_cmp_ne_u32_e32 vcc_lo, 1, v144
	s_cbranch_vccnz .LBB161_109
; %bb.108:
	v_lshlrev_b64 v[126:127], 3, v[132:133]
	v_add_co_u32 v126, vcc_lo, v124, v126
	v_add_co_ci_u32_e64 v127, null, v125, v127, vcc_lo
	global_load_dwordx2 v[126:127], v[126:127], off
	s_waitcnt vmcnt(0)
	v_mul_f64 v[126:127], s[10:11], v[126:127]
	v_cvt_f32_f64_e32 v126, v[126:127]
	s_branch .LBB161_110
.LBB161_109:
	v_mov_b32_e32 v126, 0
.LBB161_110:
	v_add_f64 v[127:128], v[54:55], v[118:119]
	v_add_f64 v[147:148], v[56:57], v[120:121]
	;; [unrolled: 1-line block ×4, first 2 shown]
	v_cvt_f32_f64_e32 v127, v[127:128]
	v_cvt_f32_f64_e32 v128, v[147:148]
	;; [unrolled: 1-line block ×4, first 2 shown]
	v_min3_f32 v127, v127, v128, v208
	v_min_f32_e32 v128, v129, v145
	v_min3_f32 v126, v126, v128, v127
	v_lshlrev_b64 v[128:129], 3, v[132:133]
	v_cvt_f64_f32_e32 v[126:127], v126
	v_add_co_u32 v128, vcc_lo, v122, v128
	v_add_co_ci_u32_e64 v129, null, v123, v129, vcc_lo
	global_store_dwordx2 v[128:129], v[126:127], off
	s_or_b32 exec_lo, exec_lo, s9
	s_and_b32 s12, s3, s8
	s_and_saveexec_b32 s9, s12
	s_cbranch_execz .LBB161_95
.LBB161_111:
	v_cmp_ne_u32_e32 vcc_lo, 1, v144
	s_cbranch_vccnz .LBB161_113
; %bb.112:
	v_lshlrev_b64 v[126:127], 3, v[134:135]
	v_add_co_u32 v126, vcc_lo, v124, v126
	v_add_co_ci_u32_e64 v127, null, v125, v127, vcc_lo
	global_load_dwordx2 v[126:127], v[126:127], off
	s_waitcnt vmcnt(0)
	v_mul_f64 v[126:127], s[10:11], v[126:127]
	v_cvt_f32_f64_e32 v126, v[126:127]
	s_branch .LBB161_114
.LBB161_113:
	v_mov_b32_e32 v126, 0
.LBB161_114:
	v_add_f64 v[127:128], v[46:47], v[118:119]
	v_add_f64 v[147:148], v[48:49], v[120:121]
	;; [unrolled: 1-line block ×4, first 2 shown]
	v_cvt_f32_f64_e32 v127, v[127:128]
	v_cvt_f32_f64_e32 v128, v[147:148]
	v_cvt_f32_f64_e32 v129, v[170:171]
	v_cvt_f32_f64_e32 v145, v[173:174]
	v_min3_f32 v127, v127, v128, v207
	v_min_f32_e32 v128, v129, v145
	v_min3_f32 v126, v126, v128, v127
	v_lshlrev_b64 v[128:129], 3, v[134:135]
	v_cvt_f64_f32_e32 v[126:127], v126
	v_add_co_u32 v128, vcc_lo, v122, v128
	v_add_co_ci_u32_e64 v129, null, v123, v129, vcc_lo
	global_store_dwordx2 v[128:129], v[126:127], off
	s_or_b32 exec_lo, exec_lo, s9
	s_and_b32 s12, s4, s8
	s_and_saveexec_b32 s9, s12
	s_cbranch_execz .LBB161_96
.LBB161_115:
	v_cmp_ne_u32_e32 vcc_lo, 1, v144
	s_cbranch_vccnz .LBB161_117
; %bb.116:
	v_lshlrev_b64 v[126:127], 3, v[136:137]
	v_add_co_u32 v126, vcc_lo, v124, v126
	v_add_co_ci_u32_e64 v127, null, v125, v127, vcc_lo
	global_load_dwordx2 v[126:127], v[126:127], off
	s_waitcnt vmcnt(0)
	v_mul_f64 v[126:127], s[10:11], v[126:127]
	v_cvt_f32_f64_e32 v126, v[126:127]
	s_branch .LBB161_118
.LBB161_117:
	v_mov_b32_e32 v126, 0
.LBB161_118:
	v_add_f64 v[127:128], v[38:39], v[118:119]
	v_add_f64 v[147:148], v[40:41], v[120:121]
	;; [unrolled: 1-line block ×4, first 2 shown]
	v_cvt_f32_f64_e32 v127, v[127:128]
	v_cvt_f32_f64_e32 v128, v[147:148]
	;; [unrolled: 1-line block ×4, first 2 shown]
	v_min3_f32 v127, v127, v128, v206
	v_min_f32_e32 v128, v129, v145
	v_min3_f32 v126, v126, v128, v127
	v_lshlrev_b64 v[128:129], 3, v[136:137]
	v_cvt_f64_f32_e32 v[126:127], v126
	v_add_co_u32 v128, vcc_lo, v122, v128
	v_add_co_ci_u32_e64 v129, null, v123, v129, vcc_lo
	global_store_dwordx2 v[128:129], v[126:127], off
	s_or_b32 exec_lo, exec_lo, s9
	s_and_b32 s12, s5, s8
	s_and_saveexec_b32 s9, s12
	s_cbranch_execz .LBB161_97
.LBB161_119:
	v_cmp_ne_u32_e32 vcc_lo, 1, v144
	s_cbranch_vccnz .LBB161_121
; %bb.120:
	v_lshlrev_b64 v[126:127], 3, v[138:139]
	v_add_co_u32 v126, vcc_lo, v124, v126
	v_add_co_ci_u32_e64 v127, null, v125, v127, vcc_lo
	global_load_dwordx2 v[126:127], v[126:127], off
	s_waitcnt vmcnt(0)
	v_mul_f64 v[126:127], s[10:11], v[126:127]
	v_cvt_f32_f64_e32 v126, v[126:127]
	s_branch .LBB161_122
.LBB161_121:
	v_mov_b32_e32 v126, 0
.LBB161_122:
	v_add_f64 v[127:128], v[30:31], v[118:119]
	v_add_f64 v[147:148], v[32:33], v[120:121]
	;; [unrolled: 1-line block ×4, first 2 shown]
	v_cvt_f32_f64_e32 v127, v[127:128]
	v_cvt_f32_f64_e32 v128, v[147:148]
	;; [unrolled: 1-line block ×4, first 2 shown]
	v_min3_f32 v127, v127, v128, v205
	v_min_f32_e32 v128, v129, v145
	v_min3_f32 v126, v126, v128, v127
	v_lshlrev_b64 v[128:129], 3, v[138:139]
	v_cvt_f64_f32_e32 v[126:127], v126
	v_add_co_u32 v128, vcc_lo, v122, v128
	v_add_co_ci_u32_e64 v129, null, v123, v129, vcc_lo
	global_store_dwordx2 v[128:129], v[126:127], off
	s_or_b32 exec_lo, exec_lo, s9
	s_and_b32 s12, s6, s8
	s_and_saveexec_b32 s9, s12
	s_cbranch_execz .LBB161_98
.LBB161_123:
	v_cmp_ne_u32_e32 vcc_lo, 1, v144
	s_cbranch_vccnz .LBB161_125
; %bb.124:
	v_lshlrev_b64 v[126:127], 3, v[140:141]
	v_add_co_u32 v126, vcc_lo, v124, v126
	v_add_co_ci_u32_e64 v127, null, v125, v127, vcc_lo
	global_load_dwordx2 v[126:127], v[126:127], off
	s_waitcnt vmcnt(0)
	v_mul_f64 v[126:127], s[10:11], v[126:127]
	v_cvt_f32_f64_e32 v126, v[126:127]
	s_branch .LBB161_126
.LBB161_125:
	v_mov_b32_e32 v126, 0
.LBB161_126:
	v_add_f64 v[127:128], v[22:23], v[118:119]
	v_add_f64 v[147:148], v[24:25], v[120:121]
	;; [unrolled: 1-line block ×4, first 2 shown]
	v_cvt_f32_f64_e32 v127, v[127:128]
	v_cvt_f32_f64_e32 v128, v[147:148]
	;; [unrolled: 1-line block ×4, first 2 shown]
	v_min3_f32 v127, v127, v128, v204
	v_min_f32_e32 v128, v129, v145
	v_min3_f32 v126, v126, v128, v127
	v_lshlrev_b64 v[128:129], 3, v[140:141]
	v_cvt_f64_f32_e32 v[126:127], v126
	v_add_co_u32 v128, vcc_lo, v122, v128
	v_add_co_ci_u32_e64 v129, null, v123, v129, vcc_lo
	global_store_dwordx2 v[128:129], v[126:127], off
	s_or_b32 exec_lo, exec_lo, s9
	s_and_b32 s9, s7, s8
	s_and_saveexec_b32 s8, s9
	s_cbranch_execz .LBB161_131
.LBB161_127:
	v_cmp_ne_u32_e32 vcc_lo, 1, v144
	s_cbranch_vccnz .LBB161_129
; %bb.128:
	v_lshlrev_b64 v[126:127], 3, v[142:143]
	v_add_co_u32 v124, vcc_lo, v124, v126
	v_add_co_ci_u32_e64 v125, null, v125, v127, vcc_lo
	global_load_dwordx2 v[124:125], v[124:125], off
	s_waitcnt vmcnt(0)
	v_mul_f64 v[124:125], s[10:11], v[124:125]
	v_cvt_f32_f64_e32 v124, v[124:125]
	s_branch .LBB161_130
.LBB161_129:
	v_mov_b32_e32 v124, 0
.LBB161_130:
	v_add_f64 v[118:119], v[6:7], v[118:119]
	v_add_f64 v[120:121], v[8:9], v[120:121]
	;; [unrolled: 1-line block ×4, first 2 shown]
	v_cvt_f32_f64_e32 v118, v[118:119]
	v_cvt_f32_f64_e32 v119, v[120:121]
	;; [unrolled: 1-line block ×4, first 2 shown]
	v_min3_f32 v116, v118, v119, v203
	v_min_f32_e32 v114, v114, v115
	v_min3_f32 v114, v124, v114, v116
	v_lshlrev_b64 v[116:117], 3, v[142:143]
	v_cvt_f64_f32_e32 v[114:115], v114
	v_add_co_u32 v116, vcc_lo, v122, v116
	v_add_co_ci_u32_e64 v117, null, v123, v117, vcc_lo
	global_store_dwordx2 v[116:117], v[114:115], off
.LBB161_131:
	s_or_b32 exec_lo, exec_lo, s8
	v_add_nc_u32_e32 v118, 16, v146
	v_mad_i64_i32 v[114:115], null, v118, s17, 0
	v_mad_i64_i32 v[116:117], null, v118, s14, 0
	v_cmp_gt_i32_e64 s8, s13, v118
	v_lshlrev_b64 v[114:115], 3, v[114:115]
	s_and_b32 s12, s0, s8
	v_lshlrev_b64 v[118:119], 3, v[116:117]
	v_add_co_u32 v116, vcc_lo, s22, v114
	v_add_co_ci_u32_e64 v117, null, s23, v115, vcc_lo
	v_add_co_u32 v114, vcc_lo, s18, v118
	v_add_co_ci_u32_e64 v115, null, s15, v119, vcc_lo
	s_and_saveexec_b32 s9, s12
	s_cbranch_execnz .LBB161_139
; %bb.132:
	s_or_b32 exec_lo, exec_lo, s9
	s_and_b32 s12, s1, s8
	s_and_saveexec_b32 s9, s12
	s_cbranch_execnz .LBB161_143
.LBB161_133:
	s_or_b32 exec_lo, exec_lo, s9
	s_and_b32 s12, s2, s8
	s_and_saveexec_b32 s9, s12
	s_cbranch_execnz .LBB161_147
.LBB161_134:
	s_or_b32 exec_lo, exec_lo, s9
	s_and_b32 s12, s3, s8
	s_and_saveexec_b32 s9, s12
	s_cbranch_execnz .LBB161_151
.LBB161_135:
	s_or_b32 exec_lo, exec_lo, s9
	s_and_b32 s12, s4, s8
	s_and_saveexec_b32 s9, s12
	s_cbranch_execnz .LBB161_155
.LBB161_136:
	s_or_b32 exec_lo, exec_lo, s9
	s_and_b32 s12, s5, s8
	s_and_saveexec_b32 s9, s12
	s_cbranch_execnz .LBB161_159
.LBB161_137:
	s_or_b32 exec_lo, exec_lo, s9
	s_and_b32 s12, s6, s8
	s_and_saveexec_b32 s9, s12
	s_cbranch_execnz .LBB161_163
.LBB161_138:
	s_or_b32 exec_lo, exec_lo, s9
	s_and_b32 s9, s7, s8
	s_and_saveexec_b32 s8, s9
	s_cbranch_execnz .LBB161_167
	s_branch .LBB161_171
.LBB161_139:
	v_cmp_ne_u32_e32 vcc_lo, 1, v144
	s_cbranch_vccnz .LBB161_141
; %bb.140:
	v_lshlrev_b64 v[118:119], 3, v[0:1]
	v_add_co_u32 v118, vcc_lo, v116, v118
	v_add_co_ci_u32_e64 v119, null, v117, v119, vcc_lo
	global_load_dwordx2 v[118:119], v[118:119], off
	s_waitcnt vmcnt(0)
	v_mul_f64 v[118:119], s[10:11], v[118:119]
	v_cvt_f32_f64_e32 v118, v[118:119]
	s_branch .LBB161_142
.LBB161_141:
	v_mov_b32_e32 v118, 0
.LBB161_142:
	v_add_f64 v[119:120], v[70:71], v[110:111]
	v_add_f64 v[121:122], v[72:73], v[112:113]
	;; [unrolled: 1-line block ×4, first 2 shown]
	v_cvt_f32_f64_e32 v119, v[119:120]
	v_cvt_f32_f64_e32 v120, v[121:122]
	;; [unrolled: 1-line block ×4, first 2 shown]
	v_min3_f32 v119, v119, v120, v202
	v_min_f32_e32 v120, v121, v122
	v_min3_f32 v118, v118, v120, v119
	v_lshlrev_b64 v[120:121], 3, v[0:1]
	v_cvt_f64_f32_e32 v[118:119], v118
	v_add_co_u32 v120, vcc_lo, v114, v120
	v_add_co_ci_u32_e64 v121, null, v115, v121, vcc_lo
	global_store_dwordx2 v[120:121], v[118:119], off
	s_or_b32 exec_lo, exec_lo, s9
	s_and_b32 s12, s1, s8
	s_and_saveexec_b32 s9, s12
	s_cbranch_execz .LBB161_133
.LBB161_143:
	v_cmp_ne_u32_e32 vcc_lo, 1, v144
	s_cbranch_vccnz .LBB161_145
; %bb.144:
	v_lshlrev_b64 v[118:119], 3, v[130:131]
	v_add_co_u32 v118, vcc_lo, v116, v118
	v_add_co_ci_u32_e64 v119, null, v117, v119, vcc_lo
	global_load_dwordx2 v[118:119], v[118:119], off
	s_waitcnt vmcnt(0)
	v_mul_f64 v[118:119], s[10:11], v[118:119]
	v_cvt_f32_f64_e32 v118, v[118:119]
	s_branch .LBB161_146
.LBB161_145:
	v_mov_b32_e32 v118, 0
.LBB161_146:
	v_add_f64 v[119:120], v[62:63], v[110:111]
	v_add_f64 v[121:122], v[64:65], v[112:113]
	;; [unrolled: 1-line block ×4, first 2 shown]
	v_cvt_f32_f64_e32 v119, v[119:120]
	v_cvt_f32_f64_e32 v120, v[121:122]
	v_cvt_f32_f64_e32 v121, v[123:124]
	v_cvt_f32_f64_e32 v122, v[125:126]
	v_min3_f32 v119, v119, v120, v201
	v_min_f32_e32 v120, v121, v122
	v_min3_f32 v118, v118, v120, v119
	v_lshlrev_b64 v[120:121], 3, v[130:131]
	v_cvt_f64_f32_e32 v[118:119], v118
	v_add_co_u32 v120, vcc_lo, v114, v120
	v_add_co_ci_u32_e64 v121, null, v115, v121, vcc_lo
	global_store_dwordx2 v[120:121], v[118:119], off
	s_or_b32 exec_lo, exec_lo, s9
	s_and_b32 s12, s2, s8
	s_and_saveexec_b32 s9, s12
	s_cbranch_execz .LBB161_134
.LBB161_147:
	v_cmp_ne_u32_e32 vcc_lo, 1, v144
	s_cbranch_vccnz .LBB161_149
; %bb.148:
	v_lshlrev_b64 v[118:119], 3, v[132:133]
	v_add_co_u32 v118, vcc_lo, v116, v118
	v_add_co_ci_u32_e64 v119, null, v117, v119, vcc_lo
	global_load_dwordx2 v[118:119], v[118:119], off
	s_waitcnt vmcnt(0)
	v_mul_f64 v[118:119], s[10:11], v[118:119]
	v_cvt_f32_f64_e32 v118, v[118:119]
	s_branch .LBB161_150
.LBB161_149:
	v_mov_b32_e32 v118, 0
.LBB161_150:
	v_add_f64 v[119:120], v[54:55], v[110:111]
	v_add_f64 v[121:122], v[56:57], v[112:113]
	;; [unrolled: 1-line block ×4, first 2 shown]
	v_cvt_f32_f64_e32 v119, v[119:120]
	v_cvt_f32_f64_e32 v120, v[121:122]
	v_cvt_f32_f64_e32 v121, v[123:124]
	v_cvt_f32_f64_e32 v122, v[125:126]
	v_min3_f32 v119, v119, v120, v200
	v_min_f32_e32 v120, v121, v122
	v_min3_f32 v118, v118, v120, v119
	v_lshlrev_b64 v[120:121], 3, v[132:133]
	v_cvt_f64_f32_e32 v[118:119], v118
	v_add_co_u32 v120, vcc_lo, v114, v120
	v_add_co_ci_u32_e64 v121, null, v115, v121, vcc_lo
	global_store_dwordx2 v[120:121], v[118:119], off
	s_or_b32 exec_lo, exec_lo, s9
	s_and_b32 s12, s3, s8
	s_and_saveexec_b32 s9, s12
	s_cbranch_execz .LBB161_135
.LBB161_151:
	v_cmp_ne_u32_e32 vcc_lo, 1, v144
	s_cbranch_vccnz .LBB161_153
; %bb.152:
	v_lshlrev_b64 v[118:119], 3, v[134:135]
	v_add_co_u32 v118, vcc_lo, v116, v118
	v_add_co_ci_u32_e64 v119, null, v117, v119, vcc_lo
	global_load_dwordx2 v[118:119], v[118:119], off
	s_waitcnt vmcnt(0)
	v_mul_f64 v[118:119], s[10:11], v[118:119]
	v_cvt_f32_f64_e32 v118, v[118:119]
	s_branch .LBB161_154
.LBB161_153:
	v_mov_b32_e32 v118, 0
.LBB161_154:
	v_add_f64 v[119:120], v[46:47], v[110:111]
	v_add_f64 v[121:122], v[48:49], v[112:113]
	;; [unrolled: 1-line block ×4, first 2 shown]
	v_cvt_f32_f64_e32 v119, v[119:120]
	v_cvt_f32_f64_e32 v120, v[121:122]
	v_cvt_f32_f64_e32 v121, v[123:124]
	v_cvt_f32_f64_e32 v122, v[125:126]
	v_min3_f32 v119, v119, v120, v199
	v_min_f32_e32 v120, v121, v122
	v_min3_f32 v118, v118, v120, v119
	v_lshlrev_b64 v[120:121], 3, v[134:135]
	v_cvt_f64_f32_e32 v[118:119], v118
	v_add_co_u32 v120, vcc_lo, v114, v120
	v_add_co_ci_u32_e64 v121, null, v115, v121, vcc_lo
	global_store_dwordx2 v[120:121], v[118:119], off
	s_or_b32 exec_lo, exec_lo, s9
	s_and_b32 s12, s4, s8
	s_and_saveexec_b32 s9, s12
	s_cbranch_execz .LBB161_136
.LBB161_155:
	v_cmp_ne_u32_e32 vcc_lo, 1, v144
	s_cbranch_vccnz .LBB161_157
; %bb.156:
	v_lshlrev_b64 v[118:119], 3, v[136:137]
	v_add_co_u32 v118, vcc_lo, v116, v118
	v_add_co_ci_u32_e64 v119, null, v117, v119, vcc_lo
	global_load_dwordx2 v[118:119], v[118:119], off
	s_waitcnt vmcnt(0)
	v_mul_f64 v[118:119], s[10:11], v[118:119]
	v_cvt_f32_f64_e32 v118, v[118:119]
	s_branch .LBB161_158
.LBB161_157:
	v_mov_b32_e32 v118, 0
.LBB161_158:
	v_add_f64 v[119:120], v[38:39], v[110:111]
	v_add_f64 v[121:122], v[40:41], v[112:113]
	;; [unrolled: 1-line block ×4, first 2 shown]
	v_cvt_f32_f64_e32 v119, v[119:120]
	v_cvt_f32_f64_e32 v120, v[121:122]
	;; [unrolled: 1-line block ×4, first 2 shown]
	v_min3_f32 v119, v119, v120, v198
	v_min_f32_e32 v120, v121, v122
	v_min3_f32 v118, v118, v120, v119
	v_lshlrev_b64 v[120:121], 3, v[136:137]
	v_cvt_f64_f32_e32 v[118:119], v118
	v_add_co_u32 v120, vcc_lo, v114, v120
	v_add_co_ci_u32_e64 v121, null, v115, v121, vcc_lo
	global_store_dwordx2 v[120:121], v[118:119], off
	s_or_b32 exec_lo, exec_lo, s9
	s_and_b32 s12, s5, s8
	s_and_saveexec_b32 s9, s12
	s_cbranch_execz .LBB161_137
.LBB161_159:
	v_cmp_ne_u32_e32 vcc_lo, 1, v144
	s_cbranch_vccnz .LBB161_161
; %bb.160:
	v_lshlrev_b64 v[118:119], 3, v[138:139]
	v_add_co_u32 v118, vcc_lo, v116, v118
	v_add_co_ci_u32_e64 v119, null, v117, v119, vcc_lo
	global_load_dwordx2 v[118:119], v[118:119], off
	s_waitcnt vmcnt(0)
	v_mul_f64 v[118:119], s[10:11], v[118:119]
	v_cvt_f32_f64_e32 v118, v[118:119]
	s_branch .LBB161_162
.LBB161_161:
	v_mov_b32_e32 v118, 0
.LBB161_162:
	v_add_f64 v[119:120], v[30:31], v[110:111]
	v_add_f64 v[121:122], v[32:33], v[112:113]
	;; [unrolled: 1-line block ×4, first 2 shown]
	v_cvt_f32_f64_e32 v119, v[119:120]
	v_cvt_f32_f64_e32 v120, v[121:122]
	;; [unrolled: 1-line block ×4, first 2 shown]
	v_min3_f32 v119, v119, v120, v197
	v_min_f32_e32 v120, v121, v122
	v_min3_f32 v118, v118, v120, v119
	v_lshlrev_b64 v[120:121], 3, v[138:139]
	v_cvt_f64_f32_e32 v[118:119], v118
	v_add_co_u32 v120, vcc_lo, v114, v120
	v_add_co_ci_u32_e64 v121, null, v115, v121, vcc_lo
	global_store_dwordx2 v[120:121], v[118:119], off
	s_or_b32 exec_lo, exec_lo, s9
	s_and_b32 s12, s6, s8
	s_and_saveexec_b32 s9, s12
	s_cbranch_execz .LBB161_138
.LBB161_163:
	v_cmp_ne_u32_e32 vcc_lo, 1, v144
	s_cbranch_vccnz .LBB161_165
; %bb.164:
	v_lshlrev_b64 v[118:119], 3, v[140:141]
	v_add_co_u32 v118, vcc_lo, v116, v118
	v_add_co_ci_u32_e64 v119, null, v117, v119, vcc_lo
	global_load_dwordx2 v[118:119], v[118:119], off
	s_waitcnt vmcnt(0)
	v_mul_f64 v[118:119], s[10:11], v[118:119]
	v_cvt_f32_f64_e32 v118, v[118:119]
	s_branch .LBB161_166
.LBB161_165:
	v_mov_b32_e32 v118, 0
.LBB161_166:
	v_add_f64 v[119:120], v[22:23], v[110:111]
	v_add_f64 v[121:122], v[24:25], v[112:113]
	v_add_f64 v[123:124], v[18:19], v[106:107]
	v_add_f64 v[125:126], v[20:21], v[108:109]
	v_cvt_f32_f64_e32 v119, v[119:120]
	v_cvt_f32_f64_e32 v120, v[121:122]
	;; [unrolled: 1-line block ×4, first 2 shown]
	v_min3_f32 v119, v119, v120, v196
	v_min_f32_e32 v120, v121, v122
	v_min3_f32 v118, v118, v120, v119
	v_lshlrev_b64 v[120:121], 3, v[140:141]
	v_cvt_f64_f32_e32 v[118:119], v118
	v_add_co_u32 v120, vcc_lo, v114, v120
	v_add_co_ci_u32_e64 v121, null, v115, v121, vcc_lo
	global_store_dwordx2 v[120:121], v[118:119], off
	s_or_b32 exec_lo, exec_lo, s9
	s_and_b32 s9, s7, s8
	s_and_saveexec_b32 s8, s9
	s_cbranch_execz .LBB161_171
.LBB161_167:
	v_cmp_ne_u32_e32 vcc_lo, 1, v144
	s_cbranch_vccnz .LBB161_169
; %bb.168:
	v_lshlrev_b64 v[118:119], 3, v[142:143]
	v_add_co_u32 v116, vcc_lo, v116, v118
	v_add_co_ci_u32_e64 v117, null, v117, v119, vcc_lo
	global_load_dwordx2 v[116:117], v[116:117], off
	s_waitcnt vmcnt(0)
	v_mul_f64 v[116:117], s[10:11], v[116:117]
	v_cvt_f32_f64_e32 v116, v[116:117]
	s_branch .LBB161_170
.LBB161_169:
	v_mov_b32_e32 v116, 0
.LBB161_170:
	v_add_f64 v[110:111], v[6:7], v[110:111]
	v_add_f64 v[112:113], v[8:9], v[112:113]
	;; [unrolled: 1-line block ×4, first 2 shown]
	v_cvt_f32_f64_e32 v110, v[110:111]
	v_cvt_f32_f64_e32 v111, v[112:113]
	;; [unrolled: 1-line block ×4, first 2 shown]
	v_min3_f32 v108, v110, v111, v195
	v_min_f32_e32 v106, v106, v107
	v_min3_f32 v106, v116, v106, v108
	v_lshlrev_b64 v[108:109], 3, v[142:143]
	v_cvt_f64_f32_e32 v[106:107], v106
	v_add_co_u32 v108, vcc_lo, v114, v108
	v_add_co_ci_u32_e64 v109, null, v115, v109, vcc_lo
	global_store_dwordx2 v[108:109], v[106:107], off
.LBB161_171:
	s_or_b32 exec_lo, exec_lo, s8
	v_add_nc_u32_e32 v110, 24, v146
	v_mad_i64_i32 v[106:107], null, v110, s17, 0
	v_mad_i64_i32 v[108:109], null, v110, s14, 0
	v_cmp_gt_i32_e64 s8, s13, v110
	v_lshlrev_b64 v[106:107], 3, v[106:107]
	s_and_b32 s12, s0, s8
	v_lshlrev_b64 v[110:111], 3, v[108:109]
	v_add_co_u32 v108, vcc_lo, s22, v106
	v_add_co_ci_u32_e64 v109, null, s23, v107, vcc_lo
	v_add_co_u32 v106, vcc_lo, s18, v110
	v_add_co_ci_u32_e64 v107, null, s15, v111, vcc_lo
	s_and_saveexec_b32 s9, s12
	s_cbranch_execnz .LBB161_179
; %bb.172:
	s_or_b32 exec_lo, exec_lo, s9
	s_and_b32 s12, s1, s8
	s_and_saveexec_b32 s9, s12
	s_cbranch_execnz .LBB161_183
.LBB161_173:
	s_or_b32 exec_lo, exec_lo, s9
	s_and_b32 s12, s2, s8
	s_and_saveexec_b32 s9, s12
	s_cbranch_execnz .LBB161_187
.LBB161_174:
	s_or_b32 exec_lo, exec_lo, s9
	s_and_b32 s12, s3, s8
	s_and_saveexec_b32 s9, s12
	s_cbranch_execnz .LBB161_191
.LBB161_175:
	s_or_b32 exec_lo, exec_lo, s9
	s_and_b32 s12, s4, s8
	s_and_saveexec_b32 s9, s12
	s_cbranch_execnz .LBB161_195
.LBB161_176:
	s_or_b32 exec_lo, exec_lo, s9
	s_and_b32 s12, s5, s8
	s_and_saveexec_b32 s9, s12
	s_cbranch_execnz .LBB161_199
.LBB161_177:
	s_or_b32 exec_lo, exec_lo, s9
	s_and_b32 s12, s6, s8
	s_and_saveexec_b32 s9, s12
	s_cbranch_execnz .LBB161_203
.LBB161_178:
	s_or_b32 exec_lo, exec_lo, s9
	s_and_b32 s9, s7, s8
	s_and_saveexec_b32 s8, s9
	s_cbranch_execnz .LBB161_207
	s_branch .LBB161_211
.LBB161_179:
	v_cmp_ne_u32_e32 vcc_lo, 1, v144
	s_cbranch_vccnz .LBB161_181
; %bb.180:
	v_lshlrev_b64 v[110:111], 3, v[0:1]
	v_add_co_u32 v110, vcc_lo, v108, v110
	v_add_co_ci_u32_e64 v111, null, v109, v111, vcc_lo
	global_load_dwordx2 v[110:111], v[110:111], off
	s_waitcnt vmcnt(0)
	v_mul_f64 v[110:111], s[10:11], v[110:111]
	v_cvt_f32_f64_e32 v110, v[110:111]
	s_branch .LBB161_182
.LBB161_181:
	v_mov_b32_e32 v110, 0
.LBB161_182:
	v_add_f64 v[111:112], v[70:71], v[102:103]
	v_add_f64 v[113:114], v[72:73], v[104:105]
	;; [unrolled: 1-line block ×4, first 2 shown]
	v_cvt_f32_f64_e32 v111, v[111:112]
	v_cvt_f32_f64_e32 v112, v[113:114]
	;; [unrolled: 1-line block ×4, first 2 shown]
	v_min3_f32 v111, v111, v112, v194
	v_min_f32_e32 v112, v113, v114
	v_min3_f32 v110, v110, v112, v111
	v_lshlrev_b64 v[112:113], 3, v[0:1]
	v_cvt_f64_f32_e32 v[110:111], v110
	v_add_co_u32 v112, vcc_lo, v106, v112
	v_add_co_ci_u32_e64 v113, null, v107, v113, vcc_lo
	global_store_dwordx2 v[112:113], v[110:111], off
	s_or_b32 exec_lo, exec_lo, s9
	s_and_b32 s12, s1, s8
	s_and_saveexec_b32 s9, s12
	s_cbranch_execz .LBB161_173
.LBB161_183:
	v_cmp_ne_u32_e32 vcc_lo, 1, v144
	s_cbranch_vccnz .LBB161_185
; %bb.184:
	v_lshlrev_b64 v[110:111], 3, v[130:131]
	v_add_co_u32 v110, vcc_lo, v108, v110
	v_add_co_ci_u32_e64 v111, null, v109, v111, vcc_lo
	global_load_dwordx2 v[110:111], v[110:111], off
	s_waitcnt vmcnt(0)
	v_mul_f64 v[110:111], s[10:11], v[110:111]
	v_cvt_f32_f64_e32 v110, v[110:111]
	s_branch .LBB161_186
.LBB161_185:
	v_mov_b32_e32 v110, 0
.LBB161_186:
	v_add_f64 v[111:112], v[62:63], v[102:103]
	v_add_f64 v[113:114], v[64:65], v[104:105]
	;; [unrolled: 1-line block ×4, first 2 shown]
	v_cvt_f32_f64_e32 v111, v[111:112]
	v_cvt_f32_f64_e32 v112, v[113:114]
	;; [unrolled: 1-line block ×4, first 2 shown]
	v_min3_f32 v111, v111, v112, v193
	v_min_f32_e32 v112, v113, v114
	v_min3_f32 v110, v110, v112, v111
	v_lshlrev_b64 v[112:113], 3, v[130:131]
	v_cvt_f64_f32_e32 v[110:111], v110
	v_add_co_u32 v112, vcc_lo, v106, v112
	v_add_co_ci_u32_e64 v113, null, v107, v113, vcc_lo
	global_store_dwordx2 v[112:113], v[110:111], off
	s_or_b32 exec_lo, exec_lo, s9
	s_and_b32 s12, s2, s8
	s_and_saveexec_b32 s9, s12
	s_cbranch_execz .LBB161_174
.LBB161_187:
	v_cmp_ne_u32_e32 vcc_lo, 1, v144
	s_cbranch_vccnz .LBB161_189
; %bb.188:
	v_lshlrev_b64 v[110:111], 3, v[132:133]
	v_add_co_u32 v110, vcc_lo, v108, v110
	v_add_co_ci_u32_e64 v111, null, v109, v111, vcc_lo
	global_load_dwordx2 v[110:111], v[110:111], off
	s_waitcnt vmcnt(0)
	v_mul_f64 v[110:111], s[10:11], v[110:111]
	v_cvt_f32_f64_e32 v110, v[110:111]
	s_branch .LBB161_190
.LBB161_189:
	v_mov_b32_e32 v110, 0
.LBB161_190:
	v_add_f64 v[111:112], v[54:55], v[102:103]
	v_add_f64 v[113:114], v[56:57], v[104:105]
	;; [unrolled: 1-line block ×4, first 2 shown]
	v_cvt_f32_f64_e32 v111, v[111:112]
	v_cvt_f32_f64_e32 v112, v[113:114]
	v_cvt_f32_f64_e32 v113, v[115:116]
	v_cvt_f32_f64_e32 v114, v[117:118]
	v_min3_f32 v111, v111, v112, v192
	v_min_f32_e32 v112, v113, v114
	v_min3_f32 v110, v110, v112, v111
	v_lshlrev_b64 v[112:113], 3, v[132:133]
	v_cvt_f64_f32_e32 v[110:111], v110
	v_add_co_u32 v112, vcc_lo, v106, v112
	v_add_co_ci_u32_e64 v113, null, v107, v113, vcc_lo
	global_store_dwordx2 v[112:113], v[110:111], off
	s_or_b32 exec_lo, exec_lo, s9
	s_and_b32 s12, s3, s8
	s_and_saveexec_b32 s9, s12
	s_cbranch_execz .LBB161_175
.LBB161_191:
	v_cmp_ne_u32_e32 vcc_lo, 1, v144
	s_cbranch_vccnz .LBB161_193
; %bb.192:
	v_lshlrev_b64 v[110:111], 3, v[134:135]
	v_add_co_u32 v110, vcc_lo, v108, v110
	v_add_co_ci_u32_e64 v111, null, v109, v111, vcc_lo
	global_load_dwordx2 v[110:111], v[110:111], off
	s_waitcnt vmcnt(0)
	v_mul_f64 v[110:111], s[10:11], v[110:111]
	v_cvt_f32_f64_e32 v110, v[110:111]
	s_branch .LBB161_194
.LBB161_193:
	v_mov_b32_e32 v110, 0
.LBB161_194:
	v_add_f64 v[111:112], v[46:47], v[102:103]
	v_add_f64 v[113:114], v[48:49], v[104:105]
	v_add_f64 v[115:116], v[42:43], v[98:99]
	v_add_f64 v[117:118], v[44:45], v[100:101]
	v_cvt_f32_f64_e32 v111, v[111:112]
	v_cvt_f32_f64_e32 v112, v[113:114]
	;; [unrolled: 1-line block ×4, first 2 shown]
	v_min3_f32 v111, v111, v112, v191
	v_min_f32_e32 v112, v113, v114
	v_min3_f32 v110, v110, v112, v111
	v_lshlrev_b64 v[112:113], 3, v[134:135]
	v_cvt_f64_f32_e32 v[110:111], v110
	v_add_co_u32 v112, vcc_lo, v106, v112
	v_add_co_ci_u32_e64 v113, null, v107, v113, vcc_lo
	global_store_dwordx2 v[112:113], v[110:111], off
	s_or_b32 exec_lo, exec_lo, s9
	s_and_b32 s12, s4, s8
	s_and_saveexec_b32 s9, s12
	s_cbranch_execz .LBB161_176
.LBB161_195:
	v_cmp_ne_u32_e32 vcc_lo, 1, v144
	s_cbranch_vccnz .LBB161_197
; %bb.196:
	v_lshlrev_b64 v[110:111], 3, v[136:137]
	v_add_co_u32 v110, vcc_lo, v108, v110
	v_add_co_ci_u32_e64 v111, null, v109, v111, vcc_lo
	global_load_dwordx2 v[110:111], v[110:111], off
	s_waitcnt vmcnt(0)
	v_mul_f64 v[110:111], s[10:11], v[110:111]
	v_cvt_f32_f64_e32 v110, v[110:111]
	s_branch .LBB161_198
.LBB161_197:
	v_mov_b32_e32 v110, 0
.LBB161_198:
	v_add_f64 v[111:112], v[38:39], v[102:103]
	v_add_f64 v[113:114], v[40:41], v[104:105]
	;; [unrolled: 1-line block ×4, first 2 shown]
	v_cvt_f32_f64_e32 v111, v[111:112]
	v_cvt_f32_f64_e32 v112, v[113:114]
	;; [unrolled: 1-line block ×4, first 2 shown]
	v_min3_f32 v111, v111, v112, v190
	v_min_f32_e32 v112, v113, v114
	v_min3_f32 v110, v110, v112, v111
	v_lshlrev_b64 v[112:113], 3, v[136:137]
	v_cvt_f64_f32_e32 v[110:111], v110
	v_add_co_u32 v112, vcc_lo, v106, v112
	v_add_co_ci_u32_e64 v113, null, v107, v113, vcc_lo
	global_store_dwordx2 v[112:113], v[110:111], off
	s_or_b32 exec_lo, exec_lo, s9
	s_and_b32 s12, s5, s8
	s_and_saveexec_b32 s9, s12
	s_cbranch_execz .LBB161_177
.LBB161_199:
	v_cmp_ne_u32_e32 vcc_lo, 1, v144
	s_cbranch_vccnz .LBB161_201
; %bb.200:
	v_lshlrev_b64 v[110:111], 3, v[138:139]
	v_add_co_u32 v110, vcc_lo, v108, v110
	v_add_co_ci_u32_e64 v111, null, v109, v111, vcc_lo
	global_load_dwordx2 v[110:111], v[110:111], off
	s_waitcnt vmcnt(0)
	v_mul_f64 v[110:111], s[10:11], v[110:111]
	v_cvt_f32_f64_e32 v110, v[110:111]
	s_branch .LBB161_202
.LBB161_201:
	v_mov_b32_e32 v110, 0
.LBB161_202:
	v_add_f64 v[111:112], v[30:31], v[102:103]
	v_add_f64 v[113:114], v[32:33], v[104:105]
	;; [unrolled: 1-line block ×4, first 2 shown]
	v_cvt_f32_f64_e32 v111, v[111:112]
	v_cvt_f32_f64_e32 v112, v[113:114]
	;; [unrolled: 1-line block ×4, first 2 shown]
	v_min3_f32 v111, v111, v112, v189
	v_min_f32_e32 v112, v113, v114
	v_min3_f32 v110, v110, v112, v111
	v_lshlrev_b64 v[112:113], 3, v[138:139]
	v_cvt_f64_f32_e32 v[110:111], v110
	v_add_co_u32 v112, vcc_lo, v106, v112
	v_add_co_ci_u32_e64 v113, null, v107, v113, vcc_lo
	global_store_dwordx2 v[112:113], v[110:111], off
	s_or_b32 exec_lo, exec_lo, s9
	s_and_b32 s12, s6, s8
	s_and_saveexec_b32 s9, s12
	s_cbranch_execz .LBB161_178
.LBB161_203:
	v_cmp_ne_u32_e32 vcc_lo, 1, v144
	s_cbranch_vccnz .LBB161_205
; %bb.204:
	v_lshlrev_b64 v[110:111], 3, v[140:141]
	v_add_co_u32 v110, vcc_lo, v108, v110
	v_add_co_ci_u32_e64 v111, null, v109, v111, vcc_lo
	global_load_dwordx2 v[110:111], v[110:111], off
	s_waitcnt vmcnt(0)
	v_mul_f64 v[110:111], s[10:11], v[110:111]
	v_cvt_f32_f64_e32 v110, v[110:111]
	s_branch .LBB161_206
.LBB161_205:
	v_mov_b32_e32 v110, 0
.LBB161_206:
	v_add_f64 v[111:112], v[22:23], v[102:103]
	v_add_f64 v[113:114], v[24:25], v[104:105]
	;; [unrolled: 1-line block ×4, first 2 shown]
	v_cvt_f32_f64_e32 v111, v[111:112]
	v_cvt_f32_f64_e32 v112, v[113:114]
	;; [unrolled: 1-line block ×4, first 2 shown]
	v_min3_f32 v111, v111, v112, v188
	v_min_f32_e32 v112, v113, v114
	v_min3_f32 v110, v110, v112, v111
	v_lshlrev_b64 v[112:113], 3, v[140:141]
	v_cvt_f64_f32_e32 v[110:111], v110
	v_add_co_u32 v112, vcc_lo, v106, v112
	v_add_co_ci_u32_e64 v113, null, v107, v113, vcc_lo
	global_store_dwordx2 v[112:113], v[110:111], off
	s_or_b32 exec_lo, exec_lo, s9
	s_and_b32 s9, s7, s8
	s_and_saveexec_b32 s8, s9
	s_cbranch_execz .LBB161_211
.LBB161_207:
	v_cmp_ne_u32_e32 vcc_lo, 1, v144
	s_cbranch_vccnz .LBB161_209
; %bb.208:
	v_lshlrev_b64 v[110:111], 3, v[142:143]
	v_add_co_u32 v108, vcc_lo, v108, v110
	v_add_co_ci_u32_e64 v109, null, v109, v111, vcc_lo
	global_load_dwordx2 v[108:109], v[108:109], off
	s_waitcnt vmcnt(0)
	v_mul_f64 v[108:109], s[10:11], v[108:109]
	v_cvt_f32_f64_e32 v108, v[108:109]
	s_branch .LBB161_210
.LBB161_209:
	v_mov_b32_e32 v108, 0
.LBB161_210:
	v_add_f64 v[102:103], v[6:7], v[102:103]
	v_add_f64 v[104:105], v[8:9], v[104:105]
	;; [unrolled: 1-line block ×4, first 2 shown]
	v_cvt_f32_f64_e32 v102, v[102:103]
	v_cvt_f32_f64_e32 v103, v[104:105]
	;; [unrolled: 1-line block ×4, first 2 shown]
	v_min3_f32 v100, v102, v103, v187
	v_min_f32_e32 v98, v98, v99
	v_min3_f32 v98, v108, v98, v100
	v_lshlrev_b64 v[100:101], 3, v[142:143]
	v_cvt_f64_f32_e32 v[98:99], v98
	v_add_co_u32 v100, vcc_lo, v106, v100
	v_add_co_ci_u32_e64 v101, null, v107, v101, vcc_lo
	global_store_dwordx2 v[100:101], v[98:99], off
.LBB161_211:
	s_or_b32 exec_lo, exec_lo, s8
	v_add_nc_u32_e32 v102, 32, v146
	v_mad_i64_i32 v[98:99], null, v102, s17, 0
	v_mad_i64_i32 v[100:101], null, v102, s14, 0
	v_cmp_gt_i32_e64 s8, s13, v102
	v_lshlrev_b64 v[98:99], 3, v[98:99]
	s_and_b32 s12, s0, s8
	v_lshlrev_b64 v[102:103], 3, v[100:101]
	v_add_co_u32 v100, vcc_lo, s22, v98
	v_add_co_ci_u32_e64 v101, null, s23, v99, vcc_lo
	v_add_co_u32 v98, vcc_lo, s18, v102
	v_add_co_ci_u32_e64 v99, null, s15, v103, vcc_lo
	s_and_saveexec_b32 s9, s12
	s_cbranch_execnz .LBB161_219
; %bb.212:
	s_or_b32 exec_lo, exec_lo, s9
	s_and_b32 s12, s1, s8
	s_and_saveexec_b32 s9, s12
	s_cbranch_execnz .LBB161_223
.LBB161_213:
	s_or_b32 exec_lo, exec_lo, s9
	s_and_b32 s12, s2, s8
	s_and_saveexec_b32 s9, s12
	s_cbranch_execnz .LBB161_227
.LBB161_214:
	s_or_b32 exec_lo, exec_lo, s9
	s_and_b32 s12, s3, s8
	s_and_saveexec_b32 s9, s12
	s_cbranch_execnz .LBB161_231
.LBB161_215:
	s_or_b32 exec_lo, exec_lo, s9
	s_and_b32 s12, s4, s8
	s_and_saveexec_b32 s9, s12
	s_cbranch_execnz .LBB161_235
.LBB161_216:
	s_or_b32 exec_lo, exec_lo, s9
	s_and_b32 s12, s5, s8
	s_and_saveexec_b32 s9, s12
	s_cbranch_execnz .LBB161_239
.LBB161_217:
	s_or_b32 exec_lo, exec_lo, s9
	s_and_b32 s12, s6, s8
	s_and_saveexec_b32 s9, s12
	s_cbranch_execnz .LBB161_243
.LBB161_218:
	s_or_b32 exec_lo, exec_lo, s9
	s_and_b32 s9, s7, s8
	s_and_saveexec_b32 s8, s9
	s_cbranch_execnz .LBB161_247
	s_branch .LBB161_251
.LBB161_219:
	v_cmp_ne_u32_e32 vcc_lo, 1, v144
	s_cbranch_vccnz .LBB161_221
; %bb.220:
	v_lshlrev_b64 v[102:103], 3, v[0:1]
	v_add_co_u32 v102, vcc_lo, v100, v102
	v_add_co_ci_u32_e64 v103, null, v101, v103, vcc_lo
	global_load_dwordx2 v[102:103], v[102:103], off
	s_waitcnt vmcnt(0)
	v_mul_f64 v[102:103], s[10:11], v[102:103]
	v_cvt_f32_f64_e32 v102, v[102:103]
	s_branch .LBB161_222
.LBB161_221:
	v_mov_b32_e32 v102, 0
.LBB161_222:
	v_add_f64 v[103:104], v[70:71], v[94:95]
	v_add_f64 v[105:106], v[72:73], v[96:97]
	;; [unrolled: 1-line block ×4, first 2 shown]
	v_cvt_f32_f64_e32 v103, v[103:104]
	v_cvt_f32_f64_e32 v104, v[105:106]
	;; [unrolled: 1-line block ×4, first 2 shown]
	v_min3_f32 v103, v103, v104, v186
	v_min_f32_e32 v104, v105, v106
	v_min3_f32 v102, v102, v104, v103
	v_lshlrev_b64 v[104:105], 3, v[0:1]
	v_cvt_f64_f32_e32 v[102:103], v102
	v_add_co_u32 v104, vcc_lo, v98, v104
	v_add_co_ci_u32_e64 v105, null, v99, v105, vcc_lo
	global_store_dwordx2 v[104:105], v[102:103], off
	s_or_b32 exec_lo, exec_lo, s9
	s_and_b32 s12, s1, s8
	s_and_saveexec_b32 s9, s12
	s_cbranch_execz .LBB161_213
.LBB161_223:
	v_cmp_ne_u32_e32 vcc_lo, 1, v144
	s_cbranch_vccnz .LBB161_225
; %bb.224:
	v_lshlrev_b64 v[102:103], 3, v[130:131]
	v_add_co_u32 v102, vcc_lo, v100, v102
	v_add_co_ci_u32_e64 v103, null, v101, v103, vcc_lo
	global_load_dwordx2 v[102:103], v[102:103], off
	s_waitcnt vmcnt(0)
	v_mul_f64 v[102:103], s[10:11], v[102:103]
	v_cvt_f32_f64_e32 v102, v[102:103]
	s_branch .LBB161_226
.LBB161_225:
	v_mov_b32_e32 v102, 0
.LBB161_226:
	v_add_f64 v[103:104], v[62:63], v[94:95]
	v_add_f64 v[105:106], v[64:65], v[96:97]
	;; [unrolled: 1-line block ×4, first 2 shown]
	v_cvt_f32_f64_e32 v103, v[103:104]
	v_cvt_f32_f64_e32 v104, v[105:106]
	;; [unrolled: 1-line block ×4, first 2 shown]
	v_min3_f32 v103, v103, v104, v185
	v_min_f32_e32 v104, v105, v106
	v_min3_f32 v102, v102, v104, v103
	v_lshlrev_b64 v[104:105], 3, v[130:131]
	v_cvt_f64_f32_e32 v[102:103], v102
	v_add_co_u32 v104, vcc_lo, v98, v104
	v_add_co_ci_u32_e64 v105, null, v99, v105, vcc_lo
	global_store_dwordx2 v[104:105], v[102:103], off
	s_or_b32 exec_lo, exec_lo, s9
	s_and_b32 s12, s2, s8
	s_and_saveexec_b32 s9, s12
	s_cbranch_execz .LBB161_214
.LBB161_227:
	v_cmp_ne_u32_e32 vcc_lo, 1, v144
	s_cbranch_vccnz .LBB161_229
; %bb.228:
	v_lshlrev_b64 v[102:103], 3, v[132:133]
	v_add_co_u32 v102, vcc_lo, v100, v102
	v_add_co_ci_u32_e64 v103, null, v101, v103, vcc_lo
	global_load_dwordx2 v[102:103], v[102:103], off
	s_waitcnt vmcnt(0)
	v_mul_f64 v[102:103], s[10:11], v[102:103]
	v_cvt_f32_f64_e32 v102, v[102:103]
	s_branch .LBB161_230
.LBB161_229:
	v_mov_b32_e32 v102, 0
.LBB161_230:
	v_add_f64 v[103:104], v[54:55], v[94:95]
	v_add_f64 v[105:106], v[56:57], v[96:97]
	;; [unrolled: 1-line block ×4, first 2 shown]
	v_cvt_f32_f64_e32 v103, v[103:104]
	v_cvt_f32_f64_e32 v104, v[105:106]
	;; [unrolled: 1-line block ×4, first 2 shown]
	v_min3_f32 v103, v103, v104, v184
	v_min_f32_e32 v104, v105, v106
	v_min3_f32 v102, v102, v104, v103
	v_lshlrev_b64 v[104:105], 3, v[132:133]
	v_cvt_f64_f32_e32 v[102:103], v102
	v_add_co_u32 v104, vcc_lo, v98, v104
	v_add_co_ci_u32_e64 v105, null, v99, v105, vcc_lo
	global_store_dwordx2 v[104:105], v[102:103], off
	s_or_b32 exec_lo, exec_lo, s9
	s_and_b32 s12, s3, s8
	s_and_saveexec_b32 s9, s12
	s_cbranch_execz .LBB161_215
.LBB161_231:
	v_cmp_ne_u32_e32 vcc_lo, 1, v144
	s_cbranch_vccnz .LBB161_233
; %bb.232:
	v_lshlrev_b64 v[102:103], 3, v[134:135]
	v_add_co_u32 v102, vcc_lo, v100, v102
	v_add_co_ci_u32_e64 v103, null, v101, v103, vcc_lo
	global_load_dwordx2 v[102:103], v[102:103], off
	s_waitcnt vmcnt(0)
	v_mul_f64 v[102:103], s[10:11], v[102:103]
	v_cvt_f32_f64_e32 v102, v[102:103]
	s_branch .LBB161_234
.LBB161_233:
	v_mov_b32_e32 v102, 0
.LBB161_234:
	v_add_f64 v[103:104], v[46:47], v[94:95]
	v_add_f64 v[105:106], v[48:49], v[96:97]
	;; [unrolled: 1-line block ×4, first 2 shown]
	v_cvt_f32_f64_e32 v103, v[103:104]
	v_cvt_f32_f64_e32 v104, v[105:106]
	;; [unrolled: 1-line block ×4, first 2 shown]
	v_min3_f32 v103, v103, v104, v183
	v_min_f32_e32 v104, v105, v106
	v_min3_f32 v102, v102, v104, v103
	v_lshlrev_b64 v[104:105], 3, v[134:135]
	v_cvt_f64_f32_e32 v[102:103], v102
	v_add_co_u32 v104, vcc_lo, v98, v104
	v_add_co_ci_u32_e64 v105, null, v99, v105, vcc_lo
	global_store_dwordx2 v[104:105], v[102:103], off
	s_or_b32 exec_lo, exec_lo, s9
	s_and_b32 s12, s4, s8
	s_and_saveexec_b32 s9, s12
	s_cbranch_execz .LBB161_216
.LBB161_235:
	v_cmp_ne_u32_e32 vcc_lo, 1, v144
	s_cbranch_vccnz .LBB161_237
; %bb.236:
	v_lshlrev_b64 v[102:103], 3, v[136:137]
	v_add_co_u32 v102, vcc_lo, v100, v102
	v_add_co_ci_u32_e64 v103, null, v101, v103, vcc_lo
	global_load_dwordx2 v[102:103], v[102:103], off
	s_waitcnt vmcnt(0)
	v_mul_f64 v[102:103], s[10:11], v[102:103]
	v_cvt_f32_f64_e32 v102, v[102:103]
	s_branch .LBB161_238
.LBB161_237:
	v_mov_b32_e32 v102, 0
.LBB161_238:
	v_add_f64 v[103:104], v[38:39], v[94:95]
	v_add_f64 v[105:106], v[40:41], v[96:97]
	;; [unrolled: 1-line block ×4, first 2 shown]
	v_cvt_f32_f64_e32 v103, v[103:104]
	v_cvt_f32_f64_e32 v104, v[105:106]
	;; [unrolled: 1-line block ×4, first 2 shown]
	v_min3_f32 v103, v103, v104, v182
	v_min_f32_e32 v104, v105, v106
	v_min3_f32 v102, v102, v104, v103
	v_lshlrev_b64 v[104:105], 3, v[136:137]
	v_cvt_f64_f32_e32 v[102:103], v102
	v_add_co_u32 v104, vcc_lo, v98, v104
	v_add_co_ci_u32_e64 v105, null, v99, v105, vcc_lo
	global_store_dwordx2 v[104:105], v[102:103], off
	s_or_b32 exec_lo, exec_lo, s9
	s_and_b32 s12, s5, s8
	s_and_saveexec_b32 s9, s12
	s_cbranch_execz .LBB161_217
.LBB161_239:
	v_cmp_ne_u32_e32 vcc_lo, 1, v144
	s_cbranch_vccnz .LBB161_241
; %bb.240:
	v_lshlrev_b64 v[102:103], 3, v[138:139]
	v_add_co_u32 v102, vcc_lo, v100, v102
	v_add_co_ci_u32_e64 v103, null, v101, v103, vcc_lo
	global_load_dwordx2 v[102:103], v[102:103], off
	s_waitcnt vmcnt(0)
	v_mul_f64 v[102:103], s[10:11], v[102:103]
	v_cvt_f32_f64_e32 v102, v[102:103]
	s_branch .LBB161_242
.LBB161_241:
	v_mov_b32_e32 v102, 0
.LBB161_242:
	v_add_f64 v[103:104], v[30:31], v[94:95]
	v_add_f64 v[105:106], v[32:33], v[96:97]
	;; [unrolled: 1-line block ×4, first 2 shown]
	v_cvt_f32_f64_e32 v103, v[103:104]
	v_cvt_f32_f64_e32 v104, v[105:106]
	;; [unrolled: 1-line block ×4, first 2 shown]
	v_min3_f32 v103, v103, v104, v181
	v_min_f32_e32 v104, v105, v106
	v_min3_f32 v102, v102, v104, v103
	v_lshlrev_b64 v[104:105], 3, v[138:139]
	v_cvt_f64_f32_e32 v[102:103], v102
	v_add_co_u32 v104, vcc_lo, v98, v104
	v_add_co_ci_u32_e64 v105, null, v99, v105, vcc_lo
	global_store_dwordx2 v[104:105], v[102:103], off
	s_or_b32 exec_lo, exec_lo, s9
	s_and_b32 s12, s6, s8
	s_and_saveexec_b32 s9, s12
	s_cbranch_execz .LBB161_218
.LBB161_243:
	v_cmp_ne_u32_e32 vcc_lo, 1, v144
	s_cbranch_vccnz .LBB161_245
; %bb.244:
	v_lshlrev_b64 v[102:103], 3, v[140:141]
	v_add_co_u32 v102, vcc_lo, v100, v102
	v_add_co_ci_u32_e64 v103, null, v101, v103, vcc_lo
	global_load_dwordx2 v[102:103], v[102:103], off
	s_waitcnt vmcnt(0)
	v_mul_f64 v[102:103], s[10:11], v[102:103]
	v_cvt_f32_f64_e32 v102, v[102:103]
	s_branch .LBB161_246
.LBB161_245:
	v_mov_b32_e32 v102, 0
.LBB161_246:
	v_add_f64 v[103:104], v[22:23], v[94:95]
	v_add_f64 v[105:106], v[24:25], v[96:97]
	;; [unrolled: 1-line block ×4, first 2 shown]
	v_cvt_f32_f64_e32 v103, v[103:104]
	v_cvt_f32_f64_e32 v104, v[105:106]
	v_cvt_f32_f64_e32 v105, v[107:108]
	v_cvt_f32_f64_e32 v106, v[109:110]
	v_min3_f32 v103, v103, v104, v180
	v_min_f32_e32 v104, v105, v106
	v_min3_f32 v102, v102, v104, v103
	v_lshlrev_b64 v[104:105], 3, v[140:141]
	v_cvt_f64_f32_e32 v[102:103], v102
	v_add_co_u32 v104, vcc_lo, v98, v104
	v_add_co_ci_u32_e64 v105, null, v99, v105, vcc_lo
	global_store_dwordx2 v[104:105], v[102:103], off
	s_or_b32 exec_lo, exec_lo, s9
	s_and_b32 s9, s7, s8
	s_and_saveexec_b32 s8, s9
	s_cbranch_execz .LBB161_251
.LBB161_247:
	v_cmp_ne_u32_e32 vcc_lo, 1, v144
	s_cbranch_vccnz .LBB161_249
; %bb.248:
	v_lshlrev_b64 v[102:103], 3, v[142:143]
	v_add_co_u32 v100, vcc_lo, v100, v102
	v_add_co_ci_u32_e64 v101, null, v101, v103, vcc_lo
	global_load_dwordx2 v[100:101], v[100:101], off
	s_waitcnt vmcnt(0)
	v_mul_f64 v[100:101], s[10:11], v[100:101]
	v_cvt_f32_f64_e32 v100, v[100:101]
	s_branch .LBB161_250
.LBB161_249:
	v_mov_b32_e32 v100, 0
.LBB161_250:
	v_add_f64 v[94:95], v[6:7], v[94:95]
	v_add_f64 v[96:97], v[8:9], v[96:97]
	;; [unrolled: 1-line block ×4, first 2 shown]
	v_cvt_f32_f64_e32 v94, v[94:95]
	v_cvt_f32_f64_e32 v95, v[96:97]
	;; [unrolled: 1-line block ×4, first 2 shown]
	v_min3_f32 v92, v94, v95, v179
	v_min_f32_e32 v90, v90, v91
	v_min3_f32 v90, v100, v90, v92
	v_lshlrev_b64 v[92:93], 3, v[142:143]
	v_cvt_f64_f32_e32 v[90:91], v90
	v_add_co_u32 v92, vcc_lo, v98, v92
	v_add_co_ci_u32_e64 v93, null, v99, v93, vcc_lo
	global_store_dwordx2 v[92:93], v[90:91], off
.LBB161_251:
	s_or_b32 exec_lo, exec_lo, s8
	v_add_nc_u32_e32 v94, 40, v146
	v_mad_i64_i32 v[90:91], null, v94, s17, 0
	v_mad_i64_i32 v[92:93], null, v94, s14, 0
	v_cmp_gt_i32_e64 s8, s13, v94
	v_lshlrev_b64 v[90:91], 3, v[90:91]
	s_and_b32 s12, s0, s8
	v_lshlrev_b64 v[94:95], 3, v[92:93]
	v_add_co_u32 v92, vcc_lo, s22, v90
	v_add_co_ci_u32_e64 v93, null, s23, v91, vcc_lo
	v_add_co_u32 v90, vcc_lo, s18, v94
	v_add_co_ci_u32_e64 v91, null, s15, v95, vcc_lo
	s_and_saveexec_b32 s9, s12
	s_cbranch_execnz .LBB161_259
; %bb.252:
	s_or_b32 exec_lo, exec_lo, s9
	s_and_b32 s12, s1, s8
	s_and_saveexec_b32 s9, s12
	s_cbranch_execnz .LBB161_263
.LBB161_253:
	s_or_b32 exec_lo, exec_lo, s9
	s_and_b32 s12, s2, s8
	s_and_saveexec_b32 s9, s12
	s_cbranch_execnz .LBB161_267
.LBB161_254:
	s_or_b32 exec_lo, exec_lo, s9
	s_and_b32 s12, s3, s8
	s_and_saveexec_b32 s9, s12
	s_cbranch_execnz .LBB161_271
.LBB161_255:
	s_or_b32 exec_lo, exec_lo, s9
	s_and_b32 s12, s4, s8
	s_and_saveexec_b32 s9, s12
	s_cbranch_execnz .LBB161_275
.LBB161_256:
	s_or_b32 exec_lo, exec_lo, s9
	s_and_b32 s12, s5, s8
	s_and_saveexec_b32 s9, s12
	s_cbranch_execnz .LBB161_279
.LBB161_257:
	s_or_b32 exec_lo, exec_lo, s9
	s_and_b32 s12, s6, s8
	s_and_saveexec_b32 s9, s12
	s_cbranch_execnz .LBB161_283
.LBB161_258:
	s_or_b32 exec_lo, exec_lo, s9
	s_and_b32 s9, s7, s8
	s_and_saveexec_b32 s8, s9
	s_cbranch_execnz .LBB161_287
	s_branch .LBB161_291
.LBB161_259:
	v_cmp_ne_u32_e32 vcc_lo, 1, v144
	s_cbranch_vccnz .LBB161_261
; %bb.260:
	v_lshlrev_b64 v[94:95], 3, v[0:1]
	v_add_co_u32 v94, vcc_lo, v92, v94
	v_add_co_ci_u32_e64 v95, null, v93, v95, vcc_lo
	global_load_dwordx2 v[94:95], v[94:95], off
	s_waitcnt vmcnt(0)
	v_mul_f64 v[94:95], s[10:11], v[94:95]
	v_cvt_f32_f64_e32 v94, v[94:95]
	s_branch .LBB161_262
.LBB161_261:
	v_mov_b32_e32 v94, 0
.LBB161_262:
	v_add_f64 v[95:96], v[70:71], v[86:87]
	v_add_f64 v[97:98], v[72:73], v[88:89]
	;; [unrolled: 1-line block ×4, first 2 shown]
	v_cvt_f32_f64_e32 v95, v[95:96]
	v_cvt_f32_f64_e32 v96, v[97:98]
	;; [unrolled: 1-line block ×4, first 2 shown]
	v_min3_f32 v95, v95, v96, v178
	v_min_f32_e32 v96, v97, v98
	v_min3_f32 v94, v94, v96, v95
	v_lshlrev_b64 v[96:97], 3, v[0:1]
	v_cvt_f64_f32_e32 v[94:95], v94
	v_add_co_u32 v96, vcc_lo, v90, v96
	v_add_co_ci_u32_e64 v97, null, v91, v97, vcc_lo
	global_store_dwordx2 v[96:97], v[94:95], off
	s_or_b32 exec_lo, exec_lo, s9
	s_and_b32 s12, s1, s8
	s_and_saveexec_b32 s9, s12
	s_cbranch_execz .LBB161_253
.LBB161_263:
	v_cmp_ne_u32_e32 vcc_lo, 1, v144
	s_cbranch_vccnz .LBB161_265
; %bb.264:
	v_lshlrev_b64 v[94:95], 3, v[130:131]
	v_add_co_u32 v94, vcc_lo, v92, v94
	v_add_co_ci_u32_e64 v95, null, v93, v95, vcc_lo
	global_load_dwordx2 v[94:95], v[94:95], off
	s_waitcnt vmcnt(0)
	v_mul_f64 v[94:95], s[10:11], v[94:95]
	v_cvt_f32_f64_e32 v94, v[94:95]
	s_branch .LBB161_266
.LBB161_265:
	v_mov_b32_e32 v94, 0
.LBB161_266:
	v_add_f64 v[95:96], v[62:63], v[86:87]
	v_add_f64 v[97:98], v[64:65], v[88:89]
	;; [unrolled: 1-line block ×4, first 2 shown]
	v_cvt_f32_f64_e32 v95, v[95:96]
	v_cvt_f32_f64_e32 v96, v[97:98]
	v_cvt_f32_f64_e32 v97, v[99:100]
	v_cvt_f32_f64_e32 v98, v[101:102]
	v_min3_f32 v95, v95, v96, v177
	v_min_f32_e32 v96, v97, v98
	v_min3_f32 v94, v94, v96, v95
	v_lshlrev_b64 v[96:97], 3, v[130:131]
	v_cvt_f64_f32_e32 v[94:95], v94
	v_add_co_u32 v96, vcc_lo, v90, v96
	v_add_co_ci_u32_e64 v97, null, v91, v97, vcc_lo
	global_store_dwordx2 v[96:97], v[94:95], off
	s_or_b32 exec_lo, exec_lo, s9
	s_and_b32 s12, s2, s8
	s_and_saveexec_b32 s9, s12
	s_cbranch_execz .LBB161_254
.LBB161_267:
	v_cmp_ne_u32_e32 vcc_lo, 1, v144
	s_cbranch_vccnz .LBB161_269
; %bb.268:
	v_lshlrev_b64 v[94:95], 3, v[132:133]
	v_add_co_u32 v94, vcc_lo, v92, v94
	v_add_co_ci_u32_e64 v95, null, v93, v95, vcc_lo
	global_load_dwordx2 v[94:95], v[94:95], off
	s_waitcnt vmcnt(0)
	v_mul_f64 v[94:95], s[10:11], v[94:95]
	v_cvt_f32_f64_e32 v94, v[94:95]
	s_branch .LBB161_270
.LBB161_269:
	v_mov_b32_e32 v94, 0
.LBB161_270:
	v_add_f64 v[95:96], v[54:55], v[86:87]
	v_add_f64 v[97:98], v[56:57], v[88:89]
	;; [unrolled: 1-line block ×4, first 2 shown]
	v_cvt_f32_f64_e32 v95, v[95:96]
	v_cvt_f32_f64_e32 v96, v[97:98]
	v_cvt_f32_f64_e32 v97, v[99:100]
	v_cvt_f32_f64_e32 v98, v[101:102]
	v_min3_f32 v95, v95, v96, v172
	v_min_f32_e32 v96, v97, v98
	v_min3_f32 v94, v94, v96, v95
	v_lshlrev_b64 v[96:97], 3, v[132:133]
	v_cvt_f64_f32_e32 v[94:95], v94
	v_add_co_u32 v96, vcc_lo, v90, v96
	v_add_co_ci_u32_e64 v97, null, v91, v97, vcc_lo
	global_store_dwordx2 v[96:97], v[94:95], off
	s_or_b32 exec_lo, exec_lo, s9
	s_and_b32 s12, s3, s8
	s_and_saveexec_b32 s9, s12
	s_cbranch_execz .LBB161_255
.LBB161_271:
	v_cmp_ne_u32_e32 vcc_lo, 1, v144
	s_cbranch_vccnz .LBB161_273
; %bb.272:
	v_lshlrev_b64 v[94:95], 3, v[134:135]
	v_add_co_u32 v94, vcc_lo, v92, v94
	v_add_co_ci_u32_e64 v95, null, v93, v95, vcc_lo
	global_load_dwordx2 v[94:95], v[94:95], off
	s_waitcnt vmcnt(0)
	v_mul_f64 v[94:95], s[10:11], v[94:95]
	v_cvt_f32_f64_e32 v94, v[94:95]
	s_branch .LBB161_274
.LBB161_273:
	v_mov_b32_e32 v94, 0
.LBB161_274:
	v_add_f64 v[95:96], v[46:47], v[86:87]
	v_add_f64 v[97:98], v[48:49], v[88:89]
	;; [unrolled: 1-line block ×4, first 2 shown]
	v_cvt_f32_f64_e32 v95, v[95:96]
	v_cvt_f32_f64_e32 v96, v[97:98]
	v_cvt_f32_f64_e32 v97, v[99:100]
	v_cvt_f32_f64_e32 v98, v[101:102]
	v_min3_f32 v95, v95, v96, v169
	v_min_f32_e32 v96, v97, v98
	v_min3_f32 v94, v94, v96, v95
	v_lshlrev_b64 v[96:97], 3, v[134:135]
	v_cvt_f64_f32_e32 v[94:95], v94
	v_add_co_u32 v96, vcc_lo, v90, v96
	v_add_co_ci_u32_e64 v97, null, v91, v97, vcc_lo
	global_store_dwordx2 v[96:97], v[94:95], off
	s_or_b32 exec_lo, exec_lo, s9
	s_and_b32 s12, s4, s8
	s_and_saveexec_b32 s9, s12
	s_cbranch_execz .LBB161_256
.LBB161_275:
	v_cmp_ne_u32_e32 vcc_lo, 1, v144
	s_cbranch_vccnz .LBB161_277
; %bb.276:
	v_lshlrev_b64 v[94:95], 3, v[136:137]
	v_add_co_u32 v94, vcc_lo, v92, v94
	v_add_co_ci_u32_e64 v95, null, v93, v95, vcc_lo
	global_load_dwordx2 v[94:95], v[94:95], off
	s_waitcnt vmcnt(0)
	v_mul_f64 v[94:95], s[10:11], v[94:95]
	v_cvt_f32_f64_e32 v94, v[94:95]
	s_branch .LBB161_278
.LBB161_277:
	v_mov_b32_e32 v94, 0
.LBB161_278:
	v_add_f64 v[95:96], v[38:39], v[86:87]
	v_add_f64 v[97:98], v[40:41], v[88:89]
	;; [unrolled: 1-line block ×4, first 2 shown]
	v_cvt_f32_f64_e32 v95, v[95:96]
	v_cvt_f32_f64_e32 v96, v[97:98]
	v_cvt_f32_f64_e32 v97, v[99:100]
	v_cvt_f32_f64_e32 v98, v[101:102]
	v_min3_f32 v95, v95, v96, v168
	v_min_f32_e32 v96, v97, v98
	v_min3_f32 v94, v94, v96, v95
	v_lshlrev_b64 v[96:97], 3, v[136:137]
	v_cvt_f64_f32_e32 v[94:95], v94
	v_add_co_u32 v96, vcc_lo, v90, v96
	v_add_co_ci_u32_e64 v97, null, v91, v97, vcc_lo
	global_store_dwordx2 v[96:97], v[94:95], off
	s_or_b32 exec_lo, exec_lo, s9
	s_and_b32 s12, s5, s8
	s_and_saveexec_b32 s9, s12
	s_cbranch_execz .LBB161_257
.LBB161_279:
	v_cmp_ne_u32_e32 vcc_lo, 1, v144
	s_cbranch_vccnz .LBB161_281
; %bb.280:
	v_lshlrev_b64 v[94:95], 3, v[138:139]
	v_add_co_u32 v94, vcc_lo, v92, v94
	v_add_co_ci_u32_e64 v95, null, v93, v95, vcc_lo
	global_load_dwordx2 v[94:95], v[94:95], off
	s_waitcnt vmcnt(0)
	v_mul_f64 v[94:95], s[10:11], v[94:95]
	v_cvt_f32_f64_e32 v94, v[94:95]
	s_branch .LBB161_282
.LBB161_281:
	v_mov_b32_e32 v94, 0
.LBB161_282:
	v_add_f64 v[95:96], v[30:31], v[86:87]
	v_add_f64 v[97:98], v[32:33], v[88:89]
	;; [unrolled: 1-line block ×4, first 2 shown]
	v_cvt_f32_f64_e32 v95, v[95:96]
	v_cvt_f32_f64_e32 v96, v[97:98]
	;; [unrolled: 1-line block ×4, first 2 shown]
	v_min3_f32 v95, v95, v96, v167
	v_min_f32_e32 v96, v97, v98
	v_min3_f32 v94, v94, v96, v95
	v_lshlrev_b64 v[96:97], 3, v[138:139]
	v_cvt_f64_f32_e32 v[94:95], v94
	v_add_co_u32 v96, vcc_lo, v90, v96
	v_add_co_ci_u32_e64 v97, null, v91, v97, vcc_lo
	global_store_dwordx2 v[96:97], v[94:95], off
	s_or_b32 exec_lo, exec_lo, s9
	s_and_b32 s12, s6, s8
	s_and_saveexec_b32 s9, s12
	s_cbranch_execz .LBB161_258
.LBB161_283:
	v_cmp_ne_u32_e32 vcc_lo, 1, v144
	s_cbranch_vccnz .LBB161_285
; %bb.284:
	v_lshlrev_b64 v[94:95], 3, v[140:141]
	v_add_co_u32 v94, vcc_lo, v92, v94
	v_add_co_ci_u32_e64 v95, null, v93, v95, vcc_lo
	global_load_dwordx2 v[94:95], v[94:95], off
	s_waitcnt vmcnt(0)
	v_mul_f64 v[94:95], s[10:11], v[94:95]
	v_cvt_f32_f64_e32 v94, v[94:95]
	s_branch .LBB161_286
.LBB161_285:
	v_mov_b32_e32 v94, 0
.LBB161_286:
	v_add_f64 v[95:96], v[22:23], v[86:87]
	v_add_f64 v[97:98], v[24:25], v[88:89]
	;; [unrolled: 1-line block ×4, first 2 shown]
	v_cvt_f32_f64_e32 v95, v[95:96]
	v_cvt_f32_f64_e32 v96, v[97:98]
	;; [unrolled: 1-line block ×4, first 2 shown]
	v_min3_f32 v95, v95, v96, v166
	v_min_f32_e32 v96, v97, v98
	v_min3_f32 v94, v94, v96, v95
	v_lshlrev_b64 v[96:97], 3, v[140:141]
	v_cvt_f64_f32_e32 v[94:95], v94
	v_add_co_u32 v96, vcc_lo, v90, v96
	v_add_co_ci_u32_e64 v97, null, v91, v97, vcc_lo
	global_store_dwordx2 v[96:97], v[94:95], off
	s_or_b32 exec_lo, exec_lo, s9
	s_and_b32 s9, s7, s8
	s_and_saveexec_b32 s8, s9
	s_cbranch_execz .LBB161_291
.LBB161_287:
	v_cmp_ne_u32_e32 vcc_lo, 1, v144
	s_cbranch_vccnz .LBB161_289
; %bb.288:
	v_lshlrev_b64 v[94:95], 3, v[142:143]
	v_add_co_u32 v92, vcc_lo, v92, v94
	v_add_co_ci_u32_e64 v93, null, v93, v95, vcc_lo
	global_load_dwordx2 v[92:93], v[92:93], off
	s_waitcnt vmcnt(0)
	v_mul_f64 v[92:93], s[10:11], v[92:93]
	v_cvt_f32_f64_e32 v92, v[92:93]
	s_branch .LBB161_290
.LBB161_289:
	v_mov_b32_e32 v92, 0
.LBB161_290:
	v_add_f64 v[86:87], v[6:7], v[86:87]
	v_add_f64 v[88:89], v[8:9], v[88:89]
	;; [unrolled: 1-line block ×4, first 2 shown]
	v_cvt_f32_f64_e32 v86, v[86:87]
	v_cvt_f32_f64_e32 v87, v[88:89]
	v_cvt_f32_f64_e32 v82, v[82:83]
	v_cvt_f32_f64_e32 v83, v[84:85]
	v_min3_f32 v84, v86, v87, v165
	v_min_f32_e32 v82, v82, v83
	v_min3_f32 v82, v92, v82, v84
	v_lshlrev_b64 v[84:85], 3, v[142:143]
	v_cvt_f64_f32_e32 v[82:83], v82
	v_add_co_u32 v84, vcc_lo, v90, v84
	v_add_co_ci_u32_e64 v85, null, v91, v85, vcc_lo
	global_store_dwordx2 v[84:85], v[82:83], off
.LBB161_291:
	s_or_b32 exec_lo, exec_lo, s8
	v_add_nc_u32_e32 v86, 48, v146
	v_mad_i64_i32 v[82:83], null, v86, s17, 0
	v_mad_i64_i32 v[84:85], null, v86, s14, 0
	v_cmp_gt_i32_e64 s8, s13, v86
	v_lshlrev_b64 v[82:83], 3, v[82:83]
	s_and_b32 s12, s0, s8
	v_lshlrev_b64 v[86:87], 3, v[84:85]
	v_add_co_u32 v84, vcc_lo, s22, v82
	v_add_co_ci_u32_e64 v85, null, s23, v83, vcc_lo
	v_add_co_u32 v82, vcc_lo, s18, v86
	v_add_co_ci_u32_e64 v83, null, s15, v87, vcc_lo
	s_and_saveexec_b32 s9, s12
	s_cbranch_execnz .LBB161_299
; %bb.292:
	s_or_b32 exec_lo, exec_lo, s9
	s_and_b32 s12, s1, s8
	s_and_saveexec_b32 s9, s12
	s_cbranch_execnz .LBB161_303
.LBB161_293:
	s_or_b32 exec_lo, exec_lo, s9
	s_and_b32 s12, s2, s8
	s_and_saveexec_b32 s9, s12
	s_cbranch_execnz .LBB161_307
.LBB161_294:
	s_or_b32 exec_lo, exec_lo, s9
	s_and_b32 s12, s3, s8
	s_and_saveexec_b32 s9, s12
	s_cbranch_execnz .LBB161_311
.LBB161_295:
	s_or_b32 exec_lo, exec_lo, s9
	s_and_b32 s12, s4, s8
	s_and_saveexec_b32 s9, s12
	s_cbranch_execnz .LBB161_315
.LBB161_296:
	s_or_b32 exec_lo, exec_lo, s9
	s_and_b32 s12, s5, s8
	s_and_saveexec_b32 s9, s12
	s_cbranch_execnz .LBB161_319
.LBB161_297:
	s_or_b32 exec_lo, exec_lo, s9
	s_and_b32 s12, s6, s8
	s_and_saveexec_b32 s9, s12
	s_cbranch_execnz .LBB161_323
.LBB161_298:
	s_or_b32 exec_lo, exec_lo, s9
	s_and_b32 s9, s7, s8
	s_and_saveexec_b32 s8, s9
	s_cbranch_execnz .LBB161_327
	s_branch .LBB161_331
.LBB161_299:
	v_cmp_ne_u32_e32 vcc_lo, 1, v144
	s_cbranch_vccnz .LBB161_301
; %bb.300:
	v_lshlrev_b64 v[86:87], 3, v[0:1]
	v_add_co_u32 v86, vcc_lo, v84, v86
	v_add_co_ci_u32_e64 v87, null, v85, v87, vcc_lo
	global_load_dwordx2 v[86:87], v[86:87], off
	s_waitcnt vmcnt(0)
	v_mul_f64 v[86:87], s[10:11], v[86:87]
	v_cvt_f32_f64_e32 v86, v[86:87]
	s_branch .LBB161_302
.LBB161_301:
	v_mov_b32_e32 v86, 0
.LBB161_302:
	v_add_f64 v[87:88], v[70:71], v[78:79]
	v_add_f64 v[89:90], v[72:73], v[80:81]
	;; [unrolled: 1-line block ×4, first 2 shown]
	v_cvt_f32_f64_e32 v87, v[87:88]
	v_cvt_f32_f64_e32 v88, v[89:90]
	v_cvt_f32_f64_e32 v89, v[91:92]
	v_cvt_f32_f64_e32 v90, v[93:94]
	v_min3_f32 v87, v87, v88, v164
	v_min_f32_e32 v88, v89, v90
	v_min3_f32 v86, v86, v88, v87
	v_lshlrev_b64 v[88:89], 3, v[0:1]
	v_cvt_f64_f32_e32 v[86:87], v86
	v_add_co_u32 v88, vcc_lo, v82, v88
	v_add_co_ci_u32_e64 v89, null, v83, v89, vcc_lo
	global_store_dwordx2 v[88:89], v[86:87], off
	s_or_b32 exec_lo, exec_lo, s9
	s_and_b32 s12, s1, s8
	s_and_saveexec_b32 s9, s12
	s_cbranch_execz .LBB161_293
.LBB161_303:
	v_cmp_ne_u32_e32 vcc_lo, 1, v144
	s_cbranch_vccnz .LBB161_305
; %bb.304:
	v_lshlrev_b64 v[86:87], 3, v[130:131]
	v_add_co_u32 v86, vcc_lo, v84, v86
	v_add_co_ci_u32_e64 v87, null, v85, v87, vcc_lo
	global_load_dwordx2 v[86:87], v[86:87], off
	s_waitcnt vmcnt(0)
	v_mul_f64 v[86:87], s[10:11], v[86:87]
	v_cvt_f32_f64_e32 v86, v[86:87]
	s_branch .LBB161_306
.LBB161_305:
	v_mov_b32_e32 v86, 0
.LBB161_306:
	v_add_f64 v[87:88], v[62:63], v[78:79]
	v_add_f64 v[89:90], v[64:65], v[80:81]
	v_add_f64 v[91:92], v[58:59], v[74:75]
	v_add_f64 v[93:94], v[60:61], v[76:77]
	v_cvt_f32_f64_e32 v87, v[87:88]
	v_cvt_f32_f64_e32 v88, v[89:90]
	;; [unrolled: 1-line block ×4, first 2 shown]
	v_min3_f32 v87, v87, v88, v163
	v_min_f32_e32 v88, v89, v90
	v_min3_f32 v86, v86, v88, v87
	v_lshlrev_b64 v[88:89], 3, v[130:131]
	v_cvt_f64_f32_e32 v[86:87], v86
	v_add_co_u32 v88, vcc_lo, v82, v88
	v_add_co_ci_u32_e64 v89, null, v83, v89, vcc_lo
	global_store_dwordx2 v[88:89], v[86:87], off
	s_or_b32 exec_lo, exec_lo, s9
	s_and_b32 s12, s2, s8
	s_and_saveexec_b32 s9, s12
	s_cbranch_execz .LBB161_294
.LBB161_307:
	v_cmp_ne_u32_e32 vcc_lo, 1, v144
	s_cbranch_vccnz .LBB161_309
; %bb.308:
	v_lshlrev_b64 v[86:87], 3, v[132:133]
	v_add_co_u32 v86, vcc_lo, v84, v86
	v_add_co_ci_u32_e64 v87, null, v85, v87, vcc_lo
	global_load_dwordx2 v[86:87], v[86:87], off
	s_waitcnt vmcnt(0)
	v_mul_f64 v[86:87], s[10:11], v[86:87]
	v_cvt_f32_f64_e32 v86, v[86:87]
	s_branch .LBB161_310
.LBB161_309:
	v_mov_b32_e32 v86, 0
.LBB161_310:
	v_add_f64 v[87:88], v[54:55], v[78:79]
	v_add_f64 v[89:90], v[56:57], v[80:81]
	;; [unrolled: 1-line block ×4, first 2 shown]
	v_cvt_f32_f64_e32 v87, v[87:88]
	v_cvt_f32_f64_e32 v88, v[89:90]
	;; [unrolled: 1-line block ×4, first 2 shown]
	v_min3_f32 v87, v87, v88, v162
	v_min_f32_e32 v88, v89, v90
	v_min3_f32 v86, v86, v88, v87
	v_lshlrev_b64 v[88:89], 3, v[132:133]
	v_cvt_f64_f32_e32 v[86:87], v86
	v_add_co_u32 v88, vcc_lo, v82, v88
	v_add_co_ci_u32_e64 v89, null, v83, v89, vcc_lo
	global_store_dwordx2 v[88:89], v[86:87], off
	s_or_b32 exec_lo, exec_lo, s9
	s_and_b32 s12, s3, s8
	s_and_saveexec_b32 s9, s12
	s_cbranch_execz .LBB161_295
.LBB161_311:
	v_cmp_ne_u32_e32 vcc_lo, 1, v144
	s_cbranch_vccnz .LBB161_313
; %bb.312:
	v_lshlrev_b64 v[86:87], 3, v[134:135]
	v_add_co_u32 v86, vcc_lo, v84, v86
	v_add_co_ci_u32_e64 v87, null, v85, v87, vcc_lo
	global_load_dwordx2 v[86:87], v[86:87], off
	s_waitcnt vmcnt(0)
	v_mul_f64 v[86:87], s[10:11], v[86:87]
	v_cvt_f32_f64_e32 v86, v[86:87]
	s_branch .LBB161_314
.LBB161_313:
	v_mov_b32_e32 v86, 0
.LBB161_314:
	v_add_f64 v[87:88], v[46:47], v[78:79]
	v_add_f64 v[89:90], v[48:49], v[80:81]
	;; [unrolled: 1-line block ×4, first 2 shown]
	v_cvt_f32_f64_e32 v87, v[87:88]
	v_cvt_f32_f64_e32 v88, v[89:90]
	;; [unrolled: 1-line block ×4, first 2 shown]
	v_min3_f32 v87, v87, v88, v161
	v_min_f32_e32 v88, v89, v90
	v_min3_f32 v86, v86, v88, v87
	v_lshlrev_b64 v[88:89], 3, v[134:135]
	v_cvt_f64_f32_e32 v[86:87], v86
	v_add_co_u32 v88, vcc_lo, v82, v88
	v_add_co_ci_u32_e64 v89, null, v83, v89, vcc_lo
	global_store_dwordx2 v[88:89], v[86:87], off
	s_or_b32 exec_lo, exec_lo, s9
	s_and_b32 s12, s4, s8
	s_and_saveexec_b32 s9, s12
	s_cbranch_execz .LBB161_296
.LBB161_315:
	v_cmp_ne_u32_e32 vcc_lo, 1, v144
	s_cbranch_vccnz .LBB161_317
; %bb.316:
	v_lshlrev_b64 v[86:87], 3, v[136:137]
	v_add_co_u32 v86, vcc_lo, v84, v86
	v_add_co_ci_u32_e64 v87, null, v85, v87, vcc_lo
	global_load_dwordx2 v[86:87], v[86:87], off
	s_waitcnt vmcnt(0)
	v_mul_f64 v[86:87], s[10:11], v[86:87]
	v_cvt_f32_f64_e32 v86, v[86:87]
	s_branch .LBB161_318
.LBB161_317:
	v_mov_b32_e32 v86, 0
.LBB161_318:
	v_add_f64 v[87:88], v[38:39], v[78:79]
	v_add_f64 v[89:90], v[40:41], v[80:81]
	;; [unrolled: 1-line block ×4, first 2 shown]
	v_cvt_f32_f64_e32 v87, v[87:88]
	v_cvt_f32_f64_e32 v88, v[89:90]
	;; [unrolled: 1-line block ×4, first 2 shown]
	v_min3_f32 v87, v87, v88, v160
	v_min_f32_e32 v88, v89, v90
	v_min3_f32 v86, v86, v88, v87
	v_lshlrev_b64 v[88:89], 3, v[136:137]
	v_cvt_f64_f32_e32 v[86:87], v86
	v_add_co_u32 v88, vcc_lo, v82, v88
	v_add_co_ci_u32_e64 v89, null, v83, v89, vcc_lo
	global_store_dwordx2 v[88:89], v[86:87], off
	s_or_b32 exec_lo, exec_lo, s9
	s_and_b32 s12, s5, s8
	s_and_saveexec_b32 s9, s12
	s_cbranch_execz .LBB161_297
.LBB161_319:
	v_cmp_ne_u32_e32 vcc_lo, 1, v144
	s_cbranch_vccnz .LBB161_321
; %bb.320:
	v_lshlrev_b64 v[86:87], 3, v[138:139]
	v_add_co_u32 v86, vcc_lo, v84, v86
	v_add_co_ci_u32_e64 v87, null, v85, v87, vcc_lo
	global_load_dwordx2 v[86:87], v[86:87], off
	s_waitcnt vmcnt(0)
	v_mul_f64 v[86:87], s[10:11], v[86:87]
	v_cvt_f32_f64_e32 v86, v[86:87]
	s_branch .LBB161_322
.LBB161_321:
	v_mov_b32_e32 v86, 0
.LBB161_322:
	v_add_f64 v[87:88], v[30:31], v[78:79]
	v_add_f64 v[89:90], v[32:33], v[80:81]
	;; [unrolled: 1-line block ×4, first 2 shown]
	v_cvt_f32_f64_e32 v87, v[87:88]
	v_cvt_f32_f64_e32 v88, v[89:90]
	;; [unrolled: 1-line block ×4, first 2 shown]
	v_min3_f32 v87, v87, v88, v159
	v_min_f32_e32 v88, v89, v90
	v_min3_f32 v86, v86, v88, v87
	v_lshlrev_b64 v[88:89], 3, v[138:139]
	v_cvt_f64_f32_e32 v[86:87], v86
	v_add_co_u32 v88, vcc_lo, v82, v88
	v_add_co_ci_u32_e64 v89, null, v83, v89, vcc_lo
	global_store_dwordx2 v[88:89], v[86:87], off
	s_or_b32 exec_lo, exec_lo, s9
	s_and_b32 s12, s6, s8
	s_and_saveexec_b32 s9, s12
	s_cbranch_execz .LBB161_298
.LBB161_323:
	v_cmp_ne_u32_e32 vcc_lo, 1, v144
	s_cbranch_vccnz .LBB161_325
; %bb.324:
	v_lshlrev_b64 v[86:87], 3, v[140:141]
	v_add_co_u32 v86, vcc_lo, v84, v86
	v_add_co_ci_u32_e64 v87, null, v85, v87, vcc_lo
	global_load_dwordx2 v[86:87], v[86:87], off
	s_waitcnt vmcnt(0)
	v_mul_f64 v[86:87], s[10:11], v[86:87]
	v_cvt_f32_f64_e32 v86, v[86:87]
	s_branch .LBB161_326
.LBB161_325:
	v_mov_b32_e32 v86, 0
.LBB161_326:
	v_add_f64 v[87:88], v[22:23], v[78:79]
	v_add_f64 v[89:90], v[24:25], v[80:81]
	;; [unrolled: 1-line block ×4, first 2 shown]
	v_cvt_f32_f64_e32 v87, v[87:88]
	v_cvt_f32_f64_e32 v88, v[89:90]
	;; [unrolled: 1-line block ×4, first 2 shown]
	v_min3_f32 v87, v87, v88, v158
	v_min_f32_e32 v88, v89, v90
	v_min3_f32 v86, v86, v88, v87
	v_lshlrev_b64 v[88:89], 3, v[140:141]
	v_cvt_f64_f32_e32 v[86:87], v86
	v_add_co_u32 v88, vcc_lo, v82, v88
	v_add_co_ci_u32_e64 v89, null, v83, v89, vcc_lo
	global_store_dwordx2 v[88:89], v[86:87], off
	s_or_b32 exec_lo, exec_lo, s9
	s_and_b32 s9, s7, s8
	s_and_saveexec_b32 s8, s9
	s_cbranch_execz .LBB161_331
.LBB161_327:
	v_cmp_ne_u32_e32 vcc_lo, 1, v144
	s_cbranch_vccnz .LBB161_329
; %bb.328:
	v_lshlrev_b64 v[86:87], 3, v[142:143]
	v_add_co_u32 v84, vcc_lo, v84, v86
	v_add_co_ci_u32_e64 v85, null, v85, v87, vcc_lo
	global_load_dwordx2 v[84:85], v[84:85], off
	s_waitcnt vmcnt(0)
	v_mul_f64 v[84:85], s[10:11], v[84:85]
	v_cvt_f32_f64_e32 v84, v[84:85]
	s_branch .LBB161_330
.LBB161_329:
	v_mov_b32_e32 v84, 0
.LBB161_330:
	v_add_f64 v[78:79], v[6:7], v[78:79]
	v_add_f64 v[80:81], v[8:9], v[80:81]
	;; [unrolled: 1-line block ×4, first 2 shown]
	v_cvt_f32_f64_e32 v78, v[78:79]
	v_cvt_f32_f64_e32 v79, v[80:81]
	;; [unrolled: 1-line block ×4, first 2 shown]
	v_min3_f32 v76, v78, v79, v157
	v_min_f32_e32 v74, v74, v75
	v_min3_f32 v74, v84, v74, v76
	v_lshlrev_b64 v[76:77], 3, v[142:143]
	v_cvt_f64_f32_e32 v[74:75], v74
	v_add_co_u32 v76, vcc_lo, v82, v76
	v_add_co_ci_u32_e64 v77, null, v83, v77, vcc_lo
	global_store_dwordx2 v[76:77], v[74:75], off
.LBB161_331:
	s_or_b32 exec_lo, exec_lo, s8
	v_add_nc_u32_e32 v78, 56, v146
	v_mad_i64_i32 v[74:75], null, v78, s17, 0
	v_mad_i64_i32 v[76:77], null, v78, s14, 0
	v_cmp_gt_i32_e64 s8, s13, v78
	v_lshlrev_b64 v[74:75], 3, v[74:75]
	s_and_b32 s9, s0, s8
	v_lshlrev_b64 v[78:79], 3, v[76:77]
	v_add_co_u32 v76, vcc_lo, s22, v74
	v_add_co_ci_u32_e64 v77, null, s23, v75, vcc_lo
	v_add_co_u32 v74, vcc_lo, s18, v78
	v_add_co_ci_u32_e64 v75, null, s15, v79, vcc_lo
	s_and_saveexec_b32 s0, s9
	s_cbranch_execnz .LBB161_340
; %bb.332:
	s_or_b32 exec_lo, exec_lo, s0
	s_and_b32 s1, s1, s8
	s_and_saveexec_b32 s0, s1
	s_cbranch_execnz .LBB161_344
.LBB161_333:
	s_or_b32 exec_lo, exec_lo, s0
	s_and_b32 s1, s2, s8
	s_and_saveexec_b32 s0, s1
	s_cbranch_execnz .LBB161_348
.LBB161_334:
	s_or_b32 exec_lo, exec_lo, s0
	s_and_b32 s1, s3, s8
	s_and_saveexec_b32 s0, s1
	s_cbranch_execnz .LBB161_352
.LBB161_335:
	s_or_b32 exec_lo, exec_lo, s0
	s_and_b32 s1, s4, s8
	s_and_saveexec_b32 s0, s1
	s_cbranch_execnz .LBB161_356
.LBB161_336:
	s_or_b32 exec_lo, exec_lo, s0
	s_and_b32 s1, s5, s8
	s_and_saveexec_b32 s0, s1
	s_cbranch_execnz .LBB161_360
.LBB161_337:
	s_or_b32 exec_lo, exec_lo, s0
	s_and_b32 s1, s6, s8
	s_and_saveexec_b32 s0, s1
	s_cbranch_execnz .LBB161_364
.LBB161_338:
	s_or_b32 exec_lo, exec_lo, s0
	s_and_b32 s0, s7, s8
	s_and_saveexec_b32 s1, s0
	s_cbranch_execnz .LBB161_368
.LBB161_339:
	s_endpgm
.LBB161_340:
	v_cmp_ne_u32_e32 vcc_lo, 1, v144
	v_lshlrev_b64 v[0:1], 3, v[0:1]
	s_cbranch_vccnz .LBB161_342
; %bb.341:
	v_add_co_u32 v78, vcc_lo, v76, v0
	v_add_co_ci_u32_e64 v79, null, v77, v1, vcc_lo
	global_load_dwordx2 v[78:79], v[78:79], off
	s_waitcnt vmcnt(0)
	v_mul_f64 v[78:79], s[10:11], v[78:79]
	v_cvt_f32_f64_e32 v78, v[78:79]
	s_branch .LBB161_343
.LBB161_342:
	v_mov_b32_e32 v78, 0
.LBB161_343:
	v_add_f64 v[70:71], v[70:71], v[14:15]
	v_add_f64 v[72:73], v[72:73], v[16:17]
	;; [unrolled: 1-line block ×4, first 2 shown]
	v_add_co_u32 v0, vcc_lo, v74, v0
	v_add_co_ci_u32_e64 v1, null, v75, v1, vcc_lo
	v_cvt_f32_f64_e32 v70, v[70:71]
	v_cvt_f32_f64_e32 v71, v[72:73]
	;; [unrolled: 1-line block ×4, first 2 shown]
	v_min3_f32 v68, v70, v71, v156
	v_min_f32_e32 v66, v66, v67
	v_min3_f32 v66, v78, v66, v68
	v_cvt_f64_f32_e32 v[66:67], v66
	global_store_dwordx2 v[0:1], v[66:67], off
	s_or_b32 exec_lo, exec_lo, s0
	s_and_b32 s1, s1, s8
	s_and_saveexec_b32 s0, s1
	s_cbranch_execz .LBB161_333
.LBB161_344:
	v_cmp_ne_u32_e32 vcc_lo, 1, v144
	v_lshlrev_b64 v[0:1], 3, v[130:131]
	s_cbranch_vccnz .LBB161_346
; %bb.345:
	v_add_co_u32 v66, vcc_lo, v76, v0
	v_add_co_ci_u32_e64 v67, null, v77, v1, vcc_lo
	global_load_dwordx2 v[66:67], v[66:67], off
	s_waitcnt vmcnt(0)
	v_mul_f64 v[66:67], s[10:11], v[66:67]
	v_cvt_f32_f64_e32 v66, v[66:67]
	s_branch .LBB161_347
.LBB161_346:
	v_mov_b32_e32 v66, 0
.LBB161_347:
	v_add_f64 v[62:63], v[62:63], v[14:15]
	v_add_f64 v[64:65], v[64:65], v[16:17]
	;; [unrolled: 1-line block ×4, first 2 shown]
	v_add_co_u32 v0, vcc_lo, v74, v0
	v_add_co_ci_u32_e64 v1, null, v75, v1, vcc_lo
	v_cvt_f32_f64_e32 v62, v[62:63]
	v_cvt_f32_f64_e32 v63, v[64:65]
	;; [unrolled: 1-line block ×4, first 2 shown]
	v_min3_f32 v60, v62, v63, v155
	v_min_f32_e32 v58, v58, v59
	v_min3_f32 v58, v66, v58, v60
	v_cvt_f64_f32_e32 v[58:59], v58
	global_store_dwordx2 v[0:1], v[58:59], off
	s_or_b32 exec_lo, exec_lo, s0
	s_and_b32 s1, s2, s8
	s_and_saveexec_b32 s0, s1
	s_cbranch_execz .LBB161_334
.LBB161_348:
	v_cmp_ne_u32_e32 vcc_lo, 1, v144
	v_lshlrev_b64 v[0:1], 3, v[132:133]
	s_cbranch_vccnz .LBB161_350
; %bb.349:
	v_add_co_u32 v58, vcc_lo, v76, v0
	v_add_co_ci_u32_e64 v59, null, v77, v1, vcc_lo
	global_load_dwordx2 v[58:59], v[58:59], off
	s_waitcnt vmcnt(0)
	v_mul_f64 v[58:59], s[10:11], v[58:59]
	v_cvt_f32_f64_e32 v58, v[58:59]
	s_branch .LBB161_351
.LBB161_350:
	v_mov_b32_e32 v58, 0
.LBB161_351:
	v_add_f64 v[54:55], v[54:55], v[14:15]
	v_add_f64 v[56:57], v[56:57], v[16:17]
	;; [unrolled: 1-line block ×4, first 2 shown]
	v_add_co_u32 v0, vcc_lo, v74, v0
	v_add_co_ci_u32_e64 v1, null, v75, v1, vcc_lo
	v_cvt_f32_f64_e32 v54, v[54:55]
	v_cvt_f32_f64_e32 v55, v[56:57]
	;; [unrolled: 1-line block ×4, first 2 shown]
	v_min3_f32 v52, v54, v55, v154
	v_min_f32_e32 v50, v50, v51
	v_min3_f32 v50, v58, v50, v52
	v_cvt_f64_f32_e32 v[50:51], v50
	global_store_dwordx2 v[0:1], v[50:51], off
	s_or_b32 exec_lo, exec_lo, s0
	s_and_b32 s1, s3, s8
	s_and_saveexec_b32 s0, s1
	s_cbranch_execz .LBB161_335
.LBB161_352:
	v_cmp_ne_u32_e32 vcc_lo, 1, v144
	v_lshlrev_b64 v[0:1], 3, v[134:135]
	s_cbranch_vccnz .LBB161_354
; %bb.353:
	v_add_co_u32 v50, vcc_lo, v76, v0
	v_add_co_ci_u32_e64 v51, null, v77, v1, vcc_lo
	global_load_dwordx2 v[50:51], v[50:51], off
	s_waitcnt vmcnt(0)
	v_mul_f64 v[50:51], s[10:11], v[50:51]
	v_cvt_f32_f64_e32 v50, v[50:51]
	s_branch .LBB161_355
.LBB161_354:
	v_mov_b32_e32 v50, 0
.LBB161_355:
	v_add_f64 v[46:47], v[46:47], v[14:15]
	v_add_f64 v[48:49], v[48:49], v[16:17]
	;; [unrolled: 1-line block ×4, first 2 shown]
	v_add_co_u32 v0, vcc_lo, v74, v0
	v_add_co_ci_u32_e64 v1, null, v75, v1, vcc_lo
	v_cvt_f32_f64_e32 v46, v[46:47]
	v_cvt_f32_f64_e32 v47, v[48:49]
	;; [unrolled: 1-line block ×4, first 2 shown]
	v_min3_f32 v44, v46, v47, v153
	v_min_f32_e32 v42, v42, v43
	v_min3_f32 v42, v50, v42, v44
	v_cvt_f64_f32_e32 v[42:43], v42
	global_store_dwordx2 v[0:1], v[42:43], off
	s_or_b32 exec_lo, exec_lo, s0
	s_and_b32 s1, s4, s8
	s_and_saveexec_b32 s0, s1
	s_cbranch_execz .LBB161_336
.LBB161_356:
	v_cmp_ne_u32_e32 vcc_lo, 1, v144
	v_lshlrev_b64 v[0:1], 3, v[136:137]
	s_cbranch_vccnz .LBB161_358
; %bb.357:
	v_add_co_u32 v42, vcc_lo, v76, v0
	v_add_co_ci_u32_e64 v43, null, v77, v1, vcc_lo
	global_load_dwordx2 v[42:43], v[42:43], off
	s_waitcnt vmcnt(0)
	v_mul_f64 v[42:43], s[10:11], v[42:43]
	v_cvt_f32_f64_e32 v42, v[42:43]
	s_branch .LBB161_359
.LBB161_358:
	v_mov_b32_e32 v42, 0
.LBB161_359:
	v_add_f64 v[38:39], v[38:39], v[14:15]
	v_add_f64 v[40:41], v[40:41], v[16:17]
	;; [unrolled: 1-line block ×4, first 2 shown]
	v_add_co_u32 v0, vcc_lo, v74, v0
	v_add_co_ci_u32_e64 v1, null, v75, v1, vcc_lo
	v_cvt_f32_f64_e32 v38, v[38:39]
	v_cvt_f32_f64_e32 v39, v[40:41]
	v_cvt_f32_f64_e32 v34, v[34:35]
	v_cvt_f32_f64_e32 v35, v[36:37]
	v_min3_f32 v36, v38, v39, v152
	v_min_f32_e32 v34, v34, v35
	v_min3_f32 v34, v42, v34, v36
	v_cvt_f64_f32_e32 v[34:35], v34
	global_store_dwordx2 v[0:1], v[34:35], off
	s_or_b32 exec_lo, exec_lo, s0
	s_and_b32 s1, s5, s8
	s_and_saveexec_b32 s0, s1
	s_cbranch_execz .LBB161_337
.LBB161_360:
	v_cmp_ne_u32_e32 vcc_lo, 1, v144
	v_lshlrev_b64 v[0:1], 3, v[138:139]
	s_cbranch_vccnz .LBB161_362
; %bb.361:
	v_add_co_u32 v34, vcc_lo, v76, v0
	v_add_co_ci_u32_e64 v35, null, v77, v1, vcc_lo
	global_load_dwordx2 v[34:35], v[34:35], off
	s_waitcnt vmcnt(0)
	v_mul_f64 v[34:35], s[10:11], v[34:35]
	v_cvt_f32_f64_e32 v34, v[34:35]
	s_branch .LBB161_363
.LBB161_362:
	v_mov_b32_e32 v34, 0
.LBB161_363:
	v_add_f64 v[30:31], v[30:31], v[14:15]
	v_add_f64 v[32:33], v[32:33], v[16:17]
	v_add_f64 v[26:27], v[26:27], v[10:11]
	v_add_f64 v[28:29], v[28:29], v[12:13]
	v_add_co_u32 v0, vcc_lo, v74, v0
	v_add_co_ci_u32_e64 v1, null, v75, v1, vcc_lo
	v_cvt_f32_f64_e32 v30, v[30:31]
	v_cvt_f32_f64_e32 v31, v[32:33]
	v_cvt_f32_f64_e32 v26, v[26:27]
	v_cvt_f32_f64_e32 v27, v[28:29]
	v_min3_f32 v28, v30, v31, v151
	v_min_f32_e32 v26, v26, v27
	v_min3_f32 v26, v34, v26, v28
	v_cvt_f64_f32_e32 v[26:27], v26
	global_store_dwordx2 v[0:1], v[26:27], off
	s_or_b32 exec_lo, exec_lo, s0
	s_and_b32 s1, s6, s8
	s_and_saveexec_b32 s0, s1
	s_cbranch_execz .LBB161_338
.LBB161_364:
	v_cmp_ne_u32_e32 vcc_lo, 1, v144
	v_lshlrev_b64 v[0:1], 3, v[140:141]
	s_cbranch_vccnz .LBB161_366
; %bb.365:
	v_add_co_u32 v26, vcc_lo, v76, v0
	v_add_co_ci_u32_e64 v27, null, v77, v1, vcc_lo
	global_load_dwordx2 v[26:27], v[26:27], off
	s_waitcnt vmcnt(0)
	v_mul_f64 v[26:27], s[10:11], v[26:27]
	v_cvt_f32_f64_e32 v26, v[26:27]
	s_branch .LBB161_367
.LBB161_366:
	v_mov_b32_e32 v26, 0
.LBB161_367:
	v_add_f64 v[22:23], v[22:23], v[14:15]
	v_add_f64 v[24:25], v[24:25], v[16:17]
	;; [unrolled: 1-line block ×4, first 2 shown]
	v_add_co_u32 v0, vcc_lo, v74, v0
	v_add_co_ci_u32_e64 v1, null, v75, v1, vcc_lo
	v_cvt_f32_f64_e32 v22, v[22:23]
	v_cvt_f32_f64_e32 v23, v[24:25]
	;; [unrolled: 1-line block ×4, first 2 shown]
	v_min3_f32 v20, v22, v23, v150
	v_min_f32_e32 v18, v18, v19
	v_min3_f32 v18, v26, v18, v20
	v_cvt_f64_f32_e32 v[18:19], v18
	global_store_dwordx2 v[0:1], v[18:19], off
	s_or_b32 exec_lo, exec_lo, s0
	s_and_b32 s0, s7, s8
	s_and_saveexec_b32 s1, s0
	s_cbranch_execz .LBB161_339
.LBB161_368:
	v_cmp_ne_u32_e32 vcc_lo, 1, v144
	v_lshlrev_b64 v[0:1], 3, v[142:143]
	s_cbranch_vccnz .LBB161_370
; %bb.369:
	v_add_co_u32 v18, vcc_lo, v76, v0
	v_add_co_ci_u32_e64 v19, null, v77, v1, vcc_lo
	global_load_dwordx2 v[18:19], v[18:19], off
	s_waitcnt vmcnt(0)
	v_mul_f64 v[18:19], s[10:11], v[18:19]
	v_cvt_f32_f64_e32 v18, v[18:19]
	s_branch .LBB161_371
.LBB161_370:
	v_mov_b32_e32 v18, 0
.LBB161_371:
	v_add_f64 v[6:7], v[6:7], v[14:15]
	v_add_f64 v[8:9], v[8:9], v[16:17]
	;; [unrolled: 1-line block ×4, first 2 shown]
	v_add_co_u32 v0, vcc_lo, v74, v0
	v_add_co_ci_u32_e64 v1, null, v75, v1, vcc_lo
	v_cvt_f32_f64_e32 v6, v[6:7]
	v_cvt_f32_f64_e32 v7, v[8:9]
	;; [unrolled: 1-line block ×4, first 2 shown]
	v_min3_f32 v4, v6, v7, v149
	v_min_f32_e32 v2, v2, v3
	v_min3_f32 v2, v18, v2, v4
	v_cvt_f64_f32_e32 v[2:3], v2
	global_store_dwordx2 v[0:1], v[2:3], off
	s_endpgm
	.section	.rodata,"a",@progbits
	.p2align	6, 0x0
	.amdhsa_kernel _ZN12_GLOBAL__N_120geam_min_plus_kernelId15HIP_vector_typeIdLj2EEdLi32ELi8ELi256ELi64ELi4ELi64ELi4ELi4ELi64ELc78ELc78ELb0ELb1ELb1EdKddEEviiiT16_PT17_ilS6_ilS4_S6_ilPT18_ili26rocblas_geam_ex_operation_
		.amdhsa_group_segment_fixed_size 20480
		.amdhsa_private_segment_fixed_size 0
		.amdhsa_kernarg_size 136
		.amdhsa_user_sgpr_count 6
		.amdhsa_user_sgpr_private_segment_buffer 1
		.amdhsa_user_sgpr_dispatch_ptr 0
		.amdhsa_user_sgpr_queue_ptr 0
		.amdhsa_user_sgpr_kernarg_segment_ptr 1
		.amdhsa_user_sgpr_dispatch_id 0
		.amdhsa_user_sgpr_flat_scratch_init 0
		.amdhsa_user_sgpr_private_segment_size 0
		.amdhsa_wavefront_size32 1
		.amdhsa_uses_dynamic_stack 0
		.amdhsa_system_sgpr_private_segment_wavefront_offset 0
		.amdhsa_system_sgpr_workgroup_id_x 1
		.amdhsa_system_sgpr_workgroup_id_y 0
		.amdhsa_system_sgpr_workgroup_id_z 1
		.amdhsa_system_sgpr_workgroup_info 0
		.amdhsa_system_vgpr_workitem_id 1
		.amdhsa_next_free_vgpr 223
		.amdhsa_next_free_sgpr 32
		.amdhsa_reserve_vcc 1
		.amdhsa_reserve_flat_scratch 0
		.amdhsa_float_round_mode_32 0
		.amdhsa_float_round_mode_16_64 0
		.amdhsa_float_denorm_mode_32 3
		.amdhsa_float_denorm_mode_16_64 3
		.amdhsa_dx10_clamp 1
		.amdhsa_ieee_mode 1
		.amdhsa_fp16_overflow 0
		.amdhsa_workgroup_processor_mode 1
		.amdhsa_memory_ordered 1
		.amdhsa_forward_progress 1
		.amdhsa_shared_vgpr_count 0
		.amdhsa_exception_fp_ieee_invalid_op 0
		.amdhsa_exception_fp_denorm_src 0
		.amdhsa_exception_fp_ieee_div_zero 0
		.amdhsa_exception_fp_ieee_overflow 0
		.amdhsa_exception_fp_ieee_underflow 0
		.amdhsa_exception_fp_ieee_inexact 0
		.amdhsa_exception_int_div_zero 0
	.end_amdhsa_kernel
	.section	.text._ZN12_GLOBAL__N_120geam_min_plus_kernelId15HIP_vector_typeIdLj2EEdLi32ELi8ELi256ELi64ELi4ELi64ELi4ELi4ELi64ELc78ELc78ELb0ELb1ELb1EdKddEEviiiT16_PT17_ilS6_ilS4_S6_ilPT18_ili26rocblas_geam_ex_operation_,"axG",@progbits,_ZN12_GLOBAL__N_120geam_min_plus_kernelId15HIP_vector_typeIdLj2EEdLi32ELi8ELi256ELi64ELi4ELi64ELi4ELi4ELi64ELc78ELc78ELb0ELb1ELb1EdKddEEviiiT16_PT17_ilS6_ilS4_S6_ilPT18_ili26rocblas_geam_ex_operation_,comdat
.Lfunc_end161:
	.size	_ZN12_GLOBAL__N_120geam_min_plus_kernelId15HIP_vector_typeIdLj2EEdLi32ELi8ELi256ELi64ELi4ELi64ELi4ELi4ELi64ELc78ELc78ELb0ELb1ELb1EdKddEEviiiT16_PT17_ilS6_ilS4_S6_ilPT18_ili26rocblas_geam_ex_operation_, .Lfunc_end161-_ZN12_GLOBAL__N_120geam_min_plus_kernelId15HIP_vector_typeIdLj2EEdLi32ELi8ELi256ELi64ELi4ELi64ELi4ELi4ELi64ELc78ELc78ELb0ELb1ELb1EdKddEEviiiT16_PT17_ilS6_ilS4_S6_ilPT18_ili26rocblas_geam_ex_operation_
                                        ; -- End function
	.set _ZN12_GLOBAL__N_120geam_min_plus_kernelId15HIP_vector_typeIdLj2EEdLi32ELi8ELi256ELi64ELi4ELi64ELi4ELi4ELi64ELc78ELc78ELb0ELb1ELb1EdKddEEviiiT16_PT17_ilS6_ilS4_S6_ilPT18_ili26rocblas_geam_ex_operation_.num_vgpr, 223
	.set _ZN12_GLOBAL__N_120geam_min_plus_kernelId15HIP_vector_typeIdLj2EEdLi32ELi8ELi256ELi64ELi4ELi64ELi4ELi4ELi64ELc78ELc78ELb0ELb1ELb1EdKddEEviiiT16_PT17_ilS6_ilS4_S6_ilPT18_ili26rocblas_geam_ex_operation_.num_agpr, 0
	.set _ZN12_GLOBAL__N_120geam_min_plus_kernelId15HIP_vector_typeIdLj2EEdLi32ELi8ELi256ELi64ELi4ELi64ELi4ELi4ELi64ELc78ELc78ELb0ELb1ELb1EdKddEEviiiT16_PT17_ilS6_ilS4_S6_ilPT18_ili26rocblas_geam_ex_operation_.numbered_sgpr, 32
	.set _ZN12_GLOBAL__N_120geam_min_plus_kernelId15HIP_vector_typeIdLj2EEdLi32ELi8ELi256ELi64ELi4ELi64ELi4ELi4ELi64ELc78ELc78ELb0ELb1ELb1EdKddEEviiiT16_PT17_ilS6_ilS4_S6_ilPT18_ili26rocblas_geam_ex_operation_.num_named_barrier, 0
	.set _ZN12_GLOBAL__N_120geam_min_plus_kernelId15HIP_vector_typeIdLj2EEdLi32ELi8ELi256ELi64ELi4ELi64ELi4ELi4ELi64ELc78ELc78ELb0ELb1ELb1EdKddEEviiiT16_PT17_ilS6_ilS4_S6_ilPT18_ili26rocblas_geam_ex_operation_.private_seg_size, 0
	.set _ZN12_GLOBAL__N_120geam_min_plus_kernelId15HIP_vector_typeIdLj2EEdLi32ELi8ELi256ELi64ELi4ELi64ELi4ELi4ELi64ELc78ELc78ELb0ELb1ELb1EdKddEEviiiT16_PT17_ilS6_ilS4_S6_ilPT18_ili26rocblas_geam_ex_operation_.uses_vcc, 1
	.set _ZN12_GLOBAL__N_120geam_min_plus_kernelId15HIP_vector_typeIdLj2EEdLi32ELi8ELi256ELi64ELi4ELi64ELi4ELi4ELi64ELc78ELc78ELb0ELb1ELb1EdKddEEviiiT16_PT17_ilS6_ilS4_S6_ilPT18_ili26rocblas_geam_ex_operation_.uses_flat_scratch, 0
	.set _ZN12_GLOBAL__N_120geam_min_plus_kernelId15HIP_vector_typeIdLj2EEdLi32ELi8ELi256ELi64ELi4ELi64ELi4ELi4ELi64ELc78ELc78ELb0ELb1ELb1EdKddEEviiiT16_PT17_ilS6_ilS4_S6_ilPT18_ili26rocblas_geam_ex_operation_.has_dyn_sized_stack, 0
	.set _ZN12_GLOBAL__N_120geam_min_plus_kernelId15HIP_vector_typeIdLj2EEdLi32ELi8ELi256ELi64ELi4ELi64ELi4ELi4ELi64ELc78ELc78ELb0ELb1ELb1EdKddEEviiiT16_PT17_ilS6_ilS4_S6_ilPT18_ili26rocblas_geam_ex_operation_.has_recursion, 0
	.set _ZN12_GLOBAL__N_120geam_min_plus_kernelId15HIP_vector_typeIdLj2EEdLi32ELi8ELi256ELi64ELi4ELi64ELi4ELi4ELi64ELc78ELc78ELb0ELb1ELb1EdKddEEviiiT16_PT17_ilS6_ilS4_S6_ilPT18_ili26rocblas_geam_ex_operation_.has_indirect_call, 0
	.section	.AMDGPU.csdata,"",@progbits
; Kernel info:
; codeLenInByte = 29668
; TotalNumSgprs: 34
; NumVgprs: 223
; ScratchSize: 0
; MemoryBound: 1
; FloatMode: 240
; IeeeMode: 1
; LDSByteSize: 20480 bytes/workgroup (compile time only)
; SGPRBlocks: 0
; VGPRBlocks: 27
; NumSGPRsForWavesPerEU: 34
; NumVGPRsForWavesPerEU: 223
; Occupancy: 4
; WaveLimiterHint : 0
; COMPUTE_PGM_RSRC2:SCRATCH_EN: 0
; COMPUTE_PGM_RSRC2:USER_SGPR: 6
; COMPUTE_PGM_RSRC2:TRAP_HANDLER: 0
; COMPUTE_PGM_RSRC2:TGID_X_EN: 1
; COMPUTE_PGM_RSRC2:TGID_Y_EN: 0
; COMPUTE_PGM_RSRC2:TGID_Z_EN: 1
; COMPUTE_PGM_RSRC2:TIDIG_COMP_CNT: 1
	.section	.text._ZN12_GLOBAL__N_120geam_min_plus_kernelId15HIP_vector_typeIdLj2EEdLi32ELi8ELi128ELi128ELi4ELi4ELi64ELi4ELi64ELc84ELc78ELb0ELb0ELb1EPKdS3_dEEviiiT16_PT17_ilS7_ilS5_S7_ilPT18_ili26rocblas_geam_ex_operation_,"axG",@progbits,_ZN12_GLOBAL__N_120geam_min_plus_kernelId15HIP_vector_typeIdLj2EEdLi32ELi8ELi128ELi128ELi4ELi4ELi64ELi4ELi64ELc84ELc78ELb0ELb0ELb1EPKdS3_dEEviiiT16_PT17_ilS7_ilS5_S7_ilPT18_ili26rocblas_geam_ex_operation_,comdat
	.globl	_ZN12_GLOBAL__N_120geam_min_plus_kernelId15HIP_vector_typeIdLj2EEdLi32ELi8ELi128ELi128ELi4ELi4ELi64ELi4ELi64ELc84ELc78ELb0ELb0ELb1EPKdS3_dEEviiiT16_PT17_ilS7_ilS5_S7_ilPT18_ili26rocblas_geam_ex_operation_ ; -- Begin function _ZN12_GLOBAL__N_120geam_min_plus_kernelId15HIP_vector_typeIdLj2EEdLi32ELi8ELi128ELi128ELi4ELi4ELi64ELi4ELi64ELc84ELc78ELb0ELb0ELb1EPKdS3_dEEviiiT16_PT17_ilS7_ilS5_S7_ilPT18_ili26rocblas_geam_ex_operation_
	.p2align	8
	.type	_ZN12_GLOBAL__N_120geam_min_plus_kernelId15HIP_vector_typeIdLj2EEdLi32ELi8ELi128ELi128ELi4ELi4ELi64ELi4ELi64ELc84ELc78ELb0ELb0ELb1EPKdS3_dEEviiiT16_PT17_ilS7_ilS5_S7_ilPT18_ili26rocblas_geam_ex_operation_,@function
_ZN12_GLOBAL__N_120geam_min_plus_kernelId15HIP_vector_typeIdLj2EEdLi32ELi8ELi128ELi128ELi4ELi4ELi64ELi4ELi64ELc84ELc78ELb0ELb0ELb1EPKdS3_dEEviiiT16_PT17_ilS7_ilS5_S7_ilPT18_ili26rocblas_geam_ex_operation_: ; @_ZN12_GLOBAL__N_120geam_min_plus_kernelId15HIP_vector_typeIdLj2EEdLi32ELi8ELi128ELi128ELi4ELi4ELi64ELi4ELi64ELc84ELc78ELb0ELb0ELb1EPKdS3_dEEviiiT16_PT17_ilS7_ilS5_S7_ilPT18_ili26rocblas_geam_ex_operation_
; %bb.0:
	s_load_dwordx4 s[12:15], s[4:5], 0x10
	s_mov_b64 s[30:31], s[2:3]
	s_mov_b64 s[28:29], s[0:1]
	s_mov_b32 s16, s7
	s_mov_b32 s17, 0
	s_add_u32 s28, s28, s8
	s_addc_u32 s29, s29, 0
	s_lshl_b64 s[20:21], s[16:17], 3
	s_clause 0x1
	s_load_dwordx4 s[0:3], s[4:5], 0x28
	s_load_dwordx2 s[24:25], s[4:5], 0x50
	v_mov_b32_e32 v162, v1
	v_mov_b32_e32 v163, v0
	s_mov_b64 s[22:23], 0
	s_waitcnt lgkmcnt(0)
	s_add_u32 s8, s12, s20
	s_addc_u32 s9, s13, s21
	s_load_dwordx2 s[18:19], s[8:9], 0x0
	s_load_dwordx4 s[8:11], s[4:5], 0x40
	s_waitcnt lgkmcnt(0)
	v_cmp_eq_f64_e64 s12, s[18:19], 0
	v_cmp_neq_f64_e64 s7, s[18:19], 0
	s_add_u32 s10, s10, s20
	s_addc_u32 s11, s11, s21
	s_mov_b64 s[20:21], 0
	s_and_b32 vcc_lo, exec_lo, s12
	s_cbranch_vccnz .LBB162_2
; %bb.1:
	s_mul_i32 s1, s1, s16
	s_mul_hi_u32 s12, s0, s16
	s_mul_i32 s0, s0, s16
	s_add_i32 s1, s12, s1
	s_lshl_b64 s[0:1], s[0:1], 3
	s_add_u32 s20, s14, s0
	s_addc_u32 s21, s15, s1
.LBB162_2:
	s_load_dwordx2 s[12:13], s[10:11], 0x0
	v_cndmask_b32_e64 v0, 0, 1, s7
	s_andn2_b32 vcc_lo, exec_lo, s7
	v_cmp_ne_u32_e64 s1, 1, v0
	s_cbranch_vccnz .LBB162_4
; %bb.3:
	s_mul_i32 s0, s9, s16
	s_mul_hi_u32 s7, s8, s16
	s_mul_i32 s8, s8, s16
	s_add_i32 s9, s7, s0
	s_lshl_b64 s[8:9], s[8:9], 3
	s_add_u32 s22, s2, s8
	s_addc_u32 s23, s3, s9
.LBB162_4:
	s_waitcnt lgkmcnt(0)
	v_cmp_eq_f64_e64 s0, s[12:13], 0
	s_load_dwordx4 s[8:11], s[4:5], 0x60
	s_mov_b64 s[2:3], 0
	s_and_b32 s0, exec_lo, s0
	s_mov_b32 vcc_lo, s0
	s_cbranch_vccnz .LBB162_6
; %bb.5:
	s_waitcnt lgkmcnt(0)
	s_mul_i32 s2, s9, s16
	s_mul_hi_u32 s3, s8, s16
	s_add_i32 s3, s3, s2
	s_mul_i32 s2, s8, s16
	s_lshl_b64 s[2:3], s[2:3], 3
	s_add_u32 s2, s24, s2
	s_addc_u32 s3, s25, s3
.LBB162_6:
	s_load_dword s7, s[4:5], 0x0
	s_waitcnt lgkmcnt(0)
	s_load_dword s8, s[4:5], 0x20
	v_and_b32_e32 v10, 3, v163
	v_mov_b32_e32 v4, 0
	v_mov_b32_e32 v2, 0
	;; [unrolled: 1-line block ×4, first 2 shown]
	v_lshlrev_b32_e32 v179, 3, v10
	s_add_i32 s7, s7, -1
	s_ashr_i32 s9, s7, 31
	s_lshr_b32 s9, s9, 25
	s_add_i32 s7, s7, s9
	s_ashr_i32 s7, s7, 7
	s_add_i32 s9, s7, 1
	s_not_b32 s7, s7
	v_cvt_f32_u32_e32 v0, s9
	v_rcp_iflag_f32_e32 v0, v0
	v_mul_f32_e32 v0, 0x4f7ffffe, v0
	v_cvt_u32_f32_e32 v0, v0
	v_readfirstlane_b32 s14, v0
	v_lshl_add_u32 v0, v162, 5, v163
	s_mul_i32 s7, s7, s14
	v_lshrrev_b32_e32 v11, 2, v0
	s_mul_hi_u32 s7, s14, s7
	s_add_i32 s14, s14, s7
	s_mul_hi_u32 s7, s6, s14
	s_mul_i32 s14, s7, s9
	s_add_i32 s15, s7, 1
	s_sub_i32 s14, s6, s14
	s_sub_i32 s17, s14, s9
	s_cmp_ge_u32 s14, s9
	s_cselect_b32 s7, s15, s7
	s_cselect_b32 s14, s17, s14
	s_add_i32 s15, s7, 1
	s_cmp_ge_u32 s14, s9
	s_cselect_b32 s7, s15, s7
	s_and_b32 vcc_lo, exec_lo, s1
	s_mul_i32 s9, s7, s9
	s_sub_i32 s6, s6, s9
	v_add_co_u32 v12, s9, s20, v179
	s_lshl_b32 s6, s6, 7
	v_add_co_ci_u32_e64 v13, null, s21, 0, s9
	v_add_nc_u32_e32 v90, s6, v11
	s_cbranch_vccnz .LBB162_8
; %bb.7:
	s_waitcnt lgkmcnt(0)
	v_mad_i64_i32 v[2:3], null, v90, s8, 0
	v_lshlrev_b64 v[2:3], 3, v[2:3]
	v_add_co_u32 v2, vcc_lo, v12, v2
	v_add_co_ci_u32_e64 v3, null, v13, v3, vcc_lo
	global_load_dwordx2 v[2:3], v[2:3], off
	s_waitcnt vmcnt(0)
	v_mul_f64 v[2:3], s[18:19], v[2:3]
.LBB162_8:
	s_load_dword s9, s[4:5], 0x38
	s_lshl_b32 s7, s7, 7
	v_mov_b32_e32 v6, 0
	v_add_nc_u32_e32 v92, s7, v11
	v_mov_b32_e32 v8, 0
	v_add_nc_u32_e32 v91, 64, v90
	v_mov_b32_e32 v7, 0
	v_mov_b32_e32 v9, 0
	v_add_nc_u32_e32 v93, 64, v92
	s_and_b32 vcc_lo, exec_lo, s1
	s_cbranch_vccnz .LBB162_10
; %bb.9:
	s_waitcnt lgkmcnt(0)
	v_mad_i64_i32 v[4:5], null, v91, s8, 0
	v_mad_i64_i32 v[6:7], null, v92, s9, 0
	;; [unrolled: 1-line block ×3, first 2 shown]
	v_add_co_u32 v0, s14, s22, v179
	v_lshlrev_b64 v[4:5], 3, v[4:5]
	v_add_co_ci_u32_e64 v1, null, s23, 0, s14
	v_lshlrev_b64 v[6:7], 3, v[6:7]
	v_lshlrev_b64 v[8:9], 3, v[8:9]
	v_add_co_u32 v4, vcc_lo, v12, v4
	v_add_co_ci_u32_e64 v5, null, v13, v5, vcc_lo
	v_add_co_u32 v6, vcc_lo, v0, v6
	v_add_co_ci_u32_e64 v7, null, v1, v7, vcc_lo
	;; [unrolled: 2-line block ×3, first 2 shown]
	global_load_dwordx2 v[4:5], v[4:5], off
	s_clause 0x1
	global_load_dwordx2 v[6:7], v[6:7], off
	global_load_dwordx2 v[8:9], v[8:9], off
	s_waitcnt vmcnt(2)
	v_mul_f64 v[4:5], s[18:19], v[4:5]
	s_waitcnt vmcnt(1)
	v_mul_f64 v[6:7], s[18:19], v[6:7]
	;; [unrolled: 2-line block ×3, first 2 shown]
.LBB162_10:
	v_mov_b32_e32 v88, 0
	v_mov_b32_e32 v86, 0
	;; [unrolled: 1-line block ×4, first 2 shown]
	s_and_b32 vcc_lo, exec_lo, s1
	s_cbranch_vccnz .LBB162_12
; %bb.11:
	s_waitcnt lgkmcnt(0)
	v_mad_i64_i32 v[14:15], null, v90, s8, 0
	v_lshlrev_b64 v[14:15], 3, v[14:15]
	v_add_co_u32 v14, vcc_lo, v12, v14
	v_add_co_ci_u32_e64 v15, null, v13, v15, vcc_lo
	global_load_dwordx2 v[14:15], v[14:15], off offset:32
	s_waitcnt vmcnt(0)
	v_mul_f64 v[86:87], s[18:19], v[14:15]
.LBB162_12:
	v_mov_b32_e32 v82, 0
	v_mov_b32_e32 v84, 0
	v_mov_b32_e32 v83, 0
	v_mov_b32_e32 v85, 0
	s_and_b32 vcc_lo, exec_lo, s1
	s_cbranch_vccnz .LBB162_14
; %bb.13:
	s_waitcnt lgkmcnt(0)
	v_mad_i64_i32 v[14:15], null, v91, s8, 0
	v_mad_i64_i32 v[16:17], null, v92, s9, 0
	;; [unrolled: 1-line block ×3, first 2 shown]
	v_add_co_u32 v0, s14, s22, v179
	v_lshlrev_b64 v[14:15], 3, v[14:15]
	v_add_co_ci_u32_e64 v1, null, s23, 0, s14
	v_lshlrev_b64 v[16:17], 3, v[16:17]
	v_add_co_u32 v12, vcc_lo, v12, v14
	v_add_co_ci_u32_e64 v13, null, v13, v15, vcc_lo
	v_lshlrev_b64 v[14:15], 3, v[18:19]
	v_add_co_u32 v16, vcc_lo, v0, v16
	v_add_co_ci_u32_e64 v17, null, v1, v17, vcc_lo
	v_add_co_u32 v14, vcc_lo, v0, v14
	v_add_co_ci_u32_e64 v15, null, v1, v15, vcc_lo
	global_load_dwordx2 v[12:13], v[12:13], off offset:32
	s_clause 0x1
	global_load_dwordx2 v[16:17], v[16:17], off offset:32
	global_load_dwordx2 v[14:15], v[14:15], off offset:32
	s_waitcnt vmcnt(2)
	v_mul_f64 v[88:89], s[18:19], v[12:13]
	s_waitcnt vmcnt(1)
	v_mul_f64 v[82:83], s[18:19], v[16:17]
	;; [unrolled: 2-line block ×3, first 2 shown]
.LBB162_14:
	v_lshlrev_b32_e32 v0, 5, v11
	v_lshlrev_b32_e32 v158, 5, v163
	;; [unrolled: 1-line block ×3, first 2 shown]
	s_load_dword s14, s[4:5], 0x8
	v_lshl_or_b32 v172, v10, 3, v0
	ds_write2st64_b64 v172, v[2:3], v[4:5] offset1:4
	ds_write2st64_b64 v172, v[6:7], v[8:9] offset0:16 offset1:20
	s_waitcnt lgkmcnt(0)
	s_barrier
	buffer_gl0_inv
	ds_read_b128 v[6:9], v158 offset:1024
	ds_read_b128 v[10:13], v158 offset:2048
	;; [unrolled: 1-line block ×18, first 2 shown]
	ds_read_b128 v[94:97], v158
	ds_read_b128 v[2:5], v158 offset:16
	ds_read_b128 v[98:101], v166 offset:8192
	;; [unrolled: 1-line block ×3, first 2 shown]
	s_cmp_lt_i32 s14, 9
	s_waitcnt lgkmcnt(1)
	v_add_f64 v[102:103], v[96:97], v[100:101]
	v_add_f64 v[104:105], v[94:95], v[98:99]
	s_waitcnt lgkmcnt(0)
	v_add_f64 v[160:161], v[2:3], v[18:19]
	v_cvt_f32_f64_e32 v1, v[102:103]
	v_cvt_f32_f64_e32 v0, v[104:105]
	v_add_f64 v[102:103], v[8:9], v[100:101]
	v_add_f64 v[104:105], v[6:7], v[98:99]
	v_min3_f32 v157, v0, v1, 0x7f800000
	v_cvt_f32_f64_e32 v1, v[102:103]
	v_cvt_f32_f64_e32 v0, v[104:105]
	v_add_f64 v[102:103], v[12:13], v[100:101]
	v_add_f64 v[104:105], v[10:11], v[98:99]
	;; [unrolled: 1-line block ×4, first 2 shown]
	v_min3_f32 v156, v0, v1, 0x7f800000
	v_cvt_f32_f64_e32 v1, v[102:103]
	v_cvt_f32_f64_e32 v0, v[104:105]
	v_min3_f32 v155, v0, v1, 0x7f800000
	v_cvt_f32_f64_e32 v0, v[98:99]
	v_cvt_f32_f64_e32 v1, v[100:101]
	v_add_f64 v[98:99], v[96:97], v[24:25]
	v_add_f64 v[100:101], v[94:95], v[22:23]
	v_min3_f32 v154, v0, v1, 0x7f800000
	v_cvt_f32_f64_e32 v1, v[98:99]
	v_cvt_f32_f64_e32 v0, v[100:101]
	v_add_f64 v[98:99], v[8:9], v[24:25]
	v_add_f64 v[100:101], v[6:7], v[22:23]
	;; [unrolled: 5-line block ×3, first 2 shown]
	v_add_f64 v[24:25], v[16:17], v[24:25]
	v_add_f64 v[22:23], v[14:15], v[22:23]
	v_min3_f32 v152, v0, v1, 0x7f800000
	v_cvt_f32_f64_e32 v1, v[98:99]
	v_cvt_f32_f64_e32 v0, v[100:101]
	v_min3_f32 v151, v0, v1, 0x7f800000
	v_cvt_f32_f64_e32 v0, v[22:23]
	v_cvt_f32_f64_e32 v1, v[24:25]
	v_add_f64 v[22:23], v[96:97], v[28:29]
	v_add_f64 v[24:25], v[94:95], v[26:27]
	v_min3_f32 v150, v0, v1, 0x7f800000
	v_cvt_f32_f64_e32 v1, v[22:23]
	v_cvt_f32_f64_e32 v0, v[24:25]
	v_add_f64 v[22:23], v[8:9], v[28:29]
	v_add_f64 v[24:25], v[6:7], v[26:27]
	;; [unrolled: 5-line block ×50, first 2 shown]
	v_add_f64 v[8:9], v[8:9], v[80:81]
	v_add_f64 v[6:7], v[6:7], v[78:79]
	v_min3_f32 v101, v0, v1, 0x7f800000
	v_cvt_f32_f64_e32 v1, v[22:23]
	v_cvt_f32_f64_e32 v0, v[24:25]
	v_add_f64 v[22:23], v[12:13], v[76:77]
	v_add_f64 v[24:25], v[10:11], v[74:75]
	v_min3_f32 v100, v0, v1, 0x7f800000
	v_cvt_f32_f64_e32 v1, v[22:23]
	v_cvt_f32_f64_e32 v0, v[24:25]
	;; [unrolled: 5-line block ×4, first 2 shown]
	v_min3_f32 v97, v0, v1, 0x7f800000
	v_cvt_f32_f64_e32 v0, v[6:7]
	v_cvt_f32_f64_e32 v1, v[8:9]
	v_add_f64 v[6:7], v[12:13], v[80:81]
	v_add_f64 v[8:9], v[10:11], v[78:79]
	v_min3_f32 v96, v0, v1, 0x7f800000
	v_cvt_f32_f64_e32 v1, v[6:7]
	v_cvt_f32_f64_e32 v0, v[8:9]
	v_add_f64 v[6:7], v[16:17], v[80:81]
	v_add_f64 v[8:9], v[14:15], v[78:79]
	ds_read_b128 v[14:17], v158 offset:1040
	ds_read_b128 v[10:13], v158 offset:2064
	buffer_store_dword v158, off, s[28:31], 0 offset:148 ; 4-byte Folded Spill
	v_min3_f32 v95, v0, v1, 0x7f800000
	v_cvt_f32_f64_e32 v1, v[6:7]
	v_cvt_f32_f64_e32 v0, v[8:9]
	ds_read_b128 v[6:9], v158 offset:3088
	ds_read_b128 v[78:81], v166 offset:8464
	;; [unrolled: 1-line block ×16, first 2 shown]
	v_add_f64 v[158:159], v[4:5], v[20:21]
	ds_write2st64_b64 v172, v[86:87], v[88:89] offset0:8 offset1:12
	ds_write2st64_b64 v172, v[82:83], v[84:85] offset0:24 offset1:28
	s_waitcnt lgkmcnt(0)
	s_waitcnt_vscnt null, 0x0
	s_barrier
	buffer_gl0_inv
	v_min3_f32 v94, v0, v1, 0x7f800000
	v_cvt_f32_f64_e32 v0, v[160:161]
	v_cvt_f32_f64_e32 v1, v[158:159]
	v_add_f64 v[159:160], v[14:15], v[18:19]
	v_min3_f32 v170, v0, v1, v157
	v_add_f64 v[157:158], v[16:17], v[20:21]
	v_cvt_f32_f64_e32 v0, v[159:160]
	v_cvt_f32_f64_e32 v1, v[157:158]
	v_add_f64 v[158:159], v[10:11], v[18:19]
	v_add_f64 v[18:19], v[6:7], v[18:19]
	v_min3_f32 v244, v0, v1, v156
	v_add_f64 v[156:157], v[12:13], v[20:21]
	v_cvt_f32_f64_e32 v0, v[158:159]
	v_add_f64 v[20:21], v[8:9], v[20:21]
	v_cvt_f32_f64_e32 v1, v[156:157]
	v_min3_f32 v233, v0, v1, v155
	v_cvt_f32_f64_e32 v0, v[18:19]
	v_cvt_f32_f64_e32 v1, v[20:21]
	v_add_f64 v[18:19], v[4:5], v[80:81]
	v_add_f64 v[20:21], v[2:3], v[78:79]
	v_min3_f32 v234, v0, v1, v154
	v_cvt_f32_f64_e32 v1, v[18:19]
	v_cvt_f32_f64_e32 v0, v[20:21]
	v_add_f64 v[18:19], v[16:17], v[80:81]
	v_add_f64 v[20:21], v[14:15], v[78:79]
	;; [unrolled: 5-line block ×53, first 2 shown]
	v_add_f64 v[4:5], v[4:5], v[24:25]
	v_add_f64 v[2:3], v[2:3], v[22:23]
	v_min3_f32 v190, v0, v1, v102
	v_cvt_f32_f64_e32 v1, v[18:19]
	v_cvt_f32_f64_e32 v0, v[20:21]
	v_add_f64 v[18:19], v[16:17], v[28:29]
	v_add_f64 v[20:21], v[14:15], v[26:27]
	v_min3_f32 v189, v0, v1, v101
	v_cvt_f32_f64_e32 v1, v[18:19]
	v_cvt_f32_f64_e32 v0, v[20:21]
	;; [unrolled: 5-line block ×4, first 2 shown]
	v_min3_f32 v185, v0, v1, v98
	v_cvt_f32_f64_e32 v0, v[2:3]
	v_cvt_f32_f64_e32 v1, v[4:5]
	v_add_f64 v[2:3], v[16:17], v[24:25]
	v_add_f64 v[4:5], v[14:15], v[22:23]
	v_min3_f32 v184, v0, v1, v97
	v_cvt_f32_f64_e32 v1, v[2:3]
	v_cvt_f32_f64_e32 v0, v[4:5]
	v_add_f64 v[2:3], v[12:13], v[24:25]
	v_add_f64 v[4:5], v[10:11], v[22:23]
	;; [unrolled: 5-line block ×3, first 2 shown]
	v_min3_f32 v182, v0, v1, v95
	v_cvt_f32_f64_e32 v1, v[2:3]
	v_cvt_f32_f64_e32 v0, v[4:5]
	v_min3_f32 v181, v0, v1, v94
	s_cbranch_scc1 .LBB162_27
; %bb.15:
	v_mad_i64_i32 v[2:3], null, s9, v93, 0
	v_mad_i64_i32 v[4:5], null, s9, v92, 0
	;; [unrolled: 1-line block ×4, first 2 shown]
	v_lshlrev_b64 v[2:3], 3, v[2:3]
	v_or_b32_e32 v0, 0x2000, v166
	v_lshlrev_b64 v[4:5], 3, v[4:5]
	v_mov_b32_e32 v188, v222
	v_mov_b32_e32 v222, v219
	buffer_store_dword v227, off, s[28:31], 0 offset:40 ; 4-byte Folded Spill
	buffer_store_dword v195, off, s[28:31], 0 offset:44 ; 4-byte Folded Spill
	v_add_co_u32 v1, vcc_lo, s22, v2
	v_add_co_ci_u32_e64 v173, null, s23, v3, vcc_lo
	v_lshlrev_b64 v[2:3], 3, v[6:7]
	v_add_co_u32 v174, vcc_lo, s22, v4
	v_add_co_ci_u32_e64 v175, null, s23, v5, vcc_lo
	v_lshlrev_b64 v[4:5], 3, v[8:9]
	v_add_co_u32 v176, vcc_lo, s20, v2
	v_add_co_ci_u32_e64 v177, null, s21, v3, vcc_lo
	buffer_store_dword v0, off, s[28:31], 0 offset:160 ; 4-byte Folded Spill
	v_add_co_u32 v171, vcc_lo, s20, v4
	v_lshl_add_u32 v0, v163, 5, 0x1000
	v_lshl_add_u32 v191, v162, 5, 0x3000
	v_add_co_ci_u32_e64 v178, null, s21, v5, vcc_lo
	s_add_i32 s8, s14, -8
	s_mov_b32 s9, 0
	buffer_store_dword v166, off, s[28:31], 0 offset:176 ; 4-byte Folded Spill
	buffer_store_dword v163, off, s[28:31], 0 offset:172 ; 4-byte Folded Spill
	;; [unrolled: 1-line block ×6, first 2 shown]
.LBB162_16:                             ; =>This Inner Loop Header: Depth=1
	v_mov_b32_e32 v164, 0
	v_mov_b32_e32 v162, 0
	;; [unrolled: 1-line block ×6, first 2 shown]
	s_and_b32 vcc_lo, exec_lo, s1
	buffer_store_dword v194, off, s[28:31], 0 offset:144 ; 4-byte Folded Spill
	s_cbranch_vccnz .LBB162_18
; %bb.17:                               ;   in Loop: Header=BB162_16 Depth=1
	s_waitcnt vmcnt(0)
	v_add_co_u32 v2, vcc_lo, v171, v179
	v_add_co_ci_u32_e64 v3, null, 0, v178, vcc_lo
	global_load_dwordx2 v[2:3], v[2:3], off offset:64
	s_waitcnt vmcnt(0)
	v_mul_f64 v[162:163], s[18:19], v[2:3]
.LBB162_18:                             ;   in Loop: Header=BB162_16 Depth=1
	v_mov_b32_e32 v166, 0
	v_mov_b32_e32 v168, 0
	;; [unrolled: 1-line block ×7, first 2 shown]
	s_and_b32 vcc_lo, exec_lo, s1
	s_cbranch_vccnz .LBB162_20
; %bb.19:                               ;   in Loop: Header=BB162_16 Depth=1
	s_waitcnt vmcnt(0)
	v_add_co_u32 v2, vcc_lo, v176, v179
	v_add_co_ci_u32_e64 v3, null, 0, v177, vcc_lo
	v_add_co_u32 v4, vcc_lo, v174, v179
	v_add_co_ci_u32_e64 v5, null, 0, v175, vcc_lo
	;; [unrolled: 2-line block ×3, first 2 shown]
	global_load_dwordx2 v[2:3], v[2:3], off offset:64
	global_load_dwordx2 v[4:5], v[4:5], off offset:64
	;; [unrolled: 1-line block ×3, first 2 shown]
	s_waitcnt vmcnt(2)
	v_mul_f64 v[164:165], s[18:19], v[2:3]
	s_waitcnt vmcnt(1)
	v_mul_f64 v[166:167], s[18:19], v[4:5]
	;; [unrolled: 2-line block ×3, first 2 shown]
.LBB162_20:                             ;   in Loop: Header=BB162_16 Depth=1
	ds_read_b128 v[158:161], v191
	ds_read_b128 v[78:81], v191 offset:16
	buffer_load_dword v0, off, s[28:31], 0 offset:156 ; 4-byte Folded Reload
	v_mov_b32_e32 v233, v234
	v_mov_b32_e32 v223, v224
	;; [unrolled: 1-line block ×4, first 2 shown]
	s_and_b32 vcc_lo, exec_lo, s1
	s_waitcnt vmcnt(0)
	ds_read_b128 v[98:101], v0
	ds_read_b128 v[2:5], v0 offset:16
	ds_read_b128 v[94:97], v0 offset:1024
	;; [unrolled: 1-line block ×37, first 2 shown]
	ds_write2st64_b64 v172, v[162:163], v[164:165] offset1:4
	v_mov_b32_e32 v164, 0
	v_mov_b32_e32 v162, 0
	v_add_nc_u32_e32 v0, 0x2000, v172
	v_mov_b32_e32 v165, 0
	v_mov_b32_e32 v163, 0
	ds_write2st64_b64 v0, v[166:167], v[168:169] offset1:4
	s_waitcnt lgkmcnt(0)
	s_waitcnt_vscnt null, 0x0
	s_barrier
	buffer_gl0_inv
	s_cbranch_vccnz .LBB162_22
; %bb.21:                               ;   in Loop: Header=BB162_16 Depth=1
	v_add_co_u32 v162, vcc_lo, v171, v179
	v_add_co_ci_u32_e64 v163, null, 0, v178, vcc_lo
	global_load_dwordx2 v[162:163], v[162:163], off offset:96
	s_waitcnt vmcnt(0)
	v_mul_f64 v[162:163], s[18:19], v[162:163]
.LBB162_22:                             ;   in Loop: Header=BB162_16 Depth=1
	buffer_store_dword v162, off, s[28:31], 0 offset:84 ; 4-byte Folded Spill
	buffer_store_dword v163, off, s[28:31], 0 offset:88 ; 4-byte Folded Spill
	v_mov_b32_e32 v162, 0
	v_mov_b32_e32 v166, 0
	;; [unrolled: 1-line block ×5, first 2 shown]
	buffer_store_dword v178, off, s[28:31], 0 offset:28 ; 4-byte Folded Spill
	buffer_store_dword v171, off, s[28:31], 0 offset:24 ; 4-byte Folded Spill
	v_mov_b32_e32 v192, v215
	v_mov_b32_e32 v171, v214
	;; [unrolled: 1-line block ×5, first 2 shown]
	s_and_b32 vcc_lo, exec_lo, s1
	buffer_store_dword v209, off, s[28:31], 0 offset:140 ; 4-byte Folded Spill
	buffer_store_dword v207, off, s[28:31], 0 offset:136 ; 4-byte Folded Spill
	;; [unrolled: 1-line block ×18, first 2 shown]
	s_cbranch_vccnz .LBB162_24
; %bb.23:                               ;   in Loop: Header=BB162_16 Depth=1
	v_add_co_u32 v164, vcc_lo, v176, v179
	v_add_co_ci_u32_e64 v165, null, 0, v177, vcc_lo
	v_add_co_u32 v166, vcc_lo, v174, v179
	v_add_co_ci_u32_e64 v167, null, 0, v175, vcc_lo
	;; [unrolled: 2-line block ×3, first 2 shown]
	global_load_dwordx2 v[164:165], v[164:165], off offset:96
	global_load_dwordx2 v[166:167], v[166:167], off offset:96
	;; [unrolled: 1-line block ×3, first 2 shown]
	s_waitcnt vmcnt(2)
	v_mul_f64 v[164:165], s[18:19], v[164:165]
	s_waitcnt vmcnt(1)
	v_mul_f64 v[162:163], s[18:19], v[166:167]
	;; [unrolled: 2-line block ×3, first 2 shown]
.LBB162_24:                             ;   in Loop: Header=BB162_16 Depth=1
	v_add_f64 v[249:250], v[100:101], v[160:161]
	v_add_f64 v[251:252], v[98:99], v[158:159]
	buffer_store_dword v166, off, s[28:31], 0 offset:116 ; 4-byte Folded Spill
	buffer_store_dword v167, off, s[28:31], 0 offset:120 ; 4-byte Folded Spill
	;; [unrolled: 1-line block ×6, first 2 shown]
	v_add_f64 v[253:254], v[96:97], v[160:161]
	v_add_f64 v[162:163], v[94:95], v[158:159]
	;; [unrolled: 1-line block ×6, first 2 shown]
	buffer_store_dword v1, off, s[28:31], 0 ; 4-byte Folded Spill
	v_add_f64 v[0:1], v[88:89], v[160:161]
	v_add_f64 v[164:165], v[86:87], v[158:159]
	;; [unrolled: 1-line block ×10, first 2 shown]
	buffer_store_dword v173, off, s[28:31], 0 offset:4 ; 4-byte Folded Spill
	v_add_f64 v[172:173], v[96:97], v[156:157]
	v_cvt_f32_f64_e32 v147, v[249:250]
	v_cvt_f32_f64_e32 v146, v[251:252]
	buffer_store_dword v174, off, s[28:31], 0 offset:8 ; 4-byte Folded Spill
	buffer_store_dword v175, off, s[28:31], 0 offset:12 ; 4-byte Folded Spill
	v_cvt_f32_f64_e32 v152, v[253:254]
	v_add_f64 v[174:175], v[94:95], v[154:155]
	buffer_store_dword v176, off, s[28:31], 0 offset:16 ; 4-byte Folded Spill
	buffer_store_dword v177, off, s[28:31], 0 offset:20 ; 4-byte Folded Spill
	v_add_f64 v[176:177], v[88:89], v[156:157]
	v_add_f64 v[178:179], v[86:87], v[154:155]
	v_add_f64 v[156:157], v[84:85], v[156:157]
	v_add_f64 v[154:155], v[82:83], v[154:155]
	v_cvt_f32_f64_e32 v0, v[0:1]
	v_add_f64 v[182:183], v[98:99], v[150:151]
	v_add_f64 v[186:187], v[94:95], v[150:151]
	;; [unrolled: 1-line block ×5, first 2 shown]
	v_cvt_f32_f64_e32 v1, v[160:161]
	v_add_f64 v[208:209], v[96:97], v[148:149]
	v_add_f64 v[212:213], v[88:89], v[148:149]
	;; [unrolled: 1-line block ×3, first 2 shown]
	s_add_i32 s9, s9, 8
	s_cmp_ge_i32 s9, s8
	v_min3_f32 v146, v146, v147, v170
	v_cvt_f32_f64_e32 v147, v[162:163]
	buffer_load_dword v170, off, s[28:31], 0 offset:160 ; 4-byte Folded Reload
	v_cvt_f32_f64_e32 v161, v[176:177]
	v_cvt_f32_f64_e32 v160, v[178:179]
	;; [unrolled: 1-line block ×6, first 2 shown]
	v_add_f64 v[182:183], v[88:89], v[140:141]
	v_add_f64 v[216:217], v[88:89], v[132:133]
	v_cvt_f32_f64_e32 v150, v[150:151]
	v_cvt_f32_f64_e32 v151, v[202:203]
	v_add_f64 v[202:203], v[94:95], v[134:135]
	v_cvt_f32_f64_e32 v176, v[212:213]
	v_cvt_f32_f64_e32 v178, v[148:149]
	v_add_f64 v[212:213], v[96:97], v[132:133]
	v_min3_f32 v147, v147, v152, v195
	v_cvt_f32_f64_e32 v152, v[164:165]
	v_cvt_f32_f64_e32 v164, v[180:181]
	v_cvt_f32_f64_e32 v165, v[186:187]
	v_add_f64 v[180:181], v[94:95], v[138:139]
	v_min3_f32 v156, v160, v161, v243
	v_add_f64 v[186:187], v[100:101], v[136:137]
	v_min3_f32 v157, v162, v157, v241
	v_min3_f32 v161, v150, v151, v237
	;; [unrolled: 1-line block ×3, first 2 shown]
	v_add_f64 v[178:179], v[96:97], v[140:141]
	v_min3_f32 v152, v152, v0, v244
	v_cvt_f32_f64_e32 v0, v[158:159]
	v_cvt_f32_f64_e32 v158, v[174:175]
	;; [unrolled: 1-line block ×7, first 2 shown]
	v_add_f64 v[208:209], v[100:101], v[132:133]
	v_add_f64 v[210:211], v[98:99], v[130:131]
	;; [unrolled: 1-line block ×5, first 2 shown]
	v_min3_f32 v153, v0, v1, v233
	v_cvt_f32_f64_e32 v0, v[168:169]
	v_cvt_f32_f64_e32 v1, v[166:167]
	;; [unrolled: 1-line block ×6, first 2 shown]
	v_min3_f32 v155, v158, v159, v242
	v_min3_f32 v158, v163, v164, v240
	v_add_f64 v[162:163], v[98:99], v[142:143]
	v_min3_f32 v149, v173, v174, v232
	v_min3_f32 v150, v175, v176, v235
	v_add_f64 v[174:175], v[100:101], v[140:141]
	v_add_f64 v[176:177], v[98:99], v[138:139]
	;; [unrolled: 1-line block ×10, first 2 shown]
	v_min3_f32 v154, v0, v1, v234
	v_add_f64 v[0:1], v[100:101], v[144:145]
	v_min3_f32 v159, v165, v166, v238
	v_min3_f32 v160, v167, v168, v239
	;; [unrolled: 1-line block ×3, first 2 shown]
	v_add_f64 v[164:165], v[96:97], v[144:145]
	v_add_f64 v[166:167], v[94:95], v[142:143]
	;; [unrolled: 1-line block ×8, first 2 shown]
	v_cvt_f32_f64_e32 v162, v[162:163]
	v_cvt_f32_f64_e32 v140, v[140:141]
	;; [unrolled: 1-line block ×4, first 2 shown]
	v_add_f64 v[132:133], v[94:95], v[126:127]
	v_cvt_f32_f64_e32 v163, v[0:1]
	v_add_f64 v[0:1], v[98:99], v[126:127]
	v_cvt_f32_f64_e32 v164, v[164:165]
	v_cvt_f32_f64_e32 v166, v[166:167]
	;; [unrolled: 1-line block ×15, first 2 shown]
	v_add_f64 v[130:131], v[100:101], v[128:129]
	v_add_f64 v[134:135], v[96:97], v[128:129]
	;; [unrolled: 1-line block ×3, first 2 shown]
	v_cvt_f32_f64_e32 v176, v[202:203]
	v_cvt_f32_f64_e32 v200, v[0:1]
	v_add_f64 v[0:1], v[86:87], v[126:127]
	v_cvt_f32_f64_e32 v181, v[136:137]
	v_cvt_f32_f64_e32 v202, v[132:133]
	;; [unrolled: 1-line block ×7, first 2 shown]
	v_min3_f32 v133, v142, v143, v224
	v_add_f64 v[142:143], v[96:97], v[124:125]
	v_cvt_f32_f64_e32 v173, v[182:183]
	v_min3_f32 v137, v174, v140, v226
	v_cvt_f32_f64_e32 v178, v[206:207]
	v_cvt_f32_f64_e32 v179, v[204:205]
	;; [unrolled: 1-line block ×3, first 2 shown]
	v_min3_f32 v220, v186, v187, v220
	v_min3_f32 v217, v189, v190, v199
	v_cvt_f32_f64_e32 v201, v[130:131]
	v_cvt_f32_f64_e32 v203, v[134:135]
	v_min3_f32 v130, v162, v163, v223
	v_min3_f32 v131, v166, v164, v219
	;; [unrolled: 1-line block ×4, first 2 shown]
	v_cvt_f32_f64_e32 v186, v[0:1]
	v_cvt_f32_f64_e32 v187, v[138:139]
	v_add_f64 v[0:1], v[82:83], v[126:127]
	v_add_f64 v[126:127], v[84:85], v[128:129]
	;; [unrolled: 1-line block ×9, first 2 shown]
	v_min3_f32 v224, v180, v181, v188
	v_min3_f32 v218, v184, v185, v218
	v_add_f64 v[180:181], v[100:101], v[116:117]
	v_add_f64 v[184:185], v[96:97], v[116:117]
	v_cvt_f32_f64_e32 v183, v[208:209]
	v_min3_f32 v216, v200, v201, v198
	v_min3_f32 v132, v165, v167, v222
	;; [unrolled: 1-line block ×6, first 2 shown]
	v_add_f64 v[164:165], v[98:99], v[118:119]
	v_add_f64 v[166:167], v[100:101], v[120:121]
	v_add_f64 v[168:169], v[94:95], v[118:119]
	v_cvt_f32_f64_e32 v190, v[126:127]
	v_add_f64 v[126:127], v[88:89], v[116:117]
	v_cvt_f32_f64_e32 v201, v[138:139]
	v_add_f64 v[138:139], v[84:85], v[116:117]
	v_add_f64 v[172:173], v[96:97], v[120:121]
	;; [unrolled: 1-line block ×3, first 2 shown]
	v_cvt_f32_f64_e32 v122, v[122:123]
	v_cvt_f32_f64_e32 v123, v[124:125]
	v_add_f64 v[176:177], v[88:89], v[120:121]
	v_add_f64 v[118:119], v[82:83], v[118:119]
	;; [unrolled: 1-line block ×4, first 2 shown]
	v_min3_f32 v221, v182, v183, v221
	v_add_f64 v[182:183], v[94:95], v[114:115]
	v_cvt_f32_f64_e32 v189, v[0:1]
	v_cvt_f32_f64_e32 v205, v[162:163]
	v_add_f64 v[0:1], v[86:87], v[114:115]
	v_add_f64 v[162:163], v[96:97], v[112:113]
	v_min3_f32 v215, v202, v203, v197
	v_cvt_f32_f64_e32 v200, v[128:129]
	v_cvt_f32_f64_e32 v202, v[140:141]
	;; [unrolled: 1-line block ×9, first 2 shown]
	v_add_f64 v[128:129], v[82:83], v[114:115]
	v_min3_f32 v117, v122, v123, v246
	buffer_load_dword v122, off, s[28:31], 0 offset:144 ; 4-byte Folded Reload
	v_cvt_f32_f64_e32 v173, v[176:177]
	v_cvt_f32_f64_e32 v174, v[118:119]
	;; [unrolled: 1-line block ×7, first 2 shown]
	v_add_f64 v[140:141], v[98:99], v[110:111]
	v_add_f64 v[142:143], v[100:101], v[112:113]
	;; [unrolled: 1-line block ×5, first 2 shown]
	v_cvt_f32_f64_e32 v181, v[162:163]
	v_add_f64 v[162:163], v[100:101], v[104:105]
	s_clause 0x1
	buffer_load_dword v120, off, s[28:31], 0 offset:40
	buffer_load_dword v114, off, s[28:31], 0 offset:44
	v_min3_f32 v125, v189, v190, v193
	v_min3_f32 v119, v168, v169, v227
	v_add_f64 v[168:169], v[86:87], v[102:103]
	v_min3_f32 v116, v204, v205, v248
	v_min3_f32 v118, v206, v207, v245
	;; [unrolled: 1-line block ×4, first 2 shown]
	v_cvt_f32_f64_e32 v177, v[138:139]
	v_add_f64 v[138:139], v[96:97], v[108:109]
	v_cvt_f32_f64_e32 v178, v[140:141]
	v_cvt_f32_f64_e32 v180, v[144:145]
	;; [unrolled: 1-line block ×3, first 2 shown]
	v_add_f64 v[140:141], v[86:87], v[106:107]
	v_add_f64 v[144:145], v[98:99], v[102:103]
	;; [unrolled: 1-line block ×4, first 2 shown]
	v_cvt_f32_f64_e32 v183, v[166:167]
	v_add_f64 v[166:167], v[96:97], v[104:105]
	v_add_f64 v[96:97], v[96:97], v[92:93]
	v_cvt_f32_f64_e32 v179, v[142:143]
	v_add_f64 v[142:143], v[88:89], v[108:109]
	s_waitcnt vmcnt(2)
	v_min3_f32 v121, v174, v121, v122
	v_min3_f32 v122, v175, v176, v194
	v_cvt_f32_f64_e32 v174, v[0:1]
	v_cvt_f32_f64_e32 v175, v[126:127]
	v_add_f64 v[0:1], v[82:83], v[110:111]
	v_add_f64 v[110:111], v[84:85], v[112:113]
	;; [unrolled: 1-line block ×5, first 2 shown]
	v_cvt_f32_f64_e32 v176, v[128:129]
	v_add_f64 v[128:129], v[94:95], v[106:107]
	v_add_f64 v[106:107], v[82:83], v[106:107]
	;; [unrolled: 1-line block ×5, first 2 shown]
	v_cvt_f32_f64_e32 v184, v[0:1]
	v_cvt_f32_f64_e32 v110, v[110:111]
	;; [unrolled: 1-line block ×7, first 2 shown]
	v_add_f64 v[100:101], v[82:83], v[90:91]
	buffer_load_dword v82, off, s[28:31], 0 offset:140 ; 4-byte Folded Reload
	v_cvt_f32_f64_e32 v139, v[164:165]
	v_cvt_f32_f64_e32 v164, v[96:97]
	v_add_f64 v[0:1], v[86:87], v[90:91]
	v_cvt_f32_f64_e32 v113, v[128:129]
	v_cvt_f32_f64_e32 v128, v[142:143]
	;; [unrolled: 1-line block ×6, first 2 shown]
	v_add_f64 v[98:99], v[88:89], v[92:93]
	v_add_f64 v[102:103], v[84:85], v[92:93]
	v_cvt_f32_f64_e32 v163, v[94:95]
	v_cvt_f32_f64_e32 v127, v[140:141]
	v_cvt_f32_f64_e32 v129, v[106:107]
	v_cvt_f32_f64_e32 v140, v[166:167]
	v_cvt_f32_f64_e32 v141, v[168:169]
	v_add_f64 v[106:107], v[4:5], v[80:81]
	v_cvt_f32_f64_e32 v166, v[100:101]
	v_add_f64 v[100:101], v[10:11], v[78:79]
	v_cvt_f32_f64_e32 v165, v[98:99]
	v_cvt_f32_f64_e32 v167, v[102:103]
	v_add_f64 v[98:99], v[8:9], v[80:81]
	v_add_f64 v[102:103], v[12:13], v[80:81]
	;; [unrolled: 1-line block ×3, first 2 shown]
	v_cvt_f32_f64_e32 v169, v[106:107]
	v_add_f64 v[106:107], v[4:5], v[76:77]
	v_cvt_f32_f64_e32 v98, v[98:99]
	v_cvt_f32_f64_e32 v99, v[100:101]
	;; [unrolled: 1-line block ×4, first 2 shown]
	v_add_f64 v[80:81], v[14:15], v[66:67]
	s_waitcnt vmcnt(0)
	v_min3_f32 v96, v174, v175, v82
	buffer_load_dword v82, off, s[28:31], 0 offset:136 ; 4-byte Folded Reload
	s_waitcnt vmcnt(0)
	v_min3_f32 v97, v176, v177, v82
	buffer_load_dword v82, off, s[28:31], 0 offset:132 ; 4-byte Folded Reload
	;; [unrolled: 3-line block ×7, first 2 shown]
	v_min3_f32 v120, v172, v173, v120
	v_add_f64 v[172:173], v[88:89], v[104:105]
	v_add_f64 v[104:105], v[84:85], v[104:105]
	;; [unrolled: 1-line block ×3, first 2 shown]
	v_cvt_f32_f64_e32 v142, v[172:173]
	v_cvt_f32_f64_e32 v144, v[104:105]
	v_add_f64 v[104:105], v[2:3], v[78:79]
	v_cvt_f32_f64_e32 v168, v[104:105]
	v_add_f64 v[104:105], v[2:3], v[74:75]
	v_cvt_f32_f64_e32 v103, v[104:105]
	v_cvt_f32_f64_e32 v104, v[106:107]
	;; [unrolled: 1-line block ×3, first 2 shown]
	s_waitcnt vmcnt(0)
	v_min3_f32 v89, v113, v126, v82
	buffer_load_dword v82, off, s[28:31], 0 offset:76 ; 4-byte Folded Reload
	v_add_f64 v[112:113], v[10:11], v[74:75]
	v_cvt_f32_f64_e32 v107, v[112:113]
	s_waitcnt vmcnt(0)
	v_min3_f32 v90, v127, v128, v82
	buffer_load_dword v82, off, s[28:31], 0 offset:72 ; 4-byte Folded Reload
	v_add_f64 v[126:127], v[12:13], v[76:77]
	v_add_f64 v[76:77], v[16:17], v[76:77]
	v_cvt_f32_f64_e32 v110, v[76:77]
	v_add_f64 v[76:77], v[10:11], v[66:67]
	s_waitcnt vmcnt(0)
	v_min3_f32 v87, v129, v108, v82
	buffer_load_dword v82, off, s[28:31], 0 offset:68 ; 4-byte Folded Reload
	v_add_f64 v[128:129], v[2:3], v[70:71]
	v_cvt_f32_f64_e32 v111, v[128:129]
	s_waitcnt vmcnt(0)
	v_min3_f32 v88, v109, v138, v82
	buffer_load_dword v82, off, s[28:31], 0 offset:64 ; 4-byte Folded Reload
	v_add_f64 v[108:109], v[6:7], v[74:75]
	v_add_f64 v[74:75], v[14:15], v[74:75]
	v_cvt_f32_f64_e32 v105, v[108:109]
	v_cvt_f32_f64_e32 v108, v[126:127]
	;; [unrolled: 1-line block ×3, first 2 shown]
	v_add_f64 v[74:75], v[8:9], v[68:69]
	s_waitcnt vmcnt(0)
	v_min3_f32 v85, v139, v140, v82
	buffer_load_dword v82, off, s[28:31], 0 offset:60 ; 4-byte Folded Reload
	v_add_f64 v[138:139], v[4:5], v[72:73]
	v_cvt_f32_f64_e32 v112, v[138:139]
	v_min3_f32 v138, v168, v169, v146
	v_min3_f32 v146, v111, v112, v158
	s_waitcnt vmcnt(0)
	v_min3_f32 v86, v141, v142, v82
	buffer_load_dword v82, off, s[28:31], 0 offset:56 ; 4-byte Folded Reload
	v_add_f64 v[140:141], v[6:7], v[70:71]
	v_cvt_f32_f64_e32 v113, v[140:141]
	v_min3_f32 v140, v99, v100, v152
	s_waitcnt vmcnt(0)
	v_min3_f32 v83, v143, v144, v82
	buffer_load_dword v82, off, s[28:31], 0 offset:52 ; 4-byte Folded Reload
	v_add_f64 v[142:143], v[8:9], v[72:73]
	v_cvt_f32_f64_e32 v126, v[142:143]
	v_min3_f32 v142, v103, v104, v154
	v_min3_f32 v143, v105, v106, v155
	v_add_f64 v[104:105], v[12:13], v[60:61]
	v_cvt_f32_f64_e32 v155, v[104:105]
	v_add_f64 v[104:105], v[12:13], v[48:49]
	s_waitcnt vmcnt(0)
	v_min3_f32 v84, v145, v162, v82
	buffer_load_dword v82, off, s[28:31], 0 offset:48 ; 4-byte Folded Reload
	v_add_f64 v[144:145], v[10:11], v[70:71]
	v_add_f64 v[70:71], v[14:15], v[70:71]
	v_cvt_f32_f64_e32 v127, v[144:145]
	v_cvt_f32_f64_e32 v129, v[70:71]
	v_add_f64 v[70:71], v[4:5], v[68:69]
	v_min3_f32 v145, v109, v110, v157
	v_min3_f32 v144, v107, v108, v156
	v_add_f64 v[106:107], v[2:3], v[54:55]
	v_add_f64 v[108:109], v[4:5], v[56:57]
	v_cvt_f32_f64_e32 v111, v[70:71]
	v_add_f64 v[70:71], v[6:7], v[62:63]
	v_cvt_f32_f64_e32 v106, v[106:107]
	v_cvt_f32_f64_e32 v107, v[108:109]
	s_waitcnt vmcnt(0)
	v_min3_f32 v82, v163, v164, v82
	v_cvt_f32_f64_e32 v164, v[0:1]
	v_add_f64 v[0:1], v[6:7], v[78:79]
	v_add_f64 v[78:79], v[14:15], v[78:79]
	;; [unrolled: 1-line block ×4, first 2 shown]
	v_cvt_f32_f64_e32 v172, v[0:1]
	v_cvt_f32_f64_e32 v101, v[78:79]
	;; [unrolled: 1-line block ×4, first 2 shown]
	v_add_f64 v[0:1], v[2:3], v[66:67]
	v_add_f64 v[72:73], v[6:7], v[66:67]
	;; [unrolled: 1-line block ×4, first 2 shown]
	s_clause 0x1
	buffer_load_dword v66, off, s[28:31], 0 offset:36
	buffer_load_dword v67, off, s[28:31], 0 offset:32
	v_min3_f32 v124, v186, v187, v114
	v_min3_f32 v114, v200, v201, v192
	;; [unrolled: 1-line block ×7, first 2 shown]
	v_cvt_f32_f64_e32 v110, v[0:1]
	v_cvt_f32_f64_e32 v112, v[72:73]
	;; [unrolled: 1-line block ×7, first 2 shown]
	v_add_f64 v[0:1], v[2:3], v[62:63]
	v_add_f64 v[68:69], v[4:5], v[64:65]
	;; [unrolled: 1-line block ×14, first 2 shown]
	v_min3_f32 v184, v110, v111, v148
	v_min3_f32 v185, v112, v113, v149
	v_cvt_f32_f64_e32 v112, v[70:71]
	v_min3_f32 v186, v126, v127, v150
	v_add_f64 v[70:71], v[6:7], v[50:51]
	v_min3_f32 v187, v128, v129, v151
	v_cvt_f32_f64_e32 v110, v[0:1]
	v_cvt_f32_f64_e32 v111, v[68:69]
	;; [unrolled: 1-line block ×14, first 2 shown]
	v_add_f64 v[0:1], v[6:7], v[54:55]
	v_add_f64 v[58:59], v[8:9], v[56:57]
	v_add_f64 v[60:61], v[10:11], v[54:55]
	v_add_f64 v[62:63], v[12:13], v[56:57]
	v_add_f64 v[54:55], v[14:15], v[54:55]
	v_add_f64 v[56:57], v[16:17], v[56:57]
	v_add_f64 v[64:65], v[2:3], v[50:51]
	v_add_f64 v[68:69], v[4:5], v[52:53]
	v_add_f64 v[72:73], v[8:9], v[52:53]
	v_add_f64 v[74:75], v[10:11], v[50:51]
	v_add_f64 v[76:77], v[12:13], v[52:53]
	v_add_f64 v[50:51], v[14:15], v[50:51]
	v_add_f64 v[52:53], v[16:17], v[52:53]
	v_add_f64 v[78:79], v[2:3], v[46:47]
	v_add_f64 v[80:81], v[4:5], v[48:49]
	v_add_f64 v[98:99], v[6:7], v[46:47]
	v_add_f64 v[100:101], v[8:9], v[48:49]
	v_add_f64 v[102:103], v[10:11], v[46:47]
	v_add_f64 v[46:47], v[14:15], v[46:47]
	v_add_f64 v[48:49], v[16:17], v[48:49]
	v_min3_f32 v150, v150, v151, v134
	v_min3_f32 v151, v152, v153, v135
	v_cvt_f32_f64_e32 v108, v[0:1]
	v_cvt_f32_f64_e32 v58, v[58:59]
	;; [unrolled: 1-line block ×16, first 2 shown]
	v_add_f64 v[0:1], v[2:3], v[42:43]
	v_min3_f32 v153, v156, v157, v137
	v_cvt_f32_f64_e32 v71, v[46:47]
	v_cvt_f32_f64_e32 v48, v[48:49]
	v_add_f64 v[46:47], v[4:5], v[44:45]
	v_cvt_f32_f64_e32 v65, v[98:99]
	v_cvt_f32_f64_e32 v68, v[100:101]
	;; [unrolled: 1-line block ×4, first 2 shown]
	v_min3_f32 v156, v59, v60, v223
	v_min3_f32 v152, v154, v155, v136
	;; [unrolled: 1-line block ×3, first 2 shown]
	v_add_f64 v[54:55], v[4:5], v[40:41]
	v_min3_f32 v158, v56, v57, v221
	v_add_f64 v[56:57], v[6:7], v[38:39]
	v_min3_f32 v159, v61, v62, v218
	;; [unrolled: 2-line block ×5, first 2 shown]
	v_cvt_f32_f64_e32 v78, v[0:1]
	v_add_f64 v[0:1], v[6:7], v[42:43]
	v_add_f64 v[52:53], v[2:3], v[38:39]
	v_min3_f32 v177, v71, v48, v125
	v_cvt_f32_f64_e32 v79, v[46:47]
	v_add_f64 v[46:47], v[8:9], v[44:45]
	v_add_f64 v[48:49], v[10:11], v[42:43]
	;; [unrolled: 1-line block ×4, first 2 shown]
	v_min3_f32 v155, v108, v58, v222
	v_min3_f32 v175, v65, v68, v215
	;; [unrolled: 1-line block ×3, first 2 shown]
	v_add_f64 v[58:59], v[8:9], v[40:41]
	v_add_f64 v[38:39], v[14:15], v[38:39]
	;; [unrolled: 1-line block ×11, first 2 shown]
	v_cvt_f32_f64_e32 v80, v[0:1]
	v_cvt_f32_f64_e32 v52, v[52:53]
	;; [unrolled: 1-line block ×10, first 2 shown]
	v_add_f64 v[42:43], v[12:13], v[32:33]
	v_add_f64 v[44:45], v[2:3], v[26:27]
	v_cvt_f32_f64_e32 v55, v[58:59]
	v_cvt_f32_f64_e32 v58, v[38:39]
	v_cvt_f32_f64_e32 v59, v[40:41]
	v_cvt_f32_f64_e32 v61, v[68:69]
	v_add_f64 v[0:1], v[2:3], v[30:31]
	v_add_f64 v[38:39], v[8:9], v[32:33]
	;; [unrolled: 1-line block ×3, first 2 shown]
	v_cvt_f32_f64_e32 v81, v[46:47]
	v_cvt_f32_f64_e32 v68, v[34:35]
	v_cvt_f32_f64_e32 v69, v[36:37]
	v_add_f64 v[34:35], v[4:5], v[32:33]
	v_add_f64 v[36:37], v[6:7], v[30:31]
	;; [unrolled: 1-line block ×5, first 2 shown]
	v_cvt_f32_f64_e32 v60, v[64:65]
	v_min3_f32 v182, v48, v49, v116
	v_min3_f32 v116, v52, v53, v118
	;; [unrolled: 1-line block ×4, first 2 shown]
	v_cvt_f32_f64_e32 v53, v[42:43]
	v_cvt_f32_f64_e32 v56, v[44:45]
	v_add_f64 v[42:43], v[8:9], v[24:25]
	v_add_f64 v[44:45], v[10:11], v[22:23]
	v_min3_f32 v117, v54, v55, v119
	v_cvt_f32_f64_e32 v62, v[70:71]
	v_cvt_f32_f64_e32 v48, v[0:1]
	;; [unrolled: 1-line block ×3, first 2 shown]
	v_add_f64 v[0:1], v[6:7], v[26:27]
	v_add_f64 v[38:39], v[4:5], v[24:25]
	v_cvt_f32_f64_e32 v52, v[40:41]
	v_add_f64 v[40:41], v[6:7], v[22:23]
	v_cvt_f32_f64_e32 v49, v[34:35]
	v_cvt_f32_f64_e32 v50, v[36:37]
	;; [unrolled: 1-line block ×4, first 2 shown]
	v_add_f64 v[30:31], v[8:9], v[28:29]
	v_add_f64 v[32:33], v[10:11], v[26:27]
	;; [unrolled: 1-line block ×6, first 2 shown]
	v_cvt_f32_f64_e32 v57, v[46:47]
	v_add_f64 v[46:47], v[12:13], v[24:25]
	v_cvt_f32_f64_e32 v42, v[42:43]
	v_cvt_f32_f64_e32 v43, v[44:45]
	buffer_load_dword v45, off, s[28:31], 0 offset:148 ; 4-byte Folded Reload
	v_add_f64 v[22:23], v[14:15], v[22:23]
	v_add_f64 v[24:25], v[16:17], v[24:25]
	;; [unrolled: 1-line block ×6, first 2 shown]
	v_cvt_f32_f64_e32 v63, v[72:73]
	v_cvt_f32_f64_e32 v64, v[74:75]
	;; [unrolled: 1-line block ×4, first 2 shown]
	v_add_f64 v[10:11], v[10:11], v[18:19]
	v_cvt_f32_f64_e32 v1, v[30:31]
	v_cvt_f32_f64_e32 v30, v[32:33]
	;; [unrolled: 1-line block ×7, first 2 shown]
	v_add_f64 v[12:13], v[12:13], v[20:21]
	v_add_f64 v[14:15], v[14:15], v[18:19]
	;; [unrolled: 1-line block ×3, first 2 shown]
	v_min3_f32 v119, v58, v59, v121
	v_cvt_f32_f64_e32 v58, v[40:41]
	v_cvt_f32_f64_e32 v44, v[46:47]
	v_cvt_f32_f64_e32 v22, v[22:23]
	v_cvt_f32_f64_e32 v23, v[24:25]
	v_cvt_f32_f64_e32 v2, v[2:3]
	v_cvt_f32_f64_e32 v3, v[4:5]
	v_cvt_f32_f64_e32 v4, v[6:7]
	v_cvt_f32_f64_e32 v5, v[8:9]
	v_min3_f32 v189, v110, v111, v130
	v_min3_f32 v200, v112, v113, v131
	;; [unrolled: 1-line block ×6, first 2 shown]
	ds_read_b128 v[18:21], v170
	ds_read_b128 v[62:65], v170 offset:256
	v_min3_f32 v130, v30, v31, v90
	v_min3_f32 v131, v26, v27, v87
	;; [unrolled: 1-line block ×3, first 2 shown]
	v_cvt_f32_f64_e32 v6, v[10:11]
	v_cvt_f32_f64_e32 v7, v[12:13]
	;; [unrolled: 1-line block ×4, first 2 shown]
	v_min3_f32 v149, v128, v129, v133
	v_min3_f32 v154, v106, v107, v219
	;; [unrolled: 1-line block ×16, first 2 shown]
	s_waitcnt vmcnt(2)
	v_min3_f32 v66, v164, v165, v66
	s_waitcnt vmcnt(1)
	v_min3_f32 v67, v166, v167, v67
	v_min3_f32 v114, v6, v7, v66
	v_min3_f32 v115, v8, v9, v67
	s_waitcnt vmcnt(0)
	ds_read_b128 v[38:41], v45
	ds_read_b128 v[34:37], v45 offset:1024
	ds_read_b128 v[30:33], v45 offset:2048
	;; [unrolled: 1-line block ×10, first 2 shown]
	s_waitcnt lgkmcnt(10)
	v_add_f64 v[78:79], v[38:39], v[18:19]
	s_waitcnt lgkmcnt(9)
	v_add_f64 v[82:83], v[34:35], v[18:19]
	;; [unrolled: 2-line block ×3, first 2 shown]
	v_add_f64 v[86:87], v[30:31], v[18:19]
	s_waitcnt lgkmcnt(7)
	v_add_f64 v[84:85], v[28:29], v[20:21]
	v_add_f64 v[88:89], v[26:27], v[18:19]
	;; [unrolled: 1-line block ×10, first 2 shown]
	ds_read_b128 v[18:21], v170 offset:272
	ds_read_b128 v[46:49], v170 offset:1024
	;; [unrolled: 1-line block ×9, first 2 shown]
	v_add_f64 v[0:1], v[28:29], v[64:65]
	s_waitcnt lgkmcnt(14)
	v_add_f64 v[162:163], v[30:31], v[54:55]
	v_add_f64 v[164:165], v[28:29], v[56:57]
	;; [unrolled: 1-line block ×3, first 2 shown]
	v_cvt_f32_f64_e32 v190, v[78:79]
	v_cvt_f32_f64_e32 v206, v[82:83]
	;; [unrolled: 1-line block ×12, first 2 shown]
	v_add_f64 v[78:79], v[26:27], v[62:63]
	v_add_f64 v[80:81], v[40:41], v[60:61]
	;; [unrolled: 1-line block ×14, first 2 shown]
	s_waitcnt lgkmcnt(7)
	v_add_f64 v[168:169], v[38:39], v[46:47]
	v_add_f64 v[172:173], v[40:41], v[48:49]
	;; [unrolled: 1-line block ×4, first 2 shown]
	v_cvt_f32_f64_e32 v205, v[70:71]
	v_cvt_f32_f64_e32 v207, v[72:73]
	;; [unrolled: 1-line block ×24, first 2 shown]
	v_min3_f32 v106, v190, v205, v138
	v_min3_f32 v107, v206, v207, v139
	;; [unrolled: 1-line block ×12, first 2 shown]
	v_add_f64 v[0:1], v[32:33], v[48:49]
	v_min3_f32 v142, v60, v61, v184
	s_waitcnt lgkmcnt(6)
	v_add_f64 v[172:173], v[34:35], v[42:43]
	v_min3_f32 v143, v224, v225, v185
	v_min3_f32 v144, v162, v163, v186
	;; [unrolled: 1-line block ×3, first 2 shown]
	v_add_f64 v[162:163], v[26:27], v[46:47]
	v_min3_f32 v146, v165, v167, v189
	v_add_f64 v[164:165], v[40:41], v[44:45]
	v_min3_f32 v147, v168, v169, v200
	v_add_f64 v[166:167], v[38:39], v[42:43]
	v_add_f64 v[168:169], v[36:37], v[44:45]
	;; [unrolled: 1-line block ×6, first 2 shown]
	s_waitcnt lgkmcnt(5)
	v_add_f64 v[200:201], v[40:41], v[52:53]
	v_add_f64 v[202:203], v[38:39], v[50:51]
	;; [unrolled: 1-line block ×10, first 2 shown]
	s_waitcnt lgkmcnt(4)
	v_add_f64 v[216:217], v[38:39], v[66:67]
	v_add_f64 v[218:219], v[40:41], v[68:69]
	v_cvt_f32_f64_e32 v221, v[0:1]
	v_cvt_f32_f64_e32 v222, v[162:163]
	;; [unrolled: 1-line block ×18, first 2 shown]
	v_add_f64 v[0:1], v[36:37], v[68:69]
	v_add_f64 v[162:163], v[34:35], v[66:67]
	;; [unrolled: 1-line block ×6, first 2 shown]
	s_waitcnt lgkmcnt(3)
	v_add_f64 v[178:179], v[40:41], v[104:105]
	v_add_f64 v[184:185], v[38:39], v[102:103]
	v_add_f64 v[186:187], v[36:37], v[104:105]
	v_add_f64 v[189:190], v[34:35], v[102:103]
	v_add_f64 v[200:201], v[32:33], v[104:105]
	v_add_f64 v[202:203], v[30:31], v[102:103]
	v_add_f64 v[104:105], v[28:29], v[104:105]
	v_add_f64 v[102:103], v[26:27], v[102:103]
	s_waitcnt lgkmcnt(2)
	v_add_f64 v[204:205], v[38:39], v[74:75]
	v_add_f64 v[206:207], v[40:41], v[76:77]
	;; [unrolled: 1-line block ×8, first 2 shown]
	v_cvt_f32_f64_e32 v220, v[58:59]
	v_cvt_f32_f64_e32 v223, v[60:61]
	;; [unrolled: 1-line block ×26, first 2 shown]
	ds_read_b128 v[70:73], v170 offset:528
	ds_read_b128 v[62:65], v170 offset:784
	;; [unrolled: 1-line block ×7, first 2 shown]
	v_min3_f32 v178, v220, v221, v148
	v_min3_f32 v179, v222, v223, v149
	;; [unrolled: 1-line block ×22, first 2 shown]
	s_waitcnt lgkmcnt(8)
	v_add_f64 v[0:1], v[40:41], v[100:101]
	v_add_f64 v[162:163], v[38:39], v[98:99]
	;; [unrolled: 1-line block ×8, first 2 shown]
	s_waitcnt lgkmcnt(7)
	v_add_f64 v[182:183], v[40:41], v[96:97]
	v_add_f64 v[184:185], v[38:39], v[94:95]
	;; [unrolled: 1-line block ×8, first 2 shown]
	s_waitcnt lgkmcnt(3)
	v_add_f64 v[208:209], v[38:39], v[90:91]
	v_add_f64 v[210:211], v[40:41], v[92:93]
	;; [unrolled: 1-line block ×6, first 2 shown]
	v_cvt_f32_f64_e32 v221, v[0:1]
	v_cvt_f32_f64_e32 v220, v[162:163]
	;; [unrolled: 1-line block ×18, first 2 shown]
	v_add_f64 v[0:1], v[28:29], v[92:93]
	v_add_f64 v[162:163], v[26:27], v[90:91]
	s_waitcnt lgkmcnt(2)
	v_add_f64 v[164:165], v[40:41], v[88:89]
	v_add_f64 v[166:167], v[38:39], v[86:87]
	;; [unrolled: 1-line block ×8, first 2 shown]
	s_waitcnt lgkmcnt(1)
	v_add_f64 v[186:187], v[40:41], v[84:85]
	v_add_f64 v[189:190], v[38:39], v[82:83]
	;; [unrolled: 1-line block ×8, first 2 shown]
	s_waitcnt lgkmcnt(0)
	v_add_f64 v[38:39], v[38:39], v[78:79]
	v_add_f64 v[40:41], v[40:41], v[80:81]
	;; [unrolled: 1-line block ×4, first 2 shown]
	v_cvt_f32_f64_e32 v212, v[212:213]
	v_cvt_f32_f64_e32 v213, v[214:215]
	;; [unrolled: 1-line block ×26, first 2 shown]
	v_min3_f32 v176, v220, v221, v116
	v_min3_f32 v177, v222, v223, v117
	;; [unrolled: 1-line block ×22, first 2 shown]
	v_add_f64 v[0:1], v[30:31], v[78:79]
	v_add_f64 v[30:31], v[32:33], v[80:81]
	;; [unrolled: 1-line block ×22, first 2 shown]
	v_cvt_f32_f64_e32 v182, v[0:1]
	v_cvt_f32_f64_e32 v183, v[30:31]
	v_cvt_f32_f64_e32 v184, v[26:27]
	v_cvt_f32_f64_e32 v185, v[28:29]
	v_cvt_f32_f64_e32 v186, v[32:33]
	v_cvt_f32_f64_e32 v187, v[78:79]
	v_cvt_f32_f64_e32 v189, v[80:81]
	v_cvt_f32_f64_e32 v190, v[128:129]
	v_cvt_f32_f64_e32 v200, v[130:131]
	v_cvt_f32_f64_e32 v201, v[132:133]
	v_cvt_f32_f64_e32 v202, v[22:23]
	v_cvt_f32_f64_e32 v203, v[24:25]
	v_cvt_f32_f64_e32 v204, v[134:135]
	v_cvt_f32_f64_e32 v205, v[136:137]
	v_cvt_f32_f64_e32 v162, v[162:163]
	v_cvt_f32_f64_e32 v163, v[164:165]
	v_cvt_f32_f64_e32 v164, v[166:167]
	v_add_f64 v[0:1], v[10:11], v[70:71]
	v_cvt_f32_f64_e32 v166, v[18:19]
	v_cvt_f32_f64_e32 v167, v[20:21]
	v_add_f64 v[18:19], v[12:13], v[72:73]
	v_add_f64 v[20:21], v[6:7], v[70:71]
	;; [unrolled: 1-line block ×21, first 2 shown]
	v_cvt_f32_f64_e32 v0, v[0:1]
	v_cvt_f32_f64_e32 v1, v[18:19]
	;; [unrolled: 1-line block ×22, first 2 shown]
	ds_read_b128 v[46:49], v170 offset:1296
	ds_read_b128 v[42:45], v170 offset:1552
	v_cvt_f32_f64_e32 v165, v[168:169]
	v_min3_f32 v238, v0, v1, v139
	v_min3_f32 v239, v20, v21, v140
	;; [unrolled: 1-line block ×3, first 2 shown]
	ds_read_b128 v[50:53], v170 offset:1808
	ds_read_b128 v[66:69], v170 offset:2064
	v_min3_f32 v236, v24, v25, v142
	v_min3_f32 v232, v26, v27, v143
	ds_read_b128 v[58:61], v170 offset:2320
	ds_read_b128 v[74:77], v170 offset:2576
	v_min3_f32 v235, v28, v29, v144
	v_min3_f32 v231, v30, v31, v145
	v_cvt_f32_f64_e32 v169, v[180:181]
	v_min3_f32 v224, v32, v33, v146
	v_min3_f32 v18, v182, v183, v114
	;; [unrolled: 1-line block ×5, first 2 shown]
	s_waitcnt lgkmcnt(5)
	v_add_f64 v[0:1], v[14:15], v[46:47]
	v_min3_f32 v217, v54, v55, v179
	v_add_f64 v[20:21], v[16:17], v[48:49]
	v_add_f64 v[22:23], v[10:11], v[46:47]
	;; [unrolled: 1-line block ×7, first 2 shown]
	s_waitcnt lgkmcnt(4)
	v_add_f64 v[46:47], v[14:15], v[42:43]
	v_add_f64 v[48:49], v[16:17], v[44:45]
	;; [unrolled: 1-line block ×8, first 2 shown]
	v_min3_f32 v180, v204, v205, v110
	v_min3_f32 v242, v162, v163, v111
	;; [unrolled: 1-line block ×4, first 2 shown]
	ds_read_b128 v[98:101], v170 offset:2832
	ds_read_b128 v[94:97], v170 offset:3088
	v_cvt_f32_f64_e32 v110, v[0:1]
	v_cvt_f32_f64_e32 v111, v[20:21]
	;; [unrolled: 1-line block ×6, first 2 shown]
	s_waitcnt lgkmcnt(5)
	v_add_f64 v[0:1], v[2:3], v[50:51]
	v_add_f64 v[20:21], v[4:5], v[52:53]
	v_cvt_f32_f64_e32 v130, v[46:47]
	v_cvt_f32_f64_e32 v131, v[48:49]
	s_waitcnt lgkmcnt(4)
	v_add_f64 v[22:23], v[14:15], v[66:67]
	v_add_f64 v[24:25], v[16:17], v[68:69]
	;; [unrolled: 1-line block ×4, first 2 shown]
	v_cvt_f32_f64_e32 v136, v[42:43]
	v_cvt_f32_f64_e32 v137, v[44:45]
	v_add_f64 v[42:43], v[2:3], v[66:67]
	v_add_f64 v[44:45], v[4:5], v[68:69]
	s_waitcnt lgkmcnt(3)
	v_add_f64 v[46:47], v[14:15], v[58:59]
	v_add_f64 v[48:49], v[16:17], v[60:61]
	ds_read_b128 v[90:93], v170 offset:3344
	ds_read_b128 v[86:89], v170 offset:3600
	;; [unrolled: 1-line block ×3, first 2 shown]
	v_min3_f32 v170, v186, v187, v106
	v_min3_f32 v244, v189, v190, v107
	;; [unrolled: 1-line block ×4, first 2 shown]
	v_add_f64 v[70:71], v[14:15], v[50:51]
	v_add_f64 v[72:73], v[16:17], v[52:53]
	v_add_f64 v[78:79], v[10:11], v[50:51]
	v_add_f64 v[80:81], v[12:13], v[52:53]
	v_add_f64 v[106:107], v[6:7], v[50:51]
	v_add_f64 v[108:109], v[8:9], v[52:53]
	v_cvt_f32_f64_e32 v128, v[30:31]
	v_cvt_f32_f64_e32 v129, v[32:33]
	v_add_f64 v[30:31], v[6:7], v[66:67]
	v_add_f64 v[32:33], v[8:9], v[68:69]
	;; [unrolled: 1-line block ×4, first 2 shown]
	s_waitcnt lgkmcnt(5)
	v_add_f64 v[66:67], v[10:11], v[74:75]
	v_add_f64 v[68:69], v[12:13], v[76:77]
	v_cvt_f32_f64_e32 v0, v[0:1]
	v_cvt_f32_f64_e32 v1, v[20:21]
	;; [unrolled: 1-line block ×15, first 2 shown]
	v_add_f64 v[54:55], v[6:7], v[58:59]
	v_add_f64 v[58:59], v[2:3], v[58:59]
	;; [unrolled: 1-line block ×4, first 2 shown]
	v_cvt_f32_f64_e32 v24, v[30:31]
	v_cvt_f32_f64_e32 v25, v[32:33]
	;; [unrolled: 1-line block ×6, first 2 shown]
	v_min3_f32 v199, v0, v1, v155
	v_min3_f32 v198, v20, v21, v156
	v_add_f64 v[0:1], v[6:7], v[74:75]
	v_add_f64 v[20:21], v[8:9], v[76:77]
	v_min3_f32 v192, v26, v27, v159
	s_waitcnt lgkmcnt(4)
	v_add_f64 v[26:27], v[14:15], v[98:99]
	v_min3_f32 v215, v28, v29, v160
	v_add_f64 v[28:29], v[16:17], v[100:101]
	s_waitcnt lgkmcnt(3)
	v_add_f64 v[50:51], v[14:15], v[94:95]
	v_add_f64 v[52:53], v[16:17], v[96:97]
	v_cvt_f32_f64_e32 v133, v[56:57]
	v_add_f64 v[56:57], v[8:9], v[60:61]
	v_add_f64 v[60:61], v[4:5], v[60:61]
	v_cvt_f32_f64_e32 v32, v[54:55]
	v_cvt_f32_f64_e32 v42, v[58:59]
	;; [unrolled: 1-line block ×4, first 2 shown]
	v_min3_f32 v220, v70, v71, v152
	v_min3_f32 v197, v22, v23, v157
	;; [unrolled: 1-line block ×3, first 2 shown]
	v_add_f64 v[22:23], v[2:3], v[74:75]
	v_min3_f32 v208, v46, v47, v177
	v_add_f64 v[24:25], v[4:5], v[76:77]
	v_add_f64 v[46:47], v[2:3], v[98:99]
	;; [unrolled: 1-line block ×7, first 2 shown]
	v_cvt_f32_f64_e32 v70, v[0:1]
	v_cvt_f32_f64_e32 v71, v[20:21]
	;; [unrolled: 1-line block ×6, first 2 shown]
	s_waitcnt lgkmcnt(2)
	v_add_f64 v[0:1], v[10:11], v[90:91]
	v_add_f64 v[20:21], v[12:13], v[92:93]
	;; [unrolled: 1-line block ×4, first 2 shown]
	s_waitcnt lgkmcnt(1)
	v_add_f64 v[50:51], v[2:3], v[86:87]
	v_add_f64 v[52:53], v[4:5], v[88:89]
	s_waitcnt lgkmcnt(0)
	v_add_f64 v[2:3], v[2:3], v[82:83]
	v_add_f64 v[4:5], v[4:5], v[84:85]
	v_cvt_f32_f64_e32 v33, v[56:57]
	v_cvt_f32_f64_e32 v43, v[60:61]
	;; [unrolled: 1-line block ×3, first 2 shown]
	s_clause 0x2
	buffer_load_dword v173, off, s[28:31], 0 offset:4
	buffer_load_dword v177, off, s[28:31], 0 offset:20
	buffer_load_dword v172, off, s[28:31], 0 offset:152
	v_min3_f32 v245, v44, v45, v176
	buffer_load_dword v176, off, s[28:31], 0 offset:16 ; 4-byte Folded Reload
	v_cvt_f32_f64_e32 v72, v[78:79]
	v_cvt_f32_f64_e32 v73, v[80:81]
	;; [unrolled: 1-line block ×4, first 2 shown]
	v_min3_f32 v247, v30, v31, v161
	v_add_f64 v[30:31], v[10:11], v[98:99]
	v_cvt_f32_f64_e32 v0, v[0:1]
	v_cvt_f32_f64_e32 v1, v[20:21]
	v_add_f64 v[44:45], v[8:9], v[100:101]
	v_add_f64 v[56:57], v[12:13], v[96:97]
	;; [unrolled: 1-line block ×4, first 2 shown]
	v_cvt_f32_f64_e32 v2, v[2:3]
	v_cvt_f32_f64_e32 v3, v[4:5]
	v_min3_f32 v248, v32, v33, v174
	buffer_load_dword v174, off, s[28:31], 0 offset:8 ; 4-byte Folded Reload
	v_min3_f32 v246, v42, v43, v175
	buffer_load_dword v175, off, s[28:31], 0 offset:12 ; 4-byte Folded Reload
	v_add_f64 v[32:33], v[12:13], v[100:101]
	v_add_f64 v[42:43], v[6:7], v[98:99]
	;; [unrolled: 1-line block ×3, first 2 shown]
	v_cvt_f32_f64_e32 v80, v[46:47]
	v_cvt_f32_f64_e32 v81, v[48:49]
	v_min3_f32 v216, v72, v73, v153
	v_cvt_f32_f64_e32 v72, v[22:23]
	v_min3_f32 v218, v78, v79, v154
	v_cvt_f32_f64_e32 v73, v[24:25]
	v_cvt_f32_f64_e32 v76, v[30:31]
	v_add_f64 v[22:23], v[6:7], v[90:91]
	v_min3_f32 v200, v0, v1, v119
	buffer_load_dword v1, off, s[28:31], 0  ; 4-byte Folded Reload
	v_cvt_f32_f64_e32 v79, v[44:45]
	v_add_f64 v[24:25], v[8:9], v[92:93]
	v_add_f64 v[30:31], v[14:15], v[86:87]
	;; [unrolled: 1-line block ×3, first 2 shown]
	v_min3_f32 v181, v2, v3, v19
	s_clause 0x3
	buffer_load_dword v2, off, s[28:31], 0 offset:84
	buffer_load_dword v3, off, s[28:31], 0 offset:88
	;; [unrolled: 1-line block ×4, first 2 shown]
	v_add_f64 v[46:47], v[6:7], v[86:87]
	v_add_f64 v[48:49], v[8:9], v[88:89]
	;; [unrolled: 1-line block ×3, first 2 shown]
	v_cvt_f32_f64_e32 v77, v[32:33]
	v_cvt_f32_f64_e32 v78, v[42:43]
	v_add_f64 v[32:33], v[16:17], v[88:89]
	v_add_f64 v[42:43], v[10:11], v[86:87]
	;; [unrolled: 1-line block ×7, first 2 shown]
	v_cvt_f32_f64_e32 v54, v[54:55]
	v_cvt_f32_f64_e32 v55, v[56:57]
	v_cvt_f32_f64_e32 v56, v[58:59]
	v_cvt_f32_f64_e32 v57, v[60:61]
	v_cvt_f32_f64_e32 v58, v[62:63]
	v_cvt_f32_f64_e32 v59, v[64:65]
	v_cvt_f32_f64_e32 v60, v[66:67]
	v_cvt_f32_f64_e32 v61, v[68:69]
	v_cvt_f32_f64_e32 v20, v[22:23]
	v_cvt_f32_f64_e32 v21, v[24:25]
	v_cvt_f32_f64_e32 v22, v[26:27]
	v_cvt_f32_f64_e32 v23, v[28:29]
	v_cvt_f32_f64_e32 v24, v[30:31]
	v_cvt_f32_f64_e32 v27, v[44:45]
	v_cvt_f32_f64_e32 v28, v[46:47]
	v_cvt_f32_f64_e32 v25, v[32:33]
	v_cvt_f32_f64_e32 v26, v[42:43]
	v_cvt_f32_f64_e32 v29, v[48:49]
	v_cvt_f32_f64_e32 v30, v[50:51]
	v_cvt_f32_f64_e32 v31, v[52:53]
	v_cvt_f32_f64_e32 v14, v[14:15]
	v_cvt_f32_f64_e32 v15, v[16:17]
	v_cvt_f32_f64_e32 v10, v[10:11]
	v_cvt_f32_f64_e32 v11, v[12:13]
	v_cvt_f32_f64_e32 v6, v[6:7]
	v_cvt_f32_f64_e32 v7, v[8:9]
	v_min3_f32 v240, v168, v169, v138
	v_min3_f32 v230, v110, v111, v102
	;; [unrolled: 1-line block ×29, first 2 shown]
	s_waitcnt vmcnt(8)
	v_add_nc_u32_e32 v0, 0x1000, v172
	s_waitcnt vmcnt(4)
	v_add_co_u32 v1, vcc_lo, v1, 64
	v_add_co_ci_u32_e64 v173, null, 0, v173, vcc_lo
	v_add_co_u32 v174, vcc_lo, v174, 64
	s_waitcnt vmcnt(0)
	ds_write2st64_b64 v0, v[2:3], v[4:5] offset1:4
	s_clause 0x5
	buffer_load_dword v2, off, s[28:31], 0 offset:92
	buffer_load_dword v3, off, s[28:31], 0 offset:96
	;; [unrolled: 1-line block ×6, first 2 shown]
	v_add_co_ci_u32_e64 v175, null, 0, v175, vcc_lo
	v_add_co_u32 v176, vcc_lo, v176, 64
	v_add_co_ci_u32_e64 v177, null, 0, v177, vcc_lo
	v_add_nc_u32_e32 v0, 0x3000, v172
	s_waitcnt vmcnt(2)
	ds_write2st64_b64 v0, v[2:3], v[4:5] offset1:4
	s_waitcnt vmcnt(1)
	v_add_co_u32 v171, vcc_lo, v171, 64
	s_waitcnt vmcnt(0)
	v_add_co_ci_u32_e64 v178, null, 0, v178, vcc_lo
	s_waitcnt lgkmcnt(0)
	s_waitcnt_vscnt null, 0x0
	s_barrier
	buffer_gl0_inv
	s_cbranch_scc1 .LBB162_26
; %bb.25:                               ;   in Loop: Header=BB162_16 Depth=1
	buffer_store_dword v227, off, s[28:31], 0 offset:40 ; 4-byte Folded Spill
	buffer_store_dword v195, off, s[28:31], 0 offset:44 ; 4-byte Folded Spill
	buffer_load_dword v179, off, s[28:31], 0 offset:164 ; 4-byte Folded Reload
	v_mov_b32_e32 v188, v222
	v_mov_b32_e32 v222, v219
	s_branch .LBB162_16
.LBB162_26:
	s_clause 0x2
	buffer_load_dword v162, off, s[28:31], 0 offset:168
	buffer_load_dword v163, off, s[28:31], 0 offset:172
	;; [unrolled: 1-line block ×3, first 2 shown]
.LBB162_27:
	buffer_load_dword v0, off, s[28:31], 0 offset:148 ; 4-byte Folded Reload
	s_waitcnt vmcnt(1)
	ds_read_b128 v[156:159], v166 offset:12288
	v_add_nc_u32_e32 v168, s7, v162
	v_add_nc_u32_e32 v164, s6, v163
	s_waitcnt vmcnt(0)
	ds_read_b128 v[28:31], v0 offset:4096
	ds_read_b128 v[24:27], v0 offset:4112
	;; [unrolled: 1-line block ×3, first 2 shown]
	s_clause 0x2
	s_load_dwordx2 s[14:15], s[4:5], 0x78
	s_load_dword s8, s[4:5], 0x70
	s_load_dword s1, s[4:5], 0x58
	v_ashrrev_i32_e32 v165, 31, v164
	v_lshlrev_b64 v[162:163], 3, v[164:165]
	s_waitcnt lgkmcnt(0)
	v_add_f64 v[2:3], v[28:29], v[156:157]
	v_add_f64 v[4:5], v[30:31], v[158:159]
	;; [unrolled: 1-line block ×4, first 2 shown]
	v_mad_i64_i32 v[0:1], null, v168, s8, 0
	s_mul_i32 s5, s15, s16
	s_mul_hi_u32 s6, s14, s16
	s_mul_i32 s4, s14, s16
	s_add_i32 s5, s6, s5
	s_mov_b32 s6, -1
	s_lshl_b64 s[4:5], s[4:5], 3
	v_lshlrev_b64 v[0:1], 3, v[0:1]
	s_add_u32 s4, s10, s4
	s_addc_u32 s5, s11, s5
	v_add_co_u32 v169, vcc_lo, s4, v0
	v_add_co_ci_u32_e64 v172, null, s5, v1, vcc_lo
	v_cvt_f32_f64_e32 v10, v[2:3]
	v_cvt_f32_f64_e32 v11, v[4:5]
	;; [unrolled: 1-line block ×4, first 2 shown]
	v_mad_i64_i32 v[2:3], null, v168, s1, 0
	v_add_nc_u32_e32 v4, 32, v164
	v_ashrrev_i32_e32 v5, 31, v4
	v_lshlrev_b64 v[2:3], 3, v[2:3]
	v_add_co_u32 v173, vcc_lo, s2, v2
	v_add_co_ci_u32_e64 v188, null, s3, v3, vcc_lo
	s_mov_b32 vcc_lo, s0
	v_min3_f32 v8, v10, v11, v170
	v_min3_f32 v0, v6, v7, v8
	v_max_f32_e32 v6, v0, v0
	s_cbranch_vccz .LBB162_29
; %bb.28:
	v_min_f32_e32 v0, 0, v6
	v_add_co_u32 v2, vcc_lo, v169, v162
	v_add_co_ci_u32_e64 v3, null, v172, v163, vcc_lo
	v_cvt_f64_f32_e32 v[0:1], v0
	s_mov_b32 s6, 0
	global_store_dwordx2 v[2:3], v[0:1], off
.LBB162_29:
	buffer_load_dword v0, off, s[28:31], 0 offset:148 ; 4-byte Folded Reload
	v_lshlrev_b64 v[160:161], 3, v[4:5]
	v_mov_b32_e32 v32, 0
	s_andn2_b32 vcc_lo, exec_lo, s6
	s_waitcnt vmcnt(0)
	ds_read_b128 v[20:23], v0 offset:5120
	ds_read_b128 v[12:15], v0 offset:5136
	ds_read_b128 v[8:11], v0 offset:6144
	ds_read_b128 v[0:3], v0 offset:6160
	s_cbranch_vccnz .LBB162_31
; %bb.30:
	v_add_co_u32 v4, vcc_lo, v173, v162
	v_add_co_ci_u32_e64 v5, null, v188, v163, vcc_lo
	global_load_dwordx2 v[4:5], v[4:5], off
	s_waitcnt vmcnt(0)
	v_mul_f64 v[4:5], s[12:13], v[4:5]
	v_cvt_f32_f64_e32 v4, v[4:5]
	v_min_f32_e32 v4, v4, v6
	v_add_co_u32 v6, vcc_lo, v169, v162
	v_add_co_ci_u32_e64 v7, null, v172, v163, vcc_lo
	v_cvt_f64_f32_e32 v[4:5], v4
	v_add_co_u32 v16, vcc_lo, v173, v160
	v_add_co_ci_u32_e64 v17, null, v188, v161, vcc_lo
	global_store_dwordx2 v[6:7], v[4:5], off
	global_load_dwordx2 v[4:5], v[16:17], off
	s_waitcnt vmcnt(0)
	v_mul_f64 v[4:5], s[12:13], v[4:5]
	v_cvt_f32_f64_e32 v32, v[4:5]
.LBB162_31:
	buffer_load_dword v16, off, s[28:31], 0 offset:148 ; 4-byte Folded Reload
	s_waitcnt lgkmcnt(3)
	v_add_f64 v[33:34], v[20:21], v[156:157]
	v_add_f64 v[35:36], v[22:23], v[158:159]
	s_waitcnt lgkmcnt(2)
	v_add_f64 v[37:38], v[12:13], v[152:153]
	v_add_f64 v[39:40], v[14:15], v[154:155]
	;; [unrolled: 3-line block ×4, first 2 shown]
	v_add_co_u32 v176, vcc_lo, v169, v160
	v_add_co_ci_u32_e64 v177, null, v172, v161, vcc_lo
	s_mov_b32 s6, -1
	s_mov_b32 vcc_lo, s0
	s_waitcnt vmcnt(0)
	ds_read_b128 v[4:7], v16 offset:7168
	ds_read_b128 v[16:19], v16 offset:7184
	v_cvt_f32_f64_e32 v33, v[33:34]
	v_cvt_f32_f64_e32 v34, v[35:36]
	;; [unrolled: 1-line block ×6, first 2 shown]
	ds_read_b128 v[148:151], v166 offset:12544
	ds_read_b128 v[144:147], v166 offset:12560
	;; [unrolled: 1-line block ×16, first 2 shown]
	v_cvt_f32_f64_e32 v170, v[47:48]
	v_cvt_f32_f64_e32 v171, v[45:46]
	ds_read_b128 v[84:87], v166 offset:14592
	ds_read_b128 v[80:83], v166 offset:14608
	;; [unrolled: 1-line block ×8, first 2 shown]
	v_min3_f32 v33, v33, v34, v244
	v_min_f32_e32 v34, v35, v36
	v_min3_f32 v165, v165, v167, v233
	v_min3_f32 v32, v32, v34, v33
	;; [unrolled: 1-line block ×3, first 2 shown]
	v_cvt_f64_f32_e32 v[174:175], v32
	ds_read_b128 v[52:55], v166 offset:15616
	ds_read_b128 v[48:51], v166 offset:15632
	;; [unrolled: 1-line block ×6, first 2 shown]
	v_add_nc_u32_e32 v166, 64, v164
	v_add_nc_u32_e32 v164, 0x60, v164
	v_max_f32_e32 v171, v170, v170
	v_ashrrev_i32_e32 v167, 31, v166
	v_ashrrev_i32_e32 v165, 31, v164
	v_lshlrev_b64 v[166:167], 3, v[166:167]
	global_store_dwordx2 v[176:177], v[174:175], off
	s_cbranch_vccz .LBB162_33
; %bb.32:
	v_min_f32_e32 v170, 0, v171
	v_add_co_u32 v176, vcc_lo, v169, v166
	v_add_co_ci_u32_e64 v177, null, v172, v167, vcc_lo
	v_cvt_f64_f32_e32 v[174:175], v170
	s_mov_b32 s6, 0
	global_store_dwordx2 v[176:177], v[174:175], off
.LBB162_33:
	v_lshlrev_b64 v[164:165], 3, v[164:165]
	v_mov_b32_e32 v170, 0
	s_andn2_b32 vcc_lo, exec_lo, s6
	s_cbranch_vccnz .LBB162_35
; %bb.34:
	v_add_co_u32 v174, vcc_lo, v173, v166
	v_add_co_ci_u32_e64 v175, null, v188, v167, vcc_lo
	global_load_dwordx2 v[174:175], v[174:175], off
	s_waitcnt vmcnt(0)
	v_mul_f64 v[174:175], s[12:13], v[174:175]
	v_cvt_f32_f64_e32 v170, v[174:175]
	v_add_co_u32 v174, vcc_lo, v169, v166
	v_add_co_ci_u32_e64 v175, null, v172, v167, vcc_lo
	v_add_co_u32 v176, vcc_lo, v173, v164
	v_add_co_ci_u32_e64 v177, null, v188, v165, vcc_lo
	v_min_f32_e32 v170, v170, v171
	v_cvt_f64_f32_e32 v[170:171], v170
	global_store_dwordx2 v[174:175], v[170:171], off
	global_load_dwordx2 v[170:171], v[176:177], off
	s_waitcnt vmcnt(0)
	v_mul_f64 v[170:171], s[12:13], v[170:171]
	v_cvt_f32_f64_e32 v170, v[170:171]
.LBB162_35:
	s_waitcnt lgkmcnt(31)
	v_add_f64 v[156:157], v[4:5], v[156:157]
	v_add_f64 v[158:159], v[6:7], v[158:159]
	s_waitcnt lgkmcnt(30)
	v_add_f64 v[152:153], v[16:17], v[152:153]
	v_add_f64 v[154:155], v[18:19], v[154:155]
	;; [unrolled: 3-line block ×3, first 2 shown]
	v_add_co_u32 v169, vcc_lo, v169, v164
	s_mov_b32 s6, -1
	v_cvt_f32_f64_e32 v156, v[156:157]
	v_cvt_f32_f64_e32 v157, v[158:159]
	;; [unrolled: 1-line block ×4, first 2 shown]
	s_waitcnt lgkmcnt(28)
	v_add_f64 v[152:153], v[24:25], v[144:145]
	v_add_f64 v[154:155], v[26:27], v[146:147]
	v_cvt_f32_f64_e32 v171, v[175:176]
	v_cvt_f32_f64_e32 v173, v[173:174]
	v_add_nc_u32_e32 v174, 8, v168
	v_min3_f32 v156, v156, v157, v234
	v_min_f32_e32 v157, v158, v159
	v_cvt_f32_f64_e32 v175, v[152:153]
	v_cvt_f32_f64_e32 v176, v[154:155]
	v_mad_i64_i32 v[152:153], null, v174, s8, 0
	v_min3_f32 v154, v170, v157, v156
	v_min3_f32 v156, v171, v173, v180
	v_add_co_ci_u32_e64 v170, null, v172, v165, vcc_lo
	v_cvt_f64_f32_e32 v[158:159], v154
	v_mad_i64_i32 v[154:155], null, v174, s1, 0
	v_lshlrev_b64 v[152:153], 3, v[152:153]
	v_add_co_u32 v152, vcc_lo, s4, v152
	v_lshlrev_b64 v[154:155], 3, v[154:155]
	v_add_co_ci_u32_e64 v153, null, s5, v153, vcc_lo
	v_min3_f32 v156, v175, v176, v156
	v_add_co_u32 v154, vcc_lo, s2, v154
	v_add_co_ci_u32_e64 v155, null, s3, v155, vcc_lo
	v_max_f32_e32 v157, v156, v156
	s_mov_b32 vcc_lo, s0
	global_store_dwordx2 v[169:170], v[158:159], off
	s_cbranch_vccz .LBB162_37
; %bb.36:
	v_min_f32_e32 v156, 0, v157
	v_add_co_u32 v169, vcc_lo, v152, v162
	v_add_co_ci_u32_e64 v170, null, v153, v163, vcc_lo
	v_cvt_f64_f32_e32 v[158:159], v156
	s_mov_b32 s6, 0
	global_store_dwordx2 v[169:170], v[158:159], off
.LBB162_37:
	v_mov_b32_e32 v156, 0
	s_andn2_b32 vcc_lo, exec_lo, s6
	s_cbranch_vccnz .LBB162_39
; %bb.38:
	v_add_co_u32 v158, vcc_lo, v154, v162
	v_add_co_ci_u32_e64 v159, null, v155, v163, vcc_lo
	global_load_dwordx2 v[158:159], v[158:159], off
	s_waitcnt vmcnt(0)
	v_mul_f64 v[158:159], s[12:13], v[158:159]
	v_cvt_f32_f64_e32 v156, v[158:159]
	v_add_co_u32 v158, vcc_lo, v152, v162
	v_add_co_ci_u32_e64 v159, null, v153, v163, vcc_lo
	v_add_co_u32 v169, vcc_lo, v154, v160
	v_add_co_ci_u32_e64 v170, null, v155, v161, vcc_lo
	v_min_f32_e32 v156, v156, v157
	v_cvt_f64_f32_e32 v[156:157], v156
	global_store_dwordx2 v[158:159], v[156:157], off
	global_load_dwordx2 v[156:157], v[169:170], off
	s_waitcnt vmcnt(0)
	v_mul_f64 v[156:157], s[12:13], v[156:157]
	v_cvt_f32_f64_e32 v156, v[156:157]
.LBB162_39:
	v_add_f64 v[157:158], v[20:21], v[148:149]
	v_add_f64 v[169:170], v[22:23], v[150:151]
	v_add_f64 v[171:172], v[12:13], v[144:145]
	v_add_f64 v[173:174], v[14:15], v[146:147]
	v_add_f64 v[175:176], v[10:11], v[150:151]
	v_add_f64 v[177:178], v[8:9], v[148:149]
	v_add_f64 v[179:180], v[0:1], v[144:145]
	s_mov_b32 s6, -1
	v_cvt_f32_f64_e32 v159, v[157:158]
	v_cvt_f32_f64_e32 v169, v[169:170]
	;; [unrolled: 1-line block ×4, first 2 shown]
	v_add_f64 v[157:158], v[2:3], v[146:147]
	v_cvt_f32_f64_e32 v172, v[177:178]
	v_cvt_f32_f64_e32 v173, v[175:176]
	;; [unrolled: 1-line block ×3, first 2 shown]
	v_min3_f32 v159, v159, v169, v242
	v_min_f32_e32 v169, v170, v171
	v_cvt_f32_f64_e32 v157, v[157:158]
	v_min3_f32 v156, v156, v169, v159
	v_add_co_u32 v169, vcc_lo, v152, v160
	v_add_co_ci_u32_e64 v170, null, v153, v161, vcc_lo
	v_cvt_f64_f32_e32 v[158:159], v156
	v_min3_f32 v156, v172, v173, v243
	s_mov_b32 vcc_lo, s0
	v_min3_f32 v156, v174, v157, v156
	v_max_f32_e32 v157, v156, v156
	global_store_dwordx2 v[169:170], v[158:159], off
	s_cbranch_vccz .LBB162_41
; %bb.40:
	v_min_f32_e32 v156, 0, v157
	v_add_co_u32 v169, vcc_lo, v152, v166
	v_add_co_ci_u32_e64 v170, null, v153, v167, vcc_lo
	v_cvt_f64_f32_e32 v[158:159], v156
	s_mov_b32 s6, 0
	global_store_dwordx2 v[169:170], v[158:159], off
.LBB162_41:
	v_mov_b32_e32 v156, 0
	s_andn2_b32 vcc_lo, exec_lo, s6
	s_cbranch_vccnz .LBB162_43
; %bb.42:
	v_add_co_u32 v158, vcc_lo, v154, v166
	v_add_co_ci_u32_e64 v159, null, v155, v167, vcc_lo
	global_load_dwordx2 v[158:159], v[158:159], off
	s_waitcnt vmcnt(0)
	v_mul_f64 v[158:159], s[12:13], v[158:159]
	v_cvt_f32_f64_e32 v156, v[158:159]
	v_add_co_u32 v158, vcc_lo, v152, v166
	v_add_co_ci_u32_e64 v159, null, v153, v167, vcc_lo
	v_add_co_u32 v154, vcc_lo, v154, v164
	v_add_co_ci_u32_e64 v155, null, v155, v165, vcc_lo
	v_min_f32_e32 v156, v156, v157
	v_cvt_f64_f32_e32 v[156:157], v156
	global_store_dwordx2 v[158:159], v[156:157], off
	global_load_dwordx2 v[154:155], v[154:155], off
	s_waitcnt vmcnt(0)
	v_mul_f64 v[154:155], s[12:13], v[154:155]
	v_cvt_f32_f64_e32 v156, v[154:155]
.LBB162_43:
	v_add_f64 v[148:149], v[4:5], v[148:149]
	v_add_f64 v[150:151], v[6:7], v[150:151]
	;; [unrolled: 1-line block ×4, first 2 shown]
	s_waitcnt lgkmcnt(27)
	v_add_f64 v[154:155], v[30:31], v[142:143]
	v_add_f64 v[157:158], v[28:29], v[140:141]
	v_add_co_u32 v152, vcc_lo, v152, v164
	v_add_co_ci_u32_e64 v153, null, v153, v165, vcc_lo
	s_mov_b32 s6, -1
	v_cvt_f32_f64_e32 v148, v[148:149]
	v_cvt_f32_f64_e32 v149, v[150:151]
	;; [unrolled: 1-line block ×4, first 2 shown]
	s_waitcnt lgkmcnt(26)
	v_add_f64 v[144:145], v[24:25], v[136:137]
	v_add_f64 v[146:147], v[26:27], v[138:139]
	v_cvt_f32_f64_e32 v157, v[157:158]
	v_cvt_f32_f64_e32 v154, v[154:155]
	v_add_nc_u32_e32 v155, 16, v168
	v_min3_f32 v148, v148, v149, v241
	v_min_f32_e32 v149, v150, v151
	v_cvt_f32_f64_e32 v158, v[144:145]
	v_cvt_f32_f64_e32 v159, v[146:147]
	v_mad_i64_i32 v[144:145], null, v155, s8, 0
	v_min3_f32 v146, v156, v149, v148
	v_min3_f32 v148, v157, v154, v240
	v_cvt_f64_f32_e32 v[150:151], v146
	v_mad_i64_i32 v[146:147], null, v155, s1, 0
	v_lshlrev_b64 v[144:145], 3, v[144:145]
	v_add_co_u32 v144, vcc_lo, s4, v144
	v_lshlrev_b64 v[146:147], 3, v[146:147]
	v_add_co_ci_u32_e64 v145, null, s5, v145, vcc_lo
	v_min3_f32 v148, v158, v159, v148
	v_add_co_u32 v146, vcc_lo, s2, v146
	v_add_co_ci_u32_e64 v147, null, s3, v147, vcc_lo
	v_max_f32_e32 v149, v148, v148
	s_mov_b32 vcc_lo, s0
	global_store_dwordx2 v[152:153], v[150:151], off
	s_cbranch_vccz .LBB162_45
; %bb.44:
	v_min_f32_e32 v148, 0, v149
	v_add_co_u32 v152, vcc_lo, v144, v162
	v_add_co_ci_u32_e64 v153, null, v145, v163, vcc_lo
	v_cvt_f64_f32_e32 v[150:151], v148
	s_mov_b32 s6, 0
	global_store_dwordx2 v[152:153], v[150:151], off
.LBB162_45:
	v_mov_b32_e32 v148, 0
	s_andn2_b32 vcc_lo, exec_lo, s6
	s_cbranch_vccnz .LBB162_47
; %bb.46:
	v_add_co_u32 v150, vcc_lo, v146, v162
	v_add_co_ci_u32_e64 v151, null, v147, v163, vcc_lo
	global_load_dwordx2 v[150:151], v[150:151], off
	s_waitcnt vmcnt(0)
	v_mul_f64 v[150:151], s[12:13], v[150:151]
	v_cvt_f32_f64_e32 v148, v[150:151]
	v_add_co_u32 v150, vcc_lo, v144, v162
	v_add_co_ci_u32_e64 v151, null, v145, v163, vcc_lo
	v_add_co_u32 v152, vcc_lo, v146, v160
	v_add_co_ci_u32_e64 v153, null, v147, v161, vcc_lo
	v_min_f32_e32 v148, v148, v149
	v_cvt_f64_f32_e32 v[148:149], v148
	global_store_dwordx2 v[150:151], v[148:149], off
	global_load_dwordx2 v[148:149], v[152:153], off
	s_waitcnt vmcnt(0)
	v_mul_f64 v[148:149], s[12:13], v[148:149]
	v_cvt_f32_f64_e32 v148, v[148:149]
.LBB162_47:
	v_add_f64 v[149:150], v[20:21], v[140:141]
	v_add_f64 v[151:152], v[22:23], v[142:143]
	;; [unrolled: 1-line block ×7, first 2 shown]
	s_mov_b32 s6, -1
	v_cvt_f32_f64_e32 v159, v[149:150]
	v_cvt_f32_f64_e32 v151, v[151:152]
	;; [unrolled: 1-line block ×4, first 2 shown]
	v_add_f64 v[149:150], v[2:3], v[138:139]
	v_cvt_f32_f64_e32 v154, v[169:170]
	v_cvt_f32_f64_e32 v155, v[157:158]
	;; [unrolled: 1-line block ×3, first 2 shown]
	v_min3_f32 v151, v159, v151, v238
	v_min_f32_e32 v152, v152, v153
	v_cvt_f32_f64_e32 v149, v[149:150]
	v_min3_f32 v148, v148, v152, v151
	v_add_co_u32 v152, vcc_lo, v144, v160
	v_add_co_ci_u32_e64 v153, null, v145, v161, vcc_lo
	v_cvt_f64_f32_e32 v[150:151], v148
	v_min3_f32 v148, v154, v155, v239
	s_mov_b32 vcc_lo, s0
	v_min3_f32 v148, v156, v149, v148
	v_max_f32_e32 v149, v148, v148
	global_store_dwordx2 v[152:153], v[150:151], off
	s_cbranch_vccz .LBB162_49
; %bb.48:
	v_min_f32_e32 v148, 0, v149
	v_add_co_u32 v152, vcc_lo, v144, v166
	v_add_co_ci_u32_e64 v153, null, v145, v167, vcc_lo
	v_cvt_f64_f32_e32 v[150:151], v148
	s_mov_b32 s6, 0
	global_store_dwordx2 v[152:153], v[150:151], off
.LBB162_49:
	v_mov_b32_e32 v148, 0
	s_andn2_b32 vcc_lo, exec_lo, s6
	s_cbranch_vccnz .LBB162_51
; %bb.50:
	v_add_co_u32 v150, vcc_lo, v146, v166
	v_add_co_ci_u32_e64 v151, null, v147, v167, vcc_lo
	global_load_dwordx2 v[150:151], v[150:151], off
	s_waitcnt vmcnt(0)
	v_mul_f64 v[150:151], s[12:13], v[150:151]
	v_cvt_f32_f64_e32 v148, v[150:151]
	v_add_co_u32 v150, vcc_lo, v144, v166
	v_add_co_ci_u32_e64 v151, null, v145, v167, vcc_lo
	v_add_co_u32 v146, vcc_lo, v146, v164
	v_add_co_ci_u32_e64 v147, null, v147, v165, vcc_lo
	v_min_f32_e32 v148, v148, v149
	v_cvt_f64_f32_e32 v[148:149], v148
	global_store_dwordx2 v[150:151], v[148:149], off
	global_load_dwordx2 v[146:147], v[146:147], off
	s_waitcnt vmcnt(0)
	v_mul_f64 v[146:147], s[12:13], v[146:147]
	v_cvt_f32_f64_e32 v148, v[146:147]
.LBB162_51:
	v_add_f64 v[140:141], v[4:5], v[140:141]
	v_add_f64 v[142:143], v[6:7], v[142:143]
	;; [unrolled: 1-line block ×4, first 2 shown]
	s_waitcnt lgkmcnt(25)
	v_add_f64 v[146:147], v[30:31], v[134:135]
	v_add_f64 v[149:150], v[28:29], v[132:133]
	v_add_co_u32 v144, vcc_lo, v144, v164
	v_add_co_ci_u32_e64 v145, null, v145, v165, vcc_lo
	s_mov_b32 s6, -1
	v_cvt_f32_f64_e32 v140, v[140:141]
	v_cvt_f32_f64_e32 v141, v[142:143]
	;; [unrolled: 1-line block ×4, first 2 shown]
	s_waitcnt lgkmcnt(24)
	v_add_f64 v[136:137], v[24:25], v[128:129]
	v_add_f64 v[138:139], v[26:27], v[130:131]
	v_cvt_f32_f64_e32 v149, v[149:150]
	v_cvt_f32_f64_e32 v146, v[146:147]
	v_add_nc_u32_e32 v147, 24, v168
	v_min3_f32 v140, v140, v141, v237
	v_min_f32_e32 v141, v142, v143
	v_cvt_f32_f64_e32 v150, v[136:137]
	v_cvt_f32_f64_e32 v151, v[138:139]
	v_mad_i64_i32 v[136:137], null, v147, s8, 0
	v_min3_f32 v138, v148, v141, v140
	v_min3_f32 v140, v149, v146, v236
	v_cvt_f64_f32_e32 v[142:143], v138
	v_mad_i64_i32 v[138:139], null, v147, s1, 0
	v_lshlrev_b64 v[136:137], 3, v[136:137]
	v_add_co_u32 v136, vcc_lo, s4, v136
	v_lshlrev_b64 v[138:139], 3, v[138:139]
	v_add_co_ci_u32_e64 v137, null, s5, v137, vcc_lo
	v_min3_f32 v140, v150, v151, v140
	v_add_co_u32 v138, vcc_lo, s2, v138
	v_add_co_ci_u32_e64 v139, null, s3, v139, vcc_lo
	v_max_f32_e32 v141, v140, v140
	s_mov_b32 vcc_lo, s0
	global_store_dwordx2 v[144:145], v[142:143], off
	s_cbranch_vccz .LBB162_53
; %bb.52:
	v_min_f32_e32 v140, 0, v141
	v_add_co_u32 v144, vcc_lo, v136, v162
	v_add_co_ci_u32_e64 v145, null, v137, v163, vcc_lo
	v_cvt_f64_f32_e32 v[142:143], v140
	s_mov_b32 s6, 0
	global_store_dwordx2 v[144:145], v[142:143], off
.LBB162_53:
	v_mov_b32_e32 v140, 0
	s_andn2_b32 vcc_lo, exec_lo, s6
	s_cbranch_vccnz .LBB162_55
; %bb.54:
	v_add_co_u32 v142, vcc_lo, v138, v162
	v_add_co_ci_u32_e64 v143, null, v139, v163, vcc_lo
	global_load_dwordx2 v[142:143], v[142:143], off
	s_waitcnt vmcnt(0)
	v_mul_f64 v[142:143], s[12:13], v[142:143]
	v_cvt_f32_f64_e32 v140, v[142:143]
	v_add_co_u32 v142, vcc_lo, v136, v162
	v_add_co_ci_u32_e64 v143, null, v137, v163, vcc_lo
	v_add_co_u32 v144, vcc_lo, v138, v160
	v_add_co_ci_u32_e64 v145, null, v139, v161, vcc_lo
	v_min_f32_e32 v140, v140, v141
	v_cvt_f64_f32_e32 v[140:141], v140
	global_store_dwordx2 v[142:143], v[140:141], off
	global_load_dwordx2 v[140:141], v[144:145], off
	s_waitcnt vmcnt(0)
	v_mul_f64 v[140:141], s[12:13], v[140:141]
	v_cvt_f32_f64_e32 v140, v[140:141]
.LBB162_55:
	v_add_f64 v[141:142], v[20:21], v[132:133]
	v_add_f64 v[143:144], v[22:23], v[134:135]
	;; [unrolled: 1-line block ×7, first 2 shown]
	s_mov_b32 s6, -1
	v_cvt_f32_f64_e32 v155, v[141:142]
	v_cvt_f32_f64_e32 v143, v[143:144]
	v_cvt_f32_f64_e32 v144, v[145:146]
	v_cvt_f32_f64_e32 v145, v[147:148]
	v_add_f64 v[141:142], v[2:3], v[130:131]
	v_cvt_f32_f64_e32 v146, v[151:152]
	v_cvt_f32_f64_e32 v147, v[149:150]
	;; [unrolled: 1-line block ×3, first 2 shown]
	v_min3_f32 v143, v155, v143, v232
	v_min_f32_e32 v144, v144, v145
	v_cvt_f32_f64_e32 v141, v[141:142]
	v_min3_f32 v140, v140, v144, v143
	v_add_co_u32 v144, vcc_lo, v136, v160
	v_add_co_ci_u32_e64 v145, null, v137, v161, vcc_lo
	v_cvt_f64_f32_e32 v[142:143], v140
	v_min3_f32 v140, v146, v147, v235
	s_mov_b32 vcc_lo, s0
	v_min3_f32 v140, v148, v141, v140
	v_max_f32_e32 v141, v140, v140
	global_store_dwordx2 v[144:145], v[142:143], off
	s_cbranch_vccz .LBB162_57
; %bb.56:
	v_min_f32_e32 v140, 0, v141
	v_add_co_u32 v144, vcc_lo, v136, v166
	v_add_co_ci_u32_e64 v145, null, v137, v167, vcc_lo
	v_cvt_f64_f32_e32 v[142:143], v140
	s_mov_b32 s6, 0
	global_store_dwordx2 v[144:145], v[142:143], off
.LBB162_57:
	v_mov_b32_e32 v140, 0
	s_andn2_b32 vcc_lo, exec_lo, s6
	s_cbranch_vccnz .LBB162_59
; %bb.58:
	v_add_co_u32 v142, vcc_lo, v138, v166
	v_add_co_ci_u32_e64 v143, null, v139, v167, vcc_lo
	global_load_dwordx2 v[142:143], v[142:143], off
	s_waitcnt vmcnt(0)
	v_mul_f64 v[142:143], s[12:13], v[142:143]
	v_cvt_f32_f64_e32 v140, v[142:143]
	v_add_co_u32 v142, vcc_lo, v136, v166
	v_add_co_ci_u32_e64 v143, null, v137, v167, vcc_lo
	v_add_co_u32 v138, vcc_lo, v138, v164
	v_add_co_ci_u32_e64 v139, null, v139, v165, vcc_lo
	v_min_f32_e32 v140, v140, v141
	v_cvt_f64_f32_e32 v[140:141], v140
	global_store_dwordx2 v[142:143], v[140:141], off
	global_load_dwordx2 v[138:139], v[138:139], off
	s_waitcnt vmcnt(0)
	v_mul_f64 v[138:139], s[12:13], v[138:139]
	v_cvt_f32_f64_e32 v140, v[138:139]
.LBB162_59:
	v_add_f64 v[132:133], v[4:5], v[132:133]
	v_add_f64 v[134:135], v[6:7], v[134:135]
	;; [unrolled: 1-line block ×4, first 2 shown]
	s_waitcnt lgkmcnt(23)
	v_add_f64 v[138:139], v[30:31], v[126:127]
	v_add_f64 v[141:142], v[28:29], v[124:125]
	v_add_co_u32 v136, vcc_lo, v136, v164
	v_add_co_ci_u32_e64 v137, null, v137, v165, vcc_lo
	s_mov_b32 s6, -1
	v_cvt_f32_f64_e32 v132, v[132:133]
	v_cvt_f32_f64_e32 v133, v[134:135]
	;; [unrolled: 1-line block ×4, first 2 shown]
	s_waitcnt lgkmcnt(22)
	v_add_f64 v[128:129], v[24:25], v[120:121]
	v_add_f64 v[130:131], v[26:27], v[122:123]
	v_cvt_f32_f64_e32 v141, v[141:142]
	v_cvt_f32_f64_e32 v138, v[138:139]
	v_add_nc_u32_e32 v139, 32, v168
	v_min3_f32 v132, v132, v133, v231
	v_min_f32_e32 v133, v134, v135
	v_cvt_f32_f64_e32 v142, v[128:129]
	v_cvt_f32_f64_e32 v143, v[130:131]
	v_mad_i64_i32 v[128:129], null, v139, s8, 0
	v_min3_f32 v130, v140, v133, v132
	v_min3_f32 v132, v141, v138, v224
	v_cvt_f64_f32_e32 v[134:135], v130
	v_mad_i64_i32 v[130:131], null, v139, s1, 0
	v_lshlrev_b64 v[128:129], 3, v[128:129]
	v_add_co_u32 v128, vcc_lo, s4, v128
	v_lshlrev_b64 v[130:131], 3, v[130:131]
	v_add_co_ci_u32_e64 v129, null, s5, v129, vcc_lo
	v_min3_f32 v132, v142, v143, v132
	v_add_co_u32 v130, vcc_lo, s2, v130
	v_add_co_ci_u32_e64 v131, null, s3, v131, vcc_lo
	v_max_f32_e32 v133, v132, v132
	s_mov_b32 vcc_lo, s0
	global_store_dwordx2 v[136:137], v[134:135], off
	s_cbranch_vccz .LBB162_61
; %bb.60:
	v_min_f32_e32 v132, 0, v133
	v_add_co_u32 v136, vcc_lo, v128, v162
	v_add_co_ci_u32_e64 v137, null, v129, v163, vcc_lo
	v_cvt_f64_f32_e32 v[134:135], v132
	s_mov_b32 s6, 0
	global_store_dwordx2 v[136:137], v[134:135], off
.LBB162_61:
	v_mov_b32_e32 v132, 0
	s_andn2_b32 vcc_lo, exec_lo, s6
	s_cbranch_vccnz .LBB162_63
; %bb.62:
	v_add_co_u32 v134, vcc_lo, v130, v162
	v_add_co_ci_u32_e64 v135, null, v131, v163, vcc_lo
	global_load_dwordx2 v[134:135], v[134:135], off
	s_waitcnt vmcnt(0)
	v_mul_f64 v[134:135], s[12:13], v[134:135]
	v_cvt_f32_f64_e32 v132, v[134:135]
	v_add_co_u32 v134, vcc_lo, v128, v162
	v_add_co_ci_u32_e64 v135, null, v129, v163, vcc_lo
	v_add_co_u32 v136, vcc_lo, v130, v160
	v_add_co_ci_u32_e64 v137, null, v131, v161, vcc_lo
	v_min_f32_e32 v132, v132, v133
	v_cvt_f64_f32_e32 v[132:133], v132
	global_store_dwordx2 v[134:135], v[132:133], off
	global_load_dwordx2 v[132:133], v[136:137], off
	s_waitcnt vmcnt(0)
	v_mul_f64 v[132:133], s[12:13], v[132:133]
	v_cvt_f32_f64_e32 v132, v[132:133]
.LBB162_63:
	v_add_f64 v[133:134], v[20:21], v[124:125]
	v_add_f64 v[135:136], v[22:23], v[126:127]
	;; [unrolled: 1-line block ×7, first 2 shown]
	s_mov_b32 s6, -1
	v_cvt_f32_f64_e32 v147, v[133:134]
	v_cvt_f32_f64_e32 v135, v[135:136]
	;; [unrolled: 1-line block ×4, first 2 shown]
	v_add_f64 v[133:134], v[2:3], v[122:123]
	v_cvt_f32_f64_e32 v138, v[143:144]
	v_cvt_f32_f64_e32 v139, v[141:142]
	;; [unrolled: 1-line block ×3, first 2 shown]
	v_min3_f32 v135, v147, v135, v221
	v_min_f32_e32 v136, v136, v137
	v_cvt_f32_f64_e32 v133, v[133:134]
	v_min3_f32 v132, v132, v136, v135
	v_add_co_u32 v136, vcc_lo, v128, v160
	v_add_co_ci_u32_e64 v137, null, v129, v161, vcc_lo
	v_cvt_f64_f32_e32 v[134:135], v132
	v_min3_f32 v132, v138, v139, v219
	s_mov_b32 vcc_lo, s0
	v_min3_f32 v132, v140, v133, v132
	v_max_f32_e32 v133, v132, v132
	global_store_dwordx2 v[136:137], v[134:135], off
	s_cbranch_vccz .LBB162_65
; %bb.64:
	v_min_f32_e32 v132, 0, v133
	v_add_co_u32 v136, vcc_lo, v128, v166
	v_add_co_ci_u32_e64 v137, null, v129, v167, vcc_lo
	v_cvt_f64_f32_e32 v[134:135], v132
	s_mov_b32 s6, 0
	global_store_dwordx2 v[136:137], v[134:135], off
.LBB162_65:
	v_mov_b32_e32 v132, 0
	s_andn2_b32 vcc_lo, exec_lo, s6
	s_cbranch_vccnz .LBB162_67
; %bb.66:
	v_add_co_u32 v134, vcc_lo, v130, v166
	v_add_co_ci_u32_e64 v135, null, v131, v167, vcc_lo
	global_load_dwordx2 v[134:135], v[134:135], off
	s_waitcnt vmcnt(0)
	v_mul_f64 v[134:135], s[12:13], v[134:135]
	v_cvt_f32_f64_e32 v132, v[134:135]
	v_add_co_u32 v134, vcc_lo, v128, v166
	v_add_co_ci_u32_e64 v135, null, v129, v167, vcc_lo
	v_add_co_u32 v130, vcc_lo, v130, v164
	v_add_co_ci_u32_e64 v131, null, v131, v165, vcc_lo
	v_min_f32_e32 v132, v132, v133
	v_cvt_f64_f32_e32 v[132:133], v132
	global_store_dwordx2 v[134:135], v[132:133], off
	global_load_dwordx2 v[130:131], v[130:131], off
	s_waitcnt vmcnt(0)
	v_mul_f64 v[130:131], s[12:13], v[130:131]
	v_cvt_f32_f64_e32 v132, v[130:131]
.LBB162_67:
	v_add_f64 v[124:125], v[4:5], v[124:125]
	v_add_f64 v[126:127], v[6:7], v[126:127]
	;; [unrolled: 1-line block ×4, first 2 shown]
	s_waitcnt lgkmcnt(21)
	v_add_f64 v[130:131], v[30:31], v[118:119]
	v_add_f64 v[133:134], v[28:29], v[116:117]
	v_add_co_u32 v128, vcc_lo, v128, v164
	v_add_co_ci_u32_e64 v129, null, v129, v165, vcc_lo
	s_mov_b32 s6, -1
	v_cvt_f32_f64_e32 v124, v[124:125]
	v_cvt_f32_f64_e32 v125, v[126:127]
	;; [unrolled: 1-line block ×4, first 2 shown]
	s_waitcnt lgkmcnt(20)
	v_add_f64 v[120:121], v[24:25], v[112:113]
	v_add_f64 v[122:123], v[26:27], v[114:115]
	v_cvt_f32_f64_e32 v133, v[133:134]
	v_cvt_f32_f64_e32 v130, v[130:131]
	v_add_nc_u32_e32 v131, 40, v168
	v_min3_f32 v124, v124, v125, v217
	v_min_f32_e32 v125, v126, v127
	v_cvt_f32_f64_e32 v134, v[120:121]
	v_cvt_f32_f64_e32 v135, v[122:123]
	v_mad_i64_i32 v[120:121], null, v131, s8, 0
	v_min3_f32 v122, v132, v125, v124
	v_min3_f32 v124, v133, v130, v230
	v_cvt_f64_f32_e32 v[126:127], v122
	v_mad_i64_i32 v[122:123], null, v131, s1, 0
	v_lshlrev_b64 v[120:121], 3, v[120:121]
	v_add_co_u32 v120, vcc_lo, s4, v120
	v_lshlrev_b64 v[122:123], 3, v[122:123]
	v_add_co_ci_u32_e64 v121, null, s5, v121, vcc_lo
	v_min3_f32 v124, v134, v135, v124
	v_add_co_u32 v122, vcc_lo, s2, v122
	v_add_co_ci_u32_e64 v123, null, s3, v123, vcc_lo
	v_max_f32_e32 v125, v124, v124
	s_mov_b32 vcc_lo, s0
	global_store_dwordx2 v[128:129], v[126:127], off
	s_cbranch_vccz .LBB162_69
; %bb.68:
	v_min_f32_e32 v124, 0, v125
	v_add_co_u32 v128, vcc_lo, v120, v162
	v_add_co_ci_u32_e64 v129, null, v121, v163, vcc_lo
	v_cvt_f64_f32_e32 v[126:127], v124
	s_mov_b32 s6, 0
	global_store_dwordx2 v[128:129], v[126:127], off
.LBB162_69:
	v_mov_b32_e32 v124, 0
	s_andn2_b32 vcc_lo, exec_lo, s6
	s_cbranch_vccnz .LBB162_71
; %bb.70:
	v_add_co_u32 v126, vcc_lo, v122, v162
	v_add_co_ci_u32_e64 v127, null, v123, v163, vcc_lo
	global_load_dwordx2 v[126:127], v[126:127], off
	s_waitcnt vmcnt(0)
	v_mul_f64 v[126:127], s[12:13], v[126:127]
	v_cvt_f32_f64_e32 v124, v[126:127]
	v_add_co_u32 v126, vcc_lo, v120, v162
	v_add_co_ci_u32_e64 v127, null, v121, v163, vcc_lo
	v_add_co_u32 v128, vcc_lo, v122, v160
	v_add_co_ci_u32_e64 v129, null, v123, v161, vcc_lo
	v_min_f32_e32 v124, v124, v125
	v_cvt_f64_f32_e32 v[124:125], v124
	global_store_dwordx2 v[126:127], v[124:125], off
	global_load_dwordx2 v[124:125], v[128:129], off
	s_waitcnt vmcnt(0)
	v_mul_f64 v[124:125], s[12:13], v[124:125]
	v_cvt_f32_f64_e32 v124, v[124:125]
.LBB162_71:
	v_add_f64 v[125:126], v[20:21], v[116:117]
	v_add_f64 v[127:128], v[22:23], v[118:119]
	;; [unrolled: 1-line block ×7, first 2 shown]
	s_mov_b32 s6, -1
	v_cvt_f32_f64_e32 v139, v[125:126]
	v_cvt_f32_f64_e32 v127, v[127:128]
	;; [unrolled: 1-line block ×4, first 2 shown]
	v_add_f64 v[125:126], v[2:3], v[114:115]
	v_cvt_f32_f64_e32 v130, v[135:136]
	v_cvt_f32_f64_e32 v131, v[133:134]
	;; [unrolled: 1-line block ×3, first 2 shown]
	v_min3_f32 v127, v139, v127, v228
	v_min_f32_e32 v128, v128, v129
	v_cvt_f32_f64_e32 v125, v[125:126]
	v_min3_f32 v124, v124, v128, v127
	v_add_co_u32 v128, vcc_lo, v120, v160
	v_add_co_ci_u32_e64 v129, null, v121, v161, vcc_lo
	v_cvt_f64_f32_e32 v[126:127], v124
	v_min3_f32 v124, v130, v131, v229
	s_mov_b32 vcc_lo, s0
	v_min3_f32 v124, v132, v125, v124
	v_max_f32_e32 v125, v124, v124
	global_store_dwordx2 v[128:129], v[126:127], off
	s_cbranch_vccz .LBB162_73
; %bb.72:
	v_min_f32_e32 v124, 0, v125
	v_add_co_u32 v128, vcc_lo, v120, v166
	v_add_co_ci_u32_e64 v129, null, v121, v167, vcc_lo
	v_cvt_f64_f32_e32 v[126:127], v124
	s_mov_b32 s6, 0
	global_store_dwordx2 v[128:129], v[126:127], off
.LBB162_73:
	v_mov_b32_e32 v124, 0
	s_andn2_b32 vcc_lo, exec_lo, s6
	s_cbranch_vccnz .LBB162_75
; %bb.74:
	v_add_co_u32 v126, vcc_lo, v122, v166
	v_add_co_ci_u32_e64 v127, null, v123, v167, vcc_lo
	global_load_dwordx2 v[126:127], v[126:127], off
	s_waitcnt vmcnt(0)
	v_mul_f64 v[126:127], s[12:13], v[126:127]
	v_cvt_f32_f64_e32 v124, v[126:127]
	v_add_co_u32 v126, vcc_lo, v120, v166
	v_add_co_ci_u32_e64 v127, null, v121, v167, vcc_lo
	v_add_co_u32 v122, vcc_lo, v122, v164
	v_add_co_ci_u32_e64 v123, null, v123, v165, vcc_lo
	v_min_f32_e32 v124, v124, v125
	v_cvt_f64_f32_e32 v[124:125], v124
	global_store_dwordx2 v[126:127], v[124:125], off
	global_load_dwordx2 v[122:123], v[122:123], off
	s_waitcnt vmcnt(0)
	v_mul_f64 v[122:123], s[12:13], v[122:123]
	v_cvt_f32_f64_e32 v124, v[122:123]
.LBB162_75:
	v_add_f64 v[116:117], v[4:5], v[116:117]
	v_add_f64 v[118:119], v[6:7], v[118:119]
	;; [unrolled: 1-line block ×4, first 2 shown]
	s_waitcnt lgkmcnt(19)
	v_add_f64 v[122:123], v[30:31], v[110:111]
	v_add_f64 v[125:126], v[28:29], v[108:109]
	v_add_co_u32 v120, vcc_lo, v120, v164
	v_add_co_ci_u32_e64 v121, null, v121, v165, vcc_lo
	s_mov_b32 s6, -1
	v_cvt_f32_f64_e32 v116, v[116:117]
	v_cvt_f32_f64_e32 v117, v[118:119]
	;; [unrolled: 1-line block ×4, first 2 shown]
	s_waitcnt lgkmcnt(18)
	v_add_f64 v[112:113], v[24:25], v[104:105]
	v_add_f64 v[114:115], v[26:27], v[106:107]
	v_cvt_f32_f64_e32 v125, v[125:126]
	v_cvt_f32_f64_e32 v122, v[122:123]
	v_add_nc_u32_e32 v123, 48, v168
	v_min3_f32 v116, v116, v117, v226
	v_min_f32_e32 v117, v118, v119
	v_cvt_f32_f64_e32 v126, v[112:113]
	v_cvt_f32_f64_e32 v127, v[114:115]
	v_mad_i64_i32 v[112:113], null, v123, s8, 0
	v_min3_f32 v114, v124, v117, v116
	v_min3_f32 v116, v125, v122, v196
	v_cvt_f64_f32_e32 v[118:119], v114
	v_mad_i64_i32 v[114:115], null, v123, s1, 0
	v_lshlrev_b64 v[112:113], 3, v[112:113]
	v_add_co_u32 v112, vcc_lo, s4, v112
	v_lshlrev_b64 v[114:115], 3, v[114:115]
	v_add_co_ci_u32_e64 v113, null, s5, v113, vcc_lo
	v_min3_f32 v116, v126, v127, v116
	v_add_co_u32 v114, vcc_lo, s2, v114
	v_add_co_ci_u32_e64 v115, null, s3, v115, vcc_lo
	v_max_f32_e32 v117, v116, v116
	s_mov_b32 vcc_lo, s0
	global_store_dwordx2 v[120:121], v[118:119], off
	s_cbranch_vccz .LBB162_77
; %bb.76:
	v_min_f32_e32 v116, 0, v117
	v_add_co_u32 v120, vcc_lo, v112, v162
	v_add_co_ci_u32_e64 v121, null, v113, v163, vcc_lo
	v_cvt_f64_f32_e32 v[118:119], v116
	s_mov_b32 s6, 0
	global_store_dwordx2 v[120:121], v[118:119], off
.LBB162_77:
	v_mov_b32_e32 v116, 0
	s_andn2_b32 vcc_lo, exec_lo, s6
	s_cbranch_vccnz .LBB162_79
; %bb.78:
	v_add_co_u32 v118, vcc_lo, v114, v162
	v_add_co_ci_u32_e64 v119, null, v115, v163, vcc_lo
	global_load_dwordx2 v[118:119], v[118:119], off
	s_waitcnt vmcnt(0)
	v_mul_f64 v[118:119], s[12:13], v[118:119]
	v_cvt_f32_f64_e32 v116, v[118:119]
	v_add_co_u32 v118, vcc_lo, v112, v162
	v_add_co_ci_u32_e64 v119, null, v113, v163, vcc_lo
	v_add_co_u32 v120, vcc_lo, v114, v160
	v_add_co_ci_u32_e64 v121, null, v115, v161, vcc_lo
	v_min_f32_e32 v116, v116, v117
	v_cvt_f64_f32_e32 v[116:117], v116
	global_store_dwordx2 v[118:119], v[116:117], off
	global_load_dwordx2 v[116:117], v[120:121], off
	s_waitcnt vmcnt(0)
	v_mul_f64 v[116:117], s[12:13], v[116:117]
	v_cvt_f32_f64_e32 v116, v[116:117]
.LBB162_79:
	v_add_f64 v[117:118], v[20:21], v[108:109]
	v_add_f64 v[119:120], v[22:23], v[110:111]
	;; [unrolled: 1-line block ×7, first 2 shown]
	s_mov_b32 s6, -1
	v_cvt_f32_f64_e32 v131, v[117:118]
	v_cvt_f32_f64_e32 v119, v[119:120]
	v_cvt_f32_f64_e32 v120, v[121:122]
	v_cvt_f32_f64_e32 v121, v[123:124]
	v_add_f64 v[117:118], v[2:3], v[106:107]
	v_cvt_f32_f64_e32 v122, v[127:128]
	v_cvt_f32_f64_e32 v123, v[125:126]
	;; [unrolled: 1-line block ×3, first 2 shown]
	v_min3_f32 v119, v131, v119, v255
	v_min_f32_e32 v120, v120, v121
	v_cvt_f32_f64_e32 v117, v[117:118]
	v_min3_f32 v116, v116, v120, v119
	v_add_co_u32 v120, vcc_lo, v112, v160
	v_add_co_ci_u32_e64 v121, null, v113, v161, vcc_lo
	v_cvt_f64_f32_e32 v[118:119], v116
	v_min3_f32 v116, v122, v123, v225
	s_mov_b32 vcc_lo, s0
	v_min3_f32 v116, v124, v117, v116
	v_max_f32_e32 v117, v116, v116
	global_store_dwordx2 v[120:121], v[118:119], off
	s_cbranch_vccz .LBB162_81
; %bb.80:
	v_min_f32_e32 v116, 0, v117
	v_add_co_u32 v120, vcc_lo, v112, v166
	v_add_co_ci_u32_e64 v121, null, v113, v167, vcc_lo
	v_cvt_f64_f32_e32 v[118:119], v116
	s_mov_b32 s6, 0
	global_store_dwordx2 v[120:121], v[118:119], off
.LBB162_81:
	v_mov_b32_e32 v116, 0
	s_andn2_b32 vcc_lo, exec_lo, s6
	s_cbranch_vccnz .LBB162_83
; %bb.82:
	v_add_co_u32 v118, vcc_lo, v114, v166
	v_add_co_ci_u32_e64 v119, null, v115, v167, vcc_lo
	global_load_dwordx2 v[118:119], v[118:119], off
	s_waitcnt vmcnt(0)
	v_mul_f64 v[118:119], s[12:13], v[118:119]
	v_cvt_f32_f64_e32 v116, v[118:119]
	v_add_co_u32 v118, vcc_lo, v112, v166
	v_add_co_ci_u32_e64 v119, null, v113, v167, vcc_lo
	v_add_co_u32 v114, vcc_lo, v114, v164
	v_add_co_ci_u32_e64 v115, null, v115, v165, vcc_lo
	v_min_f32_e32 v116, v116, v117
	v_cvt_f64_f32_e32 v[116:117], v116
	global_store_dwordx2 v[118:119], v[116:117], off
	global_load_dwordx2 v[114:115], v[114:115], off
	s_waitcnt vmcnt(0)
	v_mul_f64 v[114:115], s[12:13], v[114:115]
	v_cvt_f32_f64_e32 v116, v[114:115]
.LBB162_83:
	v_add_f64 v[108:109], v[4:5], v[108:109]
	v_add_f64 v[110:111], v[6:7], v[110:111]
	;; [unrolled: 1-line block ×4, first 2 shown]
	s_waitcnt lgkmcnt(17)
	v_add_f64 v[114:115], v[30:31], v[102:103]
	v_add_f64 v[117:118], v[28:29], v[100:101]
	v_add_co_u32 v112, vcc_lo, v112, v164
	v_add_co_ci_u32_e64 v113, null, v113, v165, vcc_lo
	s_mov_b32 s6, -1
	v_cvt_f32_f64_e32 v108, v[108:109]
	v_cvt_f32_f64_e32 v109, v[110:111]
	;; [unrolled: 1-line block ×4, first 2 shown]
	s_waitcnt lgkmcnt(16)
	v_add_f64 v[104:105], v[24:25], v[96:97]
	v_add_f64 v[106:107], v[26:27], v[98:99]
	v_cvt_f32_f64_e32 v117, v[117:118]
	v_cvt_f32_f64_e32 v114, v[114:115]
	v_add_nc_u32_e32 v115, 56, v168
	v_min3_f32 v108, v108, v109, v222
	v_min_f32_e32 v109, v110, v111
	v_cvt_f32_f64_e32 v118, v[104:105]
	v_cvt_f32_f64_e32 v119, v[106:107]
	v_mad_i64_i32 v[104:105], null, v115, s8, 0
	v_min3_f32 v106, v116, v109, v108
	v_min3_f32 v108, v117, v114, v220
	v_cvt_f64_f32_e32 v[110:111], v106
	v_mad_i64_i32 v[106:107], null, v115, s1, 0
	v_lshlrev_b64 v[104:105], 3, v[104:105]
	v_add_co_u32 v104, vcc_lo, s4, v104
	v_lshlrev_b64 v[106:107], 3, v[106:107]
	v_add_co_ci_u32_e64 v105, null, s5, v105, vcc_lo
	v_min3_f32 v108, v118, v119, v108
	v_add_co_u32 v106, vcc_lo, s2, v106
	v_add_co_ci_u32_e64 v107, null, s3, v107, vcc_lo
	v_max_f32_e32 v109, v108, v108
	s_mov_b32 vcc_lo, s0
	global_store_dwordx2 v[112:113], v[110:111], off
	s_cbranch_vccz .LBB162_85
; %bb.84:
	v_min_f32_e32 v108, 0, v109
	v_add_co_u32 v112, vcc_lo, v104, v162
	v_add_co_ci_u32_e64 v113, null, v105, v163, vcc_lo
	v_cvt_f64_f32_e32 v[110:111], v108
	s_mov_b32 s6, 0
	global_store_dwordx2 v[112:113], v[110:111], off
.LBB162_85:
	v_mov_b32_e32 v108, 0
	s_andn2_b32 vcc_lo, exec_lo, s6
	s_cbranch_vccnz .LBB162_87
; %bb.86:
	v_add_co_u32 v110, vcc_lo, v106, v162
	v_add_co_ci_u32_e64 v111, null, v107, v163, vcc_lo
	global_load_dwordx2 v[110:111], v[110:111], off
	s_waitcnt vmcnt(0)
	v_mul_f64 v[110:111], s[12:13], v[110:111]
	v_cvt_f32_f64_e32 v108, v[110:111]
	v_add_co_u32 v110, vcc_lo, v104, v162
	v_add_co_ci_u32_e64 v111, null, v105, v163, vcc_lo
	v_add_co_u32 v112, vcc_lo, v106, v160
	v_add_co_ci_u32_e64 v113, null, v107, v161, vcc_lo
	v_min_f32_e32 v108, v108, v109
	v_cvt_f64_f32_e32 v[108:109], v108
	global_store_dwordx2 v[110:111], v[108:109], off
	global_load_dwordx2 v[108:109], v[112:113], off
	s_waitcnt vmcnt(0)
	v_mul_f64 v[108:109], s[12:13], v[108:109]
	v_cvt_f32_f64_e32 v108, v[108:109]
.LBB162_87:
	v_add_f64 v[109:110], v[20:21], v[100:101]
	v_add_f64 v[111:112], v[22:23], v[102:103]
	;; [unrolled: 1-line block ×7, first 2 shown]
	s_mov_b32 s6, -1
	v_cvt_f32_f64_e32 v123, v[109:110]
	v_cvt_f32_f64_e32 v111, v[111:112]
	;; [unrolled: 1-line block ×4, first 2 shown]
	v_add_f64 v[109:110], v[2:3], v[98:99]
	v_cvt_f32_f64_e32 v114, v[119:120]
	v_cvt_f32_f64_e32 v115, v[117:118]
	v_cvt_f32_f64_e32 v116, v[121:122]
	v_min3_f32 v111, v123, v111, v216
	v_min_f32_e32 v112, v112, v113
	v_cvt_f32_f64_e32 v109, v[109:110]
	v_min3_f32 v108, v108, v112, v111
	v_add_co_u32 v112, vcc_lo, v104, v160
	v_add_co_ci_u32_e64 v113, null, v105, v161, vcc_lo
	v_cvt_f64_f32_e32 v[110:111], v108
	v_min3_f32 v108, v114, v115, v218
	s_mov_b32 vcc_lo, s0
	v_min3_f32 v108, v116, v109, v108
	v_max_f32_e32 v109, v108, v108
	global_store_dwordx2 v[112:113], v[110:111], off
	s_cbranch_vccz .LBB162_89
; %bb.88:
	v_min_f32_e32 v108, 0, v109
	v_add_co_u32 v112, vcc_lo, v104, v166
	v_add_co_ci_u32_e64 v113, null, v105, v167, vcc_lo
	v_cvt_f64_f32_e32 v[110:111], v108
	s_mov_b32 s6, 0
	global_store_dwordx2 v[112:113], v[110:111], off
.LBB162_89:
	v_mov_b32_e32 v108, 0
	s_andn2_b32 vcc_lo, exec_lo, s6
	s_cbranch_vccnz .LBB162_91
; %bb.90:
	v_add_co_u32 v110, vcc_lo, v106, v166
	v_add_co_ci_u32_e64 v111, null, v107, v167, vcc_lo
	global_load_dwordx2 v[110:111], v[110:111], off
	s_waitcnt vmcnt(0)
	v_mul_f64 v[110:111], s[12:13], v[110:111]
	v_cvt_f32_f64_e32 v108, v[110:111]
	v_add_co_u32 v110, vcc_lo, v104, v166
	v_add_co_ci_u32_e64 v111, null, v105, v167, vcc_lo
	v_add_co_u32 v106, vcc_lo, v106, v164
	v_add_co_ci_u32_e64 v107, null, v107, v165, vcc_lo
	v_min_f32_e32 v108, v108, v109
	v_cvt_f64_f32_e32 v[108:109], v108
	global_store_dwordx2 v[110:111], v[108:109], off
	global_load_dwordx2 v[106:107], v[106:107], off
	s_waitcnt vmcnt(0)
	v_mul_f64 v[106:107], s[12:13], v[106:107]
	v_cvt_f32_f64_e32 v108, v[106:107]
.LBB162_91:
	v_add_f64 v[100:101], v[4:5], v[100:101]
	v_add_f64 v[102:103], v[6:7], v[102:103]
	;; [unrolled: 1-line block ×4, first 2 shown]
	s_waitcnt lgkmcnt(15)
	v_add_f64 v[106:107], v[30:31], v[94:95]
	v_add_f64 v[109:110], v[28:29], v[92:93]
	v_add_co_u32 v104, vcc_lo, v104, v164
	v_add_co_ci_u32_e64 v105, null, v105, v165, vcc_lo
	s_mov_b32 s6, -1
	v_cvt_f32_f64_e32 v100, v[100:101]
	v_cvt_f32_f64_e32 v101, v[102:103]
	;; [unrolled: 1-line block ×4, first 2 shown]
	s_waitcnt lgkmcnt(14)
	v_add_f64 v[96:97], v[24:25], v[88:89]
	v_add_f64 v[98:99], v[26:27], v[90:91]
	v_cvt_f32_f64_e32 v109, v[109:110]
	v_cvt_f32_f64_e32 v106, v[106:107]
	v_add_nc_u32_e32 v107, 64, v168
	v_min3_f32 v100, v100, v101, v199
	v_min_f32_e32 v101, v102, v103
	v_cvt_f32_f64_e32 v110, v[96:97]
	v_cvt_f32_f64_e32 v111, v[98:99]
	v_mad_i64_i32 v[96:97], null, v107, s8, 0
	v_min3_f32 v98, v108, v101, v100
	v_min3_f32 v100, v109, v106, v198
	v_cvt_f64_f32_e32 v[102:103], v98
	v_mad_i64_i32 v[98:99], null, v107, s1, 0
	v_lshlrev_b64 v[96:97], 3, v[96:97]
	v_add_co_u32 v96, vcc_lo, s4, v96
	v_lshlrev_b64 v[98:99], 3, v[98:99]
	v_add_co_ci_u32_e64 v97, null, s5, v97, vcc_lo
	v_min3_f32 v100, v110, v111, v100
	v_add_co_u32 v98, vcc_lo, s2, v98
	v_add_co_ci_u32_e64 v99, null, s3, v99, vcc_lo
	v_max_f32_e32 v101, v100, v100
	s_mov_b32 vcc_lo, s0
	global_store_dwordx2 v[104:105], v[102:103], off
	s_cbranch_vccz .LBB162_93
; %bb.92:
	v_min_f32_e32 v100, 0, v101
	v_add_co_u32 v104, vcc_lo, v96, v162
	v_add_co_ci_u32_e64 v105, null, v97, v163, vcc_lo
	v_cvt_f64_f32_e32 v[102:103], v100
	s_mov_b32 s6, 0
	global_store_dwordx2 v[104:105], v[102:103], off
.LBB162_93:
	v_mov_b32_e32 v100, 0
	s_andn2_b32 vcc_lo, exec_lo, s6
	s_cbranch_vccnz .LBB162_95
; %bb.94:
	v_add_co_u32 v102, vcc_lo, v98, v162
	v_add_co_ci_u32_e64 v103, null, v99, v163, vcc_lo
	global_load_dwordx2 v[102:103], v[102:103], off
	s_waitcnt vmcnt(0)
	v_mul_f64 v[102:103], s[12:13], v[102:103]
	v_cvt_f32_f64_e32 v100, v[102:103]
	v_add_co_u32 v102, vcc_lo, v96, v162
	v_add_co_ci_u32_e64 v103, null, v97, v163, vcc_lo
	v_add_co_u32 v104, vcc_lo, v98, v160
	v_add_co_ci_u32_e64 v105, null, v99, v161, vcc_lo
	v_min_f32_e32 v100, v100, v101
	v_cvt_f64_f32_e32 v[100:101], v100
	global_store_dwordx2 v[102:103], v[100:101], off
	global_load_dwordx2 v[100:101], v[104:105], off
	s_waitcnt vmcnt(0)
	v_mul_f64 v[100:101], s[12:13], v[100:101]
	v_cvt_f32_f64_e32 v100, v[100:101]
.LBB162_95:
	v_add_f64 v[101:102], v[20:21], v[92:93]
	v_add_f64 v[103:104], v[22:23], v[94:95]
	;; [unrolled: 1-line block ×7, first 2 shown]
	s_mov_b32 s6, -1
	v_cvt_f32_f64_e32 v115, v[101:102]
	v_cvt_f32_f64_e32 v103, v[103:104]
	;; [unrolled: 1-line block ×4, first 2 shown]
	v_add_f64 v[101:102], v[2:3], v[90:91]
	v_cvt_f32_f64_e32 v106, v[111:112]
	v_cvt_f32_f64_e32 v107, v[109:110]
	;; [unrolled: 1-line block ×3, first 2 shown]
	v_min3_f32 v103, v115, v103, v197
	v_min_f32_e32 v104, v104, v105
	v_cvt_f32_f64_e32 v101, v[101:102]
	v_min3_f32 v100, v100, v104, v103
	v_add_co_u32 v104, vcc_lo, v96, v160
	v_add_co_ci_u32_e64 v105, null, v97, v161, vcc_lo
	v_cvt_f64_f32_e32 v[102:103], v100
	v_min3_f32 v100, v106, v107, v195
	s_mov_b32 vcc_lo, s0
	v_min3_f32 v100, v108, v101, v100
	v_max_f32_e32 v101, v100, v100
	global_store_dwordx2 v[104:105], v[102:103], off
	s_cbranch_vccz .LBB162_97
; %bb.96:
	v_min_f32_e32 v100, 0, v101
	v_add_co_u32 v104, vcc_lo, v96, v166
	v_add_co_ci_u32_e64 v105, null, v97, v167, vcc_lo
	v_cvt_f64_f32_e32 v[102:103], v100
	s_mov_b32 s6, 0
	global_store_dwordx2 v[104:105], v[102:103], off
.LBB162_97:
	v_mov_b32_e32 v100, 0
	s_andn2_b32 vcc_lo, exec_lo, s6
	s_cbranch_vccnz .LBB162_99
; %bb.98:
	v_add_co_u32 v102, vcc_lo, v98, v166
	v_add_co_ci_u32_e64 v103, null, v99, v167, vcc_lo
	global_load_dwordx2 v[102:103], v[102:103], off
	s_waitcnt vmcnt(0)
	v_mul_f64 v[102:103], s[12:13], v[102:103]
	v_cvt_f32_f64_e32 v100, v[102:103]
	v_add_co_u32 v102, vcc_lo, v96, v166
	v_add_co_ci_u32_e64 v103, null, v97, v167, vcc_lo
	v_add_co_u32 v98, vcc_lo, v98, v164
	v_add_co_ci_u32_e64 v99, null, v99, v165, vcc_lo
	v_min_f32_e32 v100, v100, v101
	v_cvt_f64_f32_e32 v[100:101], v100
	global_store_dwordx2 v[102:103], v[100:101], off
	global_load_dwordx2 v[98:99], v[98:99], off
	s_waitcnt vmcnt(0)
	v_mul_f64 v[98:99], s[12:13], v[98:99]
	v_cvt_f32_f64_e32 v100, v[98:99]
.LBB162_99:
	v_add_f64 v[92:93], v[4:5], v[92:93]
	v_add_f64 v[94:95], v[6:7], v[94:95]
	;; [unrolled: 1-line block ×4, first 2 shown]
	s_waitcnt lgkmcnt(13)
	v_add_f64 v[98:99], v[30:31], v[86:87]
	v_add_f64 v[101:102], v[28:29], v[84:85]
	v_add_co_u32 v96, vcc_lo, v96, v164
	v_add_co_ci_u32_e64 v97, null, v97, v165, vcc_lo
	s_mov_b32 s6, -1
	v_cvt_f32_f64_e32 v92, v[92:93]
	v_cvt_f32_f64_e32 v93, v[94:95]
	;; [unrolled: 1-line block ×4, first 2 shown]
	s_waitcnt lgkmcnt(12)
	v_add_f64 v[88:89], v[24:25], v[80:81]
	v_add_f64 v[90:91], v[26:27], v[82:83]
	v_cvt_f32_f64_e32 v101, v[101:102]
	v_cvt_f32_f64_e32 v98, v[98:99]
	v_add_nc_u32_e32 v99, 0x48, v168
	v_min3_f32 v92, v92, v93, v192
	v_min_f32_e32 v93, v94, v95
	v_cvt_f32_f64_e32 v102, v[88:89]
	v_cvt_f32_f64_e32 v103, v[90:91]
	v_mad_i64_i32 v[88:89], null, v99, s8, 0
	v_min3_f32 v90, v100, v93, v92
	v_min3_f32 v92, v101, v98, v215
	v_cvt_f64_f32_e32 v[94:95], v90
	v_mad_i64_i32 v[90:91], null, v99, s1, 0
	v_lshlrev_b64 v[88:89], 3, v[88:89]
	v_add_co_u32 v88, vcc_lo, s4, v88
	v_lshlrev_b64 v[90:91], 3, v[90:91]
	v_add_co_ci_u32_e64 v89, null, s5, v89, vcc_lo
	v_min3_f32 v92, v102, v103, v92
	v_add_co_u32 v90, vcc_lo, s2, v90
	v_add_co_ci_u32_e64 v91, null, s3, v91, vcc_lo
	v_max_f32_e32 v93, v92, v92
	s_mov_b32 vcc_lo, s0
	global_store_dwordx2 v[96:97], v[94:95], off
	s_cbranch_vccz .LBB162_101
; %bb.100:
	v_min_f32_e32 v92, 0, v93
	v_add_co_u32 v96, vcc_lo, v88, v162
	v_add_co_ci_u32_e64 v97, null, v89, v163, vcc_lo
	v_cvt_f64_f32_e32 v[94:95], v92
	s_mov_b32 s6, 0
	global_store_dwordx2 v[96:97], v[94:95], off
.LBB162_101:
	v_mov_b32_e32 v92, 0
	s_andn2_b32 vcc_lo, exec_lo, s6
	s_cbranch_vccnz .LBB162_103
; %bb.102:
	v_add_co_u32 v94, vcc_lo, v90, v162
	v_add_co_ci_u32_e64 v95, null, v91, v163, vcc_lo
	global_load_dwordx2 v[94:95], v[94:95], off
	s_waitcnt vmcnt(0)
	v_mul_f64 v[94:95], s[12:13], v[94:95]
	v_cvt_f32_f64_e32 v92, v[94:95]
	v_add_co_u32 v94, vcc_lo, v88, v162
	v_add_co_ci_u32_e64 v95, null, v89, v163, vcc_lo
	v_add_co_u32 v96, vcc_lo, v90, v160
	v_add_co_ci_u32_e64 v97, null, v91, v161, vcc_lo
	v_min_f32_e32 v92, v92, v93
	v_cvt_f64_f32_e32 v[92:93], v92
	global_store_dwordx2 v[94:95], v[92:93], off
	global_load_dwordx2 v[92:93], v[96:97], off
	s_waitcnt vmcnt(0)
	v_mul_f64 v[92:93], s[12:13], v[92:93]
	v_cvt_f32_f64_e32 v92, v[92:93]
.LBB162_103:
	v_add_f64 v[93:94], v[20:21], v[84:85]
	v_add_f64 v[95:96], v[22:23], v[86:87]
	v_add_f64 v[97:98], v[12:13], v[80:81]
	v_add_f64 v[99:100], v[14:15], v[82:83]
	v_add_f64 v[101:102], v[10:11], v[86:87]
	v_add_f64 v[103:104], v[8:9], v[84:85]
	v_add_f64 v[105:106], v[0:1], v[80:81]
	s_mov_b32 s6, -1
	v_cvt_f32_f64_e32 v107, v[93:94]
	v_cvt_f32_f64_e32 v95, v[95:96]
	;; [unrolled: 1-line block ×4, first 2 shown]
	v_add_f64 v[93:94], v[2:3], v[82:83]
	v_cvt_f32_f64_e32 v98, v[103:104]
	v_cvt_f32_f64_e32 v99, v[101:102]
	;; [unrolled: 1-line block ×3, first 2 shown]
	v_min3_f32 v95, v107, v95, v247
	v_min_f32_e32 v96, v96, v97
	v_cvt_f32_f64_e32 v93, v[93:94]
	v_min3_f32 v92, v92, v96, v95
	v_add_co_u32 v96, vcc_lo, v88, v160
	v_add_co_ci_u32_e64 v97, null, v89, v161, vcc_lo
	v_cvt_f64_f32_e32 v[94:95], v92
	v_min3_f32 v92, v98, v99, v248
	s_mov_b32 vcc_lo, s0
	v_min3_f32 v92, v100, v93, v92
	v_max_f32_e32 v93, v92, v92
	global_store_dwordx2 v[96:97], v[94:95], off
	s_cbranch_vccz .LBB162_105
; %bb.104:
	v_min_f32_e32 v92, 0, v93
	v_add_co_u32 v96, vcc_lo, v88, v166
	v_add_co_ci_u32_e64 v97, null, v89, v167, vcc_lo
	v_cvt_f64_f32_e32 v[94:95], v92
	s_mov_b32 s6, 0
	global_store_dwordx2 v[96:97], v[94:95], off
.LBB162_105:
	v_mov_b32_e32 v92, 0
	s_andn2_b32 vcc_lo, exec_lo, s6
	s_cbranch_vccnz .LBB162_107
; %bb.106:
	v_add_co_u32 v94, vcc_lo, v90, v166
	v_add_co_ci_u32_e64 v95, null, v91, v167, vcc_lo
	global_load_dwordx2 v[94:95], v[94:95], off
	s_waitcnt vmcnt(0)
	v_mul_f64 v[94:95], s[12:13], v[94:95]
	v_cvt_f32_f64_e32 v92, v[94:95]
	v_add_co_u32 v94, vcc_lo, v88, v166
	v_add_co_ci_u32_e64 v95, null, v89, v167, vcc_lo
	v_add_co_u32 v90, vcc_lo, v90, v164
	v_add_co_ci_u32_e64 v91, null, v91, v165, vcc_lo
	v_min_f32_e32 v92, v92, v93
	v_cvt_f64_f32_e32 v[92:93], v92
	global_store_dwordx2 v[94:95], v[92:93], off
	global_load_dwordx2 v[90:91], v[90:91], off
	s_waitcnt vmcnt(0)
	v_mul_f64 v[90:91], s[12:13], v[90:91]
	v_cvt_f32_f64_e32 v92, v[90:91]
.LBB162_107:
	v_add_f64 v[84:85], v[4:5], v[84:85]
	v_add_f64 v[86:87], v[6:7], v[86:87]
	;; [unrolled: 1-line block ×4, first 2 shown]
	s_waitcnt lgkmcnt(11)
	v_add_f64 v[90:91], v[30:31], v[78:79]
	v_add_f64 v[93:94], v[28:29], v[76:77]
	v_add_co_u32 v88, vcc_lo, v88, v164
	v_add_co_ci_u32_e64 v89, null, v89, v165, vcc_lo
	s_mov_b32 s6, -1
	v_cvt_f32_f64_e32 v84, v[84:85]
	v_cvt_f32_f64_e32 v85, v[86:87]
	v_cvt_f32_f64_e32 v86, v[80:81]
	v_cvt_f32_f64_e32 v87, v[82:83]
	s_waitcnt lgkmcnt(10)
	v_add_f64 v[80:81], v[24:25], v[72:73]
	v_add_f64 v[82:83], v[26:27], v[74:75]
	v_cvt_f32_f64_e32 v93, v[93:94]
	v_cvt_f32_f64_e32 v90, v[90:91]
	v_add_nc_u32_e32 v91, 0x50, v168
	v_min3_f32 v84, v84, v85, v246
	v_min_f32_e32 v85, v86, v87
	v_cvt_f32_f64_e32 v94, v[80:81]
	v_cvt_f32_f64_e32 v95, v[82:83]
	v_mad_i64_i32 v[80:81], null, v91, s8, 0
	v_min3_f32 v82, v92, v85, v84
	v_min3_f32 v84, v93, v90, v245
	v_cvt_f64_f32_e32 v[86:87], v82
	v_mad_i64_i32 v[82:83], null, v91, s1, 0
	v_lshlrev_b64 v[80:81], 3, v[80:81]
	v_add_co_u32 v80, vcc_lo, s4, v80
	v_lshlrev_b64 v[82:83], 3, v[82:83]
	v_add_co_ci_u32_e64 v81, null, s5, v81, vcc_lo
	v_min3_f32 v84, v94, v95, v84
	v_add_co_u32 v82, vcc_lo, s2, v82
	v_add_co_ci_u32_e64 v83, null, s3, v83, vcc_lo
	v_max_f32_e32 v85, v84, v84
	s_mov_b32 vcc_lo, s0
	global_store_dwordx2 v[88:89], v[86:87], off
	s_cbranch_vccz .LBB162_109
; %bb.108:
	v_min_f32_e32 v84, 0, v85
	v_add_co_u32 v88, vcc_lo, v80, v162
	v_add_co_ci_u32_e64 v89, null, v81, v163, vcc_lo
	v_cvt_f64_f32_e32 v[86:87], v84
	s_mov_b32 s6, 0
	global_store_dwordx2 v[88:89], v[86:87], off
.LBB162_109:
	v_mov_b32_e32 v84, 0
	s_andn2_b32 vcc_lo, exec_lo, s6
	s_cbranch_vccnz .LBB162_111
; %bb.110:
	v_add_co_u32 v86, vcc_lo, v82, v162
	v_add_co_ci_u32_e64 v87, null, v83, v163, vcc_lo
	global_load_dwordx2 v[86:87], v[86:87], off
	s_waitcnt vmcnt(0)
	v_mul_f64 v[86:87], s[12:13], v[86:87]
	v_cvt_f32_f64_e32 v84, v[86:87]
	v_add_co_u32 v86, vcc_lo, v80, v162
	v_add_co_ci_u32_e64 v87, null, v81, v163, vcc_lo
	v_add_co_u32 v88, vcc_lo, v82, v160
	v_add_co_ci_u32_e64 v89, null, v83, v161, vcc_lo
	v_min_f32_e32 v84, v84, v85
	v_cvt_f64_f32_e32 v[84:85], v84
	global_store_dwordx2 v[86:87], v[84:85], off
	global_load_dwordx2 v[84:85], v[88:89], off
	s_waitcnt vmcnt(0)
	v_mul_f64 v[84:85], s[12:13], v[84:85]
	v_cvt_f32_f64_e32 v84, v[84:85]
.LBB162_111:
	v_add_f64 v[85:86], v[20:21], v[76:77]
	v_add_f64 v[87:88], v[22:23], v[78:79]
	;; [unrolled: 1-line block ×7, first 2 shown]
	s_mov_b32 s6, -1
	v_cvt_f32_f64_e32 v99, v[85:86]
	v_cvt_f32_f64_e32 v87, v[87:88]
	;; [unrolled: 1-line block ×4, first 2 shown]
	v_add_f64 v[85:86], v[2:3], v[74:75]
	v_cvt_f32_f64_e32 v90, v[95:96]
	v_cvt_f32_f64_e32 v91, v[93:94]
	;; [unrolled: 1-line block ×3, first 2 shown]
	v_min3_f32 v87, v99, v87, v208
	v_min_f32_e32 v88, v88, v89
	v_cvt_f32_f64_e32 v85, v[85:86]
	v_min3_f32 v84, v84, v88, v87
	v_add_co_u32 v88, vcc_lo, v80, v160
	v_add_co_ci_u32_e64 v89, null, v81, v161, vcc_lo
	v_cvt_f64_f32_e32 v[86:87], v84
	v_min3_f32 v84, v90, v91, v227
	s_mov_b32 vcc_lo, s0
	v_min3_f32 v84, v92, v85, v84
	v_max_f32_e32 v85, v84, v84
	global_store_dwordx2 v[88:89], v[86:87], off
	s_cbranch_vccz .LBB162_113
; %bb.112:
	v_min_f32_e32 v84, 0, v85
	v_add_co_u32 v88, vcc_lo, v80, v166
	v_add_co_ci_u32_e64 v89, null, v81, v167, vcc_lo
	v_cvt_f64_f32_e32 v[86:87], v84
	s_mov_b32 s6, 0
	global_store_dwordx2 v[88:89], v[86:87], off
.LBB162_113:
	v_mov_b32_e32 v84, 0
	s_andn2_b32 vcc_lo, exec_lo, s6
	s_cbranch_vccnz .LBB162_115
; %bb.114:
	v_add_co_u32 v86, vcc_lo, v82, v166
	v_add_co_ci_u32_e64 v87, null, v83, v167, vcc_lo
	global_load_dwordx2 v[86:87], v[86:87], off
	s_waitcnt vmcnt(0)
	v_mul_f64 v[86:87], s[12:13], v[86:87]
	v_cvt_f32_f64_e32 v84, v[86:87]
	v_add_co_u32 v86, vcc_lo, v80, v166
	v_add_co_ci_u32_e64 v87, null, v81, v167, vcc_lo
	v_add_co_u32 v82, vcc_lo, v82, v164
	v_add_co_ci_u32_e64 v83, null, v83, v165, vcc_lo
	v_min_f32_e32 v84, v84, v85
	v_cvt_f64_f32_e32 v[84:85], v84
	global_store_dwordx2 v[86:87], v[84:85], off
	global_load_dwordx2 v[82:83], v[82:83], off
	s_waitcnt vmcnt(0)
	v_mul_f64 v[82:83], s[12:13], v[82:83]
	v_cvt_f32_f64_e32 v84, v[82:83]
.LBB162_115:
	v_add_f64 v[76:77], v[4:5], v[76:77]
	v_add_f64 v[78:79], v[6:7], v[78:79]
	;; [unrolled: 1-line block ×4, first 2 shown]
	s_waitcnt lgkmcnt(9)
	v_add_f64 v[82:83], v[30:31], v[70:71]
	v_add_f64 v[85:86], v[28:29], v[68:69]
	v_add_co_u32 v80, vcc_lo, v80, v164
	v_add_co_ci_u32_e64 v81, null, v81, v165, vcc_lo
	s_mov_b32 s6, -1
	v_cvt_f32_f64_e32 v76, v[76:77]
	v_cvt_f32_f64_e32 v77, v[78:79]
	v_cvt_f32_f64_e32 v78, v[72:73]
	v_cvt_f32_f64_e32 v79, v[74:75]
	s_waitcnt lgkmcnt(8)
	v_add_f64 v[72:73], v[24:25], v[64:65]
	v_add_f64 v[74:75], v[26:27], v[66:67]
	v_cvt_f32_f64_e32 v85, v[85:86]
	v_cvt_f32_f64_e32 v82, v[82:83]
	v_add_nc_u32_e32 v83, 0x58, v168
	v_min3_f32 v76, v76, v77, v194
	v_min_f32_e32 v77, v78, v79
	v_cvt_f32_f64_e32 v86, v[72:73]
	v_cvt_f32_f64_e32 v87, v[74:75]
	v_mad_i64_i32 v[72:73], null, v83, s8, 0
	v_min3_f32 v74, v84, v77, v76
	v_min3_f32 v76, v85, v82, v193
	v_cvt_f64_f32_e32 v[78:79], v74
	v_mad_i64_i32 v[74:75], null, v83, s1, 0
	v_lshlrev_b64 v[72:73], 3, v[72:73]
	v_add_co_u32 v72, vcc_lo, s4, v72
	v_lshlrev_b64 v[74:75], 3, v[74:75]
	v_add_co_ci_u32_e64 v73, null, s5, v73, vcc_lo
	v_min3_f32 v76, v86, v87, v76
	v_add_co_u32 v74, vcc_lo, s2, v74
	v_add_co_ci_u32_e64 v75, null, s3, v75, vcc_lo
	v_max_f32_e32 v77, v76, v76
	s_mov_b32 vcc_lo, s0
	global_store_dwordx2 v[80:81], v[78:79], off
	s_cbranch_vccz .LBB162_117
; %bb.116:
	v_min_f32_e32 v76, 0, v77
	v_add_co_u32 v80, vcc_lo, v72, v162
	v_add_co_ci_u32_e64 v81, null, v73, v163, vcc_lo
	v_cvt_f64_f32_e32 v[78:79], v76
	s_mov_b32 s6, 0
	global_store_dwordx2 v[80:81], v[78:79], off
.LBB162_117:
	v_mov_b32_e32 v76, 0
	s_andn2_b32 vcc_lo, exec_lo, s6
	s_cbranch_vccnz .LBB162_119
; %bb.118:
	v_add_co_u32 v78, vcc_lo, v74, v162
	v_add_co_ci_u32_e64 v79, null, v75, v163, vcc_lo
	global_load_dwordx2 v[78:79], v[78:79], off
	s_waitcnt vmcnt(0)
	v_mul_f64 v[78:79], s[12:13], v[78:79]
	v_cvt_f32_f64_e32 v76, v[78:79]
	v_add_co_u32 v78, vcc_lo, v72, v162
	v_add_co_ci_u32_e64 v79, null, v73, v163, vcc_lo
	v_add_co_u32 v80, vcc_lo, v74, v160
	v_add_co_ci_u32_e64 v81, null, v75, v161, vcc_lo
	v_min_f32_e32 v76, v76, v77
	v_cvt_f64_f32_e32 v[76:77], v76
	global_store_dwordx2 v[78:79], v[76:77], off
	global_load_dwordx2 v[76:77], v[80:81], off
	s_waitcnt vmcnt(0)
	v_mul_f64 v[76:77], s[12:13], v[76:77]
	v_cvt_f32_f64_e32 v76, v[76:77]
.LBB162_119:
	v_add_f64 v[77:78], v[20:21], v[68:69]
	v_add_f64 v[79:80], v[22:23], v[70:71]
	;; [unrolled: 1-line block ×7, first 2 shown]
	s_mov_b32 s6, -1
	v_cvt_f32_f64_e32 v91, v[77:78]
	v_cvt_f32_f64_e32 v79, v[79:80]
	;; [unrolled: 1-line block ×4, first 2 shown]
	v_add_f64 v[77:78], v[2:3], v[66:67]
	v_cvt_f32_f64_e32 v82, v[87:88]
	v_cvt_f32_f64_e32 v83, v[85:86]
	;; [unrolled: 1-line block ×3, first 2 shown]
	v_min3_f32 v79, v91, v79, v214
	v_min_f32_e32 v80, v80, v81
	v_cvt_f32_f64_e32 v77, v[77:78]
	v_min3_f32 v76, v76, v80, v79
	v_add_co_u32 v80, vcc_lo, v72, v160
	v_add_co_ci_u32_e64 v81, null, v73, v161, vcc_lo
	v_cvt_f64_f32_e32 v[78:79], v76
	v_min3_f32 v76, v82, v83, v209
	s_mov_b32 vcc_lo, s0
	v_min3_f32 v76, v84, v77, v76
	v_max_f32_e32 v77, v76, v76
	global_store_dwordx2 v[80:81], v[78:79], off
	s_cbranch_vccz .LBB162_121
; %bb.120:
	v_min_f32_e32 v76, 0, v77
	v_add_co_u32 v80, vcc_lo, v72, v166
	v_add_co_ci_u32_e64 v81, null, v73, v167, vcc_lo
	v_cvt_f64_f32_e32 v[78:79], v76
	s_mov_b32 s6, 0
	global_store_dwordx2 v[80:81], v[78:79], off
.LBB162_121:
	v_mov_b32_e32 v76, 0
	s_andn2_b32 vcc_lo, exec_lo, s6
	s_cbranch_vccnz .LBB162_123
; %bb.122:
	v_add_co_u32 v78, vcc_lo, v74, v166
	v_add_co_ci_u32_e64 v79, null, v75, v167, vcc_lo
	global_load_dwordx2 v[78:79], v[78:79], off
	s_waitcnt vmcnt(0)
	v_mul_f64 v[78:79], s[12:13], v[78:79]
	v_cvt_f32_f64_e32 v76, v[78:79]
	v_add_co_u32 v78, vcc_lo, v72, v166
	v_add_co_ci_u32_e64 v79, null, v73, v167, vcc_lo
	v_add_co_u32 v74, vcc_lo, v74, v164
	v_add_co_ci_u32_e64 v75, null, v75, v165, vcc_lo
	v_min_f32_e32 v76, v76, v77
	v_cvt_f64_f32_e32 v[76:77], v76
	global_store_dwordx2 v[78:79], v[76:77], off
	global_load_dwordx2 v[74:75], v[74:75], off
	s_waitcnt vmcnt(0)
	v_mul_f64 v[74:75], s[12:13], v[74:75]
	v_cvt_f32_f64_e32 v76, v[74:75]
.LBB162_123:
	v_add_f64 v[68:69], v[4:5], v[68:69]
	v_add_f64 v[70:71], v[6:7], v[70:71]
	;; [unrolled: 1-line block ×4, first 2 shown]
	s_waitcnt lgkmcnt(7)
	v_add_f64 v[74:75], v[30:31], v[62:63]
	v_add_f64 v[77:78], v[28:29], v[60:61]
	v_add_co_u32 v72, vcc_lo, v72, v164
	v_add_co_ci_u32_e64 v73, null, v73, v165, vcc_lo
	s_mov_b32 s6, -1
	v_cvt_f32_f64_e32 v68, v[68:69]
	v_cvt_f32_f64_e32 v69, v[70:71]
	;; [unrolled: 1-line block ×4, first 2 shown]
	s_waitcnt lgkmcnt(6)
	v_add_f64 v[64:65], v[24:25], v[56:57]
	v_add_f64 v[66:67], v[26:27], v[58:59]
	v_cvt_f32_f64_e32 v77, v[77:78]
	v_cvt_f32_f64_e32 v74, v[74:75]
	v_add_nc_u32_e32 v75, 0x60, v168
	v_min3_f32 v68, v68, v69, v207
	v_min_f32_e32 v69, v70, v71
	v_cvt_f32_f64_e32 v78, v[64:65]
	v_cvt_f32_f64_e32 v79, v[66:67]
	v_mad_i64_i32 v[64:65], null, v75, s8, 0
	v_min3_f32 v66, v76, v69, v68
	v_min3_f32 v68, v77, v74, v206
	v_cvt_f64_f32_e32 v[70:71], v66
	v_mad_i64_i32 v[66:67], null, v75, s1, 0
	v_lshlrev_b64 v[64:65], 3, v[64:65]
	v_add_co_u32 v64, vcc_lo, s4, v64
	v_lshlrev_b64 v[66:67], 3, v[66:67]
	v_add_co_ci_u32_e64 v65, null, s5, v65, vcc_lo
	v_min3_f32 v68, v78, v79, v68
	v_add_co_u32 v66, vcc_lo, s2, v66
	v_add_co_ci_u32_e64 v67, null, s3, v67, vcc_lo
	v_max_f32_e32 v69, v68, v68
	s_mov_b32 vcc_lo, s0
	global_store_dwordx2 v[72:73], v[70:71], off
	s_cbranch_vccz .LBB162_125
; %bb.124:
	v_min_f32_e32 v68, 0, v69
	v_add_co_u32 v72, vcc_lo, v64, v162
	v_add_co_ci_u32_e64 v73, null, v65, v163, vcc_lo
	v_cvt_f64_f32_e32 v[70:71], v68
	s_mov_b32 s6, 0
	global_store_dwordx2 v[72:73], v[70:71], off
.LBB162_125:
	v_mov_b32_e32 v68, 0
	s_andn2_b32 vcc_lo, exec_lo, s6
	s_cbranch_vccnz .LBB162_127
; %bb.126:
	v_add_co_u32 v70, vcc_lo, v66, v162
	v_add_co_ci_u32_e64 v71, null, v67, v163, vcc_lo
	global_load_dwordx2 v[70:71], v[70:71], off
	s_waitcnt vmcnt(0)
	v_mul_f64 v[70:71], s[12:13], v[70:71]
	v_cvt_f32_f64_e32 v68, v[70:71]
	v_add_co_u32 v70, vcc_lo, v64, v162
	v_add_co_ci_u32_e64 v71, null, v65, v163, vcc_lo
	v_add_co_u32 v72, vcc_lo, v66, v160
	v_add_co_ci_u32_e64 v73, null, v67, v161, vcc_lo
	v_min_f32_e32 v68, v68, v69
	v_cvt_f64_f32_e32 v[68:69], v68
	global_store_dwordx2 v[70:71], v[68:69], off
	global_load_dwordx2 v[68:69], v[72:73], off
	s_waitcnt vmcnt(0)
	v_mul_f64 v[68:69], s[12:13], v[68:69]
	v_cvt_f32_f64_e32 v68, v[68:69]
.LBB162_127:
	v_add_f64 v[69:70], v[20:21], v[60:61]
	v_add_f64 v[71:72], v[22:23], v[62:63]
	;; [unrolled: 1-line block ×7, first 2 shown]
	s_mov_b32 s6, -1
	v_cvt_f32_f64_e32 v83, v[69:70]
	v_cvt_f32_f64_e32 v71, v[71:72]
	;; [unrolled: 1-line block ×4, first 2 shown]
	v_add_f64 v[69:70], v[2:3], v[58:59]
	v_cvt_f32_f64_e32 v74, v[79:80]
	v_cvt_f32_f64_e32 v75, v[77:78]
	;; [unrolled: 1-line block ×3, first 2 shown]
	v_min3_f32 v71, v83, v71, v204
	v_min_f32_e32 v72, v72, v73
	v_cvt_f32_f64_e32 v69, v[69:70]
	v_min3_f32 v68, v68, v72, v71
	v_add_co_u32 v72, vcc_lo, v64, v160
	v_add_co_ci_u32_e64 v73, null, v65, v161, vcc_lo
	v_cvt_f64_f32_e32 v[70:71], v68
	v_min3_f32 v68, v74, v75, v205
	s_mov_b32 vcc_lo, s0
	v_min3_f32 v68, v76, v69, v68
	v_max_f32_e32 v69, v68, v68
	global_store_dwordx2 v[72:73], v[70:71], off
	s_cbranch_vccz .LBB162_129
; %bb.128:
	v_min_f32_e32 v68, 0, v69
	v_add_co_u32 v72, vcc_lo, v64, v166
	v_add_co_ci_u32_e64 v73, null, v65, v167, vcc_lo
	v_cvt_f64_f32_e32 v[70:71], v68
	s_mov_b32 s6, 0
	global_store_dwordx2 v[72:73], v[70:71], off
.LBB162_129:
	v_mov_b32_e32 v68, 0
	s_andn2_b32 vcc_lo, exec_lo, s6
	s_cbranch_vccnz .LBB162_131
; %bb.130:
	v_add_co_u32 v70, vcc_lo, v66, v166
	v_add_co_ci_u32_e64 v71, null, v67, v167, vcc_lo
	global_load_dwordx2 v[70:71], v[70:71], off
	s_waitcnt vmcnt(0)
	v_mul_f64 v[70:71], s[12:13], v[70:71]
	v_cvt_f32_f64_e32 v68, v[70:71]
	v_add_co_u32 v70, vcc_lo, v64, v166
	v_add_co_ci_u32_e64 v71, null, v65, v167, vcc_lo
	v_add_co_u32 v66, vcc_lo, v66, v164
	v_add_co_ci_u32_e64 v67, null, v67, v165, vcc_lo
	v_min_f32_e32 v68, v68, v69
	v_cvt_f64_f32_e32 v[68:69], v68
	global_store_dwordx2 v[70:71], v[68:69], off
	global_load_dwordx2 v[66:67], v[66:67], off
	s_waitcnt vmcnt(0)
	v_mul_f64 v[66:67], s[12:13], v[66:67]
	v_cvt_f32_f64_e32 v68, v[66:67]
.LBB162_131:
	v_add_f64 v[60:61], v[4:5], v[60:61]
	v_add_f64 v[62:63], v[6:7], v[62:63]
	;; [unrolled: 1-line block ×4, first 2 shown]
	s_waitcnt lgkmcnt(5)
	v_add_f64 v[66:67], v[30:31], v[54:55]
	v_add_f64 v[69:70], v[28:29], v[52:53]
	v_add_co_u32 v64, vcc_lo, v64, v164
	v_add_co_ci_u32_e64 v65, null, v65, v165, vcc_lo
	s_mov_b32 s6, -1
	v_cvt_f32_f64_e32 v60, v[60:61]
	v_cvt_f32_f64_e32 v61, v[62:63]
	;; [unrolled: 1-line block ×4, first 2 shown]
	s_waitcnt lgkmcnt(4)
	v_add_f64 v[56:57], v[24:25], v[48:49]
	v_add_f64 v[58:59], v[26:27], v[50:51]
	v_cvt_f32_f64_e32 v69, v[69:70]
	v_cvt_f32_f64_e32 v66, v[66:67]
	v_add_nc_u32_e32 v67, 0x68, v168
	v_min3_f32 v60, v60, v61, v203
	v_min_f32_e32 v61, v62, v63
	v_cvt_f32_f64_e32 v70, v[56:57]
	v_cvt_f32_f64_e32 v71, v[58:59]
	v_mad_i64_i32 v[56:57], null, v67, s8, 0
	v_min3_f32 v58, v68, v61, v60
	v_min3_f32 v60, v69, v66, v202
	v_cvt_f64_f32_e32 v[62:63], v58
	v_mad_i64_i32 v[58:59], null, v67, s1, 0
	v_lshlrev_b64 v[56:57], 3, v[56:57]
	v_add_co_u32 v56, vcc_lo, s4, v56
	v_lshlrev_b64 v[58:59], 3, v[58:59]
	v_add_co_ci_u32_e64 v57, null, s5, v57, vcc_lo
	v_min3_f32 v60, v70, v71, v60
	v_add_co_u32 v58, vcc_lo, s2, v58
	v_add_co_ci_u32_e64 v59, null, s3, v59, vcc_lo
	v_max_f32_e32 v61, v60, v60
	s_mov_b32 vcc_lo, s0
	global_store_dwordx2 v[64:65], v[62:63], off
	s_cbranch_vccz .LBB162_133
; %bb.132:
	v_min_f32_e32 v60, 0, v61
	v_add_co_u32 v64, vcc_lo, v56, v162
	v_add_co_ci_u32_e64 v65, null, v57, v163, vcc_lo
	v_cvt_f64_f32_e32 v[62:63], v60
	s_mov_b32 s6, 0
	global_store_dwordx2 v[64:65], v[62:63], off
.LBB162_133:
	v_mov_b32_e32 v60, 0
	s_andn2_b32 vcc_lo, exec_lo, s6
	s_cbranch_vccnz .LBB162_135
; %bb.134:
	v_add_co_u32 v62, vcc_lo, v58, v162
	v_add_co_ci_u32_e64 v63, null, v59, v163, vcc_lo
	global_load_dwordx2 v[62:63], v[62:63], off
	s_waitcnt vmcnt(0)
	v_mul_f64 v[62:63], s[12:13], v[62:63]
	v_cvt_f32_f64_e32 v60, v[62:63]
	v_add_co_u32 v62, vcc_lo, v56, v162
	v_add_co_ci_u32_e64 v63, null, v57, v163, vcc_lo
	v_add_co_u32 v64, vcc_lo, v58, v160
	v_add_co_ci_u32_e64 v65, null, v59, v161, vcc_lo
	v_min_f32_e32 v60, v60, v61
	v_cvt_f64_f32_e32 v[60:61], v60
	global_store_dwordx2 v[62:63], v[60:61], off
	global_load_dwordx2 v[60:61], v[64:65], off
	s_waitcnt vmcnt(0)
	v_mul_f64 v[60:61], s[12:13], v[60:61]
	v_cvt_f32_f64_e32 v60, v[60:61]
.LBB162_135:
	v_add_f64 v[61:62], v[20:21], v[52:53]
	v_add_f64 v[63:64], v[22:23], v[54:55]
	;; [unrolled: 1-line block ×7, first 2 shown]
	s_mov_b32 s6, -1
	v_cvt_f32_f64_e32 v75, v[61:62]
	v_cvt_f32_f64_e32 v63, v[63:64]
	v_cvt_f32_f64_e32 v64, v[65:66]
	v_cvt_f32_f64_e32 v65, v[67:68]
	v_add_f64 v[61:62], v[2:3], v[50:51]
	v_cvt_f32_f64_e32 v66, v[71:72]
	v_cvt_f32_f64_e32 v67, v[69:70]
	;; [unrolled: 1-line block ×3, first 2 shown]
	v_min3_f32 v63, v75, v63, v200
	v_min_f32_e32 v64, v64, v65
	v_cvt_f32_f64_e32 v61, v[61:62]
	v_min3_f32 v60, v60, v64, v63
	v_add_co_u32 v64, vcc_lo, v56, v160
	v_add_co_ci_u32_e64 v65, null, v57, v161, vcc_lo
	v_cvt_f64_f32_e32 v[62:63], v60
	v_min3_f32 v60, v66, v67, v201
	s_mov_b32 vcc_lo, s0
	v_min3_f32 v60, v68, v61, v60
	v_max_f32_e32 v61, v60, v60
	global_store_dwordx2 v[64:65], v[62:63], off
	s_cbranch_vccz .LBB162_137
; %bb.136:
	v_min_f32_e32 v60, 0, v61
	v_add_co_u32 v64, vcc_lo, v56, v166
	v_add_co_ci_u32_e64 v65, null, v57, v167, vcc_lo
	v_cvt_f64_f32_e32 v[62:63], v60
	s_mov_b32 s6, 0
	global_store_dwordx2 v[64:65], v[62:63], off
.LBB162_137:
	v_mov_b32_e32 v60, 0
	s_andn2_b32 vcc_lo, exec_lo, s6
	s_cbranch_vccnz .LBB162_139
; %bb.138:
	v_add_co_u32 v62, vcc_lo, v58, v166
	v_add_co_ci_u32_e64 v63, null, v59, v167, vcc_lo
	global_load_dwordx2 v[62:63], v[62:63], off
	s_waitcnt vmcnt(0)
	v_mul_f64 v[62:63], s[12:13], v[62:63]
	v_cvt_f32_f64_e32 v60, v[62:63]
	v_add_co_u32 v62, vcc_lo, v56, v166
	v_add_co_ci_u32_e64 v63, null, v57, v167, vcc_lo
	v_add_co_u32 v58, vcc_lo, v58, v164
	v_add_co_ci_u32_e64 v59, null, v59, v165, vcc_lo
	v_min_f32_e32 v60, v60, v61
	v_cvt_f64_f32_e32 v[60:61], v60
	global_store_dwordx2 v[62:63], v[60:61], off
	global_load_dwordx2 v[58:59], v[58:59], off
	s_waitcnt vmcnt(0)
	v_mul_f64 v[58:59], s[12:13], v[58:59]
	v_cvt_f32_f64_e32 v60, v[58:59]
.LBB162_139:
	v_add_f64 v[52:53], v[4:5], v[52:53]
	v_add_f64 v[54:55], v[6:7], v[54:55]
	;; [unrolled: 1-line block ×4, first 2 shown]
	s_waitcnt lgkmcnt(3)
	v_add_f64 v[58:59], v[30:31], v[46:47]
	v_add_f64 v[61:62], v[28:29], v[44:45]
	v_add_co_u32 v56, vcc_lo, v56, v164
	v_add_co_ci_u32_e64 v57, null, v57, v165, vcc_lo
	s_mov_b32 s6, -1
	v_cvt_f32_f64_e32 v52, v[52:53]
	v_cvt_f32_f64_e32 v53, v[54:55]
	v_cvt_f32_f64_e32 v54, v[48:49]
	v_cvt_f32_f64_e32 v55, v[50:51]
	s_waitcnt lgkmcnt(2)
	v_add_f64 v[48:49], v[24:25], v[40:41]
	v_add_f64 v[50:51], v[26:27], v[42:43]
	v_cvt_f32_f64_e32 v61, v[61:62]
	v_cvt_f32_f64_e32 v58, v[58:59]
	v_add_nc_u32_e32 v59, 0x70, v168
	v_min3_f32 v52, v52, v53, v190
	v_min_f32_e32 v53, v54, v55
	v_cvt_f32_f64_e32 v62, v[48:49]
	v_cvt_f32_f64_e32 v63, v[50:51]
	v_mad_i64_i32 v[48:49], null, v59, s8, 0
	v_min3_f32 v50, v60, v53, v52
	v_min3_f32 v52, v61, v58, v189
	v_cvt_f64_f32_e32 v[54:55], v50
	v_mad_i64_i32 v[50:51], null, v59, s1, 0
	v_lshlrev_b64 v[48:49], 3, v[48:49]
	v_add_co_u32 v48, vcc_lo, s4, v48
	v_lshlrev_b64 v[50:51], 3, v[50:51]
	v_add_co_ci_u32_e64 v49, null, s5, v49, vcc_lo
	v_min3_f32 v52, v62, v63, v52
	v_add_co_u32 v50, vcc_lo, s2, v50
	v_add_co_ci_u32_e64 v51, null, s3, v51, vcc_lo
	v_max_f32_e32 v53, v52, v52
	s_mov_b32 vcc_lo, s0
	global_store_dwordx2 v[56:57], v[54:55], off
	s_cbranch_vccz .LBB162_141
; %bb.140:
	v_min_f32_e32 v52, 0, v53
	v_add_co_u32 v56, vcc_lo, v48, v162
	v_add_co_ci_u32_e64 v57, null, v49, v163, vcc_lo
	v_cvt_f64_f32_e32 v[54:55], v52
	s_mov_b32 s6, 0
	global_store_dwordx2 v[56:57], v[54:55], off
.LBB162_141:
	v_mov_b32_e32 v52, 0
	s_andn2_b32 vcc_lo, exec_lo, s6
	s_cbranch_vccnz .LBB162_143
; %bb.142:
	v_add_co_u32 v54, vcc_lo, v50, v162
	v_add_co_ci_u32_e64 v55, null, v51, v163, vcc_lo
	global_load_dwordx2 v[54:55], v[54:55], off
	s_waitcnt vmcnt(0)
	v_mul_f64 v[54:55], s[12:13], v[54:55]
	v_cvt_f32_f64_e32 v52, v[54:55]
	v_add_co_u32 v54, vcc_lo, v48, v162
	v_add_co_ci_u32_e64 v55, null, v49, v163, vcc_lo
	v_add_co_u32 v56, vcc_lo, v50, v160
	v_add_co_ci_u32_e64 v57, null, v51, v161, vcc_lo
	v_min_f32_e32 v52, v52, v53
	v_cvt_f64_f32_e32 v[52:53], v52
	global_store_dwordx2 v[54:55], v[52:53], off
	global_load_dwordx2 v[52:53], v[56:57], off
	s_waitcnt vmcnt(0)
	v_mul_f64 v[52:53], s[12:13], v[52:53]
	v_cvt_f32_f64_e32 v52, v[52:53]
.LBB162_143:
	v_add_f64 v[53:54], v[20:21], v[44:45]
	v_add_f64 v[55:56], v[22:23], v[46:47]
	;; [unrolled: 1-line block ×7, first 2 shown]
	s_mov_b32 s6, -1
	v_cvt_f32_f64_e32 v67, v[53:54]
	v_cvt_f32_f64_e32 v55, v[55:56]
	;; [unrolled: 1-line block ×4, first 2 shown]
	v_add_f64 v[53:54], v[2:3], v[42:43]
	v_cvt_f32_f64_e32 v58, v[63:64]
	v_cvt_f32_f64_e32 v59, v[61:62]
	;; [unrolled: 1-line block ×3, first 2 shown]
	v_min3_f32 v55, v67, v55, v186
	v_min_f32_e32 v56, v56, v57
	v_cvt_f32_f64_e32 v53, v[53:54]
	v_min3_f32 v52, v52, v56, v55
	v_add_co_u32 v56, vcc_lo, v48, v160
	v_add_co_ci_u32_e64 v57, null, v49, v161, vcc_lo
	v_cvt_f64_f32_e32 v[54:55], v52
	v_min3_f32 v52, v58, v59, v187
	s_mov_b32 vcc_lo, s0
	v_min3_f32 v52, v60, v53, v52
	v_max_f32_e32 v53, v52, v52
	global_store_dwordx2 v[56:57], v[54:55], off
	s_cbranch_vccz .LBB162_145
; %bb.144:
	v_min_f32_e32 v52, 0, v53
	v_add_co_u32 v56, vcc_lo, v48, v166
	v_add_co_ci_u32_e64 v57, null, v49, v167, vcc_lo
	v_cvt_f64_f32_e32 v[54:55], v52
	s_mov_b32 s6, 0
	global_store_dwordx2 v[56:57], v[54:55], off
.LBB162_145:
	v_mov_b32_e32 v52, 0
	s_andn2_b32 vcc_lo, exec_lo, s6
	s_cbranch_vccnz .LBB162_147
; %bb.146:
	v_add_co_u32 v54, vcc_lo, v50, v166
	v_add_co_ci_u32_e64 v55, null, v51, v167, vcc_lo
	global_load_dwordx2 v[54:55], v[54:55], off
	s_waitcnt vmcnt(0)
	v_mul_f64 v[54:55], s[12:13], v[54:55]
	v_cvt_f32_f64_e32 v52, v[54:55]
	v_add_co_u32 v54, vcc_lo, v48, v166
	v_add_co_ci_u32_e64 v55, null, v49, v167, vcc_lo
	v_add_co_u32 v50, vcc_lo, v50, v164
	v_add_co_ci_u32_e64 v51, null, v51, v165, vcc_lo
	v_min_f32_e32 v52, v52, v53
	v_cvt_f64_f32_e32 v[52:53], v52
	global_store_dwordx2 v[54:55], v[52:53], off
	global_load_dwordx2 v[50:51], v[50:51], off
	s_waitcnt vmcnt(0)
	v_mul_f64 v[50:51], s[12:13], v[50:51]
	v_cvt_f32_f64_e32 v52, v[50:51]
.LBB162_147:
	v_add_f64 v[44:45], v[4:5], v[44:45]
	v_add_f64 v[46:47], v[6:7], v[46:47]
	;; [unrolled: 1-line block ×4, first 2 shown]
	s_waitcnt lgkmcnt(1)
	v_add_f64 v[30:31], v[30:31], v[34:35]
	v_add_f64 v[28:29], v[28:29], v[32:33]
	s_waitcnt lgkmcnt(0)
	v_add_f64 v[24:25], v[24:25], v[36:37]
	v_add_f64 v[26:27], v[26:27], v[38:39]
	v_cvt_f32_f64_e32 v44, v[44:45]
	v_cvt_f32_f64_e32 v45, v[46:47]
	v_cvt_f32_f64_e32 v40, v[40:41]
	v_cvt_f32_f64_e32 v41, v[42:43]
	v_cvt_f32_f64_e32 v28, v[28:29]
	v_cvt_f32_f64_e32 v29, v[30:31]
	v_cvt_f32_f64_e32 v42, v[24:25]
	v_cvt_f32_f64_e32 v43, v[26:27]
	v_min3_f32 v30, v44, v45, v185
	v_min_f32_e32 v31, v40, v41
	v_add_nc_u32_e32 v40, 0x78, v168
	v_min3_f32 v28, v28, v29, v184
	v_min3_f32 v26, v52, v31, v30
	v_mad_i64_i32 v[24:25], null, v40, s8, 0
	v_min3_f32 v28, v42, v43, v28
	v_cvt_f64_f32_e32 v[30:31], v26
	v_mad_i64_i32 v[26:27], null, v40, s1, 0
	v_add_co_u32 v40, vcc_lo, v48, v164
	v_lshlrev_b64 v[24:25], 3, v[24:25]
	v_add_co_ci_u32_e64 v41, null, v49, v165, vcc_lo
	v_max_f32_e32 v29, v28, v28
	v_lshlrev_b64 v[26:27], 3, v[26:27]
	s_mov_b32 s1, -1
	v_add_co_u32 v24, vcc_lo, s4, v24
	v_add_co_ci_u32_e64 v25, null, s5, v25, vcc_lo
	v_add_co_u32 v26, vcc_lo, s2, v26
	v_add_co_ci_u32_e64 v27, null, s3, v27, vcc_lo
	s_mov_b32 vcc_lo, s0
	global_store_dwordx2 v[40:41], v[30:31], off
	s_cbranch_vccz .LBB162_149
; %bb.148:
	v_min_f32_e32 v28, 0, v29
	v_add_co_u32 v40, vcc_lo, v24, v162
	v_add_co_ci_u32_e64 v41, null, v25, v163, vcc_lo
	v_cvt_f64_f32_e32 v[30:31], v28
	s_mov_b32 s1, 0
	global_store_dwordx2 v[40:41], v[30:31], off
.LBB162_149:
	v_mov_b32_e32 v28, 0
	s_andn2_b32 vcc_lo, exec_lo, s1
	s_cbranch_vccnz .LBB162_151
; %bb.150:
	v_add_co_u32 v30, vcc_lo, v26, v162
	v_add_co_ci_u32_e64 v31, null, v27, v163, vcc_lo
	global_load_dwordx2 v[30:31], v[30:31], off
	s_waitcnt vmcnt(0)
	v_mul_f64 v[30:31], s[12:13], v[30:31]
	v_cvt_f32_f64_e32 v28, v[30:31]
	v_add_co_u32 v30, vcc_lo, v24, v162
	v_add_co_ci_u32_e64 v31, null, v25, v163, vcc_lo
	v_add_co_u32 v40, vcc_lo, v26, v160
	v_add_co_ci_u32_e64 v41, null, v27, v161, vcc_lo
	v_min_f32_e32 v28, v28, v29
	v_cvt_f64_f32_e32 v[28:29], v28
	global_store_dwordx2 v[30:31], v[28:29], off
	global_load_dwordx2 v[28:29], v[40:41], off
	s_waitcnt vmcnt(0)
	v_mul_f64 v[28:29], s[12:13], v[28:29]
	v_cvt_f32_f64_e32 v28, v[28:29]
.LBB162_151:
	v_add_f64 v[20:21], v[20:21], v[32:33]
	v_add_f64 v[22:23], v[22:23], v[34:35]
	;; [unrolled: 1-line block ×8, first 2 shown]
	s_mov_b32 s1, -1
	v_cvt_f32_f64_e32 v20, v[20:21]
	v_cvt_f32_f64_e32 v21, v[22:23]
	;; [unrolled: 1-line block ×8, first 2 shown]
	v_min3_f32 v1, v20, v21, v183
	v_min_f32_e32 v10, v12, v13
	v_min3_f32 v1, v28, v10, v1
	v_cvt_f64_f32_e32 v[2:3], v1
	v_min3_f32 v1, v8, v9, v182
	v_add_co_u32 v8, vcc_lo, v24, v160
	v_add_co_ci_u32_e64 v9, null, v25, v161, vcc_lo
	v_min3_f32 v0, v0, v11, v1
	s_mov_b32 vcc_lo, s0
	v_max_f32_e32 v1, v0, v0
	global_store_dwordx2 v[8:9], v[2:3], off
	s_cbranch_vccz .LBB162_153
; %bb.152:
	v_min_f32_e32 v0, 0, v1
	v_add_co_u32 v8, vcc_lo, v24, v166
	v_add_co_ci_u32_e64 v9, null, v25, v167, vcc_lo
	v_cvt_f64_f32_e32 v[2:3], v0
	s_mov_b32 s1, 0
	global_store_dwordx2 v[8:9], v[2:3], off
.LBB162_153:
	v_mov_b32_e32 v0, 0
	s_andn2_b32 vcc_lo, exec_lo, s1
	s_cbranch_vccnz .LBB162_155
; %bb.154:
	v_add_co_u32 v2, vcc_lo, v26, v166
	v_add_co_ci_u32_e64 v3, null, v27, v167, vcc_lo
	global_load_dwordx2 v[2:3], v[2:3], off
	s_waitcnt vmcnt(0)
	v_mul_f64 v[2:3], s[12:13], v[2:3]
	v_cvt_f32_f64_e32 v0, v[2:3]
	v_add_co_u32 v2, vcc_lo, v24, v166
	v_add_co_ci_u32_e64 v3, null, v25, v167, vcc_lo
	v_add_co_u32 v8, vcc_lo, v26, v164
	v_add_co_ci_u32_e64 v9, null, v27, v165, vcc_lo
	v_min_f32_e32 v0, v0, v1
	v_cvt_f64_f32_e32 v[0:1], v0
	global_store_dwordx2 v[2:3], v[0:1], off
	global_load_dwordx2 v[0:1], v[8:9], off
	s_waitcnt vmcnt(0)
	v_mul_f64 v[0:1], s[12:13], v[0:1]
	v_cvt_f32_f64_e32 v0, v[0:1]
.LBB162_155:
	v_add_f64 v[1:2], v[16:17], v[36:37]
	v_add_f64 v[8:9], v[18:19], v[38:39]
	;; [unrolled: 1-line block ×4, first 2 shown]
	v_cvt_f32_f64_e32 v1, v[1:2]
	v_cvt_f32_f64_e32 v2, v[8:9]
	;; [unrolled: 1-line block ×4, first 2 shown]
	v_min_f32_e32 v1, v1, v2
	v_min3_f32 v2, v3, v4, v181
	v_min3_f32 v0, v0, v1, v2
	v_add_co_u32 v2, vcc_lo, v24, v164
	v_add_co_ci_u32_e64 v3, null, v25, v165, vcc_lo
	v_cvt_f64_f32_e32 v[0:1], v0
	global_store_dwordx2 v[2:3], v[0:1], off
	s_endpgm
	.section	.rodata,"a",@progbits
	.p2align	6, 0x0
	.amdhsa_kernel _ZN12_GLOBAL__N_120geam_min_plus_kernelId15HIP_vector_typeIdLj2EEdLi32ELi8ELi128ELi128ELi4ELi4ELi64ELi4ELi64ELc84ELc78ELb0ELb0ELb1EPKdS3_dEEviiiT16_PT17_ilS7_ilS5_S7_ilPT18_ili26rocblas_geam_ex_operation_
		.amdhsa_group_segment_fixed_size 16384
		.amdhsa_private_segment_fixed_size 184
		.amdhsa_kernarg_size 136
		.amdhsa_user_sgpr_count 6
		.amdhsa_user_sgpr_private_segment_buffer 1
		.amdhsa_user_sgpr_dispatch_ptr 0
		.amdhsa_user_sgpr_queue_ptr 0
		.amdhsa_user_sgpr_kernarg_segment_ptr 1
		.amdhsa_user_sgpr_dispatch_id 0
		.amdhsa_user_sgpr_flat_scratch_init 0
		.amdhsa_user_sgpr_private_segment_size 0
		.amdhsa_wavefront_size32 1
		.amdhsa_uses_dynamic_stack 0
		.amdhsa_system_sgpr_private_segment_wavefront_offset 1
		.amdhsa_system_sgpr_workgroup_id_x 1
		.amdhsa_system_sgpr_workgroup_id_y 0
		.amdhsa_system_sgpr_workgroup_id_z 1
		.amdhsa_system_sgpr_workgroup_info 0
		.amdhsa_system_vgpr_workitem_id 1
		.amdhsa_next_free_vgpr 256
		.amdhsa_next_free_sgpr 32
		.amdhsa_reserve_vcc 1
		.amdhsa_reserve_flat_scratch 0
		.amdhsa_float_round_mode_32 0
		.amdhsa_float_round_mode_16_64 0
		.amdhsa_float_denorm_mode_32 3
		.amdhsa_float_denorm_mode_16_64 3
		.amdhsa_dx10_clamp 1
		.amdhsa_ieee_mode 1
		.amdhsa_fp16_overflow 0
		.amdhsa_workgroup_processor_mode 1
		.amdhsa_memory_ordered 1
		.amdhsa_forward_progress 1
		.amdhsa_shared_vgpr_count 0
		.amdhsa_exception_fp_ieee_invalid_op 0
		.amdhsa_exception_fp_denorm_src 0
		.amdhsa_exception_fp_ieee_div_zero 0
		.amdhsa_exception_fp_ieee_overflow 0
		.amdhsa_exception_fp_ieee_underflow 0
		.amdhsa_exception_fp_ieee_inexact 0
		.amdhsa_exception_int_div_zero 0
	.end_amdhsa_kernel
	.section	.text._ZN12_GLOBAL__N_120geam_min_plus_kernelId15HIP_vector_typeIdLj2EEdLi32ELi8ELi128ELi128ELi4ELi4ELi64ELi4ELi64ELc84ELc78ELb0ELb0ELb1EPKdS3_dEEviiiT16_PT17_ilS7_ilS5_S7_ilPT18_ili26rocblas_geam_ex_operation_,"axG",@progbits,_ZN12_GLOBAL__N_120geam_min_plus_kernelId15HIP_vector_typeIdLj2EEdLi32ELi8ELi128ELi128ELi4ELi4ELi64ELi4ELi64ELc84ELc78ELb0ELb0ELb1EPKdS3_dEEviiiT16_PT17_ilS7_ilS5_S7_ilPT18_ili26rocblas_geam_ex_operation_,comdat
.Lfunc_end162:
	.size	_ZN12_GLOBAL__N_120geam_min_plus_kernelId15HIP_vector_typeIdLj2EEdLi32ELi8ELi128ELi128ELi4ELi4ELi64ELi4ELi64ELc84ELc78ELb0ELb0ELb1EPKdS3_dEEviiiT16_PT17_ilS7_ilS5_S7_ilPT18_ili26rocblas_geam_ex_operation_, .Lfunc_end162-_ZN12_GLOBAL__N_120geam_min_plus_kernelId15HIP_vector_typeIdLj2EEdLi32ELi8ELi128ELi128ELi4ELi4ELi64ELi4ELi64ELc84ELc78ELb0ELb0ELb1EPKdS3_dEEviiiT16_PT17_ilS7_ilS5_S7_ilPT18_ili26rocblas_geam_ex_operation_
                                        ; -- End function
	.set _ZN12_GLOBAL__N_120geam_min_plus_kernelId15HIP_vector_typeIdLj2EEdLi32ELi8ELi128ELi128ELi4ELi4ELi64ELi4ELi64ELc84ELc78ELb0ELb0ELb1EPKdS3_dEEviiiT16_PT17_ilS7_ilS5_S7_ilPT18_ili26rocblas_geam_ex_operation_.num_vgpr, 256
	.set _ZN12_GLOBAL__N_120geam_min_plus_kernelId15HIP_vector_typeIdLj2EEdLi32ELi8ELi128ELi128ELi4ELi4ELi64ELi4ELi64ELc84ELc78ELb0ELb0ELb1EPKdS3_dEEviiiT16_PT17_ilS7_ilS5_S7_ilPT18_ili26rocblas_geam_ex_operation_.num_agpr, 0
	.set _ZN12_GLOBAL__N_120geam_min_plus_kernelId15HIP_vector_typeIdLj2EEdLi32ELi8ELi128ELi128ELi4ELi4ELi64ELi4ELi64ELc84ELc78ELb0ELb0ELb1EPKdS3_dEEviiiT16_PT17_ilS7_ilS5_S7_ilPT18_ili26rocblas_geam_ex_operation_.numbered_sgpr, 32
	.set _ZN12_GLOBAL__N_120geam_min_plus_kernelId15HIP_vector_typeIdLj2EEdLi32ELi8ELi128ELi128ELi4ELi4ELi64ELi4ELi64ELc84ELc78ELb0ELb0ELb1EPKdS3_dEEviiiT16_PT17_ilS7_ilS5_S7_ilPT18_ili26rocblas_geam_ex_operation_.num_named_barrier, 0
	.set _ZN12_GLOBAL__N_120geam_min_plus_kernelId15HIP_vector_typeIdLj2EEdLi32ELi8ELi128ELi128ELi4ELi4ELi64ELi4ELi64ELc84ELc78ELb0ELb0ELb1EPKdS3_dEEviiiT16_PT17_ilS7_ilS5_S7_ilPT18_ili26rocblas_geam_ex_operation_.private_seg_size, 184
	.set _ZN12_GLOBAL__N_120geam_min_plus_kernelId15HIP_vector_typeIdLj2EEdLi32ELi8ELi128ELi128ELi4ELi4ELi64ELi4ELi64ELc84ELc78ELb0ELb0ELb1EPKdS3_dEEviiiT16_PT17_ilS7_ilS5_S7_ilPT18_ili26rocblas_geam_ex_operation_.uses_vcc, 1
	.set _ZN12_GLOBAL__N_120geam_min_plus_kernelId15HIP_vector_typeIdLj2EEdLi32ELi8ELi128ELi128ELi4ELi4ELi64ELi4ELi64ELc84ELc78ELb0ELb0ELb1EPKdS3_dEEviiiT16_PT17_ilS7_ilS5_S7_ilPT18_ili26rocblas_geam_ex_operation_.uses_flat_scratch, 0
	.set _ZN12_GLOBAL__N_120geam_min_plus_kernelId15HIP_vector_typeIdLj2EEdLi32ELi8ELi128ELi128ELi4ELi4ELi64ELi4ELi64ELc84ELc78ELb0ELb0ELb1EPKdS3_dEEviiiT16_PT17_ilS7_ilS5_S7_ilPT18_ili26rocblas_geam_ex_operation_.has_dyn_sized_stack, 0
	.set _ZN12_GLOBAL__N_120geam_min_plus_kernelId15HIP_vector_typeIdLj2EEdLi32ELi8ELi128ELi128ELi4ELi4ELi64ELi4ELi64ELc84ELc78ELb0ELb0ELb1EPKdS3_dEEviiiT16_PT17_ilS7_ilS5_S7_ilPT18_ili26rocblas_geam_ex_operation_.has_recursion, 0
	.set _ZN12_GLOBAL__N_120geam_min_plus_kernelId15HIP_vector_typeIdLj2EEdLi32ELi8ELi128ELi128ELi4ELi4ELi64ELi4ELi64ELc84ELc78ELb0ELb0ELb1EPKdS3_dEEviiiT16_PT17_ilS7_ilS5_S7_ilPT18_ili26rocblas_geam_ex_operation_.has_indirect_call, 0
	.section	.AMDGPU.csdata,"",@progbits
; Kernel info:
; codeLenInByte = 28976
; TotalNumSgprs: 34
; NumVgprs: 256
; ScratchSize: 184
; MemoryBound: 0
; FloatMode: 240
; IeeeMode: 1
; LDSByteSize: 16384 bytes/workgroup (compile time only)
; SGPRBlocks: 0
; VGPRBlocks: 31
; NumSGPRsForWavesPerEU: 34
; NumVGPRsForWavesPerEU: 256
; Occupancy: 4
; WaveLimiterHint : 0
; COMPUTE_PGM_RSRC2:SCRATCH_EN: 1
; COMPUTE_PGM_RSRC2:USER_SGPR: 6
; COMPUTE_PGM_RSRC2:TRAP_HANDLER: 0
; COMPUTE_PGM_RSRC2:TGID_X_EN: 1
; COMPUTE_PGM_RSRC2:TGID_Y_EN: 0
; COMPUTE_PGM_RSRC2:TGID_Z_EN: 1
; COMPUTE_PGM_RSRC2:TIDIG_COMP_CNT: 1
	.section	.text._ZN12_GLOBAL__N_120geam_min_plus_kernelId15HIP_vector_typeIdLj2EEdLi32ELi8ELi128ELi128ELi4ELi4ELi64ELi4ELi64ELc84ELc78ELb1ELb0ELb1EdKddEEviiiT16_PT17_ilS6_ilS4_S6_ilPT18_ili26rocblas_geam_ex_operation_,"axG",@progbits,_ZN12_GLOBAL__N_120geam_min_plus_kernelId15HIP_vector_typeIdLj2EEdLi32ELi8ELi128ELi128ELi4ELi4ELi64ELi4ELi64ELc84ELc78ELb1ELb0ELb1EdKddEEviiiT16_PT17_ilS6_ilS4_S6_ilPT18_ili26rocblas_geam_ex_operation_,comdat
	.globl	_ZN12_GLOBAL__N_120geam_min_plus_kernelId15HIP_vector_typeIdLj2EEdLi32ELi8ELi128ELi128ELi4ELi4ELi64ELi4ELi64ELc84ELc78ELb1ELb0ELb1EdKddEEviiiT16_PT17_ilS6_ilS4_S6_ilPT18_ili26rocblas_geam_ex_operation_ ; -- Begin function _ZN12_GLOBAL__N_120geam_min_plus_kernelId15HIP_vector_typeIdLj2EEdLi32ELi8ELi128ELi128ELi4ELi4ELi64ELi4ELi64ELc84ELc78ELb1ELb0ELb1EdKddEEviiiT16_PT17_ilS6_ilS4_S6_ilPT18_ili26rocblas_geam_ex_operation_
	.p2align	8
	.type	_ZN12_GLOBAL__N_120geam_min_plus_kernelId15HIP_vector_typeIdLj2EEdLi32ELi8ELi128ELi128ELi4ELi4ELi64ELi4ELi64ELc84ELc78ELb1ELb0ELb1EdKddEEviiiT16_PT17_ilS6_ilS4_S6_ilPT18_ili26rocblas_geam_ex_operation_,@function
_ZN12_GLOBAL__N_120geam_min_plus_kernelId15HIP_vector_typeIdLj2EEdLi32ELi8ELi128ELi128ELi4ELi4ELi64ELi4ELi64ELc84ELc78ELb1ELb0ELb1EdKddEEviiiT16_PT17_ilS6_ilS4_S6_ilPT18_ili26rocblas_geam_ex_operation_: ; @_ZN12_GLOBAL__N_120geam_min_plus_kernelId15HIP_vector_typeIdLj2EEdLi32ELi8ELi128ELi128ELi4ELi4ELi64ELi4ELi64ELc84ELc78ELb1ELb0ELb1EdKddEEviiiT16_PT17_ilS6_ilS4_S6_ilPT18_ili26rocblas_geam_ex_operation_
; %bb.0:
	s_clause 0x1
	s_load_dwordx4 s[0:3], s[4:5], 0x10
	s_load_dwordx4 s[8:11], s[4:5], 0x28
	s_mov_b64 s[14:15], 0
	s_waitcnt lgkmcnt(0)
	v_cmp_eq_f64_e64 s12, s[0:1], 0
	s_and_b32 vcc_lo, exec_lo, s12
	s_cbranch_vccnz .LBB163_2
; %bb.1:
	s_mul_i32 s0, s9, s7
	s_mul_hi_u32 s1, s8, s7
	s_add_i32 s1, s1, s0
	s_mul_i32 s0, s8, s7
	s_lshl_b64 s[0:1], s[0:1], 3
	s_add_u32 s14, s2, s0
	s_addc_u32 s15, s3, s1
.LBB163_2:
	s_clause 0x1
	s_load_dwordx4 s[0:3], s[4:5], 0x40
	s_load_dwordx2 s[18:19], s[4:5], 0x50
	s_andn2_b32 vcc_lo, exec_lo, s12
	s_mov_b32 s8, -1
	s_cbranch_vccnz .LBB163_4
; %bb.3:
	s_mov_b32 s8, 0
.LBB163_4:
	s_mov_b64 s[12:13], 0
	s_andn2_b32 vcc_lo, exec_lo, s8
	s_mov_b64 s[16:17], 0
	s_cbranch_vccnz .LBB163_6
; %bb.5:
	s_waitcnt lgkmcnt(0)
	s_mul_i32 s1, s1, s7
	s_mul_hi_u32 s8, s0, s7
	s_mul_i32 s0, s0, s7
	s_add_i32 s1, s8, s1
	s_lshl_b64 s[0:1], s[0:1], 3
	s_add_u32 s16, s10, s0
	s_addc_u32 s17, s11, s1
.LBB163_6:
	s_waitcnt lgkmcnt(0)
	v_cmp_eq_f64_e64 s0, s[2:3], 0
	s_load_dwordx4 s[8:11], s[4:5], 0x60
	s_and_b32 s0, exec_lo, s0
	s_mov_b32 vcc_lo, s0
	s_cbranch_vccnz .LBB163_8
; %bb.7:
	s_waitcnt lgkmcnt(0)
	s_mul_i32 s1, s9, s7
	s_mul_hi_u32 s9, s8, s7
	s_mul_i32 s8, s8, s7
	s_add_i32 s9, s9, s1
	s_lshl_b64 s[8:9], s[8:9], 3
	s_add_u32 s12, s18, s8
	s_addc_u32 s13, s19, s9
.LBB163_8:
	s_load_dword s1, s[4:5], 0x0
	s_waitcnt lgkmcnt(0)
	s_clause 0x2
	s_load_dword s8, s[4:5], 0x8
	s_load_dword s18, s[4:5], 0x20
	s_load_dword s9, s[4:5], 0x38
	v_lshlrev_b32_e32 v166, 5, v1
	v_and_b32_e32 v3, 3, v0
	v_lshlrev_b32_e32 v98, 5, v0
	v_lshlrev_b32_e32 v99, 3, v3
	s_add_i32 s1, s1, -1
	s_ashr_i32 s19, s1, 31
	s_lshr_b32 s19, s19, 25
	s_add_i32 s1, s1, s19
	s_ashr_i32 s1, s1, 7
	s_add_i32 s19, s1, 1
	s_not_b32 s1, s1
	v_cvt_f32_u32_e32 v2, s19
	v_rcp_iflag_f32_e32 v2, v2
	v_mul_f32_e32 v2, 0x4f7ffffe, v2
	v_cvt_u32_f32_e32 v2, v2
	v_readfirstlane_b32 s20, v2
	v_add_nc_u32_e32 v2, v166, v0
	s_mul_i32 s1, s1, s20
	v_lshrrev_b32_e32 v18, 2, v2
	s_mul_hi_u32 s1, s20, s1
	s_add_i32 s20, s20, s1
	v_lshl_or_b32 v100, v18, 5, v99
	s_mul_hi_u32 s1, s6, s20
	s_mul_i32 s20, s1, s19
	s_add_i32 s21, s1, 1
	s_sub_i32 s20, s6, s20
	s_sub_i32 s22, s20, s19
	s_cmp_ge_u32 s20, s19
	s_cselect_b32 s1, s21, s1
	s_cselect_b32 s20, s22, s20
	s_add_i32 s21, s1, 1
	s_cmp_ge_u32 s20, s19
	s_cselect_b32 s20, s21, s1
	s_mul_i32 s1, s20, s19
	v_add_co_u32 v8, s19, s14, v99
	s_sub_i32 s1, s6, s1
	s_lshl_b32 s6, s20, 7
	s_lshl_b32 s1, s1, 7
	v_add_nc_u32_e32 v14, s6, v18
	v_add_nc_u32_e32 v6, s1, v18
	v_add_co_ci_u32_e64 v9, null, s15, 0, s19
	s_waitcnt lgkmcnt(0)
	s_cmp_lt_i32 s8, 9
	v_mad_i64_i32 v[10:11], null, v14, s9, 0
	v_mad_i64_i32 v[2:3], null, v6, s18, 0
	v_add_nc_u32_e32 v6, 64, v6
	v_add_nc_u32_e32 v14, 64, v14
	v_lshlrev_b64 v[86:87], 3, v[10:11]
	v_mad_i64_i32 v[6:7], null, v6, s18, 0
	v_mad_i64_i32 v[14:15], null, v14, s9, 0
	v_lshlrev_b64 v[82:83], 3, v[2:3]
	v_add_co_u32 v16, s18, s16, v99
	v_add_co_ci_u32_e64 v17, null, s17, 0, s18
	v_lshlrev_b64 v[84:85], 3, v[6:7]
	v_add_co_u32 v2, vcc_lo, v8, v82
	v_lshlrev_b64 v[88:89], 3, v[14:15]
	v_add_co_ci_u32_e64 v3, null, v9, v83, vcc_lo
	v_add_co_u32 v6, vcc_lo, v8, v84
	v_add_co_ci_u32_e64 v7, null, v9, v85, vcc_lo
	v_add_co_u32 v10, vcc_lo, v16, v86
	;; [unrolled: 2-line block ×3, first 2 shown]
	v_add_co_ci_u32_e64 v15, null, v17, v89, vcc_lo
	s_clause 0x1
	global_load_dwordx2 v[4:5], v[2:3], off
	global_load_dwordx2 v[8:9], v[6:7], off
	s_clause 0x1
	global_load_dwordx2 v[12:13], v[10:11], off
	global_load_dwordx2 v[16:17], v[14:15], off
	s_clause 0x1
	global_load_dwordx2 v[94:95], v[2:3], off offset:32
	global_load_dwordx2 v[96:97], v[6:7], off offset:32
	s_clause 0x1
	global_load_dwordx2 v[90:91], v[10:11], off offset:32
	global_load_dwordx2 v[92:93], v[14:15], off offset:32
	s_waitcnt vmcnt(6)
	ds_write2st64_b64 v100, v[4:5], v[8:9] offset1:4
	s_waitcnt vmcnt(4)
	ds_write2st64_b64 v100, v[12:13], v[16:17] offset0:16 offset1:20
	s_waitcnt vmcnt(0) lgkmcnt(0)
	s_barrier
	buffer_gl0_inv
	ds_read_b128 v[6:9], v98 offset:1024
	ds_read_b128 v[10:13], v98 offset:2048
	;; [unrolled: 1-line block ×18, first 2 shown]
	ds_read_b128 v[101:104], v98
	ds_read_b128 v[2:5], v98 offset:16
	ds_read_b128 v[105:108], v166 offset:8192
	;; [unrolled: 1-line block ×3, first 2 shown]
	s_waitcnt lgkmcnt(1)
	v_add_f64 v[109:110], v[103:104], v[107:108]
	v_add_f64 v[111:112], v[101:102], v[105:106]
	s_waitcnt lgkmcnt(0)
	v_add_f64 v[167:168], v[4:5], v[20:21]
	v_add_f64 v[169:170], v[2:3], v[18:19]
	v_cvt_f32_f64_e32 v109, v[109:110]
	v_cvt_f32_f64_e32 v111, v[111:112]
	;; [unrolled: 1-line block ×4, first 2 shown]
	v_min3_f32 v115, v111, v109, 0x7f800000
	v_add_f64 v[109:110], v[8:9], v[107:108]
	v_add_f64 v[111:112], v[6:7], v[105:106]
	v_min3_f32 v115, v165, v167, v115
	v_cvt_f32_f64_e32 v109, v[109:110]
	v_cvt_f32_f64_e32 v111, v[111:112]
	v_min3_f32 v164, v111, v109, 0x7f800000
	v_add_f64 v[109:110], v[12:13], v[107:108]
	v_add_f64 v[111:112], v[10:11], v[105:106]
	;; [unrolled: 1-line block ×4, first 2 shown]
	v_cvt_f32_f64_e32 v109, v[109:110]
	v_cvt_f32_f64_e32 v111, v[111:112]
	;; [unrolled: 1-line block ×4, first 2 shown]
	v_add_f64 v[107:108], v[101:102], v[22:23]
	v_min3_f32 v163, v111, v109, 0x7f800000
	v_min3_f32 v162, v105, v106, 0x7f800000
	v_add_f64 v[105:106], v[103:104], v[24:25]
	v_cvt_f32_f64_e32 v107, v[107:108]
	v_cvt_f32_f64_e32 v105, v[105:106]
	v_min3_f32 v161, v107, v105, 0x7f800000
	v_add_f64 v[105:106], v[8:9], v[24:25]
	v_add_f64 v[107:108], v[6:7], v[22:23]
	v_cvt_f32_f64_e32 v105, v[105:106]
	v_cvt_f32_f64_e32 v107, v[107:108]
	v_min3_f32 v160, v107, v105, 0x7f800000
	v_add_f64 v[105:106], v[12:13], v[24:25]
	v_add_f64 v[107:108], v[10:11], v[22:23]
	v_add_f64 v[24:25], v[16:17], v[24:25]
	v_add_f64 v[22:23], v[14:15], v[22:23]
	v_cvt_f32_f64_e32 v105, v[105:106]
	v_cvt_f32_f64_e32 v107, v[107:108]
	v_cvt_f32_f64_e32 v22, v[22:23]
	v_cvt_f32_f64_e32 v23, v[24:25]
	v_add_f64 v[24:25], v[101:102], v[26:27]
	v_min3_f32 v159, v107, v105, 0x7f800000
	v_min3_f32 v158, v22, v23, 0x7f800000
	v_add_f64 v[22:23], v[103:104], v[28:29]
	v_cvt_f32_f64_e32 v24, v[24:25]
	v_cvt_f32_f64_e32 v22, v[22:23]
	v_min3_f32 v157, v24, v22, 0x7f800000
	v_add_f64 v[22:23], v[8:9], v[28:29]
	v_add_f64 v[24:25], v[6:7], v[26:27]
	v_cvt_f32_f64_e32 v22, v[22:23]
	v_cvt_f32_f64_e32 v24, v[24:25]
	v_min3_f32 v156, v24, v22, 0x7f800000
	v_add_f64 v[22:23], v[12:13], v[28:29]
	v_add_f64 v[24:25], v[10:11], v[26:27]
	v_cvt_f32_f64_e32 v22, v[22:23]
	v_cvt_f32_f64_e32 v24, v[24:25]
	v_min3_f32 v155, v24, v22, 0x7f800000
	v_add_f64 v[22:23], v[16:17], v[28:29]
	v_add_f64 v[24:25], v[14:15], v[26:27]
	v_cvt_f32_f64_e32 v22, v[22:23]
	v_cvt_f32_f64_e32 v24, v[24:25]
	v_min3_f32 v154, v24, v22, 0x7f800000
	v_add_f64 v[22:23], v[103:104], v[32:33]
	v_add_f64 v[24:25], v[101:102], v[30:31]
	v_cvt_f32_f64_e32 v22, v[22:23]
	v_cvt_f32_f64_e32 v24, v[24:25]
	v_min3_f32 v153, v24, v22, 0x7f800000
	v_add_f64 v[22:23], v[8:9], v[32:33]
	v_add_f64 v[24:25], v[6:7], v[30:31]
	v_cvt_f32_f64_e32 v22, v[22:23]
	v_cvt_f32_f64_e32 v24, v[24:25]
	v_min3_f32 v152, v24, v22, 0x7f800000
	v_add_f64 v[22:23], v[12:13], v[32:33]
	v_add_f64 v[24:25], v[10:11], v[30:31]
	v_cvt_f32_f64_e32 v22, v[22:23]
	v_cvt_f32_f64_e32 v24, v[24:25]
	v_min3_f32 v151, v24, v22, 0x7f800000
	v_add_f64 v[22:23], v[16:17], v[32:33]
	v_add_f64 v[24:25], v[14:15], v[30:31]
	v_cvt_f32_f64_e32 v22, v[22:23]
	v_cvt_f32_f64_e32 v24, v[24:25]
	v_min3_f32 v150, v24, v22, 0x7f800000
	v_add_f64 v[22:23], v[103:104], v[36:37]
	v_add_f64 v[24:25], v[101:102], v[34:35]
	v_cvt_f32_f64_e32 v22, v[22:23]
	v_cvt_f32_f64_e32 v24, v[24:25]
	v_min3_f32 v149, v24, v22, 0x7f800000
	v_add_f64 v[22:23], v[8:9], v[36:37]
	v_add_f64 v[24:25], v[6:7], v[34:35]
	v_cvt_f32_f64_e32 v22, v[22:23]
	v_cvt_f32_f64_e32 v24, v[24:25]
	v_min3_f32 v148, v24, v22, 0x7f800000
	v_add_f64 v[22:23], v[12:13], v[36:37]
	v_add_f64 v[24:25], v[10:11], v[34:35]
	v_cvt_f32_f64_e32 v22, v[22:23]
	v_cvt_f32_f64_e32 v24, v[24:25]
	v_min3_f32 v147, v24, v22, 0x7f800000
	v_add_f64 v[22:23], v[16:17], v[36:37]
	v_add_f64 v[24:25], v[14:15], v[34:35]
	v_cvt_f32_f64_e32 v22, v[22:23]
	v_cvt_f32_f64_e32 v24, v[24:25]
	v_min3_f32 v146, v24, v22, 0x7f800000
	v_add_f64 v[22:23], v[103:104], v[40:41]
	v_add_f64 v[24:25], v[101:102], v[38:39]
	v_cvt_f32_f64_e32 v22, v[22:23]
	v_cvt_f32_f64_e32 v24, v[24:25]
	v_min3_f32 v145, v24, v22, 0x7f800000
	v_add_f64 v[22:23], v[8:9], v[40:41]
	v_add_f64 v[24:25], v[6:7], v[38:39]
	v_cvt_f32_f64_e32 v22, v[22:23]
	v_cvt_f32_f64_e32 v24, v[24:25]
	v_min3_f32 v144, v24, v22, 0x7f800000
	v_add_f64 v[22:23], v[12:13], v[40:41]
	v_add_f64 v[24:25], v[10:11], v[38:39]
	v_cvt_f32_f64_e32 v22, v[22:23]
	v_cvt_f32_f64_e32 v24, v[24:25]
	v_min3_f32 v143, v24, v22, 0x7f800000
	v_add_f64 v[22:23], v[16:17], v[40:41]
	v_add_f64 v[24:25], v[14:15], v[38:39]
	v_cvt_f32_f64_e32 v22, v[22:23]
	v_cvt_f32_f64_e32 v24, v[24:25]
	v_min3_f32 v142, v24, v22, 0x7f800000
	v_add_f64 v[22:23], v[103:104], v[44:45]
	v_add_f64 v[24:25], v[101:102], v[42:43]
	v_cvt_f32_f64_e32 v22, v[22:23]
	v_cvt_f32_f64_e32 v24, v[24:25]
	v_min3_f32 v141, v24, v22, 0x7f800000
	v_add_f64 v[22:23], v[8:9], v[44:45]
	v_add_f64 v[24:25], v[6:7], v[42:43]
	v_cvt_f32_f64_e32 v22, v[22:23]
	v_cvt_f32_f64_e32 v24, v[24:25]
	v_min3_f32 v140, v24, v22, 0x7f800000
	v_add_f64 v[22:23], v[12:13], v[44:45]
	v_add_f64 v[24:25], v[10:11], v[42:43]
	v_cvt_f32_f64_e32 v22, v[22:23]
	v_cvt_f32_f64_e32 v24, v[24:25]
	v_min3_f32 v139, v24, v22, 0x7f800000
	v_add_f64 v[22:23], v[16:17], v[44:45]
	v_add_f64 v[24:25], v[14:15], v[42:43]
	v_cvt_f32_f64_e32 v22, v[22:23]
	v_cvt_f32_f64_e32 v24, v[24:25]
	v_min3_f32 v138, v24, v22, 0x7f800000
	v_add_f64 v[22:23], v[103:104], v[48:49]
	v_add_f64 v[24:25], v[101:102], v[46:47]
	v_cvt_f32_f64_e32 v22, v[22:23]
	v_cvt_f32_f64_e32 v24, v[24:25]
	v_min3_f32 v137, v24, v22, 0x7f800000
	v_add_f64 v[22:23], v[8:9], v[48:49]
	v_add_f64 v[24:25], v[6:7], v[46:47]
	v_cvt_f32_f64_e32 v22, v[22:23]
	v_cvt_f32_f64_e32 v24, v[24:25]
	v_min3_f32 v136, v24, v22, 0x7f800000
	v_add_f64 v[22:23], v[12:13], v[48:49]
	v_add_f64 v[24:25], v[10:11], v[46:47]
	v_cvt_f32_f64_e32 v22, v[22:23]
	v_cvt_f32_f64_e32 v24, v[24:25]
	v_min3_f32 v135, v24, v22, 0x7f800000
	v_add_f64 v[22:23], v[16:17], v[48:49]
	v_add_f64 v[24:25], v[14:15], v[46:47]
	v_cvt_f32_f64_e32 v22, v[22:23]
	v_cvt_f32_f64_e32 v24, v[24:25]
	v_min3_f32 v134, v24, v22, 0x7f800000
	v_add_f64 v[22:23], v[103:104], v[52:53]
	v_add_f64 v[24:25], v[101:102], v[50:51]
	v_cvt_f32_f64_e32 v22, v[22:23]
	v_cvt_f32_f64_e32 v24, v[24:25]
	v_min3_f32 v133, v24, v22, 0x7f800000
	v_add_f64 v[22:23], v[8:9], v[52:53]
	v_add_f64 v[24:25], v[6:7], v[50:51]
	v_cvt_f32_f64_e32 v22, v[22:23]
	v_cvt_f32_f64_e32 v24, v[24:25]
	v_min3_f32 v132, v24, v22, 0x7f800000
	v_add_f64 v[22:23], v[12:13], v[52:53]
	v_add_f64 v[24:25], v[10:11], v[50:51]
	v_cvt_f32_f64_e32 v22, v[22:23]
	v_cvt_f32_f64_e32 v24, v[24:25]
	v_min3_f32 v131, v24, v22, 0x7f800000
	v_add_f64 v[22:23], v[16:17], v[52:53]
	v_add_f64 v[24:25], v[14:15], v[50:51]
	v_cvt_f32_f64_e32 v22, v[22:23]
	v_cvt_f32_f64_e32 v24, v[24:25]
	v_min3_f32 v130, v24, v22, 0x7f800000
	v_add_f64 v[22:23], v[103:104], v[56:57]
	v_add_f64 v[24:25], v[101:102], v[54:55]
	v_cvt_f32_f64_e32 v22, v[22:23]
	v_cvt_f32_f64_e32 v24, v[24:25]
	v_min3_f32 v129, v24, v22, 0x7f800000
	v_add_f64 v[22:23], v[8:9], v[56:57]
	v_add_f64 v[24:25], v[6:7], v[54:55]
	v_cvt_f32_f64_e32 v22, v[22:23]
	v_cvt_f32_f64_e32 v24, v[24:25]
	v_min3_f32 v128, v24, v22, 0x7f800000
	v_add_f64 v[22:23], v[12:13], v[56:57]
	v_add_f64 v[24:25], v[10:11], v[54:55]
	v_cvt_f32_f64_e32 v22, v[22:23]
	v_cvt_f32_f64_e32 v24, v[24:25]
	v_min3_f32 v127, v24, v22, 0x7f800000
	v_add_f64 v[22:23], v[16:17], v[56:57]
	v_add_f64 v[24:25], v[14:15], v[54:55]
	v_cvt_f32_f64_e32 v22, v[22:23]
	v_cvt_f32_f64_e32 v24, v[24:25]
	v_min3_f32 v126, v24, v22, 0x7f800000
	v_add_f64 v[22:23], v[103:104], v[60:61]
	v_add_f64 v[24:25], v[101:102], v[58:59]
	v_cvt_f32_f64_e32 v22, v[22:23]
	v_cvt_f32_f64_e32 v24, v[24:25]
	v_min3_f32 v125, v24, v22, 0x7f800000
	v_add_f64 v[22:23], v[8:9], v[60:61]
	v_add_f64 v[24:25], v[6:7], v[58:59]
	v_cvt_f32_f64_e32 v22, v[22:23]
	v_cvt_f32_f64_e32 v24, v[24:25]
	v_min3_f32 v124, v24, v22, 0x7f800000
	v_add_f64 v[22:23], v[12:13], v[60:61]
	v_add_f64 v[24:25], v[10:11], v[58:59]
	v_cvt_f32_f64_e32 v22, v[22:23]
	v_cvt_f32_f64_e32 v24, v[24:25]
	v_min3_f32 v123, v24, v22, 0x7f800000
	v_add_f64 v[22:23], v[16:17], v[60:61]
	v_add_f64 v[24:25], v[14:15], v[58:59]
	v_cvt_f32_f64_e32 v22, v[22:23]
	v_cvt_f32_f64_e32 v24, v[24:25]
	v_min3_f32 v122, v24, v22, 0x7f800000
	v_add_f64 v[22:23], v[103:104], v[64:65]
	v_add_f64 v[24:25], v[101:102], v[62:63]
	v_cvt_f32_f64_e32 v22, v[22:23]
	v_cvt_f32_f64_e32 v24, v[24:25]
	v_min3_f32 v121, v24, v22, 0x7f800000
	v_add_f64 v[22:23], v[8:9], v[64:65]
	v_add_f64 v[24:25], v[6:7], v[62:63]
	v_cvt_f32_f64_e32 v22, v[22:23]
	v_cvt_f32_f64_e32 v24, v[24:25]
	v_min3_f32 v120, v24, v22, 0x7f800000
	v_add_f64 v[22:23], v[12:13], v[64:65]
	v_add_f64 v[24:25], v[10:11], v[62:63]
	v_cvt_f32_f64_e32 v22, v[22:23]
	v_cvt_f32_f64_e32 v24, v[24:25]
	v_min3_f32 v119, v24, v22, 0x7f800000
	v_add_f64 v[22:23], v[16:17], v[64:65]
	v_add_f64 v[24:25], v[14:15], v[62:63]
	v_cvt_f32_f64_e32 v22, v[22:23]
	v_cvt_f32_f64_e32 v24, v[24:25]
	v_min3_f32 v118, v24, v22, 0x7f800000
	v_add_f64 v[22:23], v[103:104], v[68:69]
	v_add_f64 v[24:25], v[101:102], v[66:67]
	v_cvt_f32_f64_e32 v22, v[22:23]
	v_cvt_f32_f64_e32 v24, v[24:25]
	v_min3_f32 v117, v24, v22, 0x7f800000
	v_add_f64 v[22:23], v[8:9], v[68:69]
	v_add_f64 v[24:25], v[6:7], v[66:67]
	v_cvt_f32_f64_e32 v22, v[22:23]
	v_cvt_f32_f64_e32 v24, v[24:25]
	v_min3_f32 v116, v24, v22, 0x7f800000
	v_add_f64 v[22:23], v[12:13], v[68:69]
	v_add_f64 v[24:25], v[10:11], v[66:67]
	v_cvt_f32_f64_e32 v22, v[22:23]
	v_cvt_f32_f64_e32 v24, v[24:25]
	v_min3_f32 v114, v24, v22, 0x7f800000
	v_add_f64 v[22:23], v[16:17], v[68:69]
	v_add_f64 v[24:25], v[14:15], v[66:67]
	v_cvt_f32_f64_e32 v22, v[22:23]
	v_cvt_f32_f64_e32 v24, v[24:25]
	v_min3_f32 v113, v24, v22, 0x7f800000
	v_add_f64 v[22:23], v[103:104], v[72:73]
	v_add_f64 v[24:25], v[101:102], v[70:71]
	v_cvt_f32_f64_e32 v22, v[22:23]
	v_cvt_f32_f64_e32 v24, v[24:25]
	v_min3_f32 v112, v24, v22, 0x7f800000
	v_add_f64 v[22:23], v[8:9], v[72:73]
	v_add_f64 v[24:25], v[6:7], v[70:71]
	v_cvt_f32_f64_e32 v22, v[22:23]
	v_cvt_f32_f64_e32 v24, v[24:25]
	v_min3_f32 v111, v24, v22, 0x7f800000
	v_add_f64 v[22:23], v[12:13], v[72:73]
	v_add_f64 v[24:25], v[10:11], v[70:71]
	v_cvt_f32_f64_e32 v22, v[22:23]
	v_cvt_f32_f64_e32 v24, v[24:25]
	v_min3_f32 v110, v24, v22, 0x7f800000
	v_add_f64 v[22:23], v[16:17], v[72:73]
	v_add_f64 v[24:25], v[14:15], v[70:71]
	v_cvt_f32_f64_e32 v22, v[22:23]
	v_cvt_f32_f64_e32 v24, v[24:25]
	v_min3_f32 v109, v24, v22, 0x7f800000
	v_add_f64 v[22:23], v[103:104], v[76:77]
	v_add_f64 v[24:25], v[101:102], v[74:75]
	v_cvt_f32_f64_e32 v22, v[22:23]
	v_cvt_f32_f64_e32 v24, v[24:25]
	v_min3_f32 v108, v24, v22, 0x7f800000
	v_add_f64 v[22:23], v[8:9], v[76:77]
	v_add_f64 v[24:25], v[6:7], v[74:75]
	v_add_f64 v[8:9], v[8:9], v[80:81]
	v_add_f64 v[6:7], v[6:7], v[78:79]
	v_cvt_f32_f64_e32 v22, v[22:23]
	v_cvt_f32_f64_e32 v24, v[24:25]
	;; [unrolled: 1-line block ×4, first 2 shown]
	v_add_f64 v[8:9], v[10:11], v[78:79]
	v_min3_f32 v107, v24, v22, 0x7f800000
	v_add_f64 v[22:23], v[12:13], v[76:77]
	v_add_f64 v[24:25], v[10:11], v[74:75]
	v_cvt_f32_f64_e32 v8, v[8:9]
	v_cvt_f32_f64_e32 v22, v[22:23]
	;; [unrolled: 1-line block ×3, first 2 shown]
	v_min3_f32 v106, v24, v22, 0x7f800000
	v_add_f64 v[22:23], v[16:17], v[76:77]
	v_add_f64 v[24:25], v[14:15], v[74:75]
	v_cvt_f32_f64_e32 v22, v[22:23]
	v_cvt_f32_f64_e32 v24, v[24:25]
	v_min3_f32 v105, v24, v22, 0x7f800000
	v_add_f64 v[22:23], v[103:104], v[80:81]
	v_min3_f32 v103, v6, v7, 0x7f800000
	v_add_f64 v[6:7], v[12:13], v[80:81]
	v_add_f64 v[24:25], v[101:102], v[78:79]
	v_cvt_f32_f64_e32 v22, v[22:23]
	v_cvt_f32_f64_e32 v6, v[6:7]
	;; [unrolled: 1-line block ×3, first 2 shown]
	v_min3_f32 v102, v8, v6, 0x7f800000
	v_add_f64 v[6:7], v[16:17], v[80:81]
	v_add_f64 v[8:9], v[14:15], v[78:79]
	v_min3_f32 v104, v24, v22, 0x7f800000
	v_cvt_f32_f64_e32 v6, v[6:7]
	v_cvt_f32_f64_e32 v8, v[8:9]
	v_min3_f32 v101, v8, v6, 0x7f800000
	ds_read_b128 v[14:17], v98 offset:1040
	ds_read_b128 v[10:13], v98 offset:2064
	;; [unrolled: 1-line block ×18, first 2 shown]
	ds_write2st64_b64 v100, v[94:95], v[96:97] offset0:8 offset1:12
	ds_write2st64_b64 v100, v[90:91], v[92:93] offset0:24 offset1:28
	s_waitcnt lgkmcnt(0)
	v_add_f64 v[167:168], v[16:17], v[20:21]
	v_add_f64 v[169:170], v[14:15], v[18:19]
	s_barrier
	buffer_gl0_inv
	v_cvt_f32_f64_e32 v167, v[167:168]
	v_cvt_f32_f64_e32 v165, v[169:170]
	v_add_f64 v[168:169], v[10:11], v[18:19]
	v_add_f64 v[18:19], v[6:7], v[18:19]
	v_min3_f32 v167, v165, v167, v164
	v_add_f64 v[164:165], v[12:13], v[20:21]
	v_add_f64 v[20:21], v[8:9], v[20:21]
	v_cvt_f32_f64_e32 v18, v[18:19]
	v_cvt_f32_f64_e32 v168, v[168:169]
	v_cvt_f32_f64_e32 v164, v[164:165]
	v_cvt_f32_f64_e32 v19, v[20:21]
	v_add_f64 v[20:21], v[2:3], v[78:79]
	v_min3_f32 v229, v168, v164, v163
	v_min3_f32 v227, v18, v19, v162
	v_add_f64 v[18:19], v[4:5], v[80:81]
	v_cvt_f32_f64_e32 v20, v[20:21]
	v_cvt_f32_f64_e32 v18, v[18:19]
	v_min3_f32 v228, v20, v18, v161
	v_add_f64 v[18:19], v[16:17], v[80:81]
	v_add_f64 v[20:21], v[14:15], v[78:79]
	v_cvt_f32_f64_e32 v18, v[18:19]
	v_cvt_f32_f64_e32 v20, v[20:21]
	v_min3_f32 v225, v20, v18, v160
	v_add_f64 v[18:19], v[12:13], v[80:81]
	;; [unrolled: 5-line block ×52, first 2 shown]
	v_add_f64 v[20:21], v[2:3], v[26:27]
	v_add_f64 v[4:5], v[4:5], v[24:25]
	;; [unrolled: 1-line block ×3, first 2 shown]
	v_cvt_f32_f64_e32 v18, v[18:19]
	v_cvt_f32_f64_e32 v20, v[20:21]
	;; [unrolled: 1-line block ×4, first 2 shown]
	v_add_f64 v[4:5], v[14:15], v[22:23]
	v_min3_f32 v176, v20, v18, v108
	v_add_f64 v[18:19], v[16:17], v[28:29]
	v_add_f64 v[20:21], v[14:15], v[26:27]
	v_min3_f32 v172, v2, v3, v104
	v_add_f64 v[2:3], v[16:17], v[24:25]
	v_cvt_f32_f64_e32 v4, v[4:5]
	v_cvt_f32_f64_e32 v18, v[18:19]
	;; [unrolled: 1-line block ×4, first 2 shown]
	v_min3_f32 v173, v20, v18, v107
	v_add_f64 v[18:19], v[12:13], v[28:29]
	v_add_f64 v[20:21], v[10:11], v[26:27]
	v_min3_f32 v169, v4, v2, v103
	v_add_f64 v[2:3], v[12:13], v[24:25]
	v_add_f64 v[4:5], v[10:11], v[22:23]
	v_cvt_f32_f64_e32 v18, v[18:19]
	v_cvt_f32_f64_e32 v20, v[20:21]
	;; [unrolled: 1-line block ×4, first 2 shown]
	v_min3_f32 v174, v20, v18, v106
	v_add_f64 v[18:19], v[8:9], v[28:29]
	v_add_f64 v[20:21], v[6:7], v[26:27]
	v_min3_f32 v170, v4, v2, v102
	v_add_f64 v[2:3], v[8:9], v[24:25]
	v_add_f64 v[4:5], v[6:7], v[22:23]
	v_cvt_f32_f64_e32 v18, v[18:19]
	v_cvt_f32_f64_e32 v20, v[20:21]
	;; [unrolled: 1-line block ×4, first 2 shown]
	v_min3_f32 v171, v20, v18, v105
	v_min3_f32 v168, v4, v2, v101
	s_cbranch_scc1 .LBB163_11
; %bb.9:
	v_add_co_u32 v107, vcc_lo, s16, v86
	v_add_co_ci_u32_e64 v108, null, s17, v87, vcc_lo
	v_add_co_u32 v109, vcc_lo, s16, v88
	v_add_co_ci_u32_e64 v110, null, s17, v89, vcc_lo
	v_add_co_u32 v111, vcc_lo, s14, v82
	v_add_co_ci_u32_e64 v112, null, s15, v83, vcc_lo
	v_add_co_u32 v113, vcc_lo, s14, v84
	v_add_nc_u32_e32 v101, 0x2000, v100
	v_or_b32_e32 v102, 0x2000, v166
	v_add_nc_u32_e32 v103, 0x1000, v100
	v_add_nc_u32_e32 v104, 0x3000, v100
	v_lshl_add_u32 v105, v0, 5, 0x1000
	v_lshl_add_u32 v106, v1, 5, 0x3000
	v_add_co_ci_u32_e64 v114, null, s15, v85, vcc_lo
	s_add_i32 s8, s8, -8
	s_mov_b32 s9, 0
.LBB163_10:                             ; =>This Inner Loop Header: Depth=1
	v_add_co_u32 v82, vcc_lo, v111, v99
	v_add_co_ci_u32_e64 v83, null, 0, v112, vcc_lo
	v_add_co_u32 v84, vcc_lo, v113, v99
	v_add_co_ci_u32_e64 v85, null, 0, v114, vcc_lo
	;; [unrolled: 2-line block ×4, first 2 shown]
	global_load_dwordx2 v[94:95], v[82:83], off offset:64
	global_load_dwordx2 v[96:97], v[84:85], off offset:64
	;; [unrolled: 1-line block ×4, first 2 shown]
	ds_read_b128 v[18:21], v105 offset:1024
	ds_read_b128 v[14:17], v105 offset:2048
	;; [unrolled: 1-line block ×18, first 2 shown]
	ds_read_b128 v[116:119], v106
	ds_read_b128 v[6:9], v106 offset:16
	ds_read_b128 v[233:236], v105
	ds_read_b128 v[2:5], v105 offset:16
	v_add_co_u32 v107, vcc_lo, v107, 64
	v_add_co_ci_u32_e64 v108, null, 0, v108, vcc_lo
	v_add_co_u32 v109, vcc_lo, v109, 64
	v_add_co_ci_u32_e64 v110, null, 0, v110, vcc_lo
	;; [unrolled: 2-line block ×4, first 2 shown]
	s_add_i32 s9, s9, 8
	s_waitcnt lgkmcnt(1)
	v_add_f64 v[120:121], v[235:236], v[118:119]
	v_add_f64 v[122:123], v[233:234], v[116:117]
	s_cmp_ge_i32 s9, s8
	v_cvt_f32_f64_e32 v120, v[120:121]
	v_cvt_f32_f64_e32 v122, v[122:123]
	v_min3_f32 v232, v122, v120, v115
	v_add_f64 v[120:121], v[20:21], v[118:119]
	v_add_f64 v[122:123], v[18:19], v[116:117]
	v_cvt_f32_f64_e32 v120, v[120:121]
	v_cvt_f32_f64_e32 v115, v[122:123]
	v_add_f64 v[122:123], v[14:15], v[116:117]
	v_min3_f32 v231, v115, v120, v167
	v_add_f64 v[120:121], v[16:17], v[118:119]
	v_cvt_f32_f64_e32 v115, v[122:123]
	v_add_f64 v[118:119], v[12:13], v[118:119]
	v_cvt_f32_f64_e32 v120, v[120:121]
	v_min3_f32 v230, v115, v120, v229
	v_add_f64 v[115:116], v[10:11], v[116:117]
	v_cvt_f32_f64_e32 v115, v[115:116]
	v_cvt_f32_f64_e32 v116, v[118:119]
	v_add_f64 v[117:118], v[233:234], v[22:23]
	v_min3_f32 v229, v115, v116, v227
	v_add_f64 v[115:116], v[235:236], v[24:25]
	v_cvt_f32_f64_e32 v117, v[117:118]
	v_cvt_f32_f64_e32 v115, v[115:116]
	v_min3_f32 v228, v117, v115, v228
	v_add_f64 v[115:116], v[20:21], v[24:25]
	v_add_f64 v[117:118], v[18:19], v[22:23]
	v_cvt_f32_f64_e32 v115, v[115:116]
	v_cvt_f32_f64_e32 v117, v[117:118]
	v_min3_f32 v227, v117, v115, v225
	v_add_f64 v[115:116], v[16:17], v[24:25]
	v_add_f64 v[117:118], v[14:15], v[22:23]
	;; [unrolled: 1-line block ×4, first 2 shown]
	v_cvt_f32_f64_e32 v115, v[115:116]
	v_cvt_f32_f64_e32 v117, v[117:118]
	;; [unrolled: 1-line block ×4, first 2 shown]
	v_add_f64 v[24:25], v[233:234], v[26:27]
	v_min3_f32 v226, v117, v115, v226
	v_min3_f32 v225, v22, v23, v223
	v_add_f64 v[22:23], v[235:236], v[28:29]
	v_cvt_f32_f64_e32 v24, v[24:25]
	v_cvt_f32_f64_e32 v22, v[22:23]
	v_min3_f32 v224, v24, v22, v224
	v_add_f64 v[22:23], v[20:21], v[28:29]
	v_add_f64 v[24:25], v[18:19], v[26:27]
	v_cvt_f32_f64_e32 v22, v[22:23]
	v_cvt_f32_f64_e32 v24, v[24:25]
	v_min3_f32 v223, v24, v22, v221
	v_add_f64 v[22:23], v[16:17], v[28:29]
	;; [unrolled: 5-line block ×49, first 2 shown]
	v_add_f64 v[24:25], v[18:19], v[74:75]
	v_add_f64 v[20:21], v[20:21], v[80:81]
	v_add_f64 v[18:19], v[18:19], v[78:79]
	v_cvt_f32_f64_e32 v22, v[22:23]
	v_cvt_f32_f64_e32 v24, v[24:25]
	;; [unrolled: 1-line block ×4, first 2 shown]
	v_min3_f32 v121, v24, v22, v173
	v_add_f64 v[22:23], v[16:17], v[76:77]
	v_add_f64 v[24:25], v[14:15], v[74:75]
	;; [unrolled: 1-line block ×4, first 2 shown]
	v_min3_f32 v117, v18, v19, v169
	v_cvt_f32_f64_e32 v22, v[22:23]
	v_cvt_f32_f64_e32 v24, v[24:25]
	;; [unrolled: 1-line block ×4, first 2 shown]
	v_min3_f32 v120, v24, v22, v174
	v_add_f64 v[22:23], v[12:13], v[76:77]
	v_add_f64 v[24:25], v[10:11], v[74:75]
	v_add_f64 v[12:13], v[12:13], v[80:81]
	v_add_f64 v[10:11], v[10:11], v[78:79]
	v_min3_f32 v116, v14, v15, v170
	v_cvt_f32_f64_e32 v22, v[22:23]
	v_cvt_f32_f64_e32 v24, v[24:25]
	;; [unrolled: 1-line block ×4, first 2 shown]
	v_min3_f32 v119, v24, v22, v171
	v_add_f64 v[22:23], v[235:236], v[80:81]
	v_add_f64 v[24:25], v[233:234], v[78:79]
	v_min3_f32 v115, v10, v11, v168
	s_waitcnt lgkmcnt(0)
	v_add_f64 v[168:169], v[4:5], v[8:9]
	v_add_f64 v[170:171], v[2:3], v[6:7]
	v_cvt_f32_f64_e32 v22, v[22:23]
	v_cvt_f32_f64_e32 v24, v[24:25]
	;; [unrolled: 1-line block ×4, first 2 shown]
	v_min3_f32 v118, v24, v22, v172
	ds_read_b128 v[18:21], v105 offset:1040
	ds_read_b128 v[14:17], v105 offset:2064
	;; [unrolled: 1-line block ×18, first 2 shown]
	s_waitcnt vmcnt(2)
	ds_write2st64_b64 v100, v[94:95], v[96:97] offset1:4
	s_waitcnt vmcnt(0)
	ds_write2st64_b64 v101, v[86:87], v[88:89] offset1:4
	v_min3_f32 v168, v170, v168, v232
	s_waitcnt lgkmcnt(19)
	v_add_f64 v[169:170], v[20:21], v[8:9]
	v_add_f64 v[171:172], v[18:19], v[6:7]
	s_waitcnt lgkmcnt(0)
	s_barrier
	buffer_gl0_inv
	global_load_dwordx2 v[86:87], v[82:83], off offset:96
	global_load_dwordx2 v[88:89], v[84:85], off offset:96
	;; [unrolled: 1-line block ×4, first 2 shown]
	v_cvt_f32_f64_e32 v169, v[169:170]
	v_cvt_f32_f64_e32 v171, v[171:172]
	v_add_f64 v[172:173], v[14:15], v[6:7]
	v_add_f64 v[6:7], v[10:11], v[6:7]
	v_min3_f32 v169, v171, v169, v231
	v_add_f64 v[170:171], v[16:17], v[8:9]
	v_add_f64 v[8:9], v[12:13], v[8:9]
	v_cvt_f32_f64_e32 v172, v[172:173]
	v_cvt_f32_f64_e32 v6, v[6:7]
	v_add_f64 v[173:174], v[14:15], v[78:79]
	v_cvt_f32_f64_e32 v170, v[170:171]
	v_cvt_f32_f64_e32 v7, v[8:9]
	v_min3_f32 v170, v172, v170, v230
	v_min3_f32 v6, v6, v7, v229
	v_add_f64 v[7:8], v[4:5], v[80:81]
	v_add_f64 v[171:172], v[2:3], v[78:79]
	v_cvt_f32_f64_e32 v7, v[7:8]
	v_cvt_f32_f64_e32 v9, v[171:172]
	v_add_f64 v[171:172], v[18:19], v[78:79]
	v_add_f64 v[78:79], v[10:11], v[78:79]
	v_min3_f32 v7, v9, v7, v228
	v_add_f64 v[8:9], v[20:21], v[80:81]
	v_cvt_f32_f64_e32 v171, v[171:172]
	v_cvt_f32_f64_e32 v78, v[78:79]
	;; [unrolled: 1-line block ×4, first 2 shown]
	v_add_f64 v[173:174], v[14:15], v[74:75]
	v_min3_f32 v8, v171, v8, v227
	v_add_f64 v[171:172], v[16:17], v[80:81]
	v_add_f64 v[80:81], v[12:13], v[80:81]
	v_cvt_f32_f64_e32 v171, v[171:172]
	v_cvt_f32_f64_e32 v79, v[80:81]
	v_min3_f32 v9, v9, v171, v226
	v_min3_f32 v78, v78, v79, v225
	v_add_f64 v[79:80], v[4:5], v[76:77]
	v_add_f64 v[171:172], v[2:3], v[74:75]
	v_cvt_f32_f64_e32 v79, v[79:80]
	v_cvt_f32_f64_e32 v81, v[171:172]
	v_add_f64 v[171:172], v[18:19], v[74:75]
	v_add_f64 v[74:75], v[10:11], v[74:75]
	v_min3_f32 v79, v81, v79, v224
	v_add_f64 v[80:81], v[20:21], v[76:77]
	v_cvt_f32_f64_e32 v171, v[171:172]
	v_cvt_f32_f64_e32 v74, v[74:75]
	;; [unrolled: 1-line block ×4, first 2 shown]
	v_add_f64 v[173:174], v[14:15], v[70:71]
	v_min3_f32 v80, v171, v80, v223
	v_add_f64 v[171:172], v[16:17], v[76:77]
	v_add_f64 v[76:77], v[12:13], v[76:77]
	v_cvt_f32_f64_e32 v171, v[171:172]
	v_cvt_f32_f64_e32 v75, v[76:77]
	v_min3_f32 v81, v81, v171, v221
	v_min3_f32 v74, v74, v75, v219
	v_add_f64 v[75:76], v[4:5], v[72:73]
	v_add_f64 v[171:172], v[2:3], v[70:71]
	v_cvt_f32_f64_e32 v75, v[75:76]
	v_cvt_f32_f64_e32 v77, v[171:172]
	v_add_f64 v[171:172], v[18:19], v[70:71]
	v_add_f64 v[70:71], v[10:11], v[70:71]
	v_min3_f32 v75, v77, v75, v167
	v_add_f64 v[76:77], v[20:21], v[72:73]
	v_cvt_f32_f64_e32 v167, v[171:172]
	v_add_f64 v[171:172], v[16:17], v[72:73]
	v_add_f64 v[72:73], v[12:13], v[72:73]
	v_cvt_f32_f64_e32 v70, v[70:71]
	v_cvt_f32_f64_e32 v76, v[76:77]
	;; [unrolled: 1-line block ×4, first 2 shown]
	v_min3_f32 v76, v167, v76, v165
	v_cvt_f32_f64_e32 v165, v[171:172]
	v_min3_f32 v70, v70, v71, v163
	v_add_f64 v[71:72], v[4:5], v[68:69]
	v_min3_f32 v77, v77, v165, v164
	v_add_f64 v[163:164], v[2:3], v[66:67]
	v_cvt_f32_f64_e32 v71, v[71:72]
	v_cvt_f32_f64_e32 v73, v[163:164]
	v_min3_f32 v71, v73, v71, v162
	v_add_f64 v[72:73], v[20:21], v[68:69]
	v_add_f64 v[162:163], v[18:19], v[66:67]
	v_cvt_f32_f64_e32 v72, v[72:73]
	v_cvt_f32_f64_e32 v162, v[162:163]
	v_add_f64 v[163:164], v[14:15], v[66:67]
	v_add_f64 v[66:67], v[10:11], v[66:67]
	v_min3_f32 v72, v162, v72, v161
	v_add_f64 v[161:162], v[16:17], v[68:69]
	v_add_f64 v[68:69], v[12:13], v[68:69]
	v_cvt_f32_f64_e32 v73, v[163:164]
	v_cvt_f32_f64_e32 v66, v[66:67]
	v_cvt_f32_f64_e32 v161, v[161:162]
	v_cvt_f32_f64_e32 v67, v[68:69]
	v_min3_f32 v73, v73, v161, v160
	v_min3_f32 v66, v66, v67, v159
	v_add_f64 v[67:68], v[4:5], v[64:65]
	v_add_f64 v[159:160], v[2:3], v[62:63]
	v_cvt_f32_f64_e32 v67, v[67:68]
	v_cvt_f32_f64_e32 v69, v[159:160]
	v_min3_f32 v67, v69, v67, v158
	v_add_f64 v[68:69], v[20:21], v[64:65]
	v_add_f64 v[158:159], v[18:19], v[62:63]
	v_cvt_f32_f64_e32 v68, v[68:69]
	v_cvt_f32_f64_e32 v158, v[158:159]
	v_add_f64 v[159:160], v[14:15], v[62:63]
	v_add_f64 v[62:63], v[10:11], v[62:63]
	v_min3_f32 v68, v158, v68, v157
	v_add_f64 v[157:158], v[16:17], v[64:65]
	v_add_f64 v[64:65], v[12:13], v[64:65]
	v_cvt_f32_f64_e32 v69, v[159:160]
	v_cvt_f32_f64_e32 v62, v[62:63]
	v_cvt_f32_f64_e32 v157, v[157:158]
	v_cvt_f32_f64_e32 v63, v[64:65]
	v_min3_f32 v69, v69, v157, v156
	v_min3_f32 v62, v62, v63, v155
	v_add_f64 v[63:64], v[4:5], v[60:61]
	;; [unrolled: 20-line block ×10, first 2 shown]
	v_add_f64 v[123:124], v[2:3], v[26:27]
	v_add_f64 v[4:5], v[4:5], v[24:25]
	;; [unrolled: 1-line block ×3, first 2 shown]
	v_cvt_f32_f64_e32 v31, v[31:32]
	v_cvt_f32_f64_e32 v33, v[123:124]
	;; [unrolled: 1-line block ×4, first 2 shown]
	v_add_f64 v[4:5], v[18:19], v[22:23]
	v_min3_f32 v31, v33, v31, v122
	v_add_f64 v[32:33], v[20:21], v[28:29]
	v_add_f64 v[122:123], v[18:19], v[26:27]
	v_cvt_f32_f64_e32 v4, v[4:5]
	v_cvt_f32_f64_e32 v32, v[32:33]
	;; [unrolled: 1-line block ×3, first 2 shown]
	v_add_f64 v[123:124], v[14:15], v[26:27]
	v_add_f64 v[26:27], v[10:11], v[26:27]
	v_min3_f32 v32, v122, v32, v121
	v_add_f64 v[121:122], v[16:17], v[28:29]
	v_add_f64 v[28:29], v[12:13], v[28:29]
	v_cvt_f32_f64_e32 v26, v[26:27]
	v_cvt_f32_f64_e32 v33, v[123:124]
	;; [unrolled: 1-line block ×4, first 2 shown]
	v_min3_f32 v33, v33, v121, v120
	v_min3_f32 v26, v26, v27, v119
	;; [unrolled: 1-line block ×3, first 2 shown]
	v_add_f64 v[2:3], v[20:21], v[24:25]
	v_cvt_f32_f64_e32 v2, v[2:3]
	v_min3_f32 v18, v4, v2, v117
	v_add_f64 v[2:3], v[16:17], v[24:25]
	v_add_f64 v[4:5], v[14:15], v[22:23]
	v_cvt_f32_f64_e32 v2, v[2:3]
	v_cvt_f32_f64_e32 v4, v[4:5]
	v_min3_f32 v14, v4, v2, v116
	v_add_f64 v[2:3], v[12:13], v[24:25]
	v_add_f64 v[4:5], v[10:11], v[22:23]
	v_cvt_f32_f64_e32 v2, v[2:3]
	v_cvt_f32_f64_e32 v4, v[4:5]
	v_min3_f32 v10, v4, v2, v115
	ds_read_b128 v[172:175], v98 offset:1024
	ds_read_b128 v[176:179], v98 offset:2048
	;; [unrolled: 1-line block ×18, first 2 shown]
	ds_read_b128 v[216:219], v98
	ds_read_b128 v[2:5], v98 offset:16
	ds_read_b128 v[136:139], v102
	ds_read_b128 v[22:25], v102 offset:16
	s_waitcnt lgkmcnt(1)
	v_add_f64 v[11:12], v[218:219], v[138:139]
	v_add_f64 v[15:16], v[216:217], v[136:137]
	v_cvt_f32_f64_e32 v11, v[11:12]
	v_cvt_f32_f64_e32 v13, v[15:16]
	v_add_f64 v[15:16], v[172:173], v[136:137]
	v_min3_f32 v115, v13, v11, v168
	v_add_f64 v[11:12], v[174:175], v[138:139]
	v_cvt_f32_f64_e32 v13, v[15:16]
	v_add_f64 v[15:16], v[176:177], v[136:137]
	v_cvt_f32_f64_e32 v11, v[11:12]
	v_min3_f32 v167, v13, v11, v169
	v_add_f64 v[11:12], v[178:179], v[138:139]
	v_cvt_f32_f64_e32 v13, v[15:16]
	v_add_f64 v[15:16], v[180:181], v[136:137]
	v_cvt_f32_f64_e32 v11, v[11:12]
	;; [unrolled: 5-line block ×3, first 2 shown]
	v_min3_f32 v170, v13, v11, v6
	v_add_f64 v[11:12], v[218:219], v[92:93]
	v_cvt_f32_f64_e32 v6, v[15:16]
	v_cvt_f32_f64_e32 v11, v[11:12]
	v_min3_f32 v169, v6, v11, v7
	v_add_f64 v[6:7], v[174:175], v[92:93]
	v_add_f64 v[11:12], v[172:173], v[90:91]
	v_cvt_f32_f64_e32 v6, v[6:7]
	v_cvt_f32_f64_e32 v11, v[11:12]
	v_min3_f32 v168, v11, v6, v8
	v_add_f64 v[6:7], v[178:179], v[92:93]
	;; [unrolled: 5-line block ×57, first 2 shown]
	v_add_f64 v[8:9], v[172:173], v[212:213]
	s_waitcnt lgkmcnt(0)
	v_add_f64 v[172:173], v[4:5], v[24:25]
	v_add_f64 v[174:175], v[2:3], v[22:23]
	v_cvt_f32_f64_e32 v6, v[6:7]
	v_cvt_f32_f64_e32 v8, v[8:9]
	;; [unrolled: 1-line block ×4, first 2 shown]
	v_min3_f32 v92, v8, v6, v18
	v_add_f64 v[6:7], v[178:179], v[214:215]
	v_add_f64 v[8:9], v[176:177], v[212:213]
	v_min3_f32 v115, v174, v172, v115
	v_cvt_f32_f64_e32 v6, v[6:7]
	v_cvt_f32_f64_e32 v8, v[8:9]
	v_min3_f32 v91, v8, v6, v14
	v_add_f64 v[6:7], v[182:183], v[214:215]
	v_add_f64 v[8:9], v[180:181], v[212:213]
	v_cvt_f32_f64_e32 v6, v[6:7]
	v_cvt_f32_f64_e32 v8, v[8:9]
	v_min3_f32 v90, v8, v6, v10
	ds_read_b128 v[14:17], v98 offset:1040
	ds_read_b128 v[10:13], v98 offset:2064
	;; [unrolled: 1-line block ×18, first 2 shown]
	s_waitcnt vmcnt(2)
	ds_write2st64_b64 v103, v[86:87], v[88:89] offset1:4
	s_waitcnt vmcnt(0)
	ds_write2st64_b64 v104, v[82:83], v[84:85] offset1:4
	s_waitcnt lgkmcnt(0)
	v_add_f64 v[172:173], v[16:17], v[24:25]
	v_add_f64 v[174:175], v[14:15], v[22:23]
	s_barrier
	buffer_gl0_inv
	v_cvt_f32_f64_e32 v172, v[172:173]
	v_cvt_f32_f64_e32 v174, v[174:175]
	v_min3_f32 v167, v174, v172, v167
	v_add_f64 v[172:173], v[12:13], v[24:25]
	v_add_f64 v[174:175], v[10:11], v[22:23]
	;; [unrolled: 1-line block ×4, first 2 shown]
	v_cvt_f32_f64_e32 v172, v[172:173]
	v_cvt_f32_f64_e32 v174, v[174:175]
	;; [unrolled: 1-line block ×4, first 2 shown]
	v_add_f64 v[24:25], v[2:3], v[78:79]
	v_min3_f32 v229, v174, v172, v171
	v_min3_f32 v227, v22, v23, v170
	v_add_f64 v[22:23], v[4:5], v[80:81]
	v_cvt_f32_f64_e32 v24, v[24:25]
	v_cvt_f32_f64_e32 v22, v[22:23]
	v_min3_f32 v228, v24, v22, v169
	v_add_f64 v[22:23], v[16:17], v[80:81]
	v_add_f64 v[24:25], v[14:15], v[78:79]
	v_cvt_f32_f64_e32 v22, v[22:23]
	v_cvt_f32_f64_e32 v24, v[24:25]
	v_min3_f32 v225, v24, v22, v168
	v_add_f64 v[22:23], v[12:13], v[80:81]
	;; [unrolled: 5-line block ×52, first 2 shown]
	v_add_f64 v[24:25], v[2:3], v[26:27]
	v_add_f64 v[4:5], v[4:5], v[20:21]
	v_add_f64 v[2:3], v[2:3], v[18:19]
	v_cvt_f32_f64_e32 v22, v[22:23]
	v_cvt_f32_f64_e32 v24, v[24:25]
	;; [unrolled: 1-line block ×4, first 2 shown]
	v_add_f64 v[4:5], v[14:15], v[18:19]
	v_min3_f32 v176, v24, v22, v97
	v_add_f64 v[22:23], v[16:17], v[28:29]
	v_add_f64 v[24:25], v[14:15], v[26:27]
	v_min3_f32 v172, v2, v3, v93
	v_add_f64 v[2:3], v[16:17], v[20:21]
	v_cvt_f32_f64_e32 v4, v[4:5]
	v_cvt_f32_f64_e32 v22, v[22:23]
	;; [unrolled: 1-line block ×4, first 2 shown]
	v_min3_f32 v173, v24, v22, v96
	v_add_f64 v[22:23], v[12:13], v[28:29]
	v_add_f64 v[24:25], v[10:11], v[26:27]
	v_min3_f32 v169, v4, v2, v92
	v_add_f64 v[2:3], v[12:13], v[20:21]
	v_add_f64 v[4:5], v[10:11], v[18:19]
	v_cvt_f32_f64_e32 v22, v[22:23]
	v_cvt_f32_f64_e32 v24, v[24:25]
	;; [unrolled: 1-line block ×4, first 2 shown]
	v_min3_f32 v174, v24, v22, v95
	v_add_f64 v[22:23], v[8:9], v[28:29]
	v_add_f64 v[24:25], v[6:7], v[26:27]
	v_min3_f32 v170, v4, v2, v91
	v_add_f64 v[2:3], v[8:9], v[20:21]
	v_add_f64 v[4:5], v[6:7], v[18:19]
	v_cvt_f32_f64_e32 v22, v[22:23]
	v_cvt_f32_f64_e32 v24, v[24:25]
	;; [unrolled: 1-line block ×4, first 2 shown]
	v_min3_f32 v171, v24, v22, v94
	v_min3_f32 v168, v4, v2, v90
	s_cbranch_scc0 .LBB163_10
.LBB163_11:
	ds_read_b128 v[156:159], v166 offset:12288
	ds_read_b128 v[28:31], v98 offset:4096
	;; [unrolled: 1-line block ×4, first 2 shown]
	s_clause 0x2
	s_load_dwordx2 s[14:15], s[4:5], 0x78
	s_load_dword s8, s[4:5], 0x70
	s_load_dword s4, s[4:5], 0x58
	v_add_nc_u32_e32 v230, s6, v1
	v_add_nc_u32_e32 v164, s1, v0
	v_ashrrev_i32_e32 v165, 31, v164
	v_lshlrev_b64 v[162:163], 3, v[164:165]
	s_waitcnt lgkmcnt(0)
	v_add_f64 v[2:3], v[28:29], v[156:157]
	v_add_f64 v[4:5], v[30:31], v[158:159]
	;; [unrolled: 1-line block ×4, first 2 shown]
	v_mad_i64_i32 v[0:1], null, v230, s8, 0
	s_mul_i32 s1, s15, s7
	s_mul_hi_u32 s5, s14, s7
	s_mul_i32 s6, s14, s7
	s_add_i32 s7, s5, s1
	s_lshl_b64 s[6:7], s[6:7], 3
	v_lshlrev_b64 v[0:1], 3, v[0:1]
	s_add_u32 s1, s10, s6
	s_addc_u32 s5, s11, s7
	s_mov_b32 s6, -1
	v_add_co_u32 v231, vcc_lo, s1, v0
	v_add_co_ci_u32_e64 v232, null, s5, v1, vcc_lo
	v_cvt_f32_f64_e32 v10, v[2:3]
	v_cvt_f32_f64_e32 v11, v[4:5]
	;; [unrolled: 1-line block ×4, first 2 shown]
	v_mad_i64_i32 v[2:3], null, v230, s4, 0
	v_add_nc_u32_e32 v4, 32, v164
	v_ashrrev_i32_e32 v5, 31, v4
	v_lshlrev_b64 v[2:3], 3, v[2:3]
	v_add_co_u32 v233, vcc_lo, s12, v2
	v_add_co_ci_u32_e64 v234, null, s13, v3, vcc_lo
	s_mov_b32 vcc_lo, s0
	v_min3_f32 v8, v10, v11, v115
	v_min3_f32 v0, v6, v7, v8
	v_max_f32_e32 v6, v0, v0
	s_cbranch_vccz .LBB163_13
; %bb.12:
	v_min_f32_e32 v0, 0, v6
	v_add_co_u32 v2, vcc_lo, v231, v162
	v_add_co_ci_u32_e64 v3, null, v232, v163, vcc_lo
	v_cvt_f64_f32_e32 v[0:1], v0
	s_mov_b32 s6, 0
	global_store_dwordx2 v[2:3], v[0:1], off
.LBB163_13:
	ds_read_b128 v[20:23], v98 offset:5120
	ds_read_b128 v[12:15], v98 offset:5136
	;; [unrolled: 1-line block ×4, first 2 shown]
	v_lshlrev_b64 v[160:161], 3, v[4:5]
	v_mov_b32_e32 v32, 0
	s_andn2_b32 vcc_lo, exec_lo, s6
	s_cbranch_vccnz .LBB163_15
; %bb.14:
	v_add_co_u32 v4, vcc_lo, v233, v162
	v_add_co_ci_u32_e64 v5, null, v234, v163, vcc_lo
	global_load_dwordx2 v[4:5], v[4:5], off
	s_waitcnt vmcnt(0)
	v_mul_f64 v[4:5], s[2:3], v[4:5]
	v_cvt_f32_f64_e32 v4, v[4:5]
	v_min_f32_e32 v4, v4, v6
	v_add_co_u32 v6, vcc_lo, v231, v162
	v_add_co_ci_u32_e64 v7, null, v232, v163, vcc_lo
	v_cvt_f64_f32_e32 v[4:5], v4
	v_add_co_u32 v16, vcc_lo, v233, v160
	v_add_co_ci_u32_e64 v17, null, v234, v161, vcc_lo
	global_store_dwordx2 v[6:7], v[4:5], off
	global_load_dwordx2 v[4:5], v[16:17], off
	s_waitcnt vmcnt(0)
	v_mul_f64 v[4:5], s[2:3], v[4:5]
	v_cvt_f32_f64_e32 v32, v[4:5]
.LBB163_15:
	s_waitcnt lgkmcnt(3)
	v_add_f64 v[33:34], v[20:21], v[156:157]
	v_add_f64 v[35:36], v[22:23], v[158:159]
	s_waitcnt lgkmcnt(2)
	v_add_f64 v[37:38], v[12:13], v[152:153]
	v_add_f64 v[39:40], v[14:15], v[154:155]
	;; [unrolled: 3-line block ×4, first 2 shown]
	ds_read_b128 v[4:7], v98 offset:7168
	ds_read_b128 v[16:19], v98 offset:7184
	;; [unrolled: 1-line block ×26, first 2 shown]
	s_mov_b32 s6, -1
	v_cvt_f32_f64_e32 v33, v[33:34]
	v_cvt_f32_f64_e32 v34, v[35:36]
	;; [unrolled: 1-line block ×8, first 2 shown]
	v_min3_f32 v33, v33, v34, v167
	v_min_f32_e32 v34, v35, v36
	v_min3_f32 v165, v165, v235, v229
	v_min3_f32 v32, v32, v34, v33
	;; [unrolled: 1-line block ×3, first 2 shown]
	v_add_co_u32 v238, vcc_lo, v231, v160
	v_cvt_f64_f32_e32 v[236:237], v32
	ds_read_b128 v[52:55], v166 offset:15616
	ds_read_b128 v[48:51], v166 offset:15632
	;; [unrolled: 1-line block ×6, first 2 shown]
	v_add_nc_u32_e32 v166, 64, v164
	v_add_nc_u32_e32 v164, 0x60, v164
	v_add_co_ci_u32_e64 v239, null, v232, v161, vcc_lo
	v_max_f32_e32 v235, v229, v229
	v_ashrrev_i32_e32 v167, 31, v166
	v_ashrrev_i32_e32 v165, 31, v164
	s_mov_b32 vcc_lo, s0
	v_lshlrev_b64 v[166:167], 3, v[166:167]
	global_store_dwordx2 v[238:239], v[236:237], off
	s_cbranch_vccz .LBB163_17
; %bb.16:
	v_min_f32_e32 v229, 0, v235
	v_add_co_u32 v238, vcc_lo, v231, v166
	v_add_co_ci_u32_e64 v239, null, v232, v167, vcc_lo
	v_cvt_f64_f32_e32 v[236:237], v229
	s_mov_b32 s6, 0
	global_store_dwordx2 v[238:239], v[236:237], off
.LBB163_17:
	v_lshlrev_b64 v[164:165], 3, v[164:165]
	v_mov_b32_e32 v229, 0
	s_andn2_b32 vcc_lo, exec_lo, s6
	s_cbranch_vccnz .LBB163_19
; %bb.18:
	v_add_co_u32 v236, vcc_lo, v233, v166
	v_add_co_ci_u32_e64 v237, null, v234, v167, vcc_lo
	global_load_dwordx2 v[236:237], v[236:237], off
	s_waitcnt vmcnt(0)
	v_mul_f64 v[236:237], s[2:3], v[236:237]
	v_cvt_f32_f64_e32 v229, v[236:237]
	v_add_co_u32 v237, vcc_lo, v231, v166
	v_add_co_ci_u32_e64 v238, null, v232, v167, vcc_lo
	v_add_co_u32 v233, vcc_lo, v233, v164
	v_add_co_ci_u32_e64 v234, null, v234, v165, vcc_lo
	v_min_f32_e32 v229, v229, v235
	v_cvt_f64_f32_e32 v[235:236], v229
	global_store_dwordx2 v[237:238], v[235:236], off
	global_load_dwordx2 v[233:234], v[233:234], off
	s_waitcnt vmcnt(0)
	v_mul_f64 v[233:234], s[2:3], v[233:234]
	v_cvt_f32_f64_e32 v229, v[233:234]
.LBB163_19:
	s_waitcnt lgkmcnt(31)
	v_add_f64 v[156:157], v[4:5], v[156:157]
	v_add_f64 v[158:159], v[6:7], v[158:159]
	s_waitcnt lgkmcnt(30)
	v_add_f64 v[152:153], v[16:17], v[152:153]
	v_add_f64 v[154:155], v[18:19], v[154:155]
	;; [unrolled: 3-line block ×3, first 2 shown]
	v_add_co_u32 v231, vcc_lo, v231, v164
	v_add_co_ci_u32_e64 v232, null, v232, v165, vcc_lo
	s_mov_b32 s6, -1
	v_cvt_f32_f64_e32 v156, v[156:157]
	v_cvt_f32_f64_e32 v157, v[158:159]
	;; [unrolled: 1-line block ×4, first 2 shown]
	s_waitcnt lgkmcnt(28)
	v_add_f64 v[152:153], v[24:25], v[144:145]
	v_add_f64 v[154:155], v[26:27], v[146:147]
	v_cvt_f32_f64_e32 v235, v[235:236]
	v_cvt_f32_f64_e32 v233, v[233:234]
	v_min3_f32 v156, v156, v157, v227
	v_add_nc_u32_e32 v227, 8, v230
	v_min_f32_e32 v157, v158, v159
	v_cvt_f32_f64_e32 v234, v[152:153]
	v_cvt_f32_f64_e32 v236, v[154:155]
	v_mad_i64_i32 v[152:153], null, v227, s8, 0
	v_min3_f32 v154, v229, v157, v156
	v_min3_f32 v156, v235, v233, v228
	v_cvt_f64_f32_e32 v[158:159], v154
	v_mad_i64_i32 v[154:155], null, v227, s4, 0
	v_lshlrev_b64 v[152:153], 3, v[152:153]
	v_lshlrev_b64 v[154:155], 3, v[154:155]
	v_add_co_u32 v152, vcc_lo, s1, v152
	v_add_co_ci_u32_e64 v153, null, s5, v153, vcc_lo
	v_min3_f32 v156, v234, v236, v156
	v_add_co_u32 v154, vcc_lo, s12, v154
	v_add_co_ci_u32_e64 v155, null, s13, v155, vcc_lo
	v_max_f32_e32 v157, v156, v156
	s_mov_b32 vcc_lo, s0
	global_store_dwordx2 v[231:232], v[158:159], off
	s_cbranch_vccz .LBB163_21
; %bb.20:
	v_min_f32_e32 v156, 0, v157
	v_add_co_u32 v227, vcc_lo, v152, v162
	v_add_co_ci_u32_e64 v228, null, v153, v163, vcc_lo
	v_cvt_f64_f32_e32 v[158:159], v156
	s_mov_b32 s6, 0
	global_store_dwordx2 v[227:228], v[158:159], off
.LBB163_21:
	v_mov_b32_e32 v156, 0
	s_andn2_b32 vcc_lo, exec_lo, s6
	s_cbranch_vccnz .LBB163_23
; %bb.22:
	v_add_co_u32 v158, vcc_lo, v154, v162
	v_add_co_ci_u32_e64 v159, null, v155, v163, vcc_lo
	global_load_dwordx2 v[158:159], v[158:159], off
	s_waitcnt vmcnt(0)
	v_mul_f64 v[158:159], s[2:3], v[158:159]
	v_cvt_f32_f64_e32 v156, v[158:159]
	v_add_co_u32 v158, vcc_lo, v152, v162
	v_add_co_ci_u32_e64 v159, null, v153, v163, vcc_lo
	v_add_co_u32 v227, vcc_lo, v154, v160
	v_add_co_ci_u32_e64 v228, null, v155, v161, vcc_lo
	v_min_f32_e32 v156, v156, v157
	v_cvt_f64_f32_e32 v[156:157], v156
	global_store_dwordx2 v[158:159], v[156:157], off
	global_load_dwordx2 v[156:157], v[227:228], off
	s_waitcnt vmcnt(0)
	v_mul_f64 v[156:157], s[2:3], v[156:157]
	v_cvt_f32_f64_e32 v156, v[156:157]
.LBB163_23:
	v_add_f64 v[157:158], v[20:21], v[148:149]
	v_add_f64 v[227:228], v[22:23], v[150:151]
	;; [unrolled: 1-line block ×7, first 2 shown]
	s_mov_b32 s6, -1
	v_cvt_f32_f64_e32 v159, v[157:158]
	v_cvt_f32_f64_e32 v227, v[227:228]
	;; [unrolled: 1-line block ×4, first 2 shown]
	v_add_f64 v[157:158], v[2:3], v[146:147]
	v_cvt_f32_f64_e32 v231, v[237:238]
	v_cvt_f32_f64_e32 v232, v[235:236]
	v_cvt_f32_f64_e32 v233, v[239:240]
	v_min3_f32 v159, v159, v227, v225
	v_min_f32_e32 v225, v228, v229
	v_cvt_f32_f64_e32 v157, v[157:158]
	v_min3_f32 v156, v156, v225, v159
	v_add_co_u32 v225, vcc_lo, v152, v160
	v_cvt_f64_f32_e32 v[158:159], v156
	v_min3_f32 v156, v231, v232, v226
	v_add_co_ci_u32_e64 v226, null, v153, v161, vcc_lo
	s_mov_b32 vcc_lo, s0
	v_min3_f32 v156, v233, v157, v156
	v_max_f32_e32 v157, v156, v156
	global_store_dwordx2 v[225:226], v[158:159], off
	s_cbranch_vccz .LBB163_25
; %bb.24:
	v_min_f32_e32 v156, 0, v157
	v_add_co_u32 v225, vcc_lo, v152, v166
	v_add_co_ci_u32_e64 v226, null, v153, v167, vcc_lo
	v_cvt_f64_f32_e32 v[158:159], v156
	s_mov_b32 s6, 0
	global_store_dwordx2 v[225:226], v[158:159], off
.LBB163_25:
	v_mov_b32_e32 v156, 0
	s_andn2_b32 vcc_lo, exec_lo, s6
	s_cbranch_vccnz .LBB163_27
; %bb.26:
	v_add_co_u32 v158, vcc_lo, v154, v166
	v_add_co_ci_u32_e64 v159, null, v155, v167, vcc_lo
	global_load_dwordx2 v[158:159], v[158:159], off
	s_waitcnt vmcnt(0)
	v_mul_f64 v[158:159], s[2:3], v[158:159]
	v_cvt_f32_f64_e32 v156, v[158:159]
	v_add_co_u32 v158, vcc_lo, v152, v166
	v_add_co_ci_u32_e64 v159, null, v153, v167, vcc_lo
	v_add_co_u32 v154, vcc_lo, v154, v164
	v_add_co_ci_u32_e64 v155, null, v155, v165, vcc_lo
	v_min_f32_e32 v156, v156, v157
	v_cvt_f64_f32_e32 v[156:157], v156
	global_store_dwordx2 v[158:159], v[156:157], off
	global_load_dwordx2 v[154:155], v[154:155], off
	s_waitcnt vmcnt(0)
	v_mul_f64 v[154:155], s[2:3], v[154:155]
	v_cvt_f32_f64_e32 v156, v[154:155]
.LBB163_27:
	v_add_f64 v[148:149], v[4:5], v[148:149]
	v_add_f64 v[150:151], v[6:7], v[150:151]
	;; [unrolled: 1-line block ×4, first 2 shown]
	s_waitcnt lgkmcnt(27)
	v_add_f64 v[154:155], v[30:31], v[142:143]
	v_add_f64 v[157:158], v[28:29], v[140:141]
	v_add_co_u32 v152, vcc_lo, v152, v164
	v_add_co_ci_u32_e64 v153, null, v153, v165, vcc_lo
	s_mov_b32 s6, -1
	v_cvt_f32_f64_e32 v148, v[148:149]
	v_cvt_f32_f64_e32 v149, v[150:151]
	;; [unrolled: 1-line block ×4, first 2 shown]
	s_waitcnt lgkmcnt(26)
	v_add_f64 v[144:145], v[24:25], v[136:137]
	v_add_f64 v[146:147], v[26:27], v[138:139]
	v_cvt_f32_f64_e32 v157, v[157:158]
	v_cvt_f32_f64_e32 v154, v[154:155]
	v_add_nc_u32_e32 v155, 16, v230
	v_min3_f32 v148, v148, v149, v223
	v_min_f32_e32 v149, v150, v151
	v_cvt_f32_f64_e32 v158, v[144:145]
	v_cvt_f32_f64_e32 v159, v[146:147]
	v_mad_i64_i32 v[144:145], null, v155, s8, 0
	v_min3_f32 v146, v156, v149, v148
	v_min3_f32 v148, v157, v154, v224
	v_cvt_f64_f32_e32 v[150:151], v146
	v_mad_i64_i32 v[146:147], null, v155, s4, 0
	v_lshlrev_b64 v[144:145], 3, v[144:145]
	v_add_co_u32 v144, vcc_lo, s1, v144
	v_lshlrev_b64 v[146:147], 3, v[146:147]
	v_add_co_ci_u32_e64 v145, null, s5, v145, vcc_lo
	v_min3_f32 v148, v158, v159, v148
	v_add_co_u32 v146, vcc_lo, s12, v146
	v_add_co_ci_u32_e64 v147, null, s13, v147, vcc_lo
	v_max_f32_e32 v149, v148, v148
	s_mov_b32 vcc_lo, s0
	global_store_dwordx2 v[152:153], v[150:151], off
	s_cbranch_vccz .LBB163_29
; %bb.28:
	v_min_f32_e32 v148, 0, v149
	v_add_co_u32 v152, vcc_lo, v144, v162
	v_add_co_ci_u32_e64 v153, null, v145, v163, vcc_lo
	v_cvt_f64_f32_e32 v[150:151], v148
	s_mov_b32 s6, 0
	global_store_dwordx2 v[152:153], v[150:151], off
.LBB163_29:
	v_mov_b32_e32 v148, 0
	s_andn2_b32 vcc_lo, exec_lo, s6
	s_cbranch_vccnz .LBB163_31
; %bb.30:
	v_add_co_u32 v150, vcc_lo, v146, v162
	v_add_co_ci_u32_e64 v151, null, v147, v163, vcc_lo
	global_load_dwordx2 v[150:151], v[150:151], off
	s_waitcnt vmcnt(0)
	v_mul_f64 v[150:151], s[2:3], v[150:151]
	v_cvt_f32_f64_e32 v148, v[150:151]
	v_add_co_u32 v150, vcc_lo, v144, v162
	v_add_co_ci_u32_e64 v151, null, v145, v163, vcc_lo
	v_add_co_u32 v152, vcc_lo, v146, v160
	v_add_co_ci_u32_e64 v153, null, v147, v161, vcc_lo
	v_min_f32_e32 v148, v148, v149
	v_cvt_f64_f32_e32 v[148:149], v148
	global_store_dwordx2 v[150:151], v[148:149], off
	global_load_dwordx2 v[148:149], v[152:153], off
	s_waitcnt vmcnt(0)
	v_mul_f64 v[148:149], s[2:3], v[148:149]
	v_cvt_f32_f64_e32 v148, v[148:149]
.LBB163_31:
	v_add_f64 v[149:150], v[20:21], v[140:141]
	v_add_f64 v[151:152], v[22:23], v[142:143]
	;; [unrolled: 1-line block ×7, first 2 shown]
	s_mov_b32 s6, -1
	v_cvt_f32_f64_e32 v159, v[149:150]
	v_cvt_f32_f64_e32 v151, v[151:152]
	;; [unrolled: 1-line block ×4, first 2 shown]
	v_add_f64 v[149:150], v[2:3], v[138:139]
	v_cvt_f32_f64_e32 v154, v[223:224]
	v_cvt_f32_f64_e32 v155, v[157:158]
	;; [unrolled: 1-line block ×3, first 2 shown]
	v_min3_f32 v151, v159, v151, v221
	v_min_f32_e32 v152, v152, v153
	v_cvt_f32_f64_e32 v149, v[149:150]
	v_min3_f32 v148, v148, v152, v151
	v_add_co_u32 v152, vcc_lo, v144, v160
	v_add_co_ci_u32_e64 v153, null, v145, v161, vcc_lo
	v_cvt_f64_f32_e32 v[150:151], v148
	v_min3_f32 v148, v154, v155, v222
	s_mov_b32 vcc_lo, s0
	v_min3_f32 v148, v156, v149, v148
	v_max_f32_e32 v149, v148, v148
	global_store_dwordx2 v[152:153], v[150:151], off
	s_cbranch_vccz .LBB163_33
; %bb.32:
	v_min_f32_e32 v148, 0, v149
	v_add_co_u32 v152, vcc_lo, v144, v166
	v_add_co_ci_u32_e64 v153, null, v145, v167, vcc_lo
	v_cvt_f64_f32_e32 v[150:151], v148
	s_mov_b32 s6, 0
	global_store_dwordx2 v[152:153], v[150:151], off
.LBB163_33:
	v_mov_b32_e32 v148, 0
	s_andn2_b32 vcc_lo, exec_lo, s6
	s_cbranch_vccnz .LBB163_35
; %bb.34:
	v_add_co_u32 v150, vcc_lo, v146, v166
	v_add_co_ci_u32_e64 v151, null, v147, v167, vcc_lo
	global_load_dwordx2 v[150:151], v[150:151], off
	s_waitcnt vmcnt(0)
	v_mul_f64 v[150:151], s[2:3], v[150:151]
	v_cvt_f32_f64_e32 v148, v[150:151]
	v_add_co_u32 v150, vcc_lo, v144, v166
	v_add_co_ci_u32_e64 v151, null, v145, v167, vcc_lo
	v_add_co_u32 v146, vcc_lo, v146, v164
	v_add_co_ci_u32_e64 v147, null, v147, v165, vcc_lo
	v_min_f32_e32 v148, v148, v149
	v_cvt_f64_f32_e32 v[148:149], v148
	global_store_dwordx2 v[150:151], v[148:149], off
	global_load_dwordx2 v[146:147], v[146:147], off
	s_waitcnt vmcnt(0)
	v_mul_f64 v[146:147], s[2:3], v[146:147]
	v_cvt_f32_f64_e32 v148, v[146:147]
.LBB163_35:
	v_add_f64 v[140:141], v[4:5], v[140:141]
	v_add_f64 v[142:143], v[6:7], v[142:143]
	;; [unrolled: 1-line block ×4, first 2 shown]
	s_waitcnt lgkmcnt(25)
	v_add_f64 v[146:147], v[30:31], v[134:135]
	v_add_f64 v[149:150], v[28:29], v[132:133]
	v_add_co_u32 v144, vcc_lo, v144, v164
	v_add_co_ci_u32_e64 v145, null, v145, v165, vcc_lo
	s_mov_b32 s6, -1
	v_cvt_f32_f64_e32 v140, v[140:141]
	v_cvt_f32_f64_e32 v141, v[142:143]
	;; [unrolled: 1-line block ×4, first 2 shown]
	s_waitcnt lgkmcnt(24)
	v_add_f64 v[136:137], v[24:25], v[128:129]
	v_add_f64 v[138:139], v[26:27], v[130:131]
	v_cvt_f32_f64_e32 v149, v[149:150]
	v_cvt_f32_f64_e32 v146, v[146:147]
	v_add_nc_u32_e32 v147, 24, v230
	v_min3_f32 v140, v140, v141, v219
	v_min_f32_e32 v141, v142, v143
	v_cvt_f32_f64_e32 v150, v[136:137]
	v_cvt_f32_f64_e32 v151, v[138:139]
	v_mad_i64_i32 v[136:137], null, v147, s8, 0
	v_min3_f32 v138, v148, v141, v140
	v_min3_f32 v140, v149, v146, v220
	v_cvt_f64_f32_e32 v[142:143], v138
	v_mad_i64_i32 v[138:139], null, v147, s4, 0
	v_lshlrev_b64 v[136:137], 3, v[136:137]
	v_add_co_u32 v136, vcc_lo, s1, v136
	v_lshlrev_b64 v[138:139], 3, v[138:139]
	v_add_co_ci_u32_e64 v137, null, s5, v137, vcc_lo
	v_min3_f32 v140, v150, v151, v140
	v_add_co_u32 v138, vcc_lo, s12, v138
	v_add_co_ci_u32_e64 v139, null, s13, v139, vcc_lo
	v_max_f32_e32 v141, v140, v140
	s_mov_b32 vcc_lo, s0
	global_store_dwordx2 v[144:145], v[142:143], off
	s_cbranch_vccz .LBB163_37
; %bb.36:
	v_min_f32_e32 v140, 0, v141
	v_add_co_u32 v144, vcc_lo, v136, v162
	v_add_co_ci_u32_e64 v145, null, v137, v163, vcc_lo
	v_cvt_f64_f32_e32 v[142:143], v140
	s_mov_b32 s6, 0
	global_store_dwordx2 v[144:145], v[142:143], off
.LBB163_37:
	v_mov_b32_e32 v140, 0
	s_andn2_b32 vcc_lo, exec_lo, s6
	s_cbranch_vccnz .LBB163_39
; %bb.38:
	v_add_co_u32 v142, vcc_lo, v138, v162
	v_add_co_ci_u32_e64 v143, null, v139, v163, vcc_lo
	global_load_dwordx2 v[142:143], v[142:143], off
	s_waitcnt vmcnt(0)
	v_mul_f64 v[142:143], s[2:3], v[142:143]
	v_cvt_f32_f64_e32 v140, v[142:143]
	v_add_co_u32 v142, vcc_lo, v136, v162
	v_add_co_ci_u32_e64 v143, null, v137, v163, vcc_lo
	v_add_co_u32 v144, vcc_lo, v138, v160
	v_add_co_ci_u32_e64 v145, null, v139, v161, vcc_lo
	v_min_f32_e32 v140, v140, v141
	v_cvt_f64_f32_e32 v[140:141], v140
	global_store_dwordx2 v[142:143], v[140:141], off
	global_load_dwordx2 v[140:141], v[144:145], off
	s_waitcnt vmcnt(0)
	v_mul_f64 v[140:141], s[2:3], v[140:141]
	v_cvt_f32_f64_e32 v140, v[140:141]
.LBB163_39:
	v_add_f64 v[141:142], v[20:21], v[132:133]
	v_add_f64 v[143:144], v[22:23], v[134:135]
	;; [unrolled: 1-line block ×7, first 2 shown]
	s_mov_b32 s6, -1
	v_cvt_f32_f64_e32 v155, v[141:142]
	v_cvt_f32_f64_e32 v143, v[143:144]
	;; [unrolled: 1-line block ×4, first 2 shown]
	v_add_f64 v[141:142], v[2:3], v[130:131]
	v_cvt_f32_f64_e32 v146, v[151:152]
	v_cvt_f32_f64_e32 v147, v[149:150]
	;; [unrolled: 1-line block ×3, first 2 shown]
	v_min3_f32 v143, v155, v143, v217
	v_min_f32_e32 v144, v144, v145
	v_cvt_f32_f64_e32 v141, v[141:142]
	v_min3_f32 v140, v140, v144, v143
	v_add_co_u32 v144, vcc_lo, v136, v160
	v_add_co_ci_u32_e64 v145, null, v137, v161, vcc_lo
	v_cvt_f64_f32_e32 v[142:143], v140
	v_min3_f32 v140, v146, v147, v218
	s_mov_b32 vcc_lo, s0
	v_min3_f32 v140, v148, v141, v140
	v_max_f32_e32 v141, v140, v140
	global_store_dwordx2 v[144:145], v[142:143], off
	s_cbranch_vccz .LBB163_41
; %bb.40:
	v_min_f32_e32 v140, 0, v141
	v_add_co_u32 v144, vcc_lo, v136, v166
	v_add_co_ci_u32_e64 v145, null, v137, v167, vcc_lo
	v_cvt_f64_f32_e32 v[142:143], v140
	s_mov_b32 s6, 0
	global_store_dwordx2 v[144:145], v[142:143], off
.LBB163_41:
	v_mov_b32_e32 v140, 0
	s_andn2_b32 vcc_lo, exec_lo, s6
	s_cbranch_vccnz .LBB163_43
; %bb.42:
	v_add_co_u32 v142, vcc_lo, v138, v166
	v_add_co_ci_u32_e64 v143, null, v139, v167, vcc_lo
	global_load_dwordx2 v[142:143], v[142:143], off
	s_waitcnt vmcnt(0)
	v_mul_f64 v[142:143], s[2:3], v[142:143]
	v_cvt_f32_f64_e32 v140, v[142:143]
	v_add_co_u32 v142, vcc_lo, v136, v166
	v_add_co_ci_u32_e64 v143, null, v137, v167, vcc_lo
	v_add_co_u32 v138, vcc_lo, v138, v164
	v_add_co_ci_u32_e64 v139, null, v139, v165, vcc_lo
	v_min_f32_e32 v140, v140, v141
	v_cvt_f64_f32_e32 v[140:141], v140
	global_store_dwordx2 v[142:143], v[140:141], off
	global_load_dwordx2 v[138:139], v[138:139], off
	s_waitcnt vmcnt(0)
	v_mul_f64 v[138:139], s[2:3], v[138:139]
	v_cvt_f32_f64_e32 v140, v[138:139]
.LBB163_43:
	v_add_f64 v[132:133], v[4:5], v[132:133]
	v_add_f64 v[134:135], v[6:7], v[134:135]
	;; [unrolled: 1-line block ×4, first 2 shown]
	s_waitcnt lgkmcnt(23)
	v_add_f64 v[138:139], v[30:31], v[126:127]
	v_add_f64 v[141:142], v[28:29], v[124:125]
	v_add_co_u32 v136, vcc_lo, v136, v164
	v_add_co_ci_u32_e64 v137, null, v137, v165, vcc_lo
	s_mov_b32 s6, -1
	v_cvt_f32_f64_e32 v132, v[132:133]
	v_cvt_f32_f64_e32 v133, v[134:135]
	;; [unrolled: 1-line block ×4, first 2 shown]
	s_waitcnt lgkmcnt(22)
	v_add_f64 v[128:129], v[24:25], v[120:121]
	v_add_f64 v[130:131], v[26:27], v[122:123]
	v_cvt_f32_f64_e32 v141, v[141:142]
	v_cvt_f32_f64_e32 v138, v[138:139]
	v_add_nc_u32_e32 v139, 32, v230
	v_min3_f32 v132, v132, v133, v215
	v_min_f32_e32 v133, v134, v135
	v_cvt_f32_f64_e32 v142, v[128:129]
	v_cvt_f32_f64_e32 v143, v[130:131]
	v_mad_i64_i32 v[128:129], null, v139, s8, 0
	v_min3_f32 v130, v140, v133, v132
	v_min3_f32 v132, v141, v138, v216
	v_cvt_f64_f32_e32 v[134:135], v130
	v_mad_i64_i32 v[130:131], null, v139, s4, 0
	v_lshlrev_b64 v[128:129], 3, v[128:129]
	v_add_co_u32 v128, vcc_lo, s1, v128
	v_lshlrev_b64 v[130:131], 3, v[130:131]
	v_add_co_ci_u32_e64 v129, null, s5, v129, vcc_lo
	v_min3_f32 v132, v142, v143, v132
	v_add_co_u32 v130, vcc_lo, s12, v130
	v_add_co_ci_u32_e64 v131, null, s13, v131, vcc_lo
	v_max_f32_e32 v133, v132, v132
	s_mov_b32 vcc_lo, s0
	global_store_dwordx2 v[136:137], v[134:135], off
	s_cbranch_vccz .LBB163_45
; %bb.44:
	v_min_f32_e32 v132, 0, v133
	v_add_co_u32 v136, vcc_lo, v128, v162
	v_add_co_ci_u32_e64 v137, null, v129, v163, vcc_lo
	v_cvt_f64_f32_e32 v[134:135], v132
	s_mov_b32 s6, 0
	global_store_dwordx2 v[136:137], v[134:135], off
.LBB163_45:
	v_mov_b32_e32 v132, 0
	s_andn2_b32 vcc_lo, exec_lo, s6
	s_cbranch_vccnz .LBB163_47
; %bb.46:
	v_add_co_u32 v134, vcc_lo, v130, v162
	v_add_co_ci_u32_e64 v135, null, v131, v163, vcc_lo
	global_load_dwordx2 v[134:135], v[134:135], off
	s_waitcnt vmcnt(0)
	v_mul_f64 v[134:135], s[2:3], v[134:135]
	v_cvt_f32_f64_e32 v132, v[134:135]
	v_add_co_u32 v134, vcc_lo, v128, v162
	v_add_co_ci_u32_e64 v135, null, v129, v163, vcc_lo
	v_add_co_u32 v136, vcc_lo, v130, v160
	v_add_co_ci_u32_e64 v137, null, v131, v161, vcc_lo
	v_min_f32_e32 v132, v132, v133
	v_cvt_f64_f32_e32 v[132:133], v132
	global_store_dwordx2 v[134:135], v[132:133], off
	global_load_dwordx2 v[132:133], v[136:137], off
	s_waitcnt vmcnt(0)
	v_mul_f64 v[132:133], s[2:3], v[132:133]
	v_cvt_f32_f64_e32 v132, v[132:133]
.LBB163_47:
	v_add_f64 v[133:134], v[20:21], v[124:125]
	v_add_f64 v[135:136], v[22:23], v[126:127]
	;; [unrolled: 1-line block ×7, first 2 shown]
	s_mov_b32 s6, -1
	v_cvt_f32_f64_e32 v147, v[133:134]
	v_cvt_f32_f64_e32 v135, v[135:136]
	;; [unrolled: 1-line block ×4, first 2 shown]
	v_add_f64 v[133:134], v[2:3], v[122:123]
	v_cvt_f32_f64_e32 v138, v[143:144]
	v_cvt_f32_f64_e32 v139, v[141:142]
	v_cvt_f32_f64_e32 v140, v[145:146]
	v_min3_f32 v135, v147, v135, v213
	v_min_f32_e32 v136, v136, v137
	v_cvt_f32_f64_e32 v133, v[133:134]
	v_min3_f32 v132, v132, v136, v135
	v_add_co_u32 v136, vcc_lo, v128, v160
	v_add_co_ci_u32_e64 v137, null, v129, v161, vcc_lo
	v_cvt_f64_f32_e32 v[134:135], v132
	v_min3_f32 v132, v138, v139, v214
	s_mov_b32 vcc_lo, s0
	v_min3_f32 v132, v140, v133, v132
	v_max_f32_e32 v133, v132, v132
	global_store_dwordx2 v[136:137], v[134:135], off
	s_cbranch_vccz .LBB163_49
; %bb.48:
	v_min_f32_e32 v132, 0, v133
	v_add_co_u32 v136, vcc_lo, v128, v166
	v_add_co_ci_u32_e64 v137, null, v129, v167, vcc_lo
	v_cvt_f64_f32_e32 v[134:135], v132
	s_mov_b32 s6, 0
	global_store_dwordx2 v[136:137], v[134:135], off
.LBB163_49:
	v_mov_b32_e32 v132, 0
	s_andn2_b32 vcc_lo, exec_lo, s6
	s_cbranch_vccnz .LBB163_51
; %bb.50:
	v_add_co_u32 v134, vcc_lo, v130, v166
	v_add_co_ci_u32_e64 v135, null, v131, v167, vcc_lo
	global_load_dwordx2 v[134:135], v[134:135], off
	s_waitcnt vmcnt(0)
	v_mul_f64 v[134:135], s[2:3], v[134:135]
	v_cvt_f32_f64_e32 v132, v[134:135]
	v_add_co_u32 v134, vcc_lo, v128, v166
	v_add_co_ci_u32_e64 v135, null, v129, v167, vcc_lo
	v_add_co_u32 v130, vcc_lo, v130, v164
	v_add_co_ci_u32_e64 v131, null, v131, v165, vcc_lo
	v_min_f32_e32 v132, v132, v133
	v_cvt_f64_f32_e32 v[132:133], v132
	global_store_dwordx2 v[134:135], v[132:133], off
	global_load_dwordx2 v[130:131], v[130:131], off
	s_waitcnt vmcnt(0)
	v_mul_f64 v[130:131], s[2:3], v[130:131]
	v_cvt_f32_f64_e32 v132, v[130:131]
.LBB163_51:
	v_add_f64 v[124:125], v[4:5], v[124:125]
	v_add_f64 v[126:127], v[6:7], v[126:127]
	;; [unrolled: 1-line block ×4, first 2 shown]
	s_waitcnt lgkmcnt(21)
	v_add_f64 v[130:131], v[30:31], v[118:119]
	v_add_f64 v[133:134], v[28:29], v[116:117]
	v_add_co_u32 v128, vcc_lo, v128, v164
	v_add_co_ci_u32_e64 v129, null, v129, v165, vcc_lo
	s_mov_b32 s6, -1
	v_cvt_f32_f64_e32 v124, v[124:125]
	v_cvt_f32_f64_e32 v125, v[126:127]
	;; [unrolled: 1-line block ×4, first 2 shown]
	s_waitcnt lgkmcnt(20)
	v_add_f64 v[120:121], v[24:25], v[112:113]
	v_add_f64 v[122:123], v[26:27], v[114:115]
	v_cvt_f32_f64_e32 v133, v[133:134]
	v_cvt_f32_f64_e32 v130, v[130:131]
	v_add_nc_u32_e32 v131, 40, v230
	v_min3_f32 v124, v124, v125, v211
	v_min_f32_e32 v125, v126, v127
	v_cvt_f32_f64_e32 v134, v[120:121]
	v_cvt_f32_f64_e32 v135, v[122:123]
	v_mad_i64_i32 v[120:121], null, v131, s8, 0
	v_min3_f32 v122, v132, v125, v124
	v_min3_f32 v124, v133, v130, v212
	v_cvt_f64_f32_e32 v[126:127], v122
	v_mad_i64_i32 v[122:123], null, v131, s4, 0
	v_lshlrev_b64 v[120:121], 3, v[120:121]
	v_add_co_u32 v120, vcc_lo, s1, v120
	v_lshlrev_b64 v[122:123], 3, v[122:123]
	v_add_co_ci_u32_e64 v121, null, s5, v121, vcc_lo
	v_min3_f32 v124, v134, v135, v124
	v_add_co_u32 v122, vcc_lo, s12, v122
	v_add_co_ci_u32_e64 v123, null, s13, v123, vcc_lo
	v_max_f32_e32 v125, v124, v124
	s_mov_b32 vcc_lo, s0
	global_store_dwordx2 v[128:129], v[126:127], off
	s_cbranch_vccz .LBB163_53
; %bb.52:
	v_min_f32_e32 v124, 0, v125
	v_add_co_u32 v128, vcc_lo, v120, v162
	v_add_co_ci_u32_e64 v129, null, v121, v163, vcc_lo
	v_cvt_f64_f32_e32 v[126:127], v124
	s_mov_b32 s6, 0
	global_store_dwordx2 v[128:129], v[126:127], off
.LBB163_53:
	v_mov_b32_e32 v124, 0
	s_andn2_b32 vcc_lo, exec_lo, s6
	s_cbranch_vccnz .LBB163_55
; %bb.54:
	v_add_co_u32 v126, vcc_lo, v122, v162
	v_add_co_ci_u32_e64 v127, null, v123, v163, vcc_lo
	global_load_dwordx2 v[126:127], v[126:127], off
	s_waitcnt vmcnt(0)
	v_mul_f64 v[126:127], s[2:3], v[126:127]
	v_cvt_f32_f64_e32 v124, v[126:127]
	v_add_co_u32 v126, vcc_lo, v120, v162
	v_add_co_ci_u32_e64 v127, null, v121, v163, vcc_lo
	v_add_co_u32 v128, vcc_lo, v122, v160
	v_add_co_ci_u32_e64 v129, null, v123, v161, vcc_lo
	v_min_f32_e32 v124, v124, v125
	v_cvt_f64_f32_e32 v[124:125], v124
	global_store_dwordx2 v[126:127], v[124:125], off
	global_load_dwordx2 v[124:125], v[128:129], off
	s_waitcnt vmcnt(0)
	v_mul_f64 v[124:125], s[2:3], v[124:125]
	v_cvt_f32_f64_e32 v124, v[124:125]
.LBB163_55:
	v_add_f64 v[125:126], v[20:21], v[116:117]
	v_add_f64 v[127:128], v[22:23], v[118:119]
	;; [unrolled: 1-line block ×7, first 2 shown]
	s_mov_b32 s6, -1
	v_cvt_f32_f64_e32 v139, v[125:126]
	v_cvt_f32_f64_e32 v127, v[127:128]
	;; [unrolled: 1-line block ×4, first 2 shown]
	v_add_f64 v[125:126], v[2:3], v[114:115]
	v_cvt_f32_f64_e32 v130, v[135:136]
	v_cvt_f32_f64_e32 v131, v[133:134]
	;; [unrolled: 1-line block ×3, first 2 shown]
	v_min3_f32 v127, v139, v127, v209
	v_min_f32_e32 v128, v128, v129
	v_cvt_f32_f64_e32 v125, v[125:126]
	v_min3_f32 v124, v124, v128, v127
	v_add_co_u32 v128, vcc_lo, v120, v160
	v_add_co_ci_u32_e64 v129, null, v121, v161, vcc_lo
	v_cvt_f64_f32_e32 v[126:127], v124
	v_min3_f32 v124, v130, v131, v210
	s_mov_b32 vcc_lo, s0
	v_min3_f32 v124, v132, v125, v124
	v_max_f32_e32 v125, v124, v124
	global_store_dwordx2 v[128:129], v[126:127], off
	s_cbranch_vccz .LBB163_57
; %bb.56:
	v_min_f32_e32 v124, 0, v125
	v_add_co_u32 v128, vcc_lo, v120, v166
	v_add_co_ci_u32_e64 v129, null, v121, v167, vcc_lo
	v_cvt_f64_f32_e32 v[126:127], v124
	s_mov_b32 s6, 0
	global_store_dwordx2 v[128:129], v[126:127], off
.LBB163_57:
	v_mov_b32_e32 v124, 0
	s_andn2_b32 vcc_lo, exec_lo, s6
	s_cbranch_vccnz .LBB163_59
; %bb.58:
	v_add_co_u32 v126, vcc_lo, v122, v166
	v_add_co_ci_u32_e64 v127, null, v123, v167, vcc_lo
	global_load_dwordx2 v[126:127], v[126:127], off
	s_waitcnt vmcnt(0)
	v_mul_f64 v[126:127], s[2:3], v[126:127]
	v_cvt_f32_f64_e32 v124, v[126:127]
	v_add_co_u32 v126, vcc_lo, v120, v166
	v_add_co_ci_u32_e64 v127, null, v121, v167, vcc_lo
	v_add_co_u32 v122, vcc_lo, v122, v164
	v_add_co_ci_u32_e64 v123, null, v123, v165, vcc_lo
	v_min_f32_e32 v124, v124, v125
	v_cvt_f64_f32_e32 v[124:125], v124
	global_store_dwordx2 v[126:127], v[124:125], off
	global_load_dwordx2 v[122:123], v[122:123], off
	s_waitcnt vmcnt(0)
	v_mul_f64 v[122:123], s[2:3], v[122:123]
	v_cvt_f32_f64_e32 v124, v[122:123]
.LBB163_59:
	v_add_f64 v[116:117], v[4:5], v[116:117]
	v_add_f64 v[118:119], v[6:7], v[118:119]
	;; [unrolled: 1-line block ×4, first 2 shown]
	s_waitcnt lgkmcnt(19)
	v_add_f64 v[122:123], v[30:31], v[110:111]
	v_add_f64 v[125:126], v[28:29], v[108:109]
	v_add_co_u32 v120, vcc_lo, v120, v164
	v_add_co_ci_u32_e64 v121, null, v121, v165, vcc_lo
	s_mov_b32 s6, -1
	v_cvt_f32_f64_e32 v116, v[116:117]
	v_cvt_f32_f64_e32 v117, v[118:119]
	;; [unrolled: 1-line block ×4, first 2 shown]
	s_waitcnt lgkmcnt(18)
	v_add_f64 v[112:113], v[24:25], v[104:105]
	v_add_f64 v[114:115], v[26:27], v[106:107]
	v_cvt_f32_f64_e32 v125, v[125:126]
	v_cvt_f32_f64_e32 v122, v[122:123]
	v_add_nc_u32_e32 v123, 48, v230
	v_min3_f32 v116, v116, v117, v207
	v_min_f32_e32 v117, v118, v119
	v_cvt_f32_f64_e32 v126, v[112:113]
	v_cvt_f32_f64_e32 v127, v[114:115]
	v_mad_i64_i32 v[112:113], null, v123, s8, 0
	v_min3_f32 v114, v124, v117, v116
	v_min3_f32 v116, v125, v122, v208
	v_cvt_f64_f32_e32 v[118:119], v114
	v_mad_i64_i32 v[114:115], null, v123, s4, 0
	v_lshlrev_b64 v[112:113], 3, v[112:113]
	v_add_co_u32 v112, vcc_lo, s1, v112
	v_lshlrev_b64 v[114:115], 3, v[114:115]
	v_add_co_ci_u32_e64 v113, null, s5, v113, vcc_lo
	v_min3_f32 v116, v126, v127, v116
	v_add_co_u32 v114, vcc_lo, s12, v114
	v_add_co_ci_u32_e64 v115, null, s13, v115, vcc_lo
	v_max_f32_e32 v117, v116, v116
	s_mov_b32 vcc_lo, s0
	global_store_dwordx2 v[120:121], v[118:119], off
	s_cbranch_vccz .LBB163_61
; %bb.60:
	v_min_f32_e32 v116, 0, v117
	v_add_co_u32 v120, vcc_lo, v112, v162
	v_add_co_ci_u32_e64 v121, null, v113, v163, vcc_lo
	v_cvt_f64_f32_e32 v[118:119], v116
	s_mov_b32 s6, 0
	global_store_dwordx2 v[120:121], v[118:119], off
.LBB163_61:
	v_mov_b32_e32 v116, 0
	s_andn2_b32 vcc_lo, exec_lo, s6
	s_cbranch_vccnz .LBB163_63
; %bb.62:
	v_add_co_u32 v118, vcc_lo, v114, v162
	v_add_co_ci_u32_e64 v119, null, v115, v163, vcc_lo
	global_load_dwordx2 v[118:119], v[118:119], off
	s_waitcnt vmcnt(0)
	v_mul_f64 v[118:119], s[2:3], v[118:119]
	v_cvt_f32_f64_e32 v116, v[118:119]
	v_add_co_u32 v118, vcc_lo, v112, v162
	v_add_co_ci_u32_e64 v119, null, v113, v163, vcc_lo
	v_add_co_u32 v120, vcc_lo, v114, v160
	v_add_co_ci_u32_e64 v121, null, v115, v161, vcc_lo
	v_min_f32_e32 v116, v116, v117
	v_cvt_f64_f32_e32 v[116:117], v116
	global_store_dwordx2 v[118:119], v[116:117], off
	global_load_dwordx2 v[116:117], v[120:121], off
	s_waitcnt vmcnt(0)
	v_mul_f64 v[116:117], s[2:3], v[116:117]
	v_cvt_f32_f64_e32 v116, v[116:117]
.LBB163_63:
	v_add_f64 v[117:118], v[20:21], v[108:109]
	v_add_f64 v[119:120], v[22:23], v[110:111]
	v_add_f64 v[121:122], v[12:13], v[104:105]
	v_add_f64 v[123:124], v[14:15], v[106:107]
	v_add_f64 v[125:126], v[10:11], v[110:111]
	v_add_f64 v[127:128], v[8:9], v[108:109]
	v_add_f64 v[129:130], v[0:1], v[104:105]
	s_mov_b32 s6, -1
	v_cvt_f32_f64_e32 v131, v[117:118]
	v_cvt_f32_f64_e32 v119, v[119:120]
	;; [unrolled: 1-line block ×4, first 2 shown]
	v_add_f64 v[117:118], v[2:3], v[106:107]
	v_cvt_f32_f64_e32 v122, v[127:128]
	v_cvt_f32_f64_e32 v123, v[125:126]
	;; [unrolled: 1-line block ×3, first 2 shown]
	v_min3_f32 v119, v131, v119, v205
	v_min_f32_e32 v120, v120, v121
	v_cvt_f32_f64_e32 v117, v[117:118]
	v_min3_f32 v116, v116, v120, v119
	v_add_co_u32 v120, vcc_lo, v112, v160
	v_add_co_ci_u32_e64 v121, null, v113, v161, vcc_lo
	v_cvt_f64_f32_e32 v[118:119], v116
	v_min3_f32 v116, v122, v123, v206
	s_mov_b32 vcc_lo, s0
	v_min3_f32 v116, v124, v117, v116
	v_max_f32_e32 v117, v116, v116
	global_store_dwordx2 v[120:121], v[118:119], off
	s_cbranch_vccz .LBB163_65
; %bb.64:
	v_min_f32_e32 v116, 0, v117
	v_add_co_u32 v120, vcc_lo, v112, v166
	v_add_co_ci_u32_e64 v121, null, v113, v167, vcc_lo
	v_cvt_f64_f32_e32 v[118:119], v116
	s_mov_b32 s6, 0
	global_store_dwordx2 v[120:121], v[118:119], off
.LBB163_65:
	v_mov_b32_e32 v116, 0
	s_andn2_b32 vcc_lo, exec_lo, s6
	s_cbranch_vccnz .LBB163_67
; %bb.66:
	v_add_co_u32 v118, vcc_lo, v114, v166
	v_add_co_ci_u32_e64 v119, null, v115, v167, vcc_lo
	global_load_dwordx2 v[118:119], v[118:119], off
	s_waitcnt vmcnt(0)
	v_mul_f64 v[118:119], s[2:3], v[118:119]
	v_cvt_f32_f64_e32 v116, v[118:119]
	v_add_co_u32 v118, vcc_lo, v112, v166
	v_add_co_ci_u32_e64 v119, null, v113, v167, vcc_lo
	v_add_co_u32 v114, vcc_lo, v114, v164
	v_add_co_ci_u32_e64 v115, null, v115, v165, vcc_lo
	v_min_f32_e32 v116, v116, v117
	v_cvt_f64_f32_e32 v[116:117], v116
	global_store_dwordx2 v[118:119], v[116:117], off
	global_load_dwordx2 v[114:115], v[114:115], off
	s_waitcnt vmcnt(0)
	v_mul_f64 v[114:115], s[2:3], v[114:115]
	v_cvt_f32_f64_e32 v116, v[114:115]
.LBB163_67:
	v_add_f64 v[108:109], v[4:5], v[108:109]
	v_add_f64 v[110:111], v[6:7], v[110:111]
	;; [unrolled: 1-line block ×4, first 2 shown]
	s_waitcnt lgkmcnt(17)
	v_add_f64 v[114:115], v[30:31], v[102:103]
	v_add_f64 v[117:118], v[28:29], v[100:101]
	v_add_co_u32 v112, vcc_lo, v112, v164
	v_add_co_ci_u32_e64 v113, null, v113, v165, vcc_lo
	s_mov_b32 s6, -1
	v_cvt_f32_f64_e32 v108, v[108:109]
	v_cvt_f32_f64_e32 v109, v[110:111]
	;; [unrolled: 1-line block ×4, first 2 shown]
	s_waitcnt lgkmcnt(16)
	v_add_f64 v[104:105], v[24:25], v[96:97]
	v_add_f64 v[106:107], v[26:27], v[98:99]
	v_cvt_f32_f64_e32 v117, v[117:118]
	v_cvt_f32_f64_e32 v114, v[114:115]
	v_add_nc_u32_e32 v115, 56, v230
	v_min3_f32 v108, v108, v109, v203
	v_min_f32_e32 v109, v110, v111
	v_cvt_f32_f64_e32 v118, v[104:105]
	v_cvt_f32_f64_e32 v119, v[106:107]
	v_mad_i64_i32 v[104:105], null, v115, s8, 0
	v_min3_f32 v106, v116, v109, v108
	v_min3_f32 v108, v117, v114, v204
	v_cvt_f64_f32_e32 v[110:111], v106
	v_mad_i64_i32 v[106:107], null, v115, s4, 0
	v_lshlrev_b64 v[104:105], 3, v[104:105]
	v_add_co_u32 v104, vcc_lo, s1, v104
	v_lshlrev_b64 v[106:107], 3, v[106:107]
	v_add_co_ci_u32_e64 v105, null, s5, v105, vcc_lo
	v_min3_f32 v108, v118, v119, v108
	v_add_co_u32 v106, vcc_lo, s12, v106
	v_add_co_ci_u32_e64 v107, null, s13, v107, vcc_lo
	v_max_f32_e32 v109, v108, v108
	s_mov_b32 vcc_lo, s0
	global_store_dwordx2 v[112:113], v[110:111], off
	s_cbranch_vccz .LBB163_69
; %bb.68:
	v_min_f32_e32 v108, 0, v109
	v_add_co_u32 v112, vcc_lo, v104, v162
	v_add_co_ci_u32_e64 v113, null, v105, v163, vcc_lo
	v_cvt_f64_f32_e32 v[110:111], v108
	s_mov_b32 s6, 0
	global_store_dwordx2 v[112:113], v[110:111], off
.LBB163_69:
	v_mov_b32_e32 v108, 0
	s_andn2_b32 vcc_lo, exec_lo, s6
	s_cbranch_vccnz .LBB163_71
; %bb.70:
	v_add_co_u32 v110, vcc_lo, v106, v162
	v_add_co_ci_u32_e64 v111, null, v107, v163, vcc_lo
	global_load_dwordx2 v[110:111], v[110:111], off
	s_waitcnt vmcnt(0)
	v_mul_f64 v[110:111], s[2:3], v[110:111]
	v_cvt_f32_f64_e32 v108, v[110:111]
	v_add_co_u32 v110, vcc_lo, v104, v162
	v_add_co_ci_u32_e64 v111, null, v105, v163, vcc_lo
	v_add_co_u32 v112, vcc_lo, v106, v160
	v_add_co_ci_u32_e64 v113, null, v107, v161, vcc_lo
	v_min_f32_e32 v108, v108, v109
	v_cvt_f64_f32_e32 v[108:109], v108
	global_store_dwordx2 v[110:111], v[108:109], off
	global_load_dwordx2 v[108:109], v[112:113], off
	s_waitcnt vmcnt(0)
	v_mul_f64 v[108:109], s[2:3], v[108:109]
	v_cvt_f32_f64_e32 v108, v[108:109]
.LBB163_71:
	v_add_f64 v[109:110], v[20:21], v[100:101]
	v_add_f64 v[111:112], v[22:23], v[102:103]
	;; [unrolled: 1-line block ×7, first 2 shown]
	s_mov_b32 s6, -1
	v_cvt_f32_f64_e32 v123, v[109:110]
	v_cvt_f32_f64_e32 v111, v[111:112]
	;; [unrolled: 1-line block ×4, first 2 shown]
	v_add_f64 v[109:110], v[2:3], v[98:99]
	v_cvt_f32_f64_e32 v114, v[119:120]
	v_cvt_f32_f64_e32 v115, v[117:118]
	;; [unrolled: 1-line block ×3, first 2 shown]
	v_min3_f32 v111, v123, v111, v201
	v_min_f32_e32 v112, v112, v113
	v_cvt_f32_f64_e32 v109, v[109:110]
	v_min3_f32 v108, v108, v112, v111
	v_add_co_u32 v112, vcc_lo, v104, v160
	v_add_co_ci_u32_e64 v113, null, v105, v161, vcc_lo
	v_cvt_f64_f32_e32 v[110:111], v108
	v_min3_f32 v108, v114, v115, v202
	s_mov_b32 vcc_lo, s0
	v_min3_f32 v108, v116, v109, v108
	v_max_f32_e32 v109, v108, v108
	global_store_dwordx2 v[112:113], v[110:111], off
	s_cbranch_vccz .LBB163_73
; %bb.72:
	v_min_f32_e32 v108, 0, v109
	v_add_co_u32 v112, vcc_lo, v104, v166
	v_add_co_ci_u32_e64 v113, null, v105, v167, vcc_lo
	v_cvt_f64_f32_e32 v[110:111], v108
	s_mov_b32 s6, 0
	global_store_dwordx2 v[112:113], v[110:111], off
.LBB163_73:
	v_mov_b32_e32 v108, 0
	s_andn2_b32 vcc_lo, exec_lo, s6
	s_cbranch_vccnz .LBB163_75
; %bb.74:
	v_add_co_u32 v110, vcc_lo, v106, v166
	v_add_co_ci_u32_e64 v111, null, v107, v167, vcc_lo
	global_load_dwordx2 v[110:111], v[110:111], off
	s_waitcnt vmcnt(0)
	v_mul_f64 v[110:111], s[2:3], v[110:111]
	v_cvt_f32_f64_e32 v108, v[110:111]
	v_add_co_u32 v110, vcc_lo, v104, v166
	v_add_co_ci_u32_e64 v111, null, v105, v167, vcc_lo
	v_add_co_u32 v106, vcc_lo, v106, v164
	v_add_co_ci_u32_e64 v107, null, v107, v165, vcc_lo
	v_min_f32_e32 v108, v108, v109
	v_cvt_f64_f32_e32 v[108:109], v108
	global_store_dwordx2 v[110:111], v[108:109], off
	global_load_dwordx2 v[106:107], v[106:107], off
	s_waitcnt vmcnt(0)
	v_mul_f64 v[106:107], s[2:3], v[106:107]
	v_cvt_f32_f64_e32 v108, v[106:107]
.LBB163_75:
	v_add_f64 v[100:101], v[4:5], v[100:101]
	v_add_f64 v[102:103], v[6:7], v[102:103]
	v_add_f64 v[96:97], v[16:17], v[96:97]
	v_add_f64 v[98:99], v[18:19], v[98:99]
	s_waitcnt lgkmcnt(15)
	v_add_f64 v[106:107], v[30:31], v[94:95]
	v_add_f64 v[109:110], v[28:29], v[92:93]
	v_add_co_u32 v104, vcc_lo, v104, v164
	v_add_co_ci_u32_e64 v105, null, v105, v165, vcc_lo
	s_mov_b32 s6, -1
	v_cvt_f32_f64_e32 v100, v[100:101]
	v_cvt_f32_f64_e32 v101, v[102:103]
	;; [unrolled: 1-line block ×4, first 2 shown]
	s_waitcnt lgkmcnt(14)
	v_add_f64 v[96:97], v[24:25], v[88:89]
	v_add_f64 v[98:99], v[26:27], v[90:91]
	v_cvt_f32_f64_e32 v109, v[109:110]
	v_cvt_f32_f64_e32 v106, v[106:107]
	v_add_nc_u32_e32 v107, 64, v230
	v_min3_f32 v100, v100, v101, v199
	v_min_f32_e32 v101, v102, v103
	v_cvt_f32_f64_e32 v110, v[96:97]
	v_cvt_f32_f64_e32 v111, v[98:99]
	v_mad_i64_i32 v[96:97], null, v107, s8, 0
	v_min3_f32 v98, v108, v101, v100
	v_min3_f32 v100, v109, v106, v200
	v_cvt_f64_f32_e32 v[102:103], v98
	v_mad_i64_i32 v[98:99], null, v107, s4, 0
	v_lshlrev_b64 v[96:97], 3, v[96:97]
	v_add_co_u32 v96, vcc_lo, s1, v96
	v_lshlrev_b64 v[98:99], 3, v[98:99]
	v_add_co_ci_u32_e64 v97, null, s5, v97, vcc_lo
	v_min3_f32 v100, v110, v111, v100
	v_add_co_u32 v98, vcc_lo, s12, v98
	v_add_co_ci_u32_e64 v99, null, s13, v99, vcc_lo
	v_max_f32_e32 v101, v100, v100
	s_mov_b32 vcc_lo, s0
	global_store_dwordx2 v[104:105], v[102:103], off
	s_cbranch_vccz .LBB163_77
; %bb.76:
	v_min_f32_e32 v100, 0, v101
	v_add_co_u32 v104, vcc_lo, v96, v162
	v_add_co_ci_u32_e64 v105, null, v97, v163, vcc_lo
	v_cvt_f64_f32_e32 v[102:103], v100
	s_mov_b32 s6, 0
	global_store_dwordx2 v[104:105], v[102:103], off
.LBB163_77:
	v_mov_b32_e32 v100, 0
	s_andn2_b32 vcc_lo, exec_lo, s6
	s_cbranch_vccnz .LBB163_79
; %bb.78:
	v_add_co_u32 v102, vcc_lo, v98, v162
	v_add_co_ci_u32_e64 v103, null, v99, v163, vcc_lo
	global_load_dwordx2 v[102:103], v[102:103], off
	s_waitcnt vmcnt(0)
	v_mul_f64 v[102:103], s[2:3], v[102:103]
	v_cvt_f32_f64_e32 v100, v[102:103]
	v_add_co_u32 v102, vcc_lo, v96, v162
	v_add_co_ci_u32_e64 v103, null, v97, v163, vcc_lo
	v_add_co_u32 v104, vcc_lo, v98, v160
	v_add_co_ci_u32_e64 v105, null, v99, v161, vcc_lo
	v_min_f32_e32 v100, v100, v101
	v_cvt_f64_f32_e32 v[100:101], v100
	global_store_dwordx2 v[102:103], v[100:101], off
	global_load_dwordx2 v[100:101], v[104:105], off
	s_waitcnt vmcnt(0)
	v_mul_f64 v[100:101], s[2:3], v[100:101]
	v_cvt_f32_f64_e32 v100, v[100:101]
.LBB163_79:
	v_add_f64 v[101:102], v[20:21], v[92:93]
	v_add_f64 v[103:104], v[22:23], v[94:95]
	v_add_f64 v[105:106], v[12:13], v[88:89]
	v_add_f64 v[107:108], v[14:15], v[90:91]
	v_add_f64 v[109:110], v[10:11], v[94:95]
	v_add_f64 v[111:112], v[8:9], v[92:93]
	v_add_f64 v[113:114], v[0:1], v[88:89]
	s_mov_b32 s6, -1
	v_cvt_f32_f64_e32 v115, v[101:102]
	v_cvt_f32_f64_e32 v103, v[103:104]
	;; [unrolled: 1-line block ×4, first 2 shown]
	v_add_f64 v[101:102], v[2:3], v[90:91]
	v_cvt_f32_f64_e32 v106, v[111:112]
	v_cvt_f32_f64_e32 v107, v[109:110]
	;; [unrolled: 1-line block ×3, first 2 shown]
	v_min3_f32 v103, v115, v103, v197
	v_min_f32_e32 v104, v104, v105
	v_cvt_f32_f64_e32 v101, v[101:102]
	v_min3_f32 v100, v100, v104, v103
	v_add_co_u32 v104, vcc_lo, v96, v160
	v_add_co_ci_u32_e64 v105, null, v97, v161, vcc_lo
	v_cvt_f64_f32_e32 v[102:103], v100
	v_min3_f32 v100, v106, v107, v198
	s_mov_b32 vcc_lo, s0
	v_min3_f32 v100, v108, v101, v100
	v_max_f32_e32 v101, v100, v100
	global_store_dwordx2 v[104:105], v[102:103], off
	s_cbranch_vccz .LBB163_81
; %bb.80:
	v_min_f32_e32 v100, 0, v101
	v_add_co_u32 v104, vcc_lo, v96, v166
	v_add_co_ci_u32_e64 v105, null, v97, v167, vcc_lo
	v_cvt_f64_f32_e32 v[102:103], v100
	s_mov_b32 s6, 0
	global_store_dwordx2 v[104:105], v[102:103], off
.LBB163_81:
	v_mov_b32_e32 v100, 0
	s_andn2_b32 vcc_lo, exec_lo, s6
	s_cbranch_vccnz .LBB163_83
; %bb.82:
	v_add_co_u32 v102, vcc_lo, v98, v166
	v_add_co_ci_u32_e64 v103, null, v99, v167, vcc_lo
	global_load_dwordx2 v[102:103], v[102:103], off
	s_waitcnt vmcnt(0)
	v_mul_f64 v[102:103], s[2:3], v[102:103]
	v_cvt_f32_f64_e32 v100, v[102:103]
	v_add_co_u32 v102, vcc_lo, v96, v166
	v_add_co_ci_u32_e64 v103, null, v97, v167, vcc_lo
	v_add_co_u32 v98, vcc_lo, v98, v164
	v_add_co_ci_u32_e64 v99, null, v99, v165, vcc_lo
	v_min_f32_e32 v100, v100, v101
	v_cvt_f64_f32_e32 v[100:101], v100
	global_store_dwordx2 v[102:103], v[100:101], off
	global_load_dwordx2 v[98:99], v[98:99], off
	s_waitcnt vmcnt(0)
	v_mul_f64 v[98:99], s[2:3], v[98:99]
	v_cvt_f32_f64_e32 v100, v[98:99]
.LBB163_83:
	v_add_f64 v[92:93], v[4:5], v[92:93]
	v_add_f64 v[94:95], v[6:7], v[94:95]
	;; [unrolled: 1-line block ×4, first 2 shown]
	s_waitcnt lgkmcnt(13)
	v_add_f64 v[98:99], v[30:31], v[86:87]
	v_add_f64 v[101:102], v[28:29], v[84:85]
	v_add_co_u32 v96, vcc_lo, v96, v164
	v_add_co_ci_u32_e64 v97, null, v97, v165, vcc_lo
	s_mov_b32 s6, -1
	v_cvt_f32_f64_e32 v92, v[92:93]
	v_cvt_f32_f64_e32 v93, v[94:95]
	;; [unrolled: 1-line block ×4, first 2 shown]
	s_waitcnt lgkmcnt(12)
	v_add_f64 v[88:89], v[24:25], v[80:81]
	v_add_f64 v[90:91], v[26:27], v[82:83]
	v_cvt_f32_f64_e32 v101, v[101:102]
	v_cvt_f32_f64_e32 v98, v[98:99]
	v_add_nc_u32_e32 v99, 0x48, v230
	v_min3_f32 v92, v92, v93, v195
	v_min_f32_e32 v93, v94, v95
	v_cvt_f32_f64_e32 v102, v[88:89]
	v_cvt_f32_f64_e32 v103, v[90:91]
	v_mad_i64_i32 v[88:89], null, v99, s8, 0
	v_min3_f32 v90, v100, v93, v92
	v_min3_f32 v92, v101, v98, v196
	v_cvt_f64_f32_e32 v[94:95], v90
	v_mad_i64_i32 v[90:91], null, v99, s4, 0
	v_lshlrev_b64 v[88:89], 3, v[88:89]
	v_add_co_u32 v88, vcc_lo, s1, v88
	v_lshlrev_b64 v[90:91], 3, v[90:91]
	v_add_co_ci_u32_e64 v89, null, s5, v89, vcc_lo
	v_min3_f32 v92, v102, v103, v92
	v_add_co_u32 v90, vcc_lo, s12, v90
	v_add_co_ci_u32_e64 v91, null, s13, v91, vcc_lo
	v_max_f32_e32 v93, v92, v92
	s_mov_b32 vcc_lo, s0
	global_store_dwordx2 v[96:97], v[94:95], off
	s_cbranch_vccz .LBB163_85
; %bb.84:
	v_min_f32_e32 v92, 0, v93
	v_add_co_u32 v96, vcc_lo, v88, v162
	v_add_co_ci_u32_e64 v97, null, v89, v163, vcc_lo
	v_cvt_f64_f32_e32 v[94:95], v92
	s_mov_b32 s6, 0
	global_store_dwordx2 v[96:97], v[94:95], off
.LBB163_85:
	v_mov_b32_e32 v92, 0
	s_andn2_b32 vcc_lo, exec_lo, s6
	s_cbranch_vccnz .LBB163_87
; %bb.86:
	v_add_co_u32 v94, vcc_lo, v90, v162
	v_add_co_ci_u32_e64 v95, null, v91, v163, vcc_lo
	global_load_dwordx2 v[94:95], v[94:95], off
	s_waitcnt vmcnt(0)
	v_mul_f64 v[94:95], s[2:3], v[94:95]
	v_cvt_f32_f64_e32 v92, v[94:95]
	v_add_co_u32 v94, vcc_lo, v88, v162
	v_add_co_ci_u32_e64 v95, null, v89, v163, vcc_lo
	v_add_co_u32 v96, vcc_lo, v90, v160
	v_add_co_ci_u32_e64 v97, null, v91, v161, vcc_lo
	v_min_f32_e32 v92, v92, v93
	v_cvt_f64_f32_e32 v[92:93], v92
	global_store_dwordx2 v[94:95], v[92:93], off
	global_load_dwordx2 v[92:93], v[96:97], off
	s_waitcnt vmcnt(0)
	v_mul_f64 v[92:93], s[2:3], v[92:93]
	v_cvt_f32_f64_e32 v92, v[92:93]
.LBB163_87:
	v_add_f64 v[93:94], v[20:21], v[84:85]
	v_add_f64 v[95:96], v[22:23], v[86:87]
	;; [unrolled: 1-line block ×7, first 2 shown]
	s_mov_b32 s6, -1
	v_cvt_f32_f64_e32 v107, v[93:94]
	v_cvt_f32_f64_e32 v95, v[95:96]
	;; [unrolled: 1-line block ×4, first 2 shown]
	v_add_f64 v[93:94], v[2:3], v[82:83]
	v_cvt_f32_f64_e32 v98, v[103:104]
	v_cvt_f32_f64_e32 v99, v[101:102]
	;; [unrolled: 1-line block ×3, first 2 shown]
	v_min3_f32 v95, v107, v95, v193
	v_min_f32_e32 v96, v96, v97
	v_cvt_f32_f64_e32 v93, v[93:94]
	v_min3_f32 v92, v92, v96, v95
	v_add_co_u32 v96, vcc_lo, v88, v160
	v_add_co_ci_u32_e64 v97, null, v89, v161, vcc_lo
	v_cvt_f64_f32_e32 v[94:95], v92
	v_min3_f32 v92, v98, v99, v194
	s_mov_b32 vcc_lo, s0
	v_min3_f32 v92, v100, v93, v92
	v_max_f32_e32 v93, v92, v92
	global_store_dwordx2 v[96:97], v[94:95], off
	s_cbranch_vccz .LBB163_89
; %bb.88:
	v_min_f32_e32 v92, 0, v93
	v_add_co_u32 v96, vcc_lo, v88, v166
	v_add_co_ci_u32_e64 v97, null, v89, v167, vcc_lo
	v_cvt_f64_f32_e32 v[94:95], v92
	s_mov_b32 s6, 0
	global_store_dwordx2 v[96:97], v[94:95], off
.LBB163_89:
	v_mov_b32_e32 v92, 0
	s_andn2_b32 vcc_lo, exec_lo, s6
	s_cbranch_vccnz .LBB163_91
; %bb.90:
	v_add_co_u32 v94, vcc_lo, v90, v166
	v_add_co_ci_u32_e64 v95, null, v91, v167, vcc_lo
	global_load_dwordx2 v[94:95], v[94:95], off
	s_waitcnt vmcnt(0)
	v_mul_f64 v[94:95], s[2:3], v[94:95]
	v_cvt_f32_f64_e32 v92, v[94:95]
	v_add_co_u32 v94, vcc_lo, v88, v166
	v_add_co_ci_u32_e64 v95, null, v89, v167, vcc_lo
	v_add_co_u32 v90, vcc_lo, v90, v164
	v_add_co_ci_u32_e64 v91, null, v91, v165, vcc_lo
	v_min_f32_e32 v92, v92, v93
	v_cvt_f64_f32_e32 v[92:93], v92
	global_store_dwordx2 v[94:95], v[92:93], off
	global_load_dwordx2 v[90:91], v[90:91], off
	s_waitcnt vmcnt(0)
	v_mul_f64 v[90:91], s[2:3], v[90:91]
	v_cvt_f32_f64_e32 v92, v[90:91]
.LBB163_91:
	v_add_f64 v[84:85], v[4:5], v[84:85]
	v_add_f64 v[86:87], v[6:7], v[86:87]
	;; [unrolled: 1-line block ×4, first 2 shown]
	s_waitcnt lgkmcnt(11)
	v_add_f64 v[90:91], v[30:31], v[78:79]
	v_add_f64 v[93:94], v[28:29], v[76:77]
	v_add_co_u32 v88, vcc_lo, v88, v164
	v_add_co_ci_u32_e64 v89, null, v89, v165, vcc_lo
	s_mov_b32 s6, -1
	v_cvt_f32_f64_e32 v84, v[84:85]
	v_cvt_f32_f64_e32 v85, v[86:87]
	v_cvt_f32_f64_e32 v86, v[80:81]
	v_cvt_f32_f64_e32 v87, v[82:83]
	s_waitcnt lgkmcnt(10)
	v_add_f64 v[80:81], v[24:25], v[72:73]
	v_add_f64 v[82:83], v[26:27], v[74:75]
	v_cvt_f32_f64_e32 v93, v[93:94]
	v_cvt_f32_f64_e32 v90, v[90:91]
	v_add_nc_u32_e32 v91, 0x50, v230
	v_min3_f32 v84, v84, v85, v191
	v_min_f32_e32 v85, v86, v87
	v_cvt_f32_f64_e32 v94, v[80:81]
	v_cvt_f32_f64_e32 v95, v[82:83]
	v_mad_i64_i32 v[80:81], null, v91, s8, 0
	v_min3_f32 v82, v92, v85, v84
	v_min3_f32 v84, v93, v90, v192
	v_cvt_f64_f32_e32 v[86:87], v82
	v_mad_i64_i32 v[82:83], null, v91, s4, 0
	v_lshlrev_b64 v[80:81], 3, v[80:81]
	v_add_co_u32 v80, vcc_lo, s1, v80
	v_lshlrev_b64 v[82:83], 3, v[82:83]
	v_add_co_ci_u32_e64 v81, null, s5, v81, vcc_lo
	v_min3_f32 v84, v94, v95, v84
	v_add_co_u32 v82, vcc_lo, s12, v82
	v_add_co_ci_u32_e64 v83, null, s13, v83, vcc_lo
	v_max_f32_e32 v85, v84, v84
	s_mov_b32 vcc_lo, s0
	global_store_dwordx2 v[88:89], v[86:87], off
	s_cbranch_vccz .LBB163_93
; %bb.92:
	v_min_f32_e32 v84, 0, v85
	v_add_co_u32 v88, vcc_lo, v80, v162
	v_add_co_ci_u32_e64 v89, null, v81, v163, vcc_lo
	v_cvt_f64_f32_e32 v[86:87], v84
	s_mov_b32 s6, 0
	global_store_dwordx2 v[88:89], v[86:87], off
.LBB163_93:
	v_mov_b32_e32 v84, 0
	s_andn2_b32 vcc_lo, exec_lo, s6
	s_cbranch_vccnz .LBB163_95
; %bb.94:
	v_add_co_u32 v86, vcc_lo, v82, v162
	v_add_co_ci_u32_e64 v87, null, v83, v163, vcc_lo
	global_load_dwordx2 v[86:87], v[86:87], off
	s_waitcnt vmcnt(0)
	v_mul_f64 v[86:87], s[2:3], v[86:87]
	v_cvt_f32_f64_e32 v84, v[86:87]
	v_add_co_u32 v86, vcc_lo, v80, v162
	v_add_co_ci_u32_e64 v87, null, v81, v163, vcc_lo
	v_add_co_u32 v88, vcc_lo, v82, v160
	v_add_co_ci_u32_e64 v89, null, v83, v161, vcc_lo
	v_min_f32_e32 v84, v84, v85
	v_cvt_f64_f32_e32 v[84:85], v84
	global_store_dwordx2 v[86:87], v[84:85], off
	global_load_dwordx2 v[84:85], v[88:89], off
	s_waitcnt vmcnt(0)
	v_mul_f64 v[84:85], s[2:3], v[84:85]
	v_cvt_f32_f64_e32 v84, v[84:85]
.LBB163_95:
	v_add_f64 v[85:86], v[20:21], v[76:77]
	v_add_f64 v[87:88], v[22:23], v[78:79]
	v_add_f64 v[89:90], v[12:13], v[72:73]
	v_add_f64 v[91:92], v[14:15], v[74:75]
	v_add_f64 v[93:94], v[10:11], v[78:79]
	v_add_f64 v[95:96], v[8:9], v[76:77]
	v_add_f64 v[97:98], v[0:1], v[72:73]
	s_mov_b32 s6, -1
	v_cvt_f32_f64_e32 v99, v[85:86]
	v_cvt_f32_f64_e32 v87, v[87:88]
	;; [unrolled: 1-line block ×4, first 2 shown]
	v_add_f64 v[85:86], v[2:3], v[74:75]
	v_cvt_f32_f64_e32 v90, v[95:96]
	v_cvt_f32_f64_e32 v91, v[93:94]
	;; [unrolled: 1-line block ×3, first 2 shown]
	v_min3_f32 v87, v99, v87, v189
	v_min_f32_e32 v88, v88, v89
	v_cvt_f32_f64_e32 v85, v[85:86]
	v_min3_f32 v84, v84, v88, v87
	v_add_co_u32 v88, vcc_lo, v80, v160
	v_add_co_ci_u32_e64 v89, null, v81, v161, vcc_lo
	v_cvt_f64_f32_e32 v[86:87], v84
	v_min3_f32 v84, v90, v91, v190
	s_mov_b32 vcc_lo, s0
	v_min3_f32 v84, v92, v85, v84
	v_max_f32_e32 v85, v84, v84
	global_store_dwordx2 v[88:89], v[86:87], off
	s_cbranch_vccz .LBB163_97
; %bb.96:
	v_min_f32_e32 v84, 0, v85
	v_add_co_u32 v88, vcc_lo, v80, v166
	v_add_co_ci_u32_e64 v89, null, v81, v167, vcc_lo
	v_cvt_f64_f32_e32 v[86:87], v84
	s_mov_b32 s6, 0
	global_store_dwordx2 v[88:89], v[86:87], off
.LBB163_97:
	v_mov_b32_e32 v84, 0
	s_andn2_b32 vcc_lo, exec_lo, s6
	s_cbranch_vccnz .LBB163_99
; %bb.98:
	v_add_co_u32 v86, vcc_lo, v82, v166
	v_add_co_ci_u32_e64 v87, null, v83, v167, vcc_lo
	global_load_dwordx2 v[86:87], v[86:87], off
	s_waitcnt vmcnt(0)
	v_mul_f64 v[86:87], s[2:3], v[86:87]
	v_cvt_f32_f64_e32 v84, v[86:87]
	v_add_co_u32 v86, vcc_lo, v80, v166
	v_add_co_ci_u32_e64 v87, null, v81, v167, vcc_lo
	v_add_co_u32 v82, vcc_lo, v82, v164
	v_add_co_ci_u32_e64 v83, null, v83, v165, vcc_lo
	v_min_f32_e32 v84, v84, v85
	v_cvt_f64_f32_e32 v[84:85], v84
	global_store_dwordx2 v[86:87], v[84:85], off
	global_load_dwordx2 v[82:83], v[82:83], off
	s_waitcnt vmcnt(0)
	v_mul_f64 v[82:83], s[2:3], v[82:83]
	v_cvt_f32_f64_e32 v84, v[82:83]
.LBB163_99:
	v_add_f64 v[76:77], v[4:5], v[76:77]
	v_add_f64 v[78:79], v[6:7], v[78:79]
	;; [unrolled: 1-line block ×4, first 2 shown]
	s_waitcnt lgkmcnt(9)
	v_add_f64 v[82:83], v[30:31], v[70:71]
	v_add_f64 v[85:86], v[28:29], v[68:69]
	v_add_co_u32 v80, vcc_lo, v80, v164
	v_add_co_ci_u32_e64 v81, null, v81, v165, vcc_lo
	s_mov_b32 s6, -1
	v_cvt_f32_f64_e32 v76, v[76:77]
	v_cvt_f32_f64_e32 v77, v[78:79]
	;; [unrolled: 1-line block ×4, first 2 shown]
	s_waitcnt lgkmcnt(8)
	v_add_f64 v[72:73], v[24:25], v[64:65]
	v_add_f64 v[74:75], v[26:27], v[66:67]
	v_cvt_f32_f64_e32 v85, v[85:86]
	v_cvt_f32_f64_e32 v82, v[82:83]
	v_add_nc_u32_e32 v83, 0x58, v230
	v_min3_f32 v76, v76, v77, v187
	v_min_f32_e32 v77, v78, v79
	v_cvt_f32_f64_e32 v86, v[72:73]
	v_cvt_f32_f64_e32 v87, v[74:75]
	v_mad_i64_i32 v[72:73], null, v83, s8, 0
	v_min3_f32 v74, v84, v77, v76
	v_min3_f32 v76, v85, v82, v188
	v_cvt_f64_f32_e32 v[78:79], v74
	v_mad_i64_i32 v[74:75], null, v83, s4, 0
	v_lshlrev_b64 v[72:73], 3, v[72:73]
	v_add_co_u32 v72, vcc_lo, s1, v72
	v_lshlrev_b64 v[74:75], 3, v[74:75]
	v_add_co_ci_u32_e64 v73, null, s5, v73, vcc_lo
	v_min3_f32 v76, v86, v87, v76
	v_add_co_u32 v74, vcc_lo, s12, v74
	v_add_co_ci_u32_e64 v75, null, s13, v75, vcc_lo
	v_max_f32_e32 v77, v76, v76
	s_mov_b32 vcc_lo, s0
	global_store_dwordx2 v[80:81], v[78:79], off
	s_cbranch_vccz .LBB163_101
; %bb.100:
	v_min_f32_e32 v76, 0, v77
	v_add_co_u32 v80, vcc_lo, v72, v162
	v_add_co_ci_u32_e64 v81, null, v73, v163, vcc_lo
	v_cvt_f64_f32_e32 v[78:79], v76
	s_mov_b32 s6, 0
	global_store_dwordx2 v[80:81], v[78:79], off
.LBB163_101:
	v_mov_b32_e32 v76, 0
	s_andn2_b32 vcc_lo, exec_lo, s6
	s_cbranch_vccnz .LBB163_103
; %bb.102:
	v_add_co_u32 v78, vcc_lo, v74, v162
	v_add_co_ci_u32_e64 v79, null, v75, v163, vcc_lo
	global_load_dwordx2 v[78:79], v[78:79], off
	s_waitcnt vmcnt(0)
	v_mul_f64 v[78:79], s[2:3], v[78:79]
	v_cvt_f32_f64_e32 v76, v[78:79]
	v_add_co_u32 v78, vcc_lo, v72, v162
	v_add_co_ci_u32_e64 v79, null, v73, v163, vcc_lo
	v_add_co_u32 v80, vcc_lo, v74, v160
	v_add_co_ci_u32_e64 v81, null, v75, v161, vcc_lo
	v_min_f32_e32 v76, v76, v77
	v_cvt_f64_f32_e32 v[76:77], v76
	global_store_dwordx2 v[78:79], v[76:77], off
	global_load_dwordx2 v[76:77], v[80:81], off
	s_waitcnt vmcnt(0)
	v_mul_f64 v[76:77], s[2:3], v[76:77]
	v_cvt_f32_f64_e32 v76, v[76:77]
.LBB163_103:
	v_add_f64 v[77:78], v[20:21], v[68:69]
	v_add_f64 v[79:80], v[22:23], v[70:71]
	;; [unrolled: 1-line block ×7, first 2 shown]
	s_mov_b32 s6, -1
	v_cvt_f32_f64_e32 v91, v[77:78]
	v_cvt_f32_f64_e32 v79, v[79:80]
	;; [unrolled: 1-line block ×4, first 2 shown]
	v_add_f64 v[77:78], v[2:3], v[66:67]
	v_cvt_f32_f64_e32 v82, v[87:88]
	v_cvt_f32_f64_e32 v83, v[85:86]
	;; [unrolled: 1-line block ×3, first 2 shown]
	v_min3_f32 v79, v91, v79, v185
	v_min_f32_e32 v80, v80, v81
	v_cvt_f32_f64_e32 v77, v[77:78]
	v_min3_f32 v76, v76, v80, v79
	v_add_co_u32 v80, vcc_lo, v72, v160
	v_add_co_ci_u32_e64 v81, null, v73, v161, vcc_lo
	v_cvt_f64_f32_e32 v[78:79], v76
	v_min3_f32 v76, v82, v83, v186
	s_mov_b32 vcc_lo, s0
	v_min3_f32 v76, v84, v77, v76
	v_max_f32_e32 v77, v76, v76
	global_store_dwordx2 v[80:81], v[78:79], off
	s_cbranch_vccz .LBB163_105
; %bb.104:
	v_min_f32_e32 v76, 0, v77
	v_add_co_u32 v80, vcc_lo, v72, v166
	v_add_co_ci_u32_e64 v81, null, v73, v167, vcc_lo
	v_cvt_f64_f32_e32 v[78:79], v76
	s_mov_b32 s6, 0
	global_store_dwordx2 v[80:81], v[78:79], off
.LBB163_105:
	v_mov_b32_e32 v76, 0
	s_andn2_b32 vcc_lo, exec_lo, s6
	s_cbranch_vccnz .LBB163_107
; %bb.106:
	v_add_co_u32 v78, vcc_lo, v74, v166
	v_add_co_ci_u32_e64 v79, null, v75, v167, vcc_lo
	global_load_dwordx2 v[78:79], v[78:79], off
	s_waitcnt vmcnt(0)
	v_mul_f64 v[78:79], s[2:3], v[78:79]
	v_cvt_f32_f64_e32 v76, v[78:79]
	v_add_co_u32 v78, vcc_lo, v72, v166
	v_add_co_ci_u32_e64 v79, null, v73, v167, vcc_lo
	v_add_co_u32 v74, vcc_lo, v74, v164
	v_add_co_ci_u32_e64 v75, null, v75, v165, vcc_lo
	v_min_f32_e32 v76, v76, v77
	v_cvt_f64_f32_e32 v[76:77], v76
	global_store_dwordx2 v[78:79], v[76:77], off
	global_load_dwordx2 v[74:75], v[74:75], off
	s_waitcnt vmcnt(0)
	v_mul_f64 v[74:75], s[2:3], v[74:75]
	v_cvt_f32_f64_e32 v76, v[74:75]
.LBB163_107:
	v_add_f64 v[68:69], v[4:5], v[68:69]
	v_add_f64 v[70:71], v[6:7], v[70:71]
	;; [unrolled: 1-line block ×4, first 2 shown]
	s_waitcnt lgkmcnt(7)
	v_add_f64 v[74:75], v[30:31], v[62:63]
	v_add_f64 v[77:78], v[28:29], v[60:61]
	v_add_co_u32 v72, vcc_lo, v72, v164
	v_add_co_ci_u32_e64 v73, null, v73, v165, vcc_lo
	s_mov_b32 s6, -1
	v_cvt_f32_f64_e32 v68, v[68:69]
	v_cvt_f32_f64_e32 v69, v[70:71]
	;; [unrolled: 1-line block ×4, first 2 shown]
	s_waitcnt lgkmcnt(6)
	v_add_f64 v[64:65], v[24:25], v[56:57]
	v_add_f64 v[66:67], v[26:27], v[58:59]
	v_cvt_f32_f64_e32 v77, v[77:78]
	v_cvt_f32_f64_e32 v74, v[74:75]
	v_add_nc_u32_e32 v75, 0x60, v230
	v_min3_f32 v68, v68, v69, v183
	v_min_f32_e32 v69, v70, v71
	v_cvt_f32_f64_e32 v78, v[64:65]
	v_cvt_f32_f64_e32 v79, v[66:67]
	v_mad_i64_i32 v[64:65], null, v75, s8, 0
	v_min3_f32 v66, v76, v69, v68
	v_min3_f32 v68, v77, v74, v184
	v_cvt_f64_f32_e32 v[70:71], v66
	v_mad_i64_i32 v[66:67], null, v75, s4, 0
	v_lshlrev_b64 v[64:65], 3, v[64:65]
	v_add_co_u32 v64, vcc_lo, s1, v64
	v_lshlrev_b64 v[66:67], 3, v[66:67]
	v_add_co_ci_u32_e64 v65, null, s5, v65, vcc_lo
	v_min3_f32 v68, v78, v79, v68
	v_add_co_u32 v66, vcc_lo, s12, v66
	v_add_co_ci_u32_e64 v67, null, s13, v67, vcc_lo
	v_max_f32_e32 v69, v68, v68
	s_mov_b32 vcc_lo, s0
	global_store_dwordx2 v[72:73], v[70:71], off
	s_cbranch_vccz .LBB163_109
; %bb.108:
	v_min_f32_e32 v68, 0, v69
	v_add_co_u32 v72, vcc_lo, v64, v162
	v_add_co_ci_u32_e64 v73, null, v65, v163, vcc_lo
	v_cvt_f64_f32_e32 v[70:71], v68
	s_mov_b32 s6, 0
	global_store_dwordx2 v[72:73], v[70:71], off
.LBB163_109:
	v_mov_b32_e32 v68, 0
	s_andn2_b32 vcc_lo, exec_lo, s6
	s_cbranch_vccnz .LBB163_111
; %bb.110:
	v_add_co_u32 v70, vcc_lo, v66, v162
	v_add_co_ci_u32_e64 v71, null, v67, v163, vcc_lo
	global_load_dwordx2 v[70:71], v[70:71], off
	s_waitcnt vmcnt(0)
	v_mul_f64 v[70:71], s[2:3], v[70:71]
	v_cvt_f32_f64_e32 v68, v[70:71]
	v_add_co_u32 v70, vcc_lo, v64, v162
	v_add_co_ci_u32_e64 v71, null, v65, v163, vcc_lo
	v_add_co_u32 v72, vcc_lo, v66, v160
	v_add_co_ci_u32_e64 v73, null, v67, v161, vcc_lo
	v_min_f32_e32 v68, v68, v69
	v_cvt_f64_f32_e32 v[68:69], v68
	global_store_dwordx2 v[70:71], v[68:69], off
	global_load_dwordx2 v[68:69], v[72:73], off
	s_waitcnt vmcnt(0)
	v_mul_f64 v[68:69], s[2:3], v[68:69]
	v_cvt_f32_f64_e32 v68, v[68:69]
.LBB163_111:
	v_add_f64 v[69:70], v[20:21], v[60:61]
	v_add_f64 v[71:72], v[22:23], v[62:63]
	;; [unrolled: 1-line block ×7, first 2 shown]
	s_mov_b32 s6, -1
	v_cvt_f32_f64_e32 v83, v[69:70]
	v_cvt_f32_f64_e32 v71, v[71:72]
	;; [unrolled: 1-line block ×4, first 2 shown]
	v_add_f64 v[69:70], v[2:3], v[58:59]
	v_cvt_f32_f64_e32 v74, v[79:80]
	v_cvt_f32_f64_e32 v75, v[77:78]
	;; [unrolled: 1-line block ×3, first 2 shown]
	v_min3_f32 v71, v83, v71, v181
	v_min_f32_e32 v72, v72, v73
	v_cvt_f32_f64_e32 v69, v[69:70]
	v_min3_f32 v68, v68, v72, v71
	v_add_co_u32 v72, vcc_lo, v64, v160
	v_add_co_ci_u32_e64 v73, null, v65, v161, vcc_lo
	v_cvt_f64_f32_e32 v[70:71], v68
	v_min3_f32 v68, v74, v75, v182
	s_mov_b32 vcc_lo, s0
	v_min3_f32 v68, v76, v69, v68
	v_max_f32_e32 v69, v68, v68
	global_store_dwordx2 v[72:73], v[70:71], off
	s_cbranch_vccz .LBB163_113
; %bb.112:
	v_min_f32_e32 v68, 0, v69
	v_add_co_u32 v72, vcc_lo, v64, v166
	v_add_co_ci_u32_e64 v73, null, v65, v167, vcc_lo
	v_cvt_f64_f32_e32 v[70:71], v68
	s_mov_b32 s6, 0
	global_store_dwordx2 v[72:73], v[70:71], off
.LBB163_113:
	v_mov_b32_e32 v68, 0
	s_andn2_b32 vcc_lo, exec_lo, s6
	s_cbranch_vccnz .LBB163_115
; %bb.114:
	v_add_co_u32 v70, vcc_lo, v66, v166
	v_add_co_ci_u32_e64 v71, null, v67, v167, vcc_lo
	global_load_dwordx2 v[70:71], v[70:71], off
	s_waitcnt vmcnt(0)
	v_mul_f64 v[70:71], s[2:3], v[70:71]
	v_cvt_f32_f64_e32 v68, v[70:71]
	v_add_co_u32 v70, vcc_lo, v64, v166
	v_add_co_ci_u32_e64 v71, null, v65, v167, vcc_lo
	v_add_co_u32 v66, vcc_lo, v66, v164
	v_add_co_ci_u32_e64 v67, null, v67, v165, vcc_lo
	v_min_f32_e32 v68, v68, v69
	v_cvt_f64_f32_e32 v[68:69], v68
	global_store_dwordx2 v[70:71], v[68:69], off
	global_load_dwordx2 v[66:67], v[66:67], off
	s_waitcnt vmcnt(0)
	v_mul_f64 v[66:67], s[2:3], v[66:67]
	v_cvt_f32_f64_e32 v68, v[66:67]
.LBB163_115:
	v_add_f64 v[60:61], v[4:5], v[60:61]
	v_add_f64 v[62:63], v[6:7], v[62:63]
	;; [unrolled: 1-line block ×4, first 2 shown]
	s_waitcnt lgkmcnt(5)
	v_add_f64 v[66:67], v[30:31], v[54:55]
	v_add_f64 v[69:70], v[28:29], v[52:53]
	v_add_co_u32 v64, vcc_lo, v64, v164
	v_add_co_ci_u32_e64 v65, null, v65, v165, vcc_lo
	s_mov_b32 s6, -1
	v_cvt_f32_f64_e32 v60, v[60:61]
	v_cvt_f32_f64_e32 v61, v[62:63]
	;; [unrolled: 1-line block ×4, first 2 shown]
	s_waitcnt lgkmcnt(4)
	v_add_f64 v[56:57], v[24:25], v[48:49]
	v_add_f64 v[58:59], v[26:27], v[50:51]
	v_cvt_f32_f64_e32 v69, v[69:70]
	v_cvt_f32_f64_e32 v66, v[66:67]
	v_add_nc_u32_e32 v67, 0x68, v230
	v_min3_f32 v60, v60, v61, v179
	v_min_f32_e32 v61, v62, v63
	v_cvt_f32_f64_e32 v70, v[56:57]
	v_cvt_f32_f64_e32 v71, v[58:59]
	v_mad_i64_i32 v[56:57], null, v67, s8, 0
	v_min3_f32 v58, v68, v61, v60
	v_min3_f32 v60, v69, v66, v180
	v_cvt_f64_f32_e32 v[62:63], v58
	v_mad_i64_i32 v[58:59], null, v67, s4, 0
	v_lshlrev_b64 v[56:57], 3, v[56:57]
	v_add_co_u32 v56, vcc_lo, s1, v56
	v_lshlrev_b64 v[58:59], 3, v[58:59]
	v_add_co_ci_u32_e64 v57, null, s5, v57, vcc_lo
	v_min3_f32 v60, v70, v71, v60
	v_add_co_u32 v58, vcc_lo, s12, v58
	v_add_co_ci_u32_e64 v59, null, s13, v59, vcc_lo
	v_max_f32_e32 v61, v60, v60
	s_mov_b32 vcc_lo, s0
	global_store_dwordx2 v[64:65], v[62:63], off
	s_cbranch_vccz .LBB163_117
; %bb.116:
	v_min_f32_e32 v60, 0, v61
	v_add_co_u32 v64, vcc_lo, v56, v162
	v_add_co_ci_u32_e64 v65, null, v57, v163, vcc_lo
	v_cvt_f64_f32_e32 v[62:63], v60
	s_mov_b32 s6, 0
	global_store_dwordx2 v[64:65], v[62:63], off
.LBB163_117:
	v_mov_b32_e32 v60, 0
	s_andn2_b32 vcc_lo, exec_lo, s6
	s_cbranch_vccnz .LBB163_119
; %bb.118:
	v_add_co_u32 v62, vcc_lo, v58, v162
	v_add_co_ci_u32_e64 v63, null, v59, v163, vcc_lo
	global_load_dwordx2 v[62:63], v[62:63], off
	s_waitcnt vmcnt(0)
	v_mul_f64 v[62:63], s[2:3], v[62:63]
	v_cvt_f32_f64_e32 v60, v[62:63]
	v_add_co_u32 v62, vcc_lo, v56, v162
	v_add_co_ci_u32_e64 v63, null, v57, v163, vcc_lo
	v_add_co_u32 v64, vcc_lo, v58, v160
	v_add_co_ci_u32_e64 v65, null, v59, v161, vcc_lo
	v_min_f32_e32 v60, v60, v61
	v_cvt_f64_f32_e32 v[60:61], v60
	global_store_dwordx2 v[62:63], v[60:61], off
	global_load_dwordx2 v[60:61], v[64:65], off
	s_waitcnt vmcnt(0)
	v_mul_f64 v[60:61], s[2:3], v[60:61]
	v_cvt_f32_f64_e32 v60, v[60:61]
.LBB163_119:
	v_add_f64 v[61:62], v[20:21], v[52:53]
	v_add_f64 v[63:64], v[22:23], v[54:55]
	;; [unrolled: 1-line block ×7, first 2 shown]
	s_mov_b32 s6, -1
	v_cvt_f32_f64_e32 v75, v[61:62]
	v_cvt_f32_f64_e32 v63, v[63:64]
	;; [unrolled: 1-line block ×4, first 2 shown]
	v_add_f64 v[61:62], v[2:3], v[50:51]
	v_cvt_f32_f64_e32 v66, v[71:72]
	v_cvt_f32_f64_e32 v67, v[69:70]
	;; [unrolled: 1-line block ×3, first 2 shown]
	v_min3_f32 v63, v75, v63, v177
	v_min_f32_e32 v64, v64, v65
	v_cvt_f32_f64_e32 v61, v[61:62]
	v_min3_f32 v60, v60, v64, v63
	v_add_co_u32 v64, vcc_lo, v56, v160
	v_add_co_ci_u32_e64 v65, null, v57, v161, vcc_lo
	v_cvt_f64_f32_e32 v[62:63], v60
	v_min3_f32 v60, v66, v67, v178
	s_mov_b32 vcc_lo, s0
	v_min3_f32 v60, v68, v61, v60
	v_max_f32_e32 v61, v60, v60
	global_store_dwordx2 v[64:65], v[62:63], off
	s_cbranch_vccz .LBB163_121
; %bb.120:
	v_min_f32_e32 v60, 0, v61
	v_add_co_u32 v64, vcc_lo, v56, v166
	v_add_co_ci_u32_e64 v65, null, v57, v167, vcc_lo
	v_cvt_f64_f32_e32 v[62:63], v60
	s_mov_b32 s6, 0
	global_store_dwordx2 v[64:65], v[62:63], off
.LBB163_121:
	v_mov_b32_e32 v60, 0
	s_andn2_b32 vcc_lo, exec_lo, s6
	s_cbranch_vccnz .LBB163_123
; %bb.122:
	v_add_co_u32 v62, vcc_lo, v58, v166
	v_add_co_ci_u32_e64 v63, null, v59, v167, vcc_lo
	global_load_dwordx2 v[62:63], v[62:63], off
	s_waitcnt vmcnt(0)
	v_mul_f64 v[62:63], s[2:3], v[62:63]
	v_cvt_f32_f64_e32 v60, v[62:63]
	v_add_co_u32 v62, vcc_lo, v56, v166
	v_add_co_ci_u32_e64 v63, null, v57, v167, vcc_lo
	v_add_co_u32 v58, vcc_lo, v58, v164
	v_add_co_ci_u32_e64 v59, null, v59, v165, vcc_lo
	v_min_f32_e32 v60, v60, v61
	v_cvt_f64_f32_e32 v[60:61], v60
	global_store_dwordx2 v[62:63], v[60:61], off
	global_load_dwordx2 v[58:59], v[58:59], off
	s_waitcnt vmcnt(0)
	v_mul_f64 v[58:59], s[2:3], v[58:59]
	v_cvt_f32_f64_e32 v60, v[58:59]
.LBB163_123:
	v_add_f64 v[52:53], v[4:5], v[52:53]
	v_add_f64 v[54:55], v[6:7], v[54:55]
	;; [unrolled: 1-line block ×4, first 2 shown]
	s_waitcnt lgkmcnt(3)
	v_add_f64 v[58:59], v[30:31], v[46:47]
	v_add_f64 v[61:62], v[28:29], v[44:45]
	v_add_co_u32 v56, vcc_lo, v56, v164
	v_add_co_ci_u32_e64 v57, null, v57, v165, vcc_lo
	s_mov_b32 s6, -1
	v_cvt_f32_f64_e32 v52, v[52:53]
	v_cvt_f32_f64_e32 v53, v[54:55]
	;; [unrolled: 1-line block ×4, first 2 shown]
	s_waitcnt lgkmcnt(2)
	v_add_f64 v[48:49], v[24:25], v[40:41]
	v_add_f64 v[50:51], v[26:27], v[42:43]
	v_cvt_f32_f64_e32 v61, v[61:62]
	v_cvt_f32_f64_e32 v58, v[58:59]
	v_add_nc_u32_e32 v59, 0x70, v230
	v_min3_f32 v52, v52, v53, v175
	v_min_f32_e32 v53, v54, v55
	v_cvt_f32_f64_e32 v62, v[48:49]
	v_cvt_f32_f64_e32 v63, v[50:51]
	v_mad_i64_i32 v[48:49], null, v59, s8, 0
	v_min3_f32 v50, v60, v53, v52
	v_min3_f32 v52, v61, v58, v176
	v_cvt_f64_f32_e32 v[54:55], v50
	v_mad_i64_i32 v[50:51], null, v59, s4, 0
	v_lshlrev_b64 v[48:49], 3, v[48:49]
	v_add_co_u32 v48, vcc_lo, s1, v48
	v_lshlrev_b64 v[50:51], 3, v[50:51]
	v_add_co_ci_u32_e64 v49, null, s5, v49, vcc_lo
	v_min3_f32 v52, v62, v63, v52
	v_add_co_u32 v50, vcc_lo, s12, v50
	v_add_co_ci_u32_e64 v51, null, s13, v51, vcc_lo
	v_max_f32_e32 v53, v52, v52
	s_mov_b32 vcc_lo, s0
	global_store_dwordx2 v[56:57], v[54:55], off
	s_cbranch_vccz .LBB163_125
; %bb.124:
	v_min_f32_e32 v52, 0, v53
	v_add_co_u32 v56, vcc_lo, v48, v162
	v_add_co_ci_u32_e64 v57, null, v49, v163, vcc_lo
	v_cvt_f64_f32_e32 v[54:55], v52
	s_mov_b32 s6, 0
	global_store_dwordx2 v[56:57], v[54:55], off
.LBB163_125:
	v_mov_b32_e32 v52, 0
	s_andn2_b32 vcc_lo, exec_lo, s6
	s_cbranch_vccnz .LBB163_127
; %bb.126:
	v_add_co_u32 v54, vcc_lo, v50, v162
	v_add_co_ci_u32_e64 v55, null, v51, v163, vcc_lo
	global_load_dwordx2 v[54:55], v[54:55], off
	s_waitcnt vmcnt(0)
	v_mul_f64 v[54:55], s[2:3], v[54:55]
	v_cvt_f32_f64_e32 v52, v[54:55]
	v_add_co_u32 v54, vcc_lo, v48, v162
	v_add_co_ci_u32_e64 v55, null, v49, v163, vcc_lo
	v_add_co_u32 v56, vcc_lo, v50, v160
	v_add_co_ci_u32_e64 v57, null, v51, v161, vcc_lo
	v_min_f32_e32 v52, v52, v53
	v_cvt_f64_f32_e32 v[52:53], v52
	global_store_dwordx2 v[54:55], v[52:53], off
	global_load_dwordx2 v[52:53], v[56:57], off
	s_waitcnt vmcnt(0)
	v_mul_f64 v[52:53], s[2:3], v[52:53]
	v_cvt_f32_f64_e32 v52, v[52:53]
.LBB163_127:
	v_add_f64 v[53:54], v[20:21], v[44:45]
	v_add_f64 v[55:56], v[22:23], v[46:47]
	v_add_f64 v[57:58], v[12:13], v[40:41]
	v_add_f64 v[59:60], v[14:15], v[42:43]
	v_add_f64 v[61:62], v[10:11], v[46:47]
	v_add_f64 v[63:64], v[8:9], v[44:45]
	v_add_f64 v[65:66], v[0:1], v[40:41]
	s_mov_b32 s6, -1
	v_cvt_f32_f64_e32 v67, v[53:54]
	v_cvt_f32_f64_e32 v55, v[55:56]
	;; [unrolled: 1-line block ×4, first 2 shown]
	v_add_f64 v[53:54], v[2:3], v[42:43]
	v_cvt_f32_f64_e32 v58, v[63:64]
	v_cvt_f32_f64_e32 v59, v[61:62]
	;; [unrolled: 1-line block ×3, first 2 shown]
	v_min3_f32 v55, v67, v55, v173
	v_min_f32_e32 v56, v56, v57
	v_cvt_f32_f64_e32 v53, v[53:54]
	v_min3_f32 v52, v52, v56, v55
	v_add_co_u32 v56, vcc_lo, v48, v160
	v_add_co_ci_u32_e64 v57, null, v49, v161, vcc_lo
	v_cvt_f64_f32_e32 v[54:55], v52
	v_min3_f32 v52, v58, v59, v174
	s_mov_b32 vcc_lo, s0
	v_min3_f32 v52, v60, v53, v52
	v_max_f32_e32 v53, v52, v52
	global_store_dwordx2 v[56:57], v[54:55], off
	s_cbranch_vccz .LBB163_129
; %bb.128:
	v_min_f32_e32 v52, 0, v53
	v_add_co_u32 v56, vcc_lo, v48, v166
	v_add_co_ci_u32_e64 v57, null, v49, v167, vcc_lo
	v_cvt_f64_f32_e32 v[54:55], v52
	s_mov_b32 s6, 0
	global_store_dwordx2 v[56:57], v[54:55], off
.LBB163_129:
	v_mov_b32_e32 v52, 0
	s_andn2_b32 vcc_lo, exec_lo, s6
	s_cbranch_vccnz .LBB163_131
; %bb.130:
	v_add_co_u32 v54, vcc_lo, v50, v166
	v_add_co_ci_u32_e64 v55, null, v51, v167, vcc_lo
	global_load_dwordx2 v[54:55], v[54:55], off
	s_waitcnt vmcnt(0)
	v_mul_f64 v[54:55], s[2:3], v[54:55]
	v_cvt_f32_f64_e32 v52, v[54:55]
	v_add_co_u32 v54, vcc_lo, v48, v166
	v_add_co_ci_u32_e64 v55, null, v49, v167, vcc_lo
	v_add_co_u32 v50, vcc_lo, v50, v164
	v_add_co_ci_u32_e64 v51, null, v51, v165, vcc_lo
	v_min_f32_e32 v52, v52, v53
	v_cvt_f64_f32_e32 v[52:53], v52
	global_store_dwordx2 v[54:55], v[52:53], off
	global_load_dwordx2 v[50:51], v[50:51], off
	s_waitcnt vmcnt(0)
	v_mul_f64 v[50:51], s[2:3], v[50:51]
	v_cvt_f32_f64_e32 v52, v[50:51]
.LBB163_131:
	v_add_f64 v[44:45], v[4:5], v[44:45]
	v_add_f64 v[46:47], v[6:7], v[46:47]
	;; [unrolled: 1-line block ×4, first 2 shown]
	s_waitcnt lgkmcnt(1)
	v_add_f64 v[30:31], v[30:31], v[34:35]
	v_add_f64 v[28:29], v[28:29], v[32:33]
	s_waitcnt lgkmcnt(0)
	v_add_f64 v[24:25], v[24:25], v[36:37]
	v_add_f64 v[26:27], v[26:27], v[38:39]
	v_cvt_f32_f64_e32 v44, v[44:45]
	v_cvt_f32_f64_e32 v45, v[46:47]
	;; [unrolled: 1-line block ×8, first 2 shown]
	v_min3_f32 v30, v44, v45, v171
	v_min_f32_e32 v31, v40, v41
	v_add_nc_u32_e32 v40, 0x78, v230
	v_min3_f32 v28, v28, v29, v172
	v_min3_f32 v26, v52, v31, v30
	v_mad_i64_i32 v[24:25], null, v40, s8, 0
	v_min3_f32 v28, v42, v43, v28
	v_cvt_f64_f32_e32 v[30:31], v26
	v_mad_i64_i32 v[26:27], null, v40, s4, 0
	v_add_co_u32 v40, vcc_lo, v48, v164
	v_lshlrev_b64 v[24:25], 3, v[24:25]
	v_add_co_ci_u32_e64 v41, null, v49, v165, vcc_lo
	v_max_f32_e32 v29, v28, v28
	v_lshlrev_b64 v[26:27], 3, v[26:27]
	s_mov_b32 s4, -1
	v_add_co_u32 v24, vcc_lo, s1, v24
	v_add_co_ci_u32_e64 v25, null, s5, v25, vcc_lo
	v_add_co_u32 v26, vcc_lo, s12, v26
	v_add_co_ci_u32_e64 v27, null, s13, v27, vcc_lo
	s_mov_b32 vcc_lo, s0
	global_store_dwordx2 v[40:41], v[30:31], off
	s_cbranch_vccz .LBB163_133
; %bb.132:
	v_min_f32_e32 v28, 0, v29
	v_add_co_u32 v40, vcc_lo, v24, v162
	v_add_co_ci_u32_e64 v41, null, v25, v163, vcc_lo
	v_cvt_f64_f32_e32 v[30:31], v28
	s_mov_b32 s4, 0
	global_store_dwordx2 v[40:41], v[30:31], off
.LBB163_133:
	v_mov_b32_e32 v28, 0
	s_andn2_b32 vcc_lo, exec_lo, s4
	s_cbranch_vccnz .LBB163_135
; %bb.134:
	v_add_co_u32 v30, vcc_lo, v26, v162
	v_add_co_ci_u32_e64 v31, null, v27, v163, vcc_lo
	global_load_dwordx2 v[30:31], v[30:31], off
	s_waitcnt vmcnt(0)
	v_mul_f64 v[30:31], s[2:3], v[30:31]
	v_cvt_f32_f64_e32 v28, v[30:31]
	v_add_co_u32 v30, vcc_lo, v24, v162
	v_add_co_ci_u32_e64 v31, null, v25, v163, vcc_lo
	v_add_co_u32 v40, vcc_lo, v26, v160
	v_add_co_ci_u32_e64 v41, null, v27, v161, vcc_lo
	v_min_f32_e32 v28, v28, v29
	v_cvt_f64_f32_e32 v[28:29], v28
	global_store_dwordx2 v[30:31], v[28:29], off
	global_load_dwordx2 v[28:29], v[40:41], off
	s_waitcnt vmcnt(0)
	v_mul_f64 v[28:29], s[2:3], v[28:29]
	v_cvt_f32_f64_e32 v28, v[28:29]
.LBB163_135:
	v_add_f64 v[20:21], v[20:21], v[32:33]
	v_add_f64 v[22:23], v[22:23], v[34:35]
	;; [unrolled: 1-line block ×8, first 2 shown]
	s_mov_b32 s1, -1
	v_cvt_f32_f64_e32 v20, v[20:21]
	v_cvt_f32_f64_e32 v21, v[22:23]
	v_cvt_f32_f64_e32 v12, v[12:13]
	v_cvt_f32_f64_e32 v13, v[14:15]
	v_cvt_f32_f64_e32 v8, v[8:9]
	v_cvt_f32_f64_e32 v9, v[10:11]
	v_cvt_f32_f64_e32 v0, v[0:1]
	v_cvt_f32_f64_e32 v11, v[2:3]
	v_min3_f32 v1, v20, v21, v169
	v_min_f32_e32 v10, v12, v13
	v_min3_f32 v1, v28, v10, v1
	v_cvt_f64_f32_e32 v[2:3], v1
	v_min3_f32 v1, v8, v9, v170
	v_add_co_u32 v8, vcc_lo, v24, v160
	v_add_co_ci_u32_e64 v9, null, v25, v161, vcc_lo
	v_min3_f32 v0, v0, v11, v1
	s_mov_b32 vcc_lo, s0
	v_max_f32_e32 v1, v0, v0
	global_store_dwordx2 v[8:9], v[2:3], off
	s_cbranch_vccz .LBB163_137
; %bb.136:
	v_min_f32_e32 v0, 0, v1
	v_add_co_u32 v8, vcc_lo, v24, v166
	v_add_co_ci_u32_e64 v9, null, v25, v167, vcc_lo
	v_cvt_f64_f32_e32 v[2:3], v0
	s_mov_b32 s1, 0
	global_store_dwordx2 v[8:9], v[2:3], off
.LBB163_137:
	v_mov_b32_e32 v0, 0
	s_andn2_b32 vcc_lo, exec_lo, s1
	s_cbranch_vccnz .LBB163_139
; %bb.138:
	v_add_co_u32 v2, vcc_lo, v26, v166
	v_add_co_ci_u32_e64 v3, null, v27, v167, vcc_lo
	global_load_dwordx2 v[2:3], v[2:3], off
	s_waitcnt vmcnt(0)
	v_mul_f64 v[2:3], s[2:3], v[2:3]
	v_cvt_f32_f64_e32 v0, v[2:3]
	v_add_co_u32 v2, vcc_lo, v24, v166
	v_add_co_ci_u32_e64 v3, null, v25, v167, vcc_lo
	v_add_co_u32 v8, vcc_lo, v26, v164
	v_add_co_ci_u32_e64 v9, null, v27, v165, vcc_lo
	v_min_f32_e32 v0, v0, v1
	v_cvt_f64_f32_e32 v[0:1], v0
	global_store_dwordx2 v[2:3], v[0:1], off
	global_load_dwordx2 v[0:1], v[8:9], off
	s_waitcnt vmcnt(0)
	v_mul_f64 v[0:1], s[2:3], v[0:1]
	v_cvt_f32_f64_e32 v0, v[0:1]
.LBB163_139:
	v_add_f64 v[1:2], v[16:17], v[36:37]
	v_add_f64 v[8:9], v[18:19], v[38:39]
	;; [unrolled: 1-line block ×4, first 2 shown]
	v_cvt_f32_f64_e32 v1, v[1:2]
	v_cvt_f32_f64_e32 v2, v[8:9]
	;; [unrolled: 1-line block ×4, first 2 shown]
	v_min_f32_e32 v1, v1, v2
	v_min3_f32 v2, v3, v4, v168
	v_min3_f32 v0, v0, v1, v2
	v_add_co_u32 v2, vcc_lo, v24, v164
	v_add_co_ci_u32_e64 v3, null, v25, v165, vcc_lo
	v_cvt_f64_f32_e32 v[0:1], v0
	global_store_dwordx2 v[2:3], v[0:1], off
	s_endpgm
	.section	.rodata,"a",@progbits
	.p2align	6, 0x0
	.amdhsa_kernel _ZN12_GLOBAL__N_120geam_min_plus_kernelId15HIP_vector_typeIdLj2EEdLi32ELi8ELi128ELi128ELi4ELi4ELi64ELi4ELi64ELc84ELc78ELb1ELb0ELb1EdKddEEviiiT16_PT17_ilS6_ilS4_S6_ilPT18_ili26rocblas_geam_ex_operation_
		.amdhsa_group_segment_fixed_size 16384
		.amdhsa_private_segment_fixed_size 0
		.amdhsa_kernarg_size 136
		.amdhsa_user_sgpr_count 6
		.amdhsa_user_sgpr_private_segment_buffer 1
		.amdhsa_user_sgpr_dispatch_ptr 0
		.amdhsa_user_sgpr_queue_ptr 0
		.amdhsa_user_sgpr_kernarg_segment_ptr 1
		.amdhsa_user_sgpr_dispatch_id 0
		.amdhsa_user_sgpr_flat_scratch_init 0
		.amdhsa_user_sgpr_private_segment_size 0
		.amdhsa_wavefront_size32 1
		.amdhsa_uses_dynamic_stack 0
		.amdhsa_system_sgpr_private_segment_wavefront_offset 0
		.amdhsa_system_sgpr_workgroup_id_x 1
		.amdhsa_system_sgpr_workgroup_id_y 0
		.amdhsa_system_sgpr_workgroup_id_z 1
		.amdhsa_system_sgpr_workgroup_info 0
		.amdhsa_system_vgpr_workitem_id 1
		.amdhsa_next_free_vgpr 241
		.amdhsa_next_free_sgpr 23
		.amdhsa_reserve_vcc 1
		.amdhsa_reserve_flat_scratch 0
		.amdhsa_float_round_mode_32 0
		.amdhsa_float_round_mode_16_64 0
		.amdhsa_float_denorm_mode_32 3
		.amdhsa_float_denorm_mode_16_64 3
		.amdhsa_dx10_clamp 1
		.amdhsa_ieee_mode 1
		.amdhsa_fp16_overflow 0
		.amdhsa_workgroup_processor_mode 1
		.amdhsa_memory_ordered 1
		.amdhsa_forward_progress 1
		.amdhsa_shared_vgpr_count 0
		.amdhsa_exception_fp_ieee_invalid_op 0
		.amdhsa_exception_fp_denorm_src 0
		.amdhsa_exception_fp_ieee_div_zero 0
		.amdhsa_exception_fp_ieee_overflow 0
		.amdhsa_exception_fp_ieee_underflow 0
		.amdhsa_exception_fp_ieee_inexact 0
		.amdhsa_exception_int_div_zero 0
	.end_amdhsa_kernel
	.section	.text._ZN12_GLOBAL__N_120geam_min_plus_kernelId15HIP_vector_typeIdLj2EEdLi32ELi8ELi128ELi128ELi4ELi4ELi64ELi4ELi64ELc84ELc78ELb1ELb0ELb1EdKddEEviiiT16_PT17_ilS6_ilS4_S6_ilPT18_ili26rocblas_geam_ex_operation_,"axG",@progbits,_ZN12_GLOBAL__N_120geam_min_plus_kernelId15HIP_vector_typeIdLj2EEdLi32ELi8ELi128ELi128ELi4ELi4ELi64ELi4ELi64ELc84ELc78ELb1ELb0ELb1EdKddEEviiiT16_PT17_ilS6_ilS4_S6_ilPT18_ili26rocblas_geam_ex_operation_,comdat
.Lfunc_end163:
	.size	_ZN12_GLOBAL__N_120geam_min_plus_kernelId15HIP_vector_typeIdLj2EEdLi32ELi8ELi128ELi128ELi4ELi4ELi64ELi4ELi64ELc84ELc78ELb1ELb0ELb1EdKddEEviiiT16_PT17_ilS6_ilS4_S6_ilPT18_ili26rocblas_geam_ex_operation_, .Lfunc_end163-_ZN12_GLOBAL__N_120geam_min_plus_kernelId15HIP_vector_typeIdLj2EEdLi32ELi8ELi128ELi128ELi4ELi4ELi64ELi4ELi64ELc84ELc78ELb1ELb0ELb1EdKddEEviiiT16_PT17_ilS6_ilS4_S6_ilPT18_ili26rocblas_geam_ex_operation_
                                        ; -- End function
	.set _ZN12_GLOBAL__N_120geam_min_plus_kernelId15HIP_vector_typeIdLj2EEdLi32ELi8ELi128ELi128ELi4ELi4ELi64ELi4ELi64ELc84ELc78ELb1ELb0ELb1EdKddEEviiiT16_PT17_ilS6_ilS4_S6_ilPT18_ili26rocblas_geam_ex_operation_.num_vgpr, 241
	.set _ZN12_GLOBAL__N_120geam_min_plus_kernelId15HIP_vector_typeIdLj2EEdLi32ELi8ELi128ELi128ELi4ELi4ELi64ELi4ELi64ELc84ELc78ELb1ELb0ELb1EdKddEEviiiT16_PT17_ilS6_ilS4_S6_ilPT18_ili26rocblas_geam_ex_operation_.num_agpr, 0
	.set _ZN12_GLOBAL__N_120geam_min_plus_kernelId15HIP_vector_typeIdLj2EEdLi32ELi8ELi128ELi128ELi4ELi4ELi64ELi4ELi64ELc84ELc78ELb1ELb0ELb1EdKddEEviiiT16_PT17_ilS6_ilS4_S6_ilPT18_ili26rocblas_geam_ex_operation_.numbered_sgpr, 23
	.set _ZN12_GLOBAL__N_120geam_min_plus_kernelId15HIP_vector_typeIdLj2EEdLi32ELi8ELi128ELi128ELi4ELi4ELi64ELi4ELi64ELc84ELc78ELb1ELb0ELb1EdKddEEviiiT16_PT17_ilS6_ilS4_S6_ilPT18_ili26rocblas_geam_ex_operation_.num_named_barrier, 0
	.set _ZN12_GLOBAL__N_120geam_min_plus_kernelId15HIP_vector_typeIdLj2EEdLi32ELi8ELi128ELi128ELi4ELi4ELi64ELi4ELi64ELc84ELc78ELb1ELb0ELb1EdKddEEviiiT16_PT17_ilS6_ilS4_S6_ilPT18_ili26rocblas_geam_ex_operation_.private_seg_size, 0
	.set _ZN12_GLOBAL__N_120geam_min_plus_kernelId15HIP_vector_typeIdLj2EEdLi32ELi8ELi128ELi128ELi4ELi4ELi64ELi4ELi64ELc84ELc78ELb1ELb0ELb1EdKddEEviiiT16_PT17_ilS6_ilS4_S6_ilPT18_ili26rocblas_geam_ex_operation_.uses_vcc, 1
	.set _ZN12_GLOBAL__N_120geam_min_plus_kernelId15HIP_vector_typeIdLj2EEdLi32ELi8ELi128ELi128ELi4ELi4ELi64ELi4ELi64ELc84ELc78ELb1ELb0ELb1EdKddEEviiiT16_PT17_ilS6_ilS4_S6_ilPT18_ili26rocblas_geam_ex_operation_.uses_flat_scratch, 0
	.set _ZN12_GLOBAL__N_120geam_min_plus_kernelId15HIP_vector_typeIdLj2EEdLi32ELi8ELi128ELi128ELi4ELi4ELi64ELi4ELi64ELc84ELc78ELb1ELb0ELb1EdKddEEviiiT16_PT17_ilS6_ilS4_S6_ilPT18_ili26rocblas_geam_ex_operation_.has_dyn_sized_stack, 0
	.set _ZN12_GLOBAL__N_120geam_min_plus_kernelId15HIP_vector_typeIdLj2EEdLi32ELi8ELi128ELi128ELi4ELi4ELi64ELi4ELi64ELc84ELc78ELb1ELb0ELb1EdKddEEviiiT16_PT17_ilS6_ilS4_S6_ilPT18_ili26rocblas_geam_ex_operation_.has_recursion, 0
	.set _ZN12_GLOBAL__N_120geam_min_plus_kernelId15HIP_vector_typeIdLj2EEdLi32ELi8ELi128ELi128ELi4ELi4ELi64ELi4ELi64ELc84ELc78ELb1ELb0ELb1EdKddEEviiiT16_PT17_ilS6_ilS4_S6_ilPT18_ili26rocblas_geam_ex_operation_.has_indirect_call, 0
	.section	.AMDGPU.csdata,"",@progbits
; Kernel info:
; codeLenInByte = 27164
; TotalNumSgprs: 25
; NumVgprs: 241
; ScratchSize: 0
; MemoryBound: 0
; FloatMode: 240
; IeeeMode: 1
; LDSByteSize: 16384 bytes/workgroup (compile time only)
; SGPRBlocks: 0
; VGPRBlocks: 30
; NumSGPRsForWavesPerEU: 25
; NumVGPRsForWavesPerEU: 241
; Occupancy: 4
; WaveLimiterHint : 0
; COMPUTE_PGM_RSRC2:SCRATCH_EN: 0
; COMPUTE_PGM_RSRC2:USER_SGPR: 6
; COMPUTE_PGM_RSRC2:TRAP_HANDLER: 0
; COMPUTE_PGM_RSRC2:TGID_X_EN: 1
; COMPUTE_PGM_RSRC2:TGID_Y_EN: 0
; COMPUTE_PGM_RSRC2:TGID_Z_EN: 1
; COMPUTE_PGM_RSRC2:TIDIG_COMP_CNT: 1
	.section	.text._ZN12_GLOBAL__N_120geam_min_plus_kernelId15HIP_vector_typeIdLj2EEdLi32ELi8ELi128ELi128ELi4ELi4ELi64ELi4ELi64ELc84ELc78ELb0ELb0ELb1EdKddEEviiiT16_PT17_ilS6_ilS4_S6_ilPT18_ili26rocblas_geam_ex_operation_,"axG",@progbits,_ZN12_GLOBAL__N_120geam_min_plus_kernelId15HIP_vector_typeIdLj2EEdLi32ELi8ELi128ELi128ELi4ELi4ELi64ELi4ELi64ELc84ELc78ELb0ELb0ELb1EdKddEEviiiT16_PT17_ilS6_ilS4_S6_ilPT18_ili26rocblas_geam_ex_operation_,comdat
	.globl	_ZN12_GLOBAL__N_120geam_min_plus_kernelId15HIP_vector_typeIdLj2EEdLi32ELi8ELi128ELi128ELi4ELi4ELi64ELi4ELi64ELc84ELc78ELb0ELb0ELb1EdKddEEviiiT16_PT17_ilS6_ilS4_S6_ilPT18_ili26rocblas_geam_ex_operation_ ; -- Begin function _ZN12_GLOBAL__N_120geam_min_plus_kernelId15HIP_vector_typeIdLj2EEdLi32ELi8ELi128ELi128ELi4ELi4ELi64ELi4ELi64ELc84ELc78ELb0ELb0ELb1EdKddEEviiiT16_PT17_ilS6_ilS4_S6_ilPT18_ili26rocblas_geam_ex_operation_
	.p2align	8
	.type	_ZN12_GLOBAL__N_120geam_min_plus_kernelId15HIP_vector_typeIdLj2EEdLi32ELi8ELi128ELi128ELi4ELi4ELi64ELi4ELi64ELc84ELc78ELb0ELb0ELb1EdKddEEviiiT16_PT17_ilS6_ilS4_S6_ilPT18_ili26rocblas_geam_ex_operation_,@function
_ZN12_GLOBAL__N_120geam_min_plus_kernelId15HIP_vector_typeIdLj2EEdLi32ELi8ELi128ELi128ELi4ELi4ELi64ELi4ELi64ELc84ELc78ELb0ELb0ELb1EdKddEEviiiT16_PT17_ilS6_ilS4_S6_ilPT18_ili26rocblas_geam_ex_operation_: ; @_ZN12_GLOBAL__N_120geam_min_plus_kernelId15HIP_vector_typeIdLj2EEdLi32ELi8ELi128ELi128ELi4ELi4ELi64ELi4ELi64ELc84ELc78ELb0ELb0ELb1EdKddEEviiiT16_PT17_ilS6_ilS4_S6_ilPT18_ili26rocblas_geam_ex_operation_
; %bb.0:
	s_mov_b64 s[26:27], s[2:3]
	s_mov_b64 s[24:25], s[0:1]
	v_mov_b32_e32 v162, v1
	s_add_u32 s24, s24, s8
	s_clause 0x1
	s_load_dwordx4 s[12:15], s[4:5], 0x10
	s_load_dwordx4 s[8:11], s[4:5], 0x28
	v_mov_b32_e32 v163, v0
	s_addc_u32 s25, s25, 0
	s_mov_b64 s[16:17], 0
	s_waitcnt lgkmcnt(0)
	v_cmp_eq_f64_e64 s18, s[12:13], 0
	s_and_b32 vcc_lo, exec_lo, s18
	s_cbranch_vccnz .LBB164_2
; %bb.1:
	s_mul_i32 s0, s9, s7
	s_mul_hi_u32 s1, s8, s7
	s_add_i32 s1, s1, s0
	s_mul_i32 s0, s8, s7
	s_lshl_b64 s[0:1], s[0:1], 3
	s_add_u32 s16, s14, s0
	s_addc_u32 s17, s15, s1
.LBB164_2:
	s_clause 0x1
	s_load_dwordx4 s[0:3], s[4:5], 0x40
	s_load_dwordx2 s[20:21], s[4:5], 0x50
	s_andn2_b32 vcc_lo, exec_lo, s18
	s_mov_b32 s8, -1
	s_cbranch_vccnz .LBB164_4
; %bb.3:
	s_mov_b32 s8, 0
.LBB164_4:
	s_mov_b64 s[14:15], 0
	s_andn2_b32 vcc_lo, exec_lo, s8
	s_mov_b64 s[18:19], 0
	s_cbranch_vccnz .LBB164_6
; %bb.5:
	s_waitcnt lgkmcnt(0)
	s_mul_i32 s1, s1, s7
	s_mul_hi_u32 s8, s0, s7
	s_mul_i32 s0, s0, s7
	s_add_i32 s1, s8, s1
	s_lshl_b64 s[0:1], s[0:1], 3
	s_add_u32 s18, s10, s0
	s_addc_u32 s19, s11, s1
.LBB164_6:
	s_waitcnt lgkmcnt(0)
	v_cmp_eq_f64_e64 s0, s[2:3], 0
	v_cmp_neq_f64_e64 s22, s[12:13], 0
	s_load_dwordx4 s[8:11], s[4:5], 0x60
	s_and_b32 s0, exec_lo, s0
	s_mov_b32 vcc_lo, s0
	s_cbranch_vccnz .LBB164_8
; %bb.7:
	s_waitcnt lgkmcnt(0)
	s_mul_i32 s1, s9, s7
	s_mul_hi_u32 s9, s8, s7
	s_mul_i32 s8, s8, s7
	s_add_i32 s9, s9, s1
	s_lshl_b64 s[8:9], s[8:9], 3
	s_add_u32 s14, s20, s8
	s_addc_u32 s15, s21, s9
.LBB164_8:
	s_load_dword s1, s[4:5], 0x0
	s_waitcnt lgkmcnt(0)
	s_load_dword s9, s[4:5], 0x20
	v_and_b32_e32 v10, 3, v163
	v_cndmask_b32_e64 v1, 0, 1, s22
	v_mov_b32_e32 v4, 0
	v_mov_b32_e32 v2, 0
	;; [unrolled: 1-line block ×3, first 2 shown]
	v_lshlrev_b32_e32 v179, 3, v10
	v_mov_b32_e32 v3, 0
	s_add_i32 s1, s1, -1
	s_ashr_i32 s8, s1, 31
	s_lshr_b32 s8, s8, 25
	s_add_i32 s1, s1, s8
	s_ashr_i32 s1, s1, 7
	s_add_i32 s20, s1, 1
	s_not_b32 s1, s1
	v_cvt_f32_u32_e32 v0, s20
	v_rcp_iflag_f32_e32 v0, v0
	v_mul_f32_e32 v0, 0x4f7ffffe, v0
	v_cvt_u32_f32_e32 v0, v0
	v_readfirstlane_b32 s8, v0
	v_lshl_add_u32 v0, v162, 5, v163
	s_mul_i32 s1, s1, s8
	v_lshrrev_b32_e32 v11, 2, v0
	s_mul_hi_u32 s1, s8, s1
	s_add_i32 s8, s8, s1
	s_mul_hi_u32 s1, s6, s8
	s_mul_i32 s8, s1, s20
	s_add_i32 s21, s1, 1
	s_sub_i32 s8, s6, s8
	s_sub_i32 s23, s8, s20
	s_cmp_ge_u32 s8, s20
	s_cselect_b32 s1, s21, s1
	s_cselect_b32 s8, s23, s8
	s_add_i32 s21, s1, 1
	s_cmp_ge_u32 s8, s20
	s_cselect_b32 s8, s21, s1
	s_andn2_b32 vcc_lo, exec_lo, s22
	s_mul_i32 s1, s8, s20
	v_add_co_u32 v12, s20, s16, v179
	s_sub_i32 s1, s6, s1
	v_add_co_ci_u32_e64 v13, null, s17, 0, s20
	s_lshl_b32 s6, s1, 7
	v_cmp_ne_u32_e64 s1, 1, v1
	v_add_nc_u32_e32 v90, s6, v11
	s_cbranch_vccnz .LBB164_10
; %bb.9:
	s_waitcnt lgkmcnt(0)
	v_mad_i64_i32 v[2:3], null, v90, s9, 0
	v_lshlrev_b64 v[2:3], 3, v[2:3]
	v_add_co_u32 v2, vcc_lo, v12, v2
	v_add_co_ci_u32_e64 v3, null, v13, v3, vcc_lo
	global_load_dwordx2 v[2:3], v[2:3], off
	s_waitcnt vmcnt(0)
	v_mul_f64 v[2:3], s[12:13], v[2:3]
.LBB164_10:
	s_load_dword s20, s[4:5], 0x38
	s_lshl_b32 s8, s8, 7
	v_mov_b32_e32 v6, 0
	v_add_nc_u32_e32 v92, s8, v11
	v_mov_b32_e32 v8, 0
	v_add_nc_u32_e32 v91, 64, v90
	v_mov_b32_e32 v7, 0
	v_mov_b32_e32 v9, 0
	v_add_nc_u32_e32 v93, 64, v92
	s_and_b32 vcc_lo, exec_lo, s1
	s_cbranch_vccnz .LBB164_12
; %bb.11:
	s_waitcnt lgkmcnt(0)
	v_mad_i64_i32 v[4:5], null, v91, s9, 0
	v_mad_i64_i32 v[6:7], null, v92, s20, 0
	;; [unrolled: 1-line block ×3, first 2 shown]
	v_add_co_u32 v0, s21, s18, v179
	v_lshlrev_b64 v[4:5], 3, v[4:5]
	v_add_co_ci_u32_e64 v1, null, s19, 0, s21
	v_lshlrev_b64 v[6:7], 3, v[6:7]
	v_lshlrev_b64 v[8:9], 3, v[8:9]
	v_add_co_u32 v4, vcc_lo, v12, v4
	v_add_co_ci_u32_e64 v5, null, v13, v5, vcc_lo
	v_add_co_u32 v6, vcc_lo, v0, v6
	v_add_co_ci_u32_e64 v7, null, v1, v7, vcc_lo
	;; [unrolled: 2-line block ×3, first 2 shown]
	global_load_dwordx2 v[4:5], v[4:5], off
	s_clause 0x1
	global_load_dwordx2 v[6:7], v[6:7], off
	global_load_dwordx2 v[8:9], v[8:9], off
	s_waitcnt vmcnt(2)
	v_mul_f64 v[4:5], s[12:13], v[4:5]
	s_waitcnt vmcnt(1)
	v_mul_f64 v[6:7], s[12:13], v[6:7]
	s_waitcnt vmcnt(0)
	v_mul_f64 v[8:9], s[12:13], v[8:9]
.LBB164_12:
	v_mov_b32_e32 v88, 0
	v_mov_b32_e32 v86, 0
	;; [unrolled: 1-line block ×4, first 2 shown]
	s_and_b32 vcc_lo, exec_lo, s1
	s_cbranch_vccnz .LBB164_14
; %bb.13:
	s_waitcnt lgkmcnt(0)
	v_mad_i64_i32 v[14:15], null, v90, s9, 0
	v_lshlrev_b64 v[14:15], 3, v[14:15]
	v_add_co_u32 v14, vcc_lo, v12, v14
	v_add_co_ci_u32_e64 v15, null, v13, v15, vcc_lo
	global_load_dwordx2 v[14:15], v[14:15], off offset:32
	s_waitcnt vmcnt(0)
	v_mul_f64 v[86:87], s[12:13], v[14:15]
.LBB164_14:
	v_mov_b32_e32 v82, 0
	v_mov_b32_e32 v84, 0
	;; [unrolled: 1-line block ×4, first 2 shown]
	s_and_b32 vcc_lo, exec_lo, s1
	s_cbranch_vccnz .LBB164_16
; %bb.15:
	s_waitcnt lgkmcnt(0)
	v_mad_i64_i32 v[14:15], null, v91, s9, 0
	v_mad_i64_i32 v[16:17], null, v92, s20, 0
	;; [unrolled: 1-line block ×3, first 2 shown]
	v_add_co_u32 v0, s21, s18, v179
	v_lshlrev_b64 v[14:15], 3, v[14:15]
	v_add_co_ci_u32_e64 v1, null, s19, 0, s21
	v_lshlrev_b64 v[16:17], 3, v[16:17]
	v_add_co_u32 v12, vcc_lo, v12, v14
	v_add_co_ci_u32_e64 v13, null, v13, v15, vcc_lo
	v_lshlrev_b64 v[14:15], 3, v[18:19]
	v_add_co_u32 v16, vcc_lo, v0, v16
	v_add_co_ci_u32_e64 v17, null, v1, v17, vcc_lo
	v_add_co_u32 v14, vcc_lo, v0, v14
	v_add_co_ci_u32_e64 v15, null, v1, v15, vcc_lo
	global_load_dwordx2 v[12:13], v[12:13], off offset:32
	s_clause 0x1
	global_load_dwordx2 v[16:17], v[16:17], off offset:32
	global_load_dwordx2 v[14:15], v[14:15], off offset:32
	s_waitcnt vmcnt(2)
	v_mul_f64 v[88:89], s[12:13], v[12:13]
	s_waitcnt vmcnt(1)
	v_mul_f64 v[82:83], s[12:13], v[16:17]
	;; [unrolled: 2-line block ×3, first 2 shown]
.LBB164_16:
	v_lshlrev_b32_e32 v0, 5, v11
	v_lshlrev_b32_e32 v158, 5, v163
	;; [unrolled: 1-line block ×3, first 2 shown]
	s_load_dword s21, s[4:5], 0x8
	v_lshl_or_b32 v172, v10, 3, v0
	ds_write2st64_b64 v172, v[2:3], v[4:5] offset1:4
	ds_write2st64_b64 v172, v[6:7], v[8:9] offset0:16 offset1:20
	s_waitcnt lgkmcnt(0)
	s_barrier
	buffer_gl0_inv
	ds_read_b128 v[6:9], v158 offset:1024
	ds_read_b128 v[10:13], v158 offset:2048
	;; [unrolled: 1-line block ×18, first 2 shown]
	ds_read_b128 v[94:97], v158
	ds_read_b128 v[2:5], v158 offset:16
	ds_read_b128 v[98:101], v166 offset:8192
	;; [unrolled: 1-line block ×3, first 2 shown]
	s_cmp_lt_i32 s21, 9
	s_waitcnt lgkmcnt(1)
	v_add_f64 v[102:103], v[96:97], v[100:101]
	v_add_f64 v[104:105], v[94:95], v[98:99]
	s_waitcnt lgkmcnt(0)
	v_add_f64 v[160:161], v[2:3], v[18:19]
	v_cvt_f32_f64_e32 v1, v[102:103]
	v_cvt_f32_f64_e32 v0, v[104:105]
	v_add_f64 v[102:103], v[8:9], v[100:101]
	v_add_f64 v[104:105], v[6:7], v[98:99]
	v_min3_f32 v157, v0, v1, 0x7f800000
	v_cvt_f32_f64_e32 v1, v[102:103]
	v_cvt_f32_f64_e32 v0, v[104:105]
	v_add_f64 v[102:103], v[12:13], v[100:101]
	v_add_f64 v[104:105], v[10:11], v[98:99]
	;; [unrolled: 1-line block ×4, first 2 shown]
	v_min3_f32 v156, v0, v1, 0x7f800000
	v_cvt_f32_f64_e32 v1, v[102:103]
	v_cvt_f32_f64_e32 v0, v[104:105]
	v_min3_f32 v155, v0, v1, 0x7f800000
	v_cvt_f32_f64_e32 v0, v[98:99]
	v_cvt_f32_f64_e32 v1, v[100:101]
	v_add_f64 v[98:99], v[96:97], v[24:25]
	v_add_f64 v[100:101], v[94:95], v[22:23]
	v_min3_f32 v154, v0, v1, 0x7f800000
	v_cvt_f32_f64_e32 v1, v[98:99]
	v_cvt_f32_f64_e32 v0, v[100:101]
	v_add_f64 v[98:99], v[8:9], v[24:25]
	v_add_f64 v[100:101], v[6:7], v[22:23]
	;; [unrolled: 5-line block ×3, first 2 shown]
	v_add_f64 v[24:25], v[16:17], v[24:25]
	v_add_f64 v[22:23], v[14:15], v[22:23]
	v_min3_f32 v152, v0, v1, 0x7f800000
	v_cvt_f32_f64_e32 v1, v[98:99]
	v_cvt_f32_f64_e32 v0, v[100:101]
	v_min3_f32 v151, v0, v1, 0x7f800000
	v_cvt_f32_f64_e32 v0, v[22:23]
	v_cvt_f32_f64_e32 v1, v[24:25]
	v_add_f64 v[22:23], v[96:97], v[28:29]
	v_add_f64 v[24:25], v[94:95], v[26:27]
	v_min3_f32 v150, v0, v1, 0x7f800000
	v_cvt_f32_f64_e32 v1, v[22:23]
	v_cvt_f32_f64_e32 v0, v[24:25]
	v_add_f64 v[22:23], v[8:9], v[28:29]
	v_add_f64 v[24:25], v[6:7], v[26:27]
	;; [unrolled: 5-line block ×50, first 2 shown]
	v_add_f64 v[8:9], v[8:9], v[80:81]
	v_add_f64 v[6:7], v[6:7], v[78:79]
	v_min3_f32 v101, v0, v1, 0x7f800000
	v_cvt_f32_f64_e32 v1, v[22:23]
	v_cvt_f32_f64_e32 v0, v[24:25]
	v_add_f64 v[22:23], v[12:13], v[76:77]
	v_add_f64 v[24:25], v[10:11], v[74:75]
	v_min3_f32 v100, v0, v1, 0x7f800000
	v_cvt_f32_f64_e32 v1, v[22:23]
	v_cvt_f32_f64_e32 v0, v[24:25]
	;; [unrolled: 5-line block ×4, first 2 shown]
	v_min3_f32 v97, v0, v1, 0x7f800000
	v_cvt_f32_f64_e32 v0, v[6:7]
	v_cvt_f32_f64_e32 v1, v[8:9]
	v_add_f64 v[6:7], v[12:13], v[80:81]
	v_add_f64 v[8:9], v[10:11], v[78:79]
	v_min3_f32 v96, v0, v1, 0x7f800000
	v_cvt_f32_f64_e32 v1, v[6:7]
	v_cvt_f32_f64_e32 v0, v[8:9]
	v_add_f64 v[6:7], v[16:17], v[80:81]
	v_add_f64 v[8:9], v[14:15], v[78:79]
	ds_read_b128 v[14:17], v158 offset:1040
	ds_read_b128 v[10:13], v158 offset:2064
	buffer_store_dword v158, off, s[24:27], 0 offset:148 ; 4-byte Folded Spill
	v_min3_f32 v95, v0, v1, 0x7f800000
	v_cvt_f32_f64_e32 v1, v[6:7]
	v_cvt_f32_f64_e32 v0, v[8:9]
	ds_read_b128 v[6:9], v158 offset:3088
	ds_read_b128 v[78:81], v166 offset:8464
	;; [unrolled: 1-line block ×16, first 2 shown]
	v_add_f64 v[158:159], v[4:5], v[20:21]
	ds_write2st64_b64 v172, v[86:87], v[88:89] offset0:8 offset1:12
	ds_write2st64_b64 v172, v[82:83], v[84:85] offset0:24 offset1:28
	s_waitcnt lgkmcnt(0)
	s_waitcnt_vscnt null, 0x0
	s_barrier
	buffer_gl0_inv
	v_min3_f32 v94, v0, v1, 0x7f800000
	v_cvt_f32_f64_e32 v0, v[160:161]
	v_cvt_f32_f64_e32 v1, v[158:159]
	v_add_f64 v[159:160], v[14:15], v[18:19]
	v_min3_f32 v170, v0, v1, v157
	v_add_f64 v[157:158], v[16:17], v[20:21]
	v_cvt_f32_f64_e32 v0, v[159:160]
	v_cvt_f32_f64_e32 v1, v[157:158]
	v_add_f64 v[158:159], v[10:11], v[18:19]
	v_add_f64 v[18:19], v[6:7], v[18:19]
	v_min3_f32 v244, v0, v1, v156
	v_add_f64 v[156:157], v[12:13], v[20:21]
	v_cvt_f32_f64_e32 v0, v[158:159]
	v_add_f64 v[20:21], v[8:9], v[20:21]
	v_cvt_f32_f64_e32 v1, v[156:157]
	v_min3_f32 v233, v0, v1, v155
	v_cvt_f32_f64_e32 v0, v[18:19]
	v_cvt_f32_f64_e32 v1, v[20:21]
	v_add_f64 v[18:19], v[4:5], v[80:81]
	v_add_f64 v[20:21], v[2:3], v[78:79]
	v_min3_f32 v234, v0, v1, v154
	v_cvt_f32_f64_e32 v1, v[18:19]
	v_cvt_f32_f64_e32 v0, v[20:21]
	v_add_f64 v[18:19], v[16:17], v[80:81]
	v_add_f64 v[20:21], v[14:15], v[78:79]
	;; [unrolled: 5-line block ×53, first 2 shown]
	v_add_f64 v[4:5], v[4:5], v[24:25]
	v_add_f64 v[2:3], v[2:3], v[22:23]
	v_min3_f32 v190, v0, v1, v102
	v_cvt_f32_f64_e32 v1, v[18:19]
	v_cvt_f32_f64_e32 v0, v[20:21]
	v_add_f64 v[18:19], v[16:17], v[28:29]
	v_add_f64 v[20:21], v[14:15], v[26:27]
	v_min3_f32 v189, v0, v1, v101
	v_cvt_f32_f64_e32 v1, v[18:19]
	v_cvt_f32_f64_e32 v0, v[20:21]
	;; [unrolled: 5-line block ×4, first 2 shown]
	v_min3_f32 v185, v0, v1, v98
	v_cvt_f32_f64_e32 v0, v[2:3]
	v_cvt_f32_f64_e32 v1, v[4:5]
	v_add_f64 v[2:3], v[16:17], v[24:25]
	v_add_f64 v[4:5], v[14:15], v[22:23]
	v_min3_f32 v184, v0, v1, v97
	v_cvt_f32_f64_e32 v1, v[2:3]
	v_cvt_f32_f64_e32 v0, v[4:5]
	v_add_f64 v[2:3], v[12:13], v[24:25]
	v_add_f64 v[4:5], v[10:11], v[22:23]
	v_min3_f32 v183, v0, v1, v96
	v_cvt_f32_f64_e32 v1, v[2:3]
	v_cvt_f32_f64_e32 v0, v[4:5]
	v_add_f64 v[2:3], v[8:9], v[24:25]
	v_add_f64 v[4:5], v[6:7], v[22:23]
	v_min3_f32 v182, v0, v1, v95
	v_cvt_f32_f64_e32 v1, v[2:3]
	v_cvt_f32_f64_e32 v0, v[4:5]
	v_min3_f32 v181, v0, v1, v94
	s_cbranch_scc1 .LBB164_29
; %bb.17:
	v_mad_i64_i32 v[2:3], null, s20, v93, 0
	v_mad_i64_i32 v[4:5], null, s20, v92, 0
	;; [unrolled: 1-line block ×4, first 2 shown]
	v_lshlrev_b64 v[2:3], 3, v[2:3]
	v_or_b32_e32 v0, 0x2000, v166
	v_lshlrev_b64 v[4:5], 3, v[4:5]
	v_mov_b32_e32 v188, v222
	v_mov_b32_e32 v222, v219
	buffer_store_dword v227, off, s[24:27], 0 offset:40 ; 4-byte Folded Spill
	buffer_store_dword v195, off, s[24:27], 0 offset:44 ; 4-byte Folded Spill
	v_add_co_u32 v1, vcc_lo, s18, v2
	v_add_co_ci_u32_e64 v173, null, s19, v3, vcc_lo
	v_lshlrev_b64 v[2:3], 3, v[6:7]
	v_add_co_u32 v174, vcc_lo, s18, v4
	v_add_co_ci_u32_e64 v175, null, s19, v5, vcc_lo
	v_lshlrev_b64 v[4:5], 3, v[8:9]
	v_add_co_u32 v176, vcc_lo, s16, v2
	v_add_co_ci_u32_e64 v177, null, s17, v3, vcc_lo
	buffer_store_dword v0, off, s[24:27], 0 offset:160 ; 4-byte Folded Spill
	v_add_co_u32 v171, vcc_lo, s16, v4
	v_lshl_add_u32 v0, v163, 5, 0x1000
	v_lshl_add_u32 v191, v162, 5, 0x3000
	v_add_co_ci_u32_e64 v178, null, s17, v5, vcc_lo
	s_add_i32 s9, s21, -8
	s_mov_b32 s16, 0
	buffer_store_dword v166, off, s[24:27], 0 offset:176 ; 4-byte Folded Spill
	buffer_store_dword v163, off, s[24:27], 0 offset:172 ; 4-byte Folded Spill
	;; [unrolled: 1-line block ×6, first 2 shown]
.LBB164_18:                             ; =>This Inner Loop Header: Depth=1
	v_mov_b32_e32 v164, 0
	v_mov_b32_e32 v162, 0
	;; [unrolled: 1-line block ×6, first 2 shown]
	s_and_b32 vcc_lo, exec_lo, s1
	buffer_store_dword v194, off, s[24:27], 0 offset:144 ; 4-byte Folded Spill
	s_cbranch_vccnz .LBB164_20
; %bb.19:                               ;   in Loop: Header=BB164_18 Depth=1
	s_waitcnt vmcnt(0)
	v_add_co_u32 v2, vcc_lo, v171, v179
	v_add_co_ci_u32_e64 v3, null, 0, v178, vcc_lo
	global_load_dwordx2 v[2:3], v[2:3], off offset:64
	s_waitcnt vmcnt(0)
	v_mul_f64 v[162:163], s[12:13], v[2:3]
.LBB164_20:                             ;   in Loop: Header=BB164_18 Depth=1
	v_mov_b32_e32 v166, 0
	v_mov_b32_e32 v168, 0
	;; [unrolled: 1-line block ×7, first 2 shown]
	s_and_b32 vcc_lo, exec_lo, s1
	s_cbranch_vccnz .LBB164_22
; %bb.21:                               ;   in Loop: Header=BB164_18 Depth=1
	s_waitcnt vmcnt(0)
	v_add_co_u32 v2, vcc_lo, v176, v179
	v_add_co_ci_u32_e64 v3, null, 0, v177, vcc_lo
	v_add_co_u32 v4, vcc_lo, v174, v179
	v_add_co_ci_u32_e64 v5, null, 0, v175, vcc_lo
	;; [unrolled: 2-line block ×3, first 2 shown]
	global_load_dwordx2 v[2:3], v[2:3], off offset:64
	global_load_dwordx2 v[4:5], v[4:5], off offset:64
	;; [unrolled: 1-line block ×3, first 2 shown]
	s_waitcnt vmcnt(2)
	v_mul_f64 v[164:165], s[12:13], v[2:3]
	s_waitcnt vmcnt(1)
	v_mul_f64 v[166:167], s[12:13], v[4:5]
	;; [unrolled: 2-line block ×3, first 2 shown]
.LBB164_22:                             ;   in Loop: Header=BB164_18 Depth=1
	ds_read_b128 v[158:161], v191
	ds_read_b128 v[78:81], v191 offset:16
	buffer_load_dword v0, off, s[24:27], 0 offset:156 ; 4-byte Folded Reload
	v_mov_b32_e32 v233, v234
	v_mov_b32_e32 v223, v224
	;; [unrolled: 1-line block ×4, first 2 shown]
	s_and_b32 vcc_lo, exec_lo, s1
	s_waitcnt vmcnt(0)
	ds_read_b128 v[98:101], v0
	ds_read_b128 v[2:5], v0 offset:16
	ds_read_b128 v[94:97], v0 offset:1024
	;; [unrolled: 1-line block ×37, first 2 shown]
	ds_write2st64_b64 v172, v[162:163], v[164:165] offset1:4
	v_mov_b32_e32 v164, 0
	v_mov_b32_e32 v162, 0
	v_add_nc_u32_e32 v0, 0x2000, v172
	v_mov_b32_e32 v165, 0
	v_mov_b32_e32 v163, 0
	ds_write2st64_b64 v0, v[166:167], v[168:169] offset1:4
	s_waitcnt lgkmcnt(0)
	s_waitcnt_vscnt null, 0x0
	s_barrier
	buffer_gl0_inv
	s_cbranch_vccnz .LBB164_24
; %bb.23:                               ;   in Loop: Header=BB164_18 Depth=1
	v_add_co_u32 v162, vcc_lo, v171, v179
	v_add_co_ci_u32_e64 v163, null, 0, v178, vcc_lo
	global_load_dwordx2 v[162:163], v[162:163], off offset:96
	s_waitcnt vmcnt(0)
	v_mul_f64 v[162:163], s[12:13], v[162:163]
.LBB164_24:                             ;   in Loop: Header=BB164_18 Depth=1
	buffer_store_dword v162, off, s[24:27], 0 offset:84 ; 4-byte Folded Spill
	buffer_store_dword v163, off, s[24:27], 0 offset:88 ; 4-byte Folded Spill
	v_mov_b32_e32 v162, 0
	v_mov_b32_e32 v166, 0
	;; [unrolled: 1-line block ×5, first 2 shown]
	buffer_store_dword v178, off, s[24:27], 0 offset:28 ; 4-byte Folded Spill
	buffer_store_dword v171, off, s[24:27], 0 offset:24 ; 4-byte Folded Spill
	v_mov_b32_e32 v192, v215
	v_mov_b32_e32 v171, v214
	;; [unrolled: 1-line block ×5, first 2 shown]
	s_and_b32 vcc_lo, exec_lo, s1
	buffer_store_dword v209, off, s[24:27], 0 offset:140 ; 4-byte Folded Spill
	buffer_store_dword v207, off, s[24:27], 0 offset:136 ; 4-byte Folded Spill
	;; [unrolled: 1-line block ×18, first 2 shown]
	s_cbranch_vccnz .LBB164_26
; %bb.25:                               ;   in Loop: Header=BB164_18 Depth=1
	v_add_co_u32 v164, vcc_lo, v176, v179
	v_add_co_ci_u32_e64 v165, null, 0, v177, vcc_lo
	v_add_co_u32 v166, vcc_lo, v174, v179
	v_add_co_ci_u32_e64 v167, null, 0, v175, vcc_lo
	;; [unrolled: 2-line block ×3, first 2 shown]
	global_load_dwordx2 v[164:165], v[164:165], off offset:96
	global_load_dwordx2 v[166:167], v[166:167], off offset:96
	;; [unrolled: 1-line block ×3, first 2 shown]
	s_waitcnt vmcnt(2)
	v_mul_f64 v[164:165], s[12:13], v[164:165]
	s_waitcnt vmcnt(1)
	v_mul_f64 v[162:163], s[12:13], v[166:167]
	;; [unrolled: 2-line block ×3, first 2 shown]
.LBB164_26:                             ;   in Loop: Header=BB164_18 Depth=1
	v_add_f64 v[249:250], v[100:101], v[160:161]
	v_add_f64 v[251:252], v[98:99], v[158:159]
	buffer_store_dword v166, off, s[24:27], 0 offset:116 ; 4-byte Folded Spill
	buffer_store_dword v167, off, s[24:27], 0 offset:120 ; 4-byte Folded Spill
	;; [unrolled: 1-line block ×6, first 2 shown]
	v_add_f64 v[253:254], v[96:97], v[160:161]
	v_add_f64 v[162:163], v[94:95], v[158:159]
	;; [unrolled: 1-line block ×6, first 2 shown]
	buffer_store_dword v1, off, s[24:27], 0 ; 4-byte Folded Spill
	v_add_f64 v[0:1], v[88:89], v[160:161]
	v_add_f64 v[164:165], v[86:87], v[158:159]
	;; [unrolled: 1-line block ×10, first 2 shown]
	buffer_store_dword v173, off, s[24:27], 0 offset:4 ; 4-byte Folded Spill
	v_add_f64 v[172:173], v[96:97], v[156:157]
	v_cvt_f32_f64_e32 v147, v[249:250]
	v_cvt_f32_f64_e32 v146, v[251:252]
	buffer_store_dword v174, off, s[24:27], 0 offset:8 ; 4-byte Folded Spill
	buffer_store_dword v175, off, s[24:27], 0 offset:12 ; 4-byte Folded Spill
	v_cvt_f32_f64_e32 v152, v[253:254]
	v_add_f64 v[174:175], v[94:95], v[154:155]
	buffer_store_dword v176, off, s[24:27], 0 offset:16 ; 4-byte Folded Spill
	buffer_store_dword v177, off, s[24:27], 0 offset:20 ; 4-byte Folded Spill
	v_add_f64 v[176:177], v[88:89], v[156:157]
	v_add_f64 v[178:179], v[86:87], v[154:155]
	;; [unrolled: 1-line block ×4, first 2 shown]
	v_cvt_f32_f64_e32 v0, v[0:1]
	v_add_f64 v[182:183], v[98:99], v[150:151]
	v_add_f64 v[186:187], v[94:95], v[150:151]
	v_add_f64 v[200:201], v[86:87], v[150:151]
	v_add_f64 v[150:151], v[82:83], v[150:151]
	v_add_f64 v[204:205], v[100:101], v[148:149]
	v_cvt_f32_f64_e32 v1, v[160:161]
	v_add_f64 v[208:209], v[96:97], v[148:149]
	v_add_f64 v[212:213], v[88:89], v[148:149]
	;; [unrolled: 1-line block ×3, first 2 shown]
	s_add_i32 s16, s16, 8
	s_cmp_ge_i32 s16, s9
	v_min3_f32 v146, v146, v147, v170
	v_cvt_f32_f64_e32 v147, v[162:163]
	buffer_load_dword v170, off, s[24:27], 0 offset:160 ; 4-byte Folded Reload
	v_cvt_f32_f64_e32 v161, v[176:177]
	v_cvt_f32_f64_e32 v160, v[178:179]
	;; [unrolled: 1-line block ×6, first 2 shown]
	v_add_f64 v[182:183], v[88:89], v[140:141]
	v_add_f64 v[216:217], v[88:89], v[132:133]
	v_cvt_f32_f64_e32 v150, v[150:151]
	v_cvt_f32_f64_e32 v151, v[202:203]
	v_add_f64 v[202:203], v[94:95], v[134:135]
	v_cvt_f32_f64_e32 v176, v[212:213]
	v_cvt_f32_f64_e32 v178, v[148:149]
	v_add_f64 v[212:213], v[96:97], v[132:133]
	v_min3_f32 v147, v147, v152, v195
	v_cvt_f32_f64_e32 v152, v[164:165]
	v_cvt_f32_f64_e32 v164, v[180:181]
	;; [unrolled: 1-line block ×3, first 2 shown]
	v_add_f64 v[180:181], v[94:95], v[138:139]
	v_min3_f32 v156, v160, v161, v243
	v_add_f64 v[186:187], v[100:101], v[136:137]
	v_min3_f32 v157, v162, v157, v241
	v_min3_f32 v161, v150, v151, v237
	;; [unrolled: 1-line block ×3, first 2 shown]
	v_add_f64 v[178:179], v[96:97], v[140:141]
	v_min3_f32 v152, v152, v0, v244
	v_cvt_f32_f64_e32 v0, v[158:159]
	v_cvt_f32_f64_e32 v158, v[174:175]
	;; [unrolled: 1-line block ×7, first 2 shown]
	v_add_f64 v[208:209], v[100:101], v[132:133]
	v_add_f64 v[210:211], v[98:99], v[130:131]
	;; [unrolled: 1-line block ×5, first 2 shown]
	v_min3_f32 v153, v0, v1, v233
	v_cvt_f32_f64_e32 v0, v[168:169]
	v_cvt_f32_f64_e32 v1, v[166:167]
	;; [unrolled: 1-line block ×6, first 2 shown]
	v_min3_f32 v155, v158, v159, v242
	v_min3_f32 v158, v163, v164, v240
	v_add_f64 v[162:163], v[98:99], v[142:143]
	v_min3_f32 v149, v173, v174, v232
	v_min3_f32 v150, v175, v176, v235
	v_add_f64 v[174:175], v[100:101], v[140:141]
	v_add_f64 v[176:177], v[98:99], v[138:139]
	;; [unrolled: 1-line block ×10, first 2 shown]
	v_min3_f32 v154, v0, v1, v234
	v_add_f64 v[0:1], v[100:101], v[144:145]
	v_min3_f32 v159, v165, v166, v238
	v_min3_f32 v160, v167, v168, v239
	;; [unrolled: 1-line block ×3, first 2 shown]
	v_add_f64 v[164:165], v[96:97], v[144:145]
	v_add_f64 v[166:167], v[94:95], v[142:143]
	;; [unrolled: 1-line block ×8, first 2 shown]
	v_cvt_f32_f64_e32 v162, v[162:163]
	v_cvt_f32_f64_e32 v140, v[140:141]
	;; [unrolled: 1-line block ×4, first 2 shown]
	v_add_f64 v[132:133], v[94:95], v[126:127]
	v_cvt_f32_f64_e32 v163, v[0:1]
	v_add_f64 v[0:1], v[98:99], v[126:127]
	v_cvt_f32_f64_e32 v164, v[164:165]
	v_cvt_f32_f64_e32 v166, v[166:167]
	;; [unrolled: 1-line block ×15, first 2 shown]
	v_add_f64 v[130:131], v[100:101], v[128:129]
	v_add_f64 v[134:135], v[96:97], v[128:129]
	;; [unrolled: 1-line block ×3, first 2 shown]
	v_cvt_f32_f64_e32 v176, v[202:203]
	v_cvt_f32_f64_e32 v200, v[0:1]
	v_add_f64 v[0:1], v[86:87], v[126:127]
	v_cvt_f32_f64_e32 v181, v[136:137]
	v_cvt_f32_f64_e32 v202, v[132:133]
	;; [unrolled: 1-line block ×7, first 2 shown]
	v_min3_f32 v133, v142, v143, v224
	v_add_f64 v[142:143], v[96:97], v[124:125]
	v_cvt_f32_f64_e32 v173, v[182:183]
	v_min3_f32 v137, v174, v140, v226
	v_cvt_f32_f64_e32 v178, v[206:207]
	v_cvt_f32_f64_e32 v179, v[204:205]
	;; [unrolled: 1-line block ×3, first 2 shown]
	v_min3_f32 v220, v186, v187, v220
	v_min3_f32 v217, v189, v190, v199
	v_cvt_f32_f64_e32 v201, v[130:131]
	v_cvt_f32_f64_e32 v203, v[134:135]
	v_min3_f32 v130, v162, v163, v223
	v_min3_f32 v131, v166, v164, v219
	;; [unrolled: 1-line block ×4, first 2 shown]
	v_cvt_f32_f64_e32 v186, v[0:1]
	v_cvt_f32_f64_e32 v187, v[138:139]
	v_add_f64 v[0:1], v[82:83], v[126:127]
	v_add_f64 v[126:127], v[84:85], v[128:129]
	;; [unrolled: 1-line block ×9, first 2 shown]
	v_min3_f32 v224, v180, v181, v188
	v_min3_f32 v218, v184, v185, v218
	v_add_f64 v[180:181], v[100:101], v[116:117]
	v_add_f64 v[184:185], v[96:97], v[116:117]
	v_cvt_f32_f64_e32 v183, v[208:209]
	v_min3_f32 v216, v200, v201, v198
	v_min3_f32 v132, v165, v167, v222
	;; [unrolled: 1-line block ×6, first 2 shown]
	v_add_f64 v[164:165], v[98:99], v[118:119]
	v_add_f64 v[166:167], v[100:101], v[120:121]
	v_add_f64 v[168:169], v[94:95], v[118:119]
	v_cvt_f32_f64_e32 v190, v[126:127]
	v_add_f64 v[126:127], v[88:89], v[116:117]
	v_cvt_f32_f64_e32 v201, v[138:139]
	v_add_f64 v[138:139], v[84:85], v[116:117]
	v_add_f64 v[172:173], v[96:97], v[120:121]
	;; [unrolled: 1-line block ×3, first 2 shown]
	v_cvt_f32_f64_e32 v122, v[122:123]
	v_cvt_f32_f64_e32 v123, v[124:125]
	v_add_f64 v[176:177], v[88:89], v[120:121]
	v_add_f64 v[118:119], v[82:83], v[118:119]
	;; [unrolled: 1-line block ×4, first 2 shown]
	v_min3_f32 v221, v182, v183, v221
	v_add_f64 v[182:183], v[94:95], v[114:115]
	v_cvt_f32_f64_e32 v189, v[0:1]
	v_cvt_f32_f64_e32 v205, v[162:163]
	v_add_f64 v[0:1], v[86:87], v[114:115]
	v_add_f64 v[162:163], v[96:97], v[112:113]
	v_min3_f32 v215, v202, v203, v197
	v_cvt_f32_f64_e32 v200, v[128:129]
	v_cvt_f32_f64_e32 v202, v[140:141]
	v_cvt_f32_f64_e32 v168, v[168:169]
	v_cvt_f32_f64_e32 v203, v[142:143]
	v_cvt_f32_f64_e32 v204, v[144:145]
	v_cvt_f32_f64_e32 v206, v[164:165]
	v_cvt_f32_f64_e32 v207, v[166:167]
	v_cvt_f32_f64_e32 v169, v[172:173]
	v_cvt_f32_f64_e32 v172, v[174:175]
	v_add_f64 v[128:129], v[82:83], v[114:115]
	v_min3_f32 v117, v122, v123, v246
	buffer_load_dword v122, off, s[24:27], 0 offset:144 ; 4-byte Folded Reload
	v_cvt_f32_f64_e32 v173, v[176:177]
	v_cvt_f32_f64_e32 v174, v[118:119]
	;; [unrolled: 1-line block ×7, first 2 shown]
	v_add_f64 v[140:141], v[98:99], v[110:111]
	v_add_f64 v[142:143], v[100:101], v[112:113]
	;; [unrolled: 1-line block ×5, first 2 shown]
	v_cvt_f32_f64_e32 v181, v[162:163]
	v_add_f64 v[162:163], v[100:101], v[104:105]
	s_clause 0x1
	buffer_load_dword v120, off, s[24:27], 0 offset:40
	buffer_load_dword v114, off, s[24:27], 0 offset:44
	v_min3_f32 v125, v189, v190, v193
	v_min3_f32 v119, v168, v169, v227
	v_add_f64 v[168:169], v[86:87], v[102:103]
	v_min3_f32 v116, v204, v205, v248
	v_min3_f32 v118, v206, v207, v245
	;; [unrolled: 1-line block ×4, first 2 shown]
	v_cvt_f32_f64_e32 v177, v[138:139]
	v_add_f64 v[138:139], v[96:97], v[108:109]
	v_cvt_f32_f64_e32 v178, v[140:141]
	v_cvt_f32_f64_e32 v180, v[144:145]
	;; [unrolled: 1-line block ×3, first 2 shown]
	v_add_f64 v[140:141], v[86:87], v[106:107]
	v_add_f64 v[144:145], v[98:99], v[102:103]
	;; [unrolled: 1-line block ×4, first 2 shown]
	v_cvt_f32_f64_e32 v183, v[166:167]
	v_add_f64 v[166:167], v[96:97], v[104:105]
	v_add_f64 v[96:97], v[96:97], v[92:93]
	v_cvt_f32_f64_e32 v179, v[142:143]
	v_add_f64 v[142:143], v[88:89], v[108:109]
	s_waitcnt vmcnt(2)
	v_min3_f32 v121, v174, v121, v122
	v_min3_f32 v122, v175, v176, v194
	v_cvt_f32_f64_e32 v174, v[0:1]
	v_cvt_f32_f64_e32 v175, v[126:127]
	v_add_f64 v[0:1], v[82:83], v[110:111]
	v_add_f64 v[110:111], v[84:85], v[112:113]
	v_add_f64 v[112:113], v[98:99], v[106:107]
	v_add_f64 v[126:127], v[100:101], v[108:109]
	v_add_f64 v[100:101], v[100:101], v[92:93]
	v_cvt_f32_f64_e32 v176, v[128:129]
	v_add_f64 v[128:129], v[94:95], v[106:107]
	v_add_f64 v[106:107], v[82:83], v[106:107]
	;; [unrolled: 1-line block ×5, first 2 shown]
	v_cvt_f32_f64_e32 v184, v[0:1]
	v_cvt_f32_f64_e32 v110, v[110:111]
	v_cvt_f32_f64_e32 v111, v[112:113]
	v_cvt_f32_f64_e32 v112, v[126:127]
	v_cvt_f32_f64_e32 v126, v[138:139]
	v_cvt_f32_f64_e32 v138, v[162:163]
	v_cvt_f32_f64_e32 v162, v[100:101]
	v_add_f64 v[100:101], v[82:83], v[90:91]
	buffer_load_dword v82, off, s[24:27], 0 offset:140 ; 4-byte Folded Reload
	v_cvt_f32_f64_e32 v139, v[164:165]
	v_cvt_f32_f64_e32 v164, v[96:97]
	v_add_f64 v[0:1], v[86:87], v[90:91]
	v_cvt_f32_f64_e32 v113, v[128:129]
	v_cvt_f32_f64_e32 v128, v[142:143]
	;; [unrolled: 1-line block ×6, first 2 shown]
	v_add_f64 v[98:99], v[88:89], v[92:93]
	v_add_f64 v[102:103], v[84:85], v[92:93]
	v_cvt_f32_f64_e32 v163, v[94:95]
	v_cvt_f32_f64_e32 v127, v[140:141]
	;; [unrolled: 1-line block ×5, first 2 shown]
	v_add_f64 v[106:107], v[4:5], v[80:81]
	v_cvt_f32_f64_e32 v166, v[100:101]
	v_add_f64 v[100:101], v[10:11], v[78:79]
	v_cvt_f32_f64_e32 v165, v[98:99]
	v_cvt_f32_f64_e32 v167, v[102:103]
	v_add_f64 v[98:99], v[8:9], v[80:81]
	v_add_f64 v[102:103], v[12:13], v[80:81]
	;; [unrolled: 1-line block ×3, first 2 shown]
	v_cvt_f32_f64_e32 v169, v[106:107]
	v_add_f64 v[106:107], v[4:5], v[76:77]
	v_cvt_f32_f64_e32 v98, v[98:99]
	v_cvt_f32_f64_e32 v99, v[100:101]
	;; [unrolled: 1-line block ×4, first 2 shown]
	v_add_f64 v[80:81], v[14:15], v[66:67]
	s_waitcnt vmcnt(0)
	v_min3_f32 v96, v174, v175, v82
	buffer_load_dword v82, off, s[24:27], 0 offset:136 ; 4-byte Folded Reload
	s_waitcnt vmcnt(0)
	v_min3_f32 v97, v176, v177, v82
	buffer_load_dword v82, off, s[24:27], 0 offset:132 ; 4-byte Folded Reload
	;; [unrolled: 3-line block ×7, first 2 shown]
	v_min3_f32 v120, v172, v173, v120
	v_add_f64 v[172:173], v[88:89], v[104:105]
	v_add_f64 v[104:105], v[84:85], v[104:105]
	;; [unrolled: 1-line block ×3, first 2 shown]
	v_cvt_f32_f64_e32 v142, v[172:173]
	v_cvt_f32_f64_e32 v144, v[104:105]
	v_add_f64 v[104:105], v[2:3], v[78:79]
	v_cvt_f32_f64_e32 v168, v[104:105]
	v_add_f64 v[104:105], v[2:3], v[74:75]
	v_cvt_f32_f64_e32 v103, v[104:105]
	v_cvt_f32_f64_e32 v104, v[106:107]
	;; [unrolled: 1-line block ×3, first 2 shown]
	s_waitcnt vmcnt(0)
	v_min3_f32 v89, v113, v126, v82
	buffer_load_dword v82, off, s[24:27], 0 offset:76 ; 4-byte Folded Reload
	v_add_f64 v[112:113], v[10:11], v[74:75]
	v_cvt_f32_f64_e32 v107, v[112:113]
	s_waitcnt vmcnt(0)
	v_min3_f32 v90, v127, v128, v82
	buffer_load_dword v82, off, s[24:27], 0 offset:72 ; 4-byte Folded Reload
	v_add_f64 v[126:127], v[12:13], v[76:77]
	v_add_f64 v[76:77], v[16:17], v[76:77]
	v_cvt_f32_f64_e32 v110, v[76:77]
	v_add_f64 v[76:77], v[10:11], v[66:67]
	s_waitcnt vmcnt(0)
	v_min3_f32 v87, v129, v108, v82
	buffer_load_dword v82, off, s[24:27], 0 offset:68 ; 4-byte Folded Reload
	v_add_f64 v[128:129], v[2:3], v[70:71]
	v_cvt_f32_f64_e32 v111, v[128:129]
	s_waitcnt vmcnt(0)
	v_min3_f32 v88, v109, v138, v82
	buffer_load_dword v82, off, s[24:27], 0 offset:64 ; 4-byte Folded Reload
	v_add_f64 v[108:109], v[6:7], v[74:75]
	v_add_f64 v[74:75], v[14:15], v[74:75]
	v_cvt_f32_f64_e32 v105, v[108:109]
	v_cvt_f32_f64_e32 v108, v[126:127]
	v_cvt_f32_f64_e32 v109, v[74:75]
	v_add_f64 v[74:75], v[8:9], v[68:69]
	s_waitcnt vmcnt(0)
	v_min3_f32 v85, v139, v140, v82
	buffer_load_dword v82, off, s[24:27], 0 offset:60 ; 4-byte Folded Reload
	v_add_f64 v[138:139], v[4:5], v[72:73]
	v_cvt_f32_f64_e32 v112, v[138:139]
	v_min3_f32 v138, v168, v169, v146
	v_min3_f32 v146, v111, v112, v158
	s_waitcnt vmcnt(0)
	v_min3_f32 v86, v141, v142, v82
	buffer_load_dword v82, off, s[24:27], 0 offset:56 ; 4-byte Folded Reload
	v_add_f64 v[140:141], v[6:7], v[70:71]
	v_cvt_f32_f64_e32 v113, v[140:141]
	v_min3_f32 v140, v99, v100, v152
	s_waitcnt vmcnt(0)
	v_min3_f32 v83, v143, v144, v82
	buffer_load_dword v82, off, s[24:27], 0 offset:52 ; 4-byte Folded Reload
	v_add_f64 v[142:143], v[8:9], v[72:73]
	v_cvt_f32_f64_e32 v126, v[142:143]
	v_min3_f32 v142, v103, v104, v154
	v_min3_f32 v143, v105, v106, v155
	v_add_f64 v[104:105], v[12:13], v[60:61]
	v_cvt_f32_f64_e32 v155, v[104:105]
	v_add_f64 v[104:105], v[12:13], v[48:49]
	s_waitcnt vmcnt(0)
	v_min3_f32 v84, v145, v162, v82
	buffer_load_dword v82, off, s[24:27], 0 offset:48 ; 4-byte Folded Reload
	v_add_f64 v[144:145], v[10:11], v[70:71]
	v_add_f64 v[70:71], v[14:15], v[70:71]
	v_cvt_f32_f64_e32 v127, v[144:145]
	v_cvt_f32_f64_e32 v129, v[70:71]
	v_add_f64 v[70:71], v[4:5], v[68:69]
	v_min3_f32 v145, v109, v110, v157
	v_min3_f32 v144, v107, v108, v156
	v_add_f64 v[106:107], v[2:3], v[54:55]
	v_add_f64 v[108:109], v[4:5], v[56:57]
	v_cvt_f32_f64_e32 v111, v[70:71]
	v_add_f64 v[70:71], v[6:7], v[62:63]
	v_cvt_f32_f64_e32 v106, v[106:107]
	v_cvt_f32_f64_e32 v107, v[108:109]
	s_waitcnt vmcnt(0)
	v_min3_f32 v82, v163, v164, v82
	v_cvt_f32_f64_e32 v164, v[0:1]
	v_add_f64 v[0:1], v[6:7], v[78:79]
	v_add_f64 v[78:79], v[14:15], v[78:79]
	;; [unrolled: 1-line block ×4, first 2 shown]
	v_cvt_f32_f64_e32 v172, v[0:1]
	v_cvt_f32_f64_e32 v101, v[78:79]
	;; [unrolled: 1-line block ×4, first 2 shown]
	v_add_f64 v[0:1], v[2:3], v[66:67]
	v_add_f64 v[72:73], v[6:7], v[66:67]
	;; [unrolled: 1-line block ×4, first 2 shown]
	s_clause 0x1
	buffer_load_dword v66, off, s[24:27], 0 offset:36
	buffer_load_dword v67, off, s[24:27], 0 offset:32
	v_min3_f32 v124, v186, v187, v114
	v_min3_f32 v114, v200, v201, v192
	;; [unrolled: 1-line block ×7, first 2 shown]
	v_cvt_f32_f64_e32 v110, v[0:1]
	v_cvt_f32_f64_e32 v112, v[72:73]
	;; [unrolled: 1-line block ×7, first 2 shown]
	v_add_f64 v[0:1], v[2:3], v[62:63]
	v_add_f64 v[68:69], v[4:5], v[64:65]
	;; [unrolled: 1-line block ×14, first 2 shown]
	v_min3_f32 v184, v110, v111, v148
	v_min3_f32 v185, v112, v113, v149
	v_cvt_f32_f64_e32 v112, v[70:71]
	v_min3_f32 v186, v126, v127, v150
	v_add_f64 v[70:71], v[6:7], v[50:51]
	v_min3_f32 v187, v128, v129, v151
	v_cvt_f32_f64_e32 v110, v[0:1]
	v_cvt_f32_f64_e32 v111, v[68:69]
	;; [unrolled: 1-line block ×14, first 2 shown]
	v_add_f64 v[0:1], v[6:7], v[54:55]
	v_add_f64 v[58:59], v[8:9], v[56:57]
	;; [unrolled: 1-line block ×20, first 2 shown]
	v_min3_f32 v150, v150, v151, v134
	v_min3_f32 v151, v152, v153, v135
	v_cvt_f32_f64_e32 v108, v[0:1]
	v_cvt_f32_f64_e32 v58, v[58:59]
	;; [unrolled: 1-line block ×16, first 2 shown]
	v_add_f64 v[0:1], v[2:3], v[42:43]
	v_min3_f32 v153, v156, v157, v137
	v_cvt_f32_f64_e32 v71, v[46:47]
	v_cvt_f32_f64_e32 v48, v[48:49]
	v_add_f64 v[46:47], v[4:5], v[44:45]
	v_cvt_f32_f64_e32 v65, v[98:99]
	v_cvt_f32_f64_e32 v68, v[100:101]
	;; [unrolled: 1-line block ×4, first 2 shown]
	v_min3_f32 v156, v59, v60, v223
	v_min3_f32 v152, v154, v155, v136
	;; [unrolled: 1-line block ×3, first 2 shown]
	v_add_f64 v[54:55], v[4:5], v[40:41]
	v_min3_f32 v158, v56, v57, v221
	v_add_f64 v[56:57], v[6:7], v[38:39]
	v_min3_f32 v159, v61, v62, v218
	;; [unrolled: 2-line block ×5, first 2 shown]
	v_cvt_f32_f64_e32 v78, v[0:1]
	v_add_f64 v[0:1], v[6:7], v[42:43]
	v_add_f64 v[52:53], v[2:3], v[38:39]
	v_min3_f32 v177, v71, v48, v125
	v_cvt_f32_f64_e32 v79, v[46:47]
	v_add_f64 v[46:47], v[8:9], v[44:45]
	v_add_f64 v[48:49], v[10:11], v[42:43]
	;; [unrolled: 1-line block ×4, first 2 shown]
	v_min3_f32 v155, v108, v58, v222
	v_min3_f32 v175, v65, v68, v215
	;; [unrolled: 1-line block ×3, first 2 shown]
	v_add_f64 v[58:59], v[8:9], v[40:41]
	v_add_f64 v[38:39], v[14:15], v[38:39]
	;; [unrolled: 1-line block ×11, first 2 shown]
	v_cvt_f32_f64_e32 v80, v[0:1]
	v_cvt_f32_f64_e32 v52, v[52:53]
	;; [unrolled: 1-line block ×10, first 2 shown]
	v_add_f64 v[42:43], v[12:13], v[32:33]
	v_add_f64 v[44:45], v[2:3], v[26:27]
	v_cvt_f32_f64_e32 v55, v[58:59]
	v_cvt_f32_f64_e32 v58, v[38:39]
	;; [unrolled: 1-line block ×4, first 2 shown]
	v_add_f64 v[0:1], v[2:3], v[30:31]
	v_add_f64 v[38:39], v[8:9], v[32:33]
	;; [unrolled: 1-line block ×3, first 2 shown]
	v_cvt_f32_f64_e32 v81, v[46:47]
	v_cvt_f32_f64_e32 v68, v[34:35]
	;; [unrolled: 1-line block ×3, first 2 shown]
	v_add_f64 v[34:35], v[4:5], v[32:33]
	v_add_f64 v[36:37], v[6:7], v[30:31]
	;; [unrolled: 1-line block ×5, first 2 shown]
	v_cvt_f32_f64_e32 v60, v[64:65]
	v_min3_f32 v182, v48, v49, v116
	v_min3_f32 v116, v52, v53, v118
	;; [unrolled: 1-line block ×4, first 2 shown]
	v_cvt_f32_f64_e32 v53, v[42:43]
	v_cvt_f32_f64_e32 v56, v[44:45]
	v_add_f64 v[42:43], v[8:9], v[24:25]
	v_add_f64 v[44:45], v[10:11], v[22:23]
	v_min3_f32 v117, v54, v55, v119
	v_cvt_f32_f64_e32 v62, v[70:71]
	v_cvt_f32_f64_e32 v48, v[0:1]
	;; [unrolled: 1-line block ×3, first 2 shown]
	v_add_f64 v[0:1], v[6:7], v[26:27]
	v_add_f64 v[38:39], v[4:5], v[24:25]
	v_cvt_f32_f64_e32 v52, v[40:41]
	v_add_f64 v[40:41], v[6:7], v[22:23]
	v_cvt_f32_f64_e32 v49, v[34:35]
	v_cvt_f32_f64_e32 v50, v[36:37]
	;; [unrolled: 1-line block ×4, first 2 shown]
	v_add_f64 v[30:31], v[8:9], v[28:29]
	v_add_f64 v[32:33], v[10:11], v[26:27]
	;; [unrolled: 1-line block ×6, first 2 shown]
	v_cvt_f32_f64_e32 v57, v[46:47]
	v_add_f64 v[46:47], v[12:13], v[24:25]
	v_cvt_f32_f64_e32 v42, v[42:43]
	v_cvt_f32_f64_e32 v43, v[44:45]
	buffer_load_dword v45, off, s[24:27], 0 offset:148 ; 4-byte Folded Reload
	v_add_f64 v[22:23], v[14:15], v[22:23]
	v_add_f64 v[24:25], v[16:17], v[24:25]
	;; [unrolled: 1-line block ×6, first 2 shown]
	v_cvt_f32_f64_e32 v63, v[72:73]
	v_cvt_f32_f64_e32 v64, v[74:75]
	;; [unrolled: 1-line block ×4, first 2 shown]
	v_add_f64 v[10:11], v[10:11], v[18:19]
	v_cvt_f32_f64_e32 v1, v[30:31]
	v_cvt_f32_f64_e32 v30, v[32:33]
	;; [unrolled: 1-line block ×7, first 2 shown]
	v_add_f64 v[12:13], v[12:13], v[20:21]
	v_add_f64 v[14:15], v[14:15], v[18:19]
	;; [unrolled: 1-line block ×3, first 2 shown]
	v_min3_f32 v119, v58, v59, v121
	v_cvt_f32_f64_e32 v58, v[40:41]
	v_cvt_f32_f64_e32 v44, v[46:47]
	;; [unrolled: 1-line block ×8, first 2 shown]
	v_min3_f32 v189, v110, v111, v130
	v_min3_f32 v200, v112, v113, v131
	;; [unrolled: 1-line block ×6, first 2 shown]
	ds_read_b128 v[18:21], v170
	ds_read_b128 v[62:65], v170 offset:256
	v_min3_f32 v130, v30, v31, v90
	v_min3_f32 v131, v26, v27, v87
	;; [unrolled: 1-line block ×3, first 2 shown]
	v_cvt_f32_f64_e32 v6, v[10:11]
	v_cvt_f32_f64_e32 v7, v[12:13]
	;; [unrolled: 1-line block ×4, first 2 shown]
	v_min3_f32 v149, v128, v129, v133
	v_min3_f32 v154, v106, v107, v219
	;; [unrolled: 1-line block ×16, first 2 shown]
	s_waitcnt vmcnt(2)
	v_min3_f32 v66, v164, v165, v66
	s_waitcnt vmcnt(1)
	v_min3_f32 v67, v166, v167, v67
	v_min3_f32 v114, v6, v7, v66
	;; [unrolled: 1-line block ×3, first 2 shown]
	s_waitcnt vmcnt(0)
	ds_read_b128 v[38:41], v45
	ds_read_b128 v[34:37], v45 offset:1024
	ds_read_b128 v[30:33], v45 offset:2048
	;; [unrolled: 1-line block ×10, first 2 shown]
	s_waitcnt lgkmcnt(10)
	v_add_f64 v[78:79], v[38:39], v[18:19]
	s_waitcnt lgkmcnt(9)
	v_add_f64 v[82:83], v[34:35], v[18:19]
	;; [unrolled: 2-line block ×3, first 2 shown]
	v_add_f64 v[86:87], v[30:31], v[18:19]
	s_waitcnt lgkmcnt(7)
	v_add_f64 v[84:85], v[28:29], v[20:21]
	v_add_f64 v[88:89], v[26:27], v[18:19]
	;; [unrolled: 1-line block ×10, first 2 shown]
	ds_read_b128 v[18:21], v170 offset:272
	ds_read_b128 v[46:49], v170 offset:1024
	;; [unrolled: 1-line block ×9, first 2 shown]
	v_add_f64 v[0:1], v[28:29], v[64:65]
	s_waitcnt lgkmcnt(14)
	v_add_f64 v[162:163], v[30:31], v[54:55]
	v_add_f64 v[164:165], v[28:29], v[56:57]
	;; [unrolled: 1-line block ×3, first 2 shown]
	v_cvt_f32_f64_e32 v190, v[78:79]
	v_cvt_f32_f64_e32 v206, v[82:83]
	v_cvt_f32_f64_e32 v209, v[80:81]
	v_cvt_f32_f64_e32 v208, v[86:87]
	v_cvt_f32_f64_e32 v211, v[84:85]
	v_cvt_f32_f64_e32 v210, v[88:89]
	v_cvt_f32_f64_e32 v212, v[92:93]
	v_cvt_f32_f64_e32 v213, v[90:91]
	v_cvt_f32_f64_e32 v214, v[108:109]
	v_cvt_f32_f64_e32 v215, v[106:107]
	v_cvt_f32_f64_e32 v216, v[112:113]
	v_cvt_f32_f64_e32 v217, v[110:111]
	v_add_f64 v[78:79], v[26:27], v[62:63]
	v_add_f64 v[80:81], v[40:41], v[60:61]
	;; [unrolled: 1-line block ×14, first 2 shown]
	s_waitcnt lgkmcnt(7)
	v_add_f64 v[168:169], v[38:39], v[46:47]
	v_add_f64 v[172:173], v[40:41], v[48:49]
	;; [unrolled: 1-line block ×4, first 2 shown]
	v_cvt_f32_f64_e32 v205, v[70:71]
	v_cvt_f32_f64_e32 v207, v[72:73]
	;; [unrolled: 1-line block ×24, first 2 shown]
	v_min3_f32 v106, v190, v205, v138
	v_min3_f32 v107, v206, v207, v139
	;; [unrolled: 1-line block ×12, first 2 shown]
	v_add_f64 v[0:1], v[32:33], v[48:49]
	v_min3_f32 v142, v60, v61, v184
	s_waitcnt lgkmcnt(6)
	v_add_f64 v[172:173], v[34:35], v[42:43]
	v_min3_f32 v143, v224, v225, v185
	v_min3_f32 v144, v162, v163, v186
	;; [unrolled: 1-line block ×3, first 2 shown]
	v_add_f64 v[162:163], v[26:27], v[46:47]
	v_min3_f32 v146, v165, v167, v189
	v_add_f64 v[164:165], v[40:41], v[44:45]
	v_min3_f32 v147, v168, v169, v200
	v_add_f64 v[166:167], v[38:39], v[42:43]
	v_add_f64 v[168:169], v[36:37], v[44:45]
	;; [unrolled: 1-line block ×6, first 2 shown]
	s_waitcnt lgkmcnt(5)
	v_add_f64 v[200:201], v[40:41], v[52:53]
	v_add_f64 v[202:203], v[38:39], v[50:51]
	;; [unrolled: 1-line block ×10, first 2 shown]
	s_waitcnt lgkmcnt(4)
	v_add_f64 v[216:217], v[38:39], v[66:67]
	v_add_f64 v[218:219], v[40:41], v[68:69]
	v_cvt_f32_f64_e32 v221, v[0:1]
	v_cvt_f32_f64_e32 v222, v[162:163]
	v_cvt_f32_f64_e32 v225, v[164:165]
	v_cvt_f32_f64_e32 v226, v[172:173]
	v_cvt_f32_f64_e32 v224, v[166:167]
	v_cvt_f32_f64_e32 v227, v[168:169]
	v_cvt_f32_f64_e32 v229, v[178:179]
	v_cvt_f32_f64_e32 v228, v[184:185]
	v_cvt_f32_f64_e32 v231, v[186:187]
	v_cvt_f32_f64_e32 v230, v[189:190]
	v_cvt_f32_f64_e32 v233, v[200:201]
	v_cvt_f32_f64_e32 v232, v[202:203]
	v_cvt_f32_f64_e32 v235, v[204:205]
	v_cvt_f32_f64_e32 v234, v[206:207]
	v_cvt_f32_f64_e32 v237, v[208:209]
	v_cvt_f32_f64_e32 v236, v[210:211]
	v_cvt_f32_f64_e32 v239, v[212:213]
	v_cvt_f32_f64_e32 v238, v[214:215]
	v_add_f64 v[0:1], v[36:37], v[68:69]
	v_add_f64 v[162:163], v[34:35], v[66:67]
	;; [unrolled: 1-line block ×6, first 2 shown]
	s_waitcnt lgkmcnt(3)
	v_add_f64 v[178:179], v[40:41], v[104:105]
	v_add_f64 v[184:185], v[38:39], v[102:103]
	;; [unrolled: 1-line block ×8, first 2 shown]
	s_waitcnt lgkmcnt(2)
	v_add_f64 v[204:205], v[38:39], v[74:75]
	v_add_f64 v[206:207], v[40:41], v[76:77]
	v_add_f64 v[208:209], v[34:35], v[74:75]
	v_add_f64 v[210:211], v[36:37], v[76:77]
	v_add_f64 v[212:213], v[30:31], v[74:75]
	v_add_f64 v[214:215], v[32:33], v[76:77]
	v_add_f64 v[74:75], v[26:27], v[74:75]
	v_add_f64 v[76:77], v[28:29], v[76:77]
	v_cvt_f32_f64_e32 v220, v[58:59]
	v_cvt_f32_f64_e32 v223, v[60:61]
	;; [unrolled: 1-line block ×26, first 2 shown]
	ds_read_b128 v[70:73], v170 offset:528
	ds_read_b128 v[62:65], v170 offset:784
	;; [unrolled: 1-line block ×7, first 2 shown]
	v_min3_f32 v178, v220, v221, v148
	v_min3_f32 v179, v222, v223, v149
	;; [unrolled: 1-line block ×22, first 2 shown]
	s_waitcnt lgkmcnt(8)
	v_add_f64 v[0:1], v[40:41], v[100:101]
	v_add_f64 v[162:163], v[38:39], v[98:99]
	;; [unrolled: 1-line block ×8, first 2 shown]
	s_waitcnt lgkmcnt(7)
	v_add_f64 v[182:183], v[40:41], v[96:97]
	v_add_f64 v[184:185], v[38:39], v[94:95]
	;; [unrolled: 1-line block ×8, first 2 shown]
	s_waitcnt lgkmcnt(3)
	v_add_f64 v[208:209], v[38:39], v[90:91]
	v_add_f64 v[210:211], v[40:41], v[92:93]
	;; [unrolled: 1-line block ×6, first 2 shown]
	v_cvt_f32_f64_e32 v221, v[0:1]
	v_cvt_f32_f64_e32 v220, v[162:163]
	;; [unrolled: 1-line block ×18, first 2 shown]
	v_add_f64 v[0:1], v[28:29], v[92:93]
	v_add_f64 v[162:163], v[26:27], v[90:91]
	s_waitcnt lgkmcnt(2)
	v_add_f64 v[164:165], v[40:41], v[88:89]
	v_add_f64 v[166:167], v[38:39], v[86:87]
	;; [unrolled: 1-line block ×8, first 2 shown]
	s_waitcnt lgkmcnt(1)
	v_add_f64 v[186:187], v[40:41], v[84:85]
	v_add_f64 v[189:190], v[38:39], v[82:83]
	v_add_f64 v[200:201], v[36:37], v[84:85]
	v_add_f64 v[202:203], v[34:35], v[82:83]
	v_add_f64 v[204:205], v[32:33], v[84:85]
	v_add_f64 v[206:207], v[30:31], v[82:83]
	v_add_f64 v[208:209], v[28:29], v[84:85]
	v_add_f64 v[210:211], v[26:27], v[82:83]
	s_waitcnt lgkmcnt(0)
	v_add_f64 v[38:39], v[38:39], v[78:79]
	v_add_f64 v[40:41], v[40:41], v[80:81]
	v_add_f64 v[34:35], v[34:35], v[78:79]
	v_add_f64 v[36:37], v[36:37], v[80:81]
	v_cvt_f32_f64_e32 v212, v[212:213]
	v_cvt_f32_f64_e32 v213, v[214:215]
	;; [unrolled: 1-line block ×26, first 2 shown]
	v_min3_f32 v176, v220, v221, v116
	v_min3_f32 v177, v222, v223, v117
	v_min3_f32 v34, v224, v225, v118
	v_min3_f32 v35, v226, v227, v119
	v_min3_f32 v36, v228, v229, v120
	v_min3_f32 v37, v230, v231, v121
	v_min3_f32 v38, v232, v233, v122
	v_min3_f32 v39, v234, v235, v123
	v_min3_f32 v40, v236, v237, v124
	v_min3_f32 v41, v212, v213, v125
	v_min3_f32 v116, v214, v215, v126
	v_min3_f32 v117, v162, v0, v127
	v_min3_f32 v118, v1, v163, v128
	v_min3_f32 v119, v164, v165, v129
	v_min3_f32 v120, v166, v167, v130
	v_min3_f32 v121, v168, v169, v131
	v_min3_f32 v122, v172, v173, v132
	v_min3_f32 v123, v180, v181, v133
	v_min3_f32 v124, v182, v183, v134
	v_min3_f32 v125, v184, v185, v135
	v_min3_f32 v126, v186, v187, v136
	v_min3_f32 v127, v189, v190, v137
	v_add_f64 v[0:1], v[30:31], v[78:79]
	v_add_f64 v[30:31], v[32:33], v[80:81]
	;; [unrolled: 1-line block ×22, first 2 shown]
	v_cvt_f32_f64_e32 v182, v[0:1]
	v_cvt_f32_f64_e32 v183, v[30:31]
	;; [unrolled: 1-line block ×17, first 2 shown]
	v_add_f64 v[0:1], v[10:11], v[70:71]
	v_cvt_f32_f64_e32 v166, v[18:19]
	v_cvt_f32_f64_e32 v167, v[20:21]
	v_add_f64 v[18:19], v[12:13], v[72:73]
	v_add_f64 v[20:21], v[6:7], v[70:71]
	;; [unrolled: 1-line block ×21, first 2 shown]
	v_cvt_f32_f64_e32 v0, v[0:1]
	v_cvt_f32_f64_e32 v1, v[18:19]
	;; [unrolled: 1-line block ×22, first 2 shown]
	ds_read_b128 v[46:49], v170 offset:1296
	ds_read_b128 v[42:45], v170 offset:1552
	v_cvt_f32_f64_e32 v165, v[168:169]
	v_min3_f32 v238, v0, v1, v139
	v_min3_f32 v239, v20, v21, v140
	;; [unrolled: 1-line block ×3, first 2 shown]
	ds_read_b128 v[50:53], v170 offset:1808
	ds_read_b128 v[66:69], v170 offset:2064
	v_min3_f32 v236, v24, v25, v142
	v_min3_f32 v232, v26, v27, v143
	ds_read_b128 v[58:61], v170 offset:2320
	ds_read_b128 v[74:77], v170 offset:2576
	v_min3_f32 v235, v28, v29, v144
	v_min3_f32 v231, v30, v31, v145
	v_cvt_f32_f64_e32 v169, v[180:181]
	v_min3_f32 v224, v32, v33, v146
	v_min3_f32 v18, v182, v183, v114
	;; [unrolled: 1-line block ×5, first 2 shown]
	s_waitcnt lgkmcnt(5)
	v_add_f64 v[0:1], v[14:15], v[46:47]
	v_min3_f32 v217, v54, v55, v179
	v_add_f64 v[20:21], v[16:17], v[48:49]
	v_add_f64 v[22:23], v[10:11], v[46:47]
	;; [unrolled: 1-line block ×7, first 2 shown]
	s_waitcnt lgkmcnt(4)
	v_add_f64 v[46:47], v[14:15], v[42:43]
	v_add_f64 v[48:49], v[16:17], v[44:45]
	;; [unrolled: 1-line block ×8, first 2 shown]
	v_min3_f32 v180, v204, v205, v110
	v_min3_f32 v242, v162, v163, v111
	;; [unrolled: 1-line block ×4, first 2 shown]
	ds_read_b128 v[98:101], v170 offset:2832
	ds_read_b128 v[94:97], v170 offset:3088
	v_cvt_f32_f64_e32 v110, v[0:1]
	v_cvt_f32_f64_e32 v111, v[20:21]
	;; [unrolled: 1-line block ×6, first 2 shown]
	s_waitcnt lgkmcnt(5)
	v_add_f64 v[0:1], v[2:3], v[50:51]
	v_add_f64 v[20:21], v[4:5], v[52:53]
	v_cvt_f32_f64_e32 v130, v[46:47]
	v_cvt_f32_f64_e32 v131, v[48:49]
	s_waitcnt lgkmcnt(4)
	v_add_f64 v[22:23], v[14:15], v[66:67]
	v_add_f64 v[24:25], v[16:17], v[68:69]
	;; [unrolled: 1-line block ×4, first 2 shown]
	v_cvt_f32_f64_e32 v136, v[42:43]
	v_cvt_f32_f64_e32 v137, v[44:45]
	v_add_f64 v[42:43], v[2:3], v[66:67]
	v_add_f64 v[44:45], v[4:5], v[68:69]
	s_waitcnt lgkmcnt(3)
	v_add_f64 v[46:47], v[14:15], v[58:59]
	v_add_f64 v[48:49], v[16:17], v[60:61]
	ds_read_b128 v[90:93], v170 offset:3344
	ds_read_b128 v[86:89], v170 offset:3600
	;; [unrolled: 1-line block ×3, first 2 shown]
	v_min3_f32 v170, v186, v187, v106
	v_min3_f32 v244, v189, v190, v107
	;; [unrolled: 1-line block ×4, first 2 shown]
	v_add_f64 v[70:71], v[14:15], v[50:51]
	v_add_f64 v[72:73], v[16:17], v[52:53]
	;; [unrolled: 1-line block ×6, first 2 shown]
	v_cvt_f32_f64_e32 v128, v[30:31]
	v_cvt_f32_f64_e32 v129, v[32:33]
	v_add_f64 v[30:31], v[6:7], v[66:67]
	v_add_f64 v[32:33], v[8:9], v[68:69]
	;; [unrolled: 1-line block ×4, first 2 shown]
	s_waitcnt lgkmcnt(5)
	v_add_f64 v[66:67], v[10:11], v[74:75]
	v_add_f64 v[68:69], v[12:13], v[76:77]
	v_cvt_f32_f64_e32 v0, v[0:1]
	v_cvt_f32_f64_e32 v1, v[20:21]
	;; [unrolled: 1-line block ×15, first 2 shown]
	v_add_f64 v[54:55], v[6:7], v[58:59]
	v_add_f64 v[58:59], v[2:3], v[58:59]
	;; [unrolled: 1-line block ×4, first 2 shown]
	v_cvt_f32_f64_e32 v24, v[30:31]
	v_cvt_f32_f64_e32 v25, v[32:33]
	;; [unrolled: 1-line block ×6, first 2 shown]
	v_min3_f32 v199, v0, v1, v155
	v_min3_f32 v198, v20, v21, v156
	v_add_f64 v[0:1], v[6:7], v[74:75]
	v_add_f64 v[20:21], v[8:9], v[76:77]
	v_min3_f32 v192, v26, v27, v159
	s_waitcnt lgkmcnt(4)
	v_add_f64 v[26:27], v[14:15], v[98:99]
	v_min3_f32 v215, v28, v29, v160
	v_add_f64 v[28:29], v[16:17], v[100:101]
	s_waitcnt lgkmcnt(3)
	v_add_f64 v[50:51], v[14:15], v[94:95]
	v_add_f64 v[52:53], v[16:17], v[96:97]
	v_cvt_f32_f64_e32 v133, v[56:57]
	v_add_f64 v[56:57], v[8:9], v[60:61]
	v_add_f64 v[60:61], v[4:5], v[60:61]
	v_cvt_f32_f64_e32 v32, v[54:55]
	v_cvt_f32_f64_e32 v42, v[58:59]
	;; [unrolled: 1-line block ×4, first 2 shown]
	v_min3_f32 v220, v70, v71, v152
	v_min3_f32 v197, v22, v23, v157
	;; [unrolled: 1-line block ×3, first 2 shown]
	v_add_f64 v[22:23], v[2:3], v[74:75]
	v_min3_f32 v208, v46, v47, v177
	v_add_f64 v[24:25], v[4:5], v[76:77]
	v_add_f64 v[46:47], v[2:3], v[98:99]
	;; [unrolled: 1-line block ×7, first 2 shown]
	v_cvt_f32_f64_e32 v70, v[0:1]
	v_cvt_f32_f64_e32 v71, v[20:21]
	v_cvt_f32_f64_e32 v74, v[26:27]
	v_cvt_f32_f64_e32 v75, v[28:29]
	v_cvt_f32_f64_e32 v94, v[50:51]
	v_cvt_f32_f64_e32 v95, v[52:53]
	s_waitcnt lgkmcnt(2)
	v_add_f64 v[0:1], v[10:11], v[90:91]
	v_add_f64 v[20:21], v[12:13], v[92:93]
	;; [unrolled: 1-line block ×4, first 2 shown]
	s_waitcnt lgkmcnt(1)
	v_add_f64 v[50:51], v[2:3], v[86:87]
	v_add_f64 v[52:53], v[4:5], v[88:89]
	s_waitcnt lgkmcnt(0)
	v_add_f64 v[2:3], v[2:3], v[82:83]
	v_add_f64 v[4:5], v[4:5], v[84:85]
	v_cvt_f32_f64_e32 v33, v[56:57]
	v_cvt_f32_f64_e32 v43, v[60:61]
	;; [unrolled: 1-line block ×3, first 2 shown]
	s_clause 0x2
	buffer_load_dword v173, off, s[24:27], 0 offset:4
	buffer_load_dword v177, off, s[24:27], 0 offset:20
	;; [unrolled: 1-line block ×3, first 2 shown]
	v_min3_f32 v245, v44, v45, v176
	buffer_load_dword v176, off, s[24:27], 0 offset:16 ; 4-byte Folded Reload
	v_cvt_f32_f64_e32 v72, v[78:79]
	v_cvt_f32_f64_e32 v73, v[80:81]
	;; [unrolled: 1-line block ×4, first 2 shown]
	v_min3_f32 v247, v30, v31, v161
	v_add_f64 v[30:31], v[10:11], v[98:99]
	v_cvt_f32_f64_e32 v0, v[0:1]
	v_cvt_f32_f64_e32 v1, v[20:21]
	v_add_f64 v[44:45], v[8:9], v[100:101]
	v_add_f64 v[56:57], v[12:13], v[96:97]
	;; [unrolled: 1-line block ×4, first 2 shown]
	v_cvt_f32_f64_e32 v2, v[2:3]
	v_cvt_f32_f64_e32 v3, v[4:5]
	v_min3_f32 v248, v32, v33, v174
	buffer_load_dword v174, off, s[24:27], 0 offset:8 ; 4-byte Folded Reload
	v_min3_f32 v246, v42, v43, v175
	buffer_load_dword v175, off, s[24:27], 0 offset:12 ; 4-byte Folded Reload
	v_add_f64 v[32:33], v[12:13], v[100:101]
	v_add_f64 v[42:43], v[6:7], v[98:99]
	;; [unrolled: 1-line block ×3, first 2 shown]
	v_cvt_f32_f64_e32 v80, v[46:47]
	v_cvt_f32_f64_e32 v81, v[48:49]
	v_min3_f32 v216, v72, v73, v153
	v_cvt_f32_f64_e32 v72, v[22:23]
	v_min3_f32 v218, v78, v79, v154
	v_cvt_f32_f64_e32 v73, v[24:25]
	v_cvt_f32_f64_e32 v76, v[30:31]
	v_add_f64 v[22:23], v[6:7], v[90:91]
	v_min3_f32 v200, v0, v1, v119
	buffer_load_dword v1, off, s[24:27], 0  ; 4-byte Folded Reload
	v_cvt_f32_f64_e32 v79, v[44:45]
	v_add_f64 v[24:25], v[8:9], v[92:93]
	v_add_f64 v[30:31], v[14:15], v[86:87]
	;; [unrolled: 1-line block ×3, first 2 shown]
	v_min3_f32 v181, v2, v3, v19
	s_clause 0x3
	buffer_load_dword v2, off, s[24:27], 0 offset:84
	buffer_load_dword v3, off, s[24:27], 0 offset:88
	;; [unrolled: 1-line block ×4, first 2 shown]
	v_add_f64 v[46:47], v[6:7], v[86:87]
	v_add_f64 v[48:49], v[8:9], v[88:89]
	;; [unrolled: 1-line block ×3, first 2 shown]
	v_cvt_f32_f64_e32 v77, v[32:33]
	v_cvt_f32_f64_e32 v78, v[42:43]
	v_add_f64 v[32:33], v[16:17], v[88:89]
	v_add_f64 v[42:43], v[10:11], v[86:87]
	;; [unrolled: 1-line block ×7, first 2 shown]
	v_cvt_f32_f64_e32 v54, v[54:55]
	v_cvt_f32_f64_e32 v55, v[56:57]
	;; [unrolled: 1-line block ×26, first 2 shown]
	v_min3_f32 v240, v168, v169, v138
	v_min3_f32 v230, v110, v111, v102
	;; [unrolled: 1-line block ×29, first 2 shown]
	s_waitcnt vmcnt(8)
	v_add_nc_u32_e32 v0, 0x1000, v172
	s_waitcnt vmcnt(4)
	v_add_co_u32 v1, vcc_lo, v1, 64
	v_add_co_ci_u32_e64 v173, null, 0, v173, vcc_lo
	v_add_co_u32 v174, vcc_lo, v174, 64
	s_waitcnt vmcnt(0)
	ds_write2st64_b64 v0, v[2:3], v[4:5] offset1:4
	s_clause 0x5
	buffer_load_dword v2, off, s[24:27], 0 offset:92
	buffer_load_dword v3, off, s[24:27], 0 offset:96
	;; [unrolled: 1-line block ×6, first 2 shown]
	v_add_co_ci_u32_e64 v175, null, 0, v175, vcc_lo
	v_add_co_u32 v176, vcc_lo, v176, 64
	v_add_co_ci_u32_e64 v177, null, 0, v177, vcc_lo
	v_add_nc_u32_e32 v0, 0x3000, v172
	s_waitcnt vmcnt(2)
	ds_write2st64_b64 v0, v[2:3], v[4:5] offset1:4
	s_waitcnt vmcnt(1)
	v_add_co_u32 v171, vcc_lo, v171, 64
	s_waitcnt vmcnt(0)
	v_add_co_ci_u32_e64 v178, null, 0, v178, vcc_lo
	s_waitcnt lgkmcnt(0)
	s_waitcnt_vscnt null, 0x0
	s_barrier
	buffer_gl0_inv
	s_cbranch_scc1 .LBB164_28
; %bb.27:                               ;   in Loop: Header=BB164_18 Depth=1
	buffer_store_dword v227, off, s[24:27], 0 offset:40 ; 4-byte Folded Spill
	buffer_store_dword v195, off, s[24:27], 0 offset:44 ; 4-byte Folded Spill
	buffer_load_dword v179, off, s[24:27], 0 offset:164 ; 4-byte Folded Reload
	v_mov_b32_e32 v188, v222
	v_mov_b32_e32 v222, v219
	s_branch .LBB164_18
.LBB164_28:
	s_clause 0x2
	buffer_load_dword v162, off, s[24:27], 0 offset:168
	buffer_load_dword v163, off, s[24:27], 0 offset:172
	buffer_load_dword v166, off, s[24:27], 0 offset:176
.LBB164_29:
	buffer_load_dword v0, off, s[24:27], 0 offset:148 ; 4-byte Folded Reload
	s_waitcnt vmcnt(1)
	ds_read_b128 v[156:159], v166 offset:12288
	v_add_nc_u32_e32 v168, s8, v162
	v_add_nc_u32_e32 v164, s6, v163
	s_waitcnt vmcnt(0)
	ds_read_b128 v[28:31], v0 offset:4096
	ds_read_b128 v[24:27], v0 offset:4112
	;; [unrolled: 1-line block ×3, first 2 shown]
	s_clause 0x2
	s_load_dwordx2 s[12:13], s[4:5], 0x78
	s_load_dword s9, s[4:5], 0x70
	s_load_dword s1, s[4:5], 0x58
	v_ashrrev_i32_e32 v165, 31, v164
	v_lshlrev_b64 v[162:163], 3, v[164:165]
	s_waitcnt lgkmcnt(0)
	v_add_f64 v[2:3], v[28:29], v[156:157]
	v_add_f64 v[4:5], v[30:31], v[158:159]
	;; [unrolled: 1-line block ×4, first 2 shown]
	v_mad_i64_i32 v[0:1], null, v168, s9, 0
	s_mul_i32 s5, s13, s7
	s_mul_hi_u32 s6, s12, s7
	s_mul_i32 s4, s12, s7
	s_add_i32 s5, s6, s5
	s_mov_b32 s6, -1
	s_lshl_b64 s[4:5], s[4:5], 3
	v_lshlrev_b64 v[0:1], 3, v[0:1]
	s_add_u32 s4, s10, s4
	s_addc_u32 s5, s11, s5
	v_add_co_u32 v169, vcc_lo, s4, v0
	v_add_co_ci_u32_e64 v172, null, s5, v1, vcc_lo
	v_cvt_f32_f64_e32 v10, v[2:3]
	v_cvt_f32_f64_e32 v11, v[4:5]
	;; [unrolled: 1-line block ×4, first 2 shown]
	v_mad_i64_i32 v[2:3], null, v168, s1, 0
	v_add_nc_u32_e32 v4, 32, v164
	v_ashrrev_i32_e32 v5, 31, v4
	v_lshlrev_b64 v[2:3], 3, v[2:3]
	v_add_co_u32 v173, vcc_lo, s14, v2
	v_add_co_ci_u32_e64 v188, null, s15, v3, vcc_lo
	s_mov_b32 vcc_lo, s0
	v_min3_f32 v8, v10, v11, v170
	v_min3_f32 v0, v6, v7, v8
	v_max_f32_e32 v6, v0, v0
	s_cbranch_vccz .LBB164_31
; %bb.30:
	v_min_f32_e32 v0, 0, v6
	v_add_co_u32 v2, vcc_lo, v169, v162
	v_add_co_ci_u32_e64 v3, null, v172, v163, vcc_lo
	v_cvt_f64_f32_e32 v[0:1], v0
	s_mov_b32 s6, 0
	global_store_dwordx2 v[2:3], v[0:1], off
.LBB164_31:
	buffer_load_dword v0, off, s[24:27], 0 offset:148 ; 4-byte Folded Reload
	v_lshlrev_b64 v[160:161], 3, v[4:5]
	v_mov_b32_e32 v32, 0
	s_andn2_b32 vcc_lo, exec_lo, s6
	s_waitcnt vmcnt(0)
	ds_read_b128 v[20:23], v0 offset:5120
	ds_read_b128 v[12:15], v0 offset:5136
	;; [unrolled: 1-line block ×4, first 2 shown]
	s_cbranch_vccnz .LBB164_33
; %bb.32:
	v_add_co_u32 v4, vcc_lo, v173, v162
	v_add_co_ci_u32_e64 v5, null, v188, v163, vcc_lo
	global_load_dwordx2 v[4:5], v[4:5], off
	s_waitcnt vmcnt(0)
	v_mul_f64 v[4:5], s[2:3], v[4:5]
	v_cvt_f32_f64_e32 v4, v[4:5]
	v_min_f32_e32 v4, v4, v6
	v_add_co_u32 v6, vcc_lo, v169, v162
	v_add_co_ci_u32_e64 v7, null, v172, v163, vcc_lo
	v_cvt_f64_f32_e32 v[4:5], v4
	v_add_co_u32 v16, vcc_lo, v173, v160
	v_add_co_ci_u32_e64 v17, null, v188, v161, vcc_lo
	global_store_dwordx2 v[6:7], v[4:5], off
	global_load_dwordx2 v[4:5], v[16:17], off
	s_waitcnt vmcnt(0)
	v_mul_f64 v[4:5], s[2:3], v[4:5]
	v_cvt_f32_f64_e32 v32, v[4:5]
.LBB164_33:
	buffer_load_dword v16, off, s[24:27], 0 offset:148 ; 4-byte Folded Reload
	s_waitcnt lgkmcnt(3)
	v_add_f64 v[33:34], v[20:21], v[156:157]
	v_add_f64 v[35:36], v[22:23], v[158:159]
	s_waitcnt lgkmcnt(2)
	v_add_f64 v[37:38], v[12:13], v[152:153]
	v_add_f64 v[39:40], v[14:15], v[154:155]
	;; [unrolled: 3-line block ×4, first 2 shown]
	v_add_co_u32 v176, vcc_lo, v169, v160
	v_add_co_ci_u32_e64 v177, null, v172, v161, vcc_lo
	s_mov_b32 s6, -1
	s_mov_b32 vcc_lo, s0
	s_waitcnt vmcnt(0)
	ds_read_b128 v[4:7], v16 offset:7168
	ds_read_b128 v[16:19], v16 offset:7184
	v_cvt_f32_f64_e32 v33, v[33:34]
	v_cvt_f32_f64_e32 v34, v[35:36]
	;; [unrolled: 1-line block ×6, first 2 shown]
	ds_read_b128 v[148:151], v166 offset:12544
	ds_read_b128 v[144:147], v166 offset:12560
	;; [unrolled: 1-line block ×16, first 2 shown]
	v_cvt_f32_f64_e32 v170, v[47:48]
	v_cvt_f32_f64_e32 v171, v[45:46]
	ds_read_b128 v[84:87], v166 offset:14592
	ds_read_b128 v[80:83], v166 offset:14608
	;; [unrolled: 1-line block ×8, first 2 shown]
	v_min3_f32 v33, v33, v34, v244
	v_min_f32_e32 v34, v35, v36
	v_min3_f32 v165, v165, v167, v233
	v_min3_f32 v32, v32, v34, v33
	;; [unrolled: 1-line block ×3, first 2 shown]
	v_cvt_f64_f32_e32 v[174:175], v32
	ds_read_b128 v[52:55], v166 offset:15616
	ds_read_b128 v[48:51], v166 offset:15632
	;; [unrolled: 1-line block ×6, first 2 shown]
	v_add_nc_u32_e32 v166, 64, v164
	v_add_nc_u32_e32 v164, 0x60, v164
	v_max_f32_e32 v171, v170, v170
	v_ashrrev_i32_e32 v167, 31, v166
	v_ashrrev_i32_e32 v165, 31, v164
	v_lshlrev_b64 v[166:167], 3, v[166:167]
	global_store_dwordx2 v[176:177], v[174:175], off
	s_cbranch_vccz .LBB164_35
; %bb.34:
	v_min_f32_e32 v170, 0, v171
	v_add_co_u32 v176, vcc_lo, v169, v166
	v_add_co_ci_u32_e64 v177, null, v172, v167, vcc_lo
	v_cvt_f64_f32_e32 v[174:175], v170
	s_mov_b32 s6, 0
	global_store_dwordx2 v[176:177], v[174:175], off
.LBB164_35:
	v_lshlrev_b64 v[164:165], 3, v[164:165]
	v_mov_b32_e32 v170, 0
	s_andn2_b32 vcc_lo, exec_lo, s6
	s_cbranch_vccnz .LBB164_37
; %bb.36:
	v_add_co_u32 v174, vcc_lo, v173, v166
	v_add_co_ci_u32_e64 v175, null, v188, v167, vcc_lo
	global_load_dwordx2 v[174:175], v[174:175], off
	s_waitcnt vmcnt(0)
	v_mul_f64 v[174:175], s[2:3], v[174:175]
	v_cvt_f32_f64_e32 v170, v[174:175]
	v_add_co_u32 v174, vcc_lo, v169, v166
	v_add_co_ci_u32_e64 v175, null, v172, v167, vcc_lo
	v_add_co_u32 v176, vcc_lo, v173, v164
	v_add_co_ci_u32_e64 v177, null, v188, v165, vcc_lo
	v_min_f32_e32 v170, v170, v171
	v_cvt_f64_f32_e32 v[170:171], v170
	global_store_dwordx2 v[174:175], v[170:171], off
	global_load_dwordx2 v[170:171], v[176:177], off
	s_waitcnt vmcnt(0)
	v_mul_f64 v[170:171], s[2:3], v[170:171]
	v_cvt_f32_f64_e32 v170, v[170:171]
.LBB164_37:
	s_waitcnt lgkmcnt(31)
	v_add_f64 v[156:157], v[4:5], v[156:157]
	v_add_f64 v[158:159], v[6:7], v[158:159]
	s_waitcnt lgkmcnt(30)
	v_add_f64 v[152:153], v[16:17], v[152:153]
	v_add_f64 v[154:155], v[18:19], v[154:155]
	;; [unrolled: 3-line block ×3, first 2 shown]
	v_add_co_u32 v169, vcc_lo, v169, v164
	s_mov_b32 s6, -1
	v_cvt_f32_f64_e32 v156, v[156:157]
	v_cvt_f32_f64_e32 v157, v[158:159]
	;; [unrolled: 1-line block ×4, first 2 shown]
	s_waitcnt lgkmcnt(28)
	v_add_f64 v[152:153], v[24:25], v[144:145]
	v_add_f64 v[154:155], v[26:27], v[146:147]
	v_cvt_f32_f64_e32 v171, v[175:176]
	v_cvt_f32_f64_e32 v173, v[173:174]
	v_add_nc_u32_e32 v174, 8, v168
	v_min3_f32 v156, v156, v157, v234
	v_min_f32_e32 v157, v158, v159
	v_cvt_f32_f64_e32 v175, v[152:153]
	v_cvt_f32_f64_e32 v176, v[154:155]
	v_mad_i64_i32 v[152:153], null, v174, s9, 0
	v_min3_f32 v154, v170, v157, v156
	v_min3_f32 v156, v171, v173, v180
	v_add_co_ci_u32_e64 v170, null, v172, v165, vcc_lo
	v_cvt_f64_f32_e32 v[158:159], v154
	v_mad_i64_i32 v[154:155], null, v174, s1, 0
	v_lshlrev_b64 v[152:153], 3, v[152:153]
	v_add_co_u32 v152, vcc_lo, s4, v152
	v_lshlrev_b64 v[154:155], 3, v[154:155]
	v_add_co_ci_u32_e64 v153, null, s5, v153, vcc_lo
	v_min3_f32 v156, v175, v176, v156
	v_add_co_u32 v154, vcc_lo, s14, v154
	v_add_co_ci_u32_e64 v155, null, s15, v155, vcc_lo
	v_max_f32_e32 v157, v156, v156
	s_mov_b32 vcc_lo, s0
	global_store_dwordx2 v[169:170], v[158:159], off
	s_cbranch_vccz .LBB164_39
; %bb.38:
	v_min_f32_e32 v156, 0, v157
	v_add_co_u32 v169, vcc_lo, v152, v162
	v_add_co_ci_u32_e64 v170, null, v153, v163, vcc_lo
	v_cvt_f64_f32_e32 v[158:159], v156
	s_mov_b32 s6, 0
	global_store_dwordx2 v[169:170], v[158:159], off
.LBB164_39:
	v_mov_b32_e32 v156, 0
	s_andn2_b32 vcc_lo, exec_lo, s6
	s_cbranch_vccnz .LBB164_41
; %bb.40:
	v_add_co_u32 v158, vcc_lo, v154, v162
	v_add_co_ci_u32_e64 v159, null, v155, v163, vcc_lo
	global_load_dwordx2 v[158:159], v[158:159], off
	s_waitcnt vmcnt(0)
	v_mul_f64 v[158:159], s[2:3], v[158:159]
	v_cvt_f32_f64_e32 v156, v[158:159]
	v_add_co_u32 v158, vcc_lo, v152, v162
	v_add_co_ci_u32_e64 v159, null, v153, v163, vcc_lo
	v_add_co_u32 v169, vcc_lo, v154, v160
	v_add_co_ci_u32_e64 v170, null, v155, v161, vcc_lo
	v_min_f32_e32 v156, v156, v157
	v_cvt_f64_f32_e32 v[156:157], v156
	global_store_dwordx2 v[158:159], v[156:157], off
	global_load_dwordx2 v[156:157], v[169:170], off
	s_waitcnt vmcnt(0)
	v_mul_f64 v[156:157], s[2:3], v[156:157]
	v_cvt_f32_f64_e32 v156, v[156:157]
.LBB164_41:
	v_add_f64 v[157:158], v[20:21], v[148:149]
	v_add_f64 v[169:170], v[22:23], v[150:151]
	;; [unrolled: 1-line block ×7, first 2 shown]
	s_mov_b32 s6, -1
	v_cvt_f32_f64_e32 v159, v[157:158]
	v_cvt_f32_f64_e32 v169, v[169:170]
	;; [unrolled: 1-line block ×4, first 2 shown]
	v_add_f64 v[157:158], v[2:3], v[146:147]
	v_cvt_f32_f64_e32 v172, v[177:178]
	v_cvt_f32_f64_e32 v173, v[175:176]
	;; [unrolled: 1-line block ×3, first 2 shown]
	v_min3_f32 v159, v159, v169, v242
	v_min_f32_e32 v169, v170, v171
	v_cvt_f32_f64_e32 v157, v[157:158]
	v_min3_f32 v156, v156, v169, v159
	v_add_co_u32 v169, vcc_lo, v152, v160
	v_add_co_ci_u32_e64 v170, null, v153, v161, vcc_lo
	v_cvt_f64_f32_e32 v[158:159], v156
	v_min3_f32 v156, v172, v173, v243
	s_mov_b32 vcc_lo, s0
	v_min3_f32 v156, v174, v157, v156
	v_max_f32_e32 v157, v156, v156
	global_store_dwordx2 v[169:170], v[158:159], off
	s_cbranch_vccz .LBB164_43
; %bb.42:
	v_min_f32_e32 v156, 0, v157
	v_add_co_u32 v169, vcc_lo, v152, v166
	v_add_co_ci_u32_e64 v170, null, v153, v167, vcc_lo
	v_cvt_f64_f32_e32 v[158:159], v156
	s_mov_b32 s6, 0
	global_store_dwordx2 v[169:170], v[158:159], off
.LBB164_43:
	v_mov_b32_e32 v156, 0
	s_andn2_b32 vcc_lo, exec_lo, s6
	s_cbranch_vccnz .LBB164_45
; %bb.44:
	v_add_co_u32 v158, vcc_lo, v154, v166
	v_add_co_ci_u32_e64 v159, null, v155, v167, vcc_lo
	global_load_dwordx2 v[158:159], v[158:159], off
	s_waitcnt vmcnt(0)
	v_mul_f64 v[158:159], s[2:3], v[158:159]
	v_cvt_f32_f64_e32 v156, v[158:159]
	v_add_co_u32 v158, vcc_lo, v152, v166
	v_add_co_ci_u32_e64 v159, null, v153, v167, vcc_lo
	v_add_co_u32 v154, vcc_lo, v154, v164
	v_add_co_ci_u32_e64 v155, null, v155, v165, vcc_lo
	v_min_f32_e32 v156, v156, v157
	v_cvt_f64_f32_e32 v[156:157], v156
	global_store_dwordx2 v[158:159], v[156:157], off
	global_load_dwordx2 v[154:155], v[154:155], off
	s_waitcnt vmcnt(0)
	v_mul_f64 v[154:155], s[2:3], v[154:155]
	v_cvt_f32_f64_e32 v156, v[154:155]
.LBB164_45:
	v_add_f64 v[148:149], v[4:5], v[148:149]
	v_add_f64 v[150:151], v[6:7], v[150:151]
	;; [unrolled: 1-line block ×4, first 2 shown]
	s_waitcnt lgkmcnt(27)
	v_add_f64 v[154:155], v[30:31], v[142:143]
	v_add_f64 v[157:158], v[28:29], v[140:141]
	v_add_co_u32 v152, vcc_lo, v152, v164
	v_add_co_ci_u32_e64 v153, null, v153, v165, vcc_lo
	s_mov_b32 s6, -1
	v_cvt_f32_f64_e32 v148, v[148:149]
	v_cvt_f32_f64_e32 v149, v[150:151]
	;; [unrolled: 1-line block ×4, first 2 shown]
	s_waitcnt lgkmcnt(26)
	v_add_f64 v[144:145], v[24:25], v[136:137]
	v_add_f64 v[146:147], v[26:27], v[138:139]
	v_cvt_f32_f64_e32 v157, v[157:158]
	v_cvt_f32_f64_e32 v154, v[154:155]
	v_add_nc_u32_e32 v155, 16, v168
	v_min3_f32 v148, v148, v149, v241
	v_min_f32_e32 v149, v150, v151
	v_cvt_f32_f64_e32 v158, v[144:145]
	v_cvt_f32_f64_e32 v159, v[146:147]
	v_mad_i64_i32 v[144:145], null, v155, s9, 0
	v_min3_f32 v146, v156, v149, v148
	v_min3_f32 v148, v157, v154, v240
	v_cvt_f64_f32_e32 v[150:151], v146
	v_mad_i64_i32 v[146:147], null, v155, s1, 0
	v_lshlrev_b64 v[144:145], 3, v[144:145]
	v_add_co_u32 v144, vcc_lo, s4, v144
	v_lshlrev_b64 v[146:147], 3, v[146:147]
	v_add_co_ci_u32_e64 v145, null, s5, v145, vcc_lo
	v_min3_f32 v148, v158, v159, v148
	v_add_co_u32 v146, vcc_lo, s14, v146
	v_add_co_ci_u32_e64 v147, null, s15, v147, vcc_lo
	v_max_f32_e32 v149, v148, v148
	s_mov_b32 vcc_lo, s0
	global_store_dwordx2 v[152:153], v[150:151], off
	s_cbranch_vccz .LBB164_47
; %bb.46:
	v_min_f32_e32 v148, 0, v149
	v_add_co_u32 v152, vcc_lo, v144, v162
	v_add_co_ci_u32_e64 v153, null, v145, v163, vcc_lo
	v_cvt_f64_f32_e32 v[150:151], v148
	s_mov_b32 s6, 0
	global_store_dwordx2 v[152:153], v[150:151], off
.LBB164_47:
	v_mov_b32_e32 v148, 0
	s_andn2_b32 vcc_lo, exec_lo, s6
	s_cbranch_vccnz .LBB164_49
; %bb.48:
	v_add_co_u32 v150, vcc_lo, v146, v162
	v_add_co_ci_u32_e64 v151, null, v147, v163, vcc_lo
	global_load_dwordx2 v[150:151], v[150:151], off
	s_waitcnt vmcnt(0)
	v_mul_f64 v[150:151], s[2:3], v[150:151]
	v_cvt_f32_f64_e32 v148, v[150:151]
	v_add_co_u32 v150, vcc_lo, v144, v162
	v_add_co_ci_u32_e64 v151, null, v145, v163, vcc_lo
	v_add_co_u32 v152, vcc_lo, v146, v160
	v_add_co_ci_u32_e64 v153, null, v147, v161, vcc_lo
	v_min_f32_e32 v148, v148, v149
	v_cvt_f64_f32_e32 v[148:149], v148
	global_store_dwordx2 v[150:151], v[148:149], off
	global_load_dwordx2 v[148:149], v[152:153], off
	s_waitcnt vmcnt(0)
	v_mul_f64 v[148:149], s[2:3], v[148:149]
	v_cvt_f32_f64_e32 v148, v[148:149]
.LBB164_49:
	v_add_f64 v[149:150], v[20:21], v[140:141]
	v_add_f64 v[151:152], v[22:23], v[142:143]
	;; [unrolled: 1-line block ×7, first 2 shown]
	s_mov_b32 s6, -1
	v_cvt_f32_f64_e32 v159, v[149:150]
	v_cvt_f32_f64_e32 v151, v[151:152]
	;; [unrolled: 1-line block ×4, first 2 shown]
	v_add_f64 v[149:150], v[2:3], v[138:139]
	v_cvt_f32_f64_e32 v154, v[169:170]
	v_cvt_f32_f64_e32 v155, v[157:158]
	;; [unrolled: 1-line block ×3, first 2 shown]
	v_min3_f32 v151, v159, v151, v238
	v_min_f32_e32 v152, v152, v153
	v_cvt_f32_f64_e32 v149, v[149:150]
	v_min3_f32 v148, v148, v152, v151
	v_add_co_u32 v152, vcc_lo, v144, v160
	v_add_co_ci_u32_e64 v153, null, v145, v161, vcc_lo
	v_cvt_f64_f32_e32 v[150:151], v148
	v_min3_f32 v148, v154, v155, v239
	s_mov_b32 vcc_lo, s0
	v_min3_f32 v148, v156, v149, v148
	v_max_f32_e32 v149, v148, v148
	global_store_dwordx2 v[152:153], v[150:151], off
	s_cbranch_vccz .LBB164_51
; %bb.50:
	v_min_f32_e32 v148, 0, v149
	v_add_co_u32 v152, vcc_lo, v144, v166
	v_add_co_ci_u32_e64 v153, null, v145, v167, vcc_lo
	v_cvt_f64_f32_e32 v[150:151], v148
	s_mov_b32 s6, 0
	global_store_dwordx2 v[152:153], v[150:151], off
.LBB164_51:
	v_mov_b32_e32 v148, 0
	s_andn2_b32 vcc_lo, exec_lo, s6
	s_cbranch_vccnz .LBB164_53
; %bb.52:
	v_add_co_u32 v150, vcc_lo, v146, v166
	v_add_co_ci_u32_e64 v151, null, v147, v167, vcc_lo
	global_load_dwordx2 v[150:151], v[150:151], off
	s_waitcnt vmcnt(0)
	v_mul_f64 v[150:151], s[2:3], v[150:151]
	v_cvt_f32_f64_e32 v148, v[150:151]
	v_add_co_u32 v150, vcc_lo, v144, v166
	v_add_co_ci_u32_e64 v151, null, v145, v167, vcc_lo
	v_add_co_u32 v146, vcc_lo, v146, v164
	v_add_co_ci_u32_e64 v147, null, v147, v165, vcc_lo
	v_min_f32_e32 v148, v148, v149
	v_cvt_f64_f32_e32 v[148:149], v148
	global_store_dwordx2 v[150:151], v[148:149], off
	global_load_dwordx2 v[146:147], v[146:147], off
	s_waitcnt vmcnt(0)
	v_mul_f64 v[146:147], s[2:3], v[146:147]
	v_cvt_f32_f64_e32 v148, v[146:147]
.LBB164_53:
	v_add_f64 v[140:141], v[4:5], v[140:141]
	v_add_f64 v[142:143], v[6:7], v[142:143]
	;; [unrolled: 1-line block ×4, first 2 shown]
	s_waitcnt lgkmcnt(25)
	v_add_f64 v[146:147], v[30:31], v[134:135]
	v_add_f64 v[149:150], v[28:29], v[132:133]
	v_add_co_u32 v144, vcc_lo, v144, v164
	v_add_co_ci_u32_e64 v145, null, v145, v165, vcc_lo
	s_mov_b32 s6, -1
	v_cvt_f32_f64_e32 v140, v[140:141]
	v_cvt_f32_f64_e32 v141, v[142:143]
	;; [unrolled: 1-line block ×4, first 2 shown]
	s_waitcnt lgkmcnt(24)
	v_add_f64 v[136:137], v[24:25], v[128:129]
	v_add_f64 v[138:139], v[26:27], v[130:131]
	v_cvt_f32_f64_e32 v149, v[149:150]
	v_cvt_f32_f64_e32 v146, v[146:147]
	v_add_nc_u32_e32 v147, 24, v168
	v_min3_f32 v140, v140, v141, v237
	v_min_f32_e32 v141, v142, v143
	v_cvt_f32_f64_e32 v150, v[136:137]
	v_cvt_f32_f64_e32 v151, v[138:139]
	v_mad_i64_i32 v[136:137], null, v147, s9, 0
	v_min3_f32 v138, v148, v141, v140
	v_min3_f32 v140, v149, v146, v236
	v_cvt_f64_f32_e32 v[142:143], v138
	v_mad_i64_i32 v[138:139], null, v147, s1, 0
	v_lshlrev_b64 v[136:137], 3, v[136:137]
	v_add_co_u32 v136, vcc_lo, s4, v136
	v_lshlrev_b64 v[138:139], 3, v[138:139]
	v_add_co_ci_u32_e64 v137, null, s5, v137, vcc_lo
	v_min3_f32 v140, v150, v151, v140
	v_add_co_u32 v138, vcc_lo, s14, v138
	v_add_co_ci_u32_e64 v139, null, s15, v139, vcc_lo
	v_max_f32_e32 v141, v140, v140
	s_mov_b32 vcc_lo, s0
	global_store_dwordx2 v[144:145], v[142:143], off
	s_cbranch_vccz .LBB164_55
; %bb.54:
	v_min_f32_e32 v140, 0, v141
	v_add_co_u32 v144, vcc_lo, v136, v162
	v_add_co_ci_u32_e64 v145, null, v137, v163, vcc_lo
	v_cvt_f64_f32_e32 v[142:143], v140
	s_mov_b32 s6, 0
	global_store_dwordx2 v[144:145], v[142:143], off
.LBB164_55:
	v_mov_b32_e32 v140, 0
	s_andn2_b32 vcc_lo, exec_lo, s6
	s_cbranch_vccnz .LBB164_57
; %bb.56:
	v_add_co_u32 v142, vcc_lo, v138, v162
	v_add_co_ci_u32_e64 v143, null, v139, v163, vcc_lo
	global_load_dwordx2 v[142:143], v[142:143], off
	s_waitcnt vmcnt(0)
	v_mul_f64 v[142:143], s[2:3], v[142:143]
	v_cvt_f32_f64_e32 v140, v[142:143]
	v_add_co_u32 v142, vcc_lo, v136, v162
	v_add_co_ci_u32_e64 v143, null, v137, v163, vcc_lo
	v_add_co_u32 v144, vcc_lo, v138, v160
	v_add_co_ci_u32_e64 v145, null, v139, v161, vcc_lo
	v_min_f32_e32 v140, v140, v141
	v_cvt_f64_f32_e32 v[140:141], v140
	global_store_dwordx2 v[142:143], v[140:141], off
	global_load_dwordx2 v[140:141], v[144:145], off
	s_waitcnt vmcnt(0)
	v_mul_f64 v[140:141], s[2:3], v[140:141]
	v_cvt_f32_f64_e32 v140, v[140:141]
.LBB164_57:
	v_add_f64 v[141:142], v[20:21], v[132:133]
	v_add_f64 v[143:144], v[22:23], v[134:135]
	;; [unrolled: 1-line block ×7, first 2 shown]
	s_mov_b32 s6, -1
	v_cvt_f32_f64_e32 v155, v[141:142]
	v_cvt_f32_f64_e32 v143, v[143:144]
	;; [unrolled: 1-line block ×4, first 2 shown]
	v_add_f64 v[141:142], v[2:3], v[130:131]
	v_cvt_f32_f64_e32 v146, v[151:152]
	v_cvt_f32_f64_e32 v147, v[149:150]
	v_cvt_f32_f64_e32 v148, v[153:154]
	v_min3_f32 v143, v155, v143, v232
	v_min_f32_e32 v144, v144, v145
	v_cvt_f32_f64_e32 v141, v[141:142]
	v_min3_f32 v140, v140, v144, v143
	v_add_co_u32 v144, vcc_lo, v136, v160
	v_add_co_ci_u32_e64 v145, null, v137, v161, vcc_lo
	v_cvt_f64_f32_e32 v[142:143], v140
	v_min3_f32 v140, v146, v147, v235
	s_mov_b32 vcc_lo, s0
	v_min3_f32 v140, v148, v141, v140
	v_max_f32_e32 v141, v140, v140
	global_store_dwordx2 v[144:145], v[142:143], off
	s_cbranch_vccz .LBB164_59
; %bb.58:
	v_min_f32_e32 v140, 0, v141
	v_add_co_u32 v144, vcc_lo, v136, v166
	v_add_co_ci_u32_e64 v145, null, v137, v167, vcc_lo
	v_cvt_f64_f32_e32 v[142:143], v140
	s_mov_b32 s6, 0
	global_store_dwordx2 v[144:145], v[142:143], off
.LBB164_59:
	v_mov_b32_e32 v140, 0
	s_andn2_b32 vcc_lo, exec_lo, s6
	s_cbranch_vccnz .LBB164_61
; %bb.60:
	v_add_co_u32 v142, vcc_lo, v138, v166
	v_add_co_ci_u32_e64 v143, null, v139, v167, vcc_lo
	global_load_dwordx2 v[142:143], v[142:143], off
	s_waitcnt vmcnt(0)
	v_mul_f64 v[142:143], s[2:3], v[142:143]
	v_cvt_f32_f64_e32 v140, v[142:143]
	v_add_co_u32 v142, vcc_lo, v136, v166
	v_add_co_ci_u32_e64 v143, null, v137, v167, vcc_lo
	v_add_co_u32 v138, vcc_lo, v138, v164
	v_add_co_ci_u32_e64 v139, null, v139, v165, vcc_lo
	v_min_f32_e32 v140, v140, v141
	v_cvt_f64_f32_e32 v[140:141], v140
	global_store_dwordx2 v[142:143], v[140:141], off
	global_load_dwordx2 v[138:139], v[138:139], off
	s_waitcnt vmcnt(0)
	v_mul_f64 v[138:139], s[2:3], v[138:139]
	v_cvt_f32_f64_e32 v140, v[138:139]
.LBB164_61:
	v_add_f64 v[132:133], v[4:5], v[132:133]
	v_add_f64 v[134:135], v[6:7], v[134:135]
	;; [unrolled: 1-line block ×4, first 2 shown]
	s_waitcnt lgkmcnt(23)
	v_add_f64 v[138:139], v[30:31], v[126:127]
	v_add_f64 v[141:142], v[28:29], v[124:125]
	v_add_co_u32 v136, vcc_lo, v136, v164
	v_add_co_ci_u32_e64 v137, null, v137, v165, vcc_lo
	s_mov_b32 s6, -1
	v_cvt_f32_f64_e32 v132, v[132:133]
	v_cvt_f32_f64_e32 v133, v[134:135]
	;; [unrolled: 1-line block ×4, first 2 shown]
	s_waitcnt lgkmcnt(22)
	v_add_f64 v[128:129], v[24:25], v[120:121]
	v_add_f64 v[130:131], v[26:27], v[122:123]
	v_cvt_f32_f64_e32 v141, v[141:142]
	v_cvt_f32_f64_e32 v138, v[138:139]
	v_add_nc_u32_e32 v139, 32, v168
	v_min3_f32 v132, v132, v133, v231
	v_min_f32_e32 v133, v134, v135
	v_cvt_f32_f64_e32 v142, v[128:129]
	v_cvt_f32_f64_e32 v143, v[130:131]
	v_mad_i64_i32 v[128:129], null, v139, s9, 0
	v_min3_f32 v130, v140, v133, v132
	v_min3_f32 v132, v141, v138, v224
	v_cvt_f64_f32_e32 v[134:135], v130
	v_mad_i64_i32 v[130:131], null, v139, s1, 0
	v_lshlrev_b64 v[128:129], 3, v[128:129]
	v_add_co_u32 v128, vcc_lo, s4, v128
	v_lshlrev_b64 v[130:131], 3, v[130:131]
	v_add_co_ci_u32_e64 v129, null, s5, v129, vcc_lo
	v_min3_f32 v132, v142, v143, v132
	v_add_co_u32 v130, vcc_lo, s14, v130
	v_add_co_ci_u32_e64 v131, null, s15, v131, vcc_lo
	v_max_f32_e32 v133, v132, v132
	s_mov_b32 vcc_lo, s0
	global_store_dwordx2 v[136:137], v[134:135], off
	s_cbranch_vccz .LBB164_63
; %bb.62:
	v_min_f32_e32 v132, 0, v133
	v_add_co_u32 v136, vcc_lo, v128, v162
	v_add_co_ci_u32_e64 v137, null, v129, v163, vcc_lo
	v_cvt_f64_f32_e32 v[134:135], v132
	s_mov_b32 s6, 0
	global_store_dwordx2 v[136:137], v[134:135], off
.LBB164_63:
	v_mov_b32_e32 v132, 0
	s_andn2_b32 vcc_lo, exec_lo, s6
	s_cbranch_vccnz .LBB164_65
; %bb.64:
	v_add_co_u32 v134, vcc_lo, v130, v162
	v_add_co_ci_u32_e64 v135, null, v131, v163, vcc_lo
	global_load_dwordx2 v[134:135], v[134:135], off
	s_waitcnt vmcnt(0)
	v_mul_f64 v[134:135], s[2:3], v[134:135]
	v_cvt_f32_f64_e32 v132, v[134:135]
	v_add_co_u32 v134, vcc_lo, v128, v162
	v_add_co_ci_u32_e64 v135, null, v129, v163, vcc_lo
	v_add_co_u32 v136, vcc_lo, v130, v160
	v_add_co_ci_u32_e64 v137, null, v131, v161, vcc_lo
	v_min_f32_e32 v132, v132, v133
	v_cvt_f64_f32_e32 v[132:133], v132
	global_store_dwordx2 v[134:135], v[132:133], off
	global_load_dwordx2 v[132:133], v[136:137], off
	s_waitcnt vmcnt(0)
	v_mul_f64 v[132:133], s[2:3], v[132:133]
	v_cvt_f32_f64_e32 v132, v[132:133]
.LBB164_65:
	v_add_f64 v[133:134], v[20:21], v[124:125]
	v_add_f64 v[135:136], v[22:23], v[126:127]
	;; [unrolled: 1-line block ×7, first 2 shown]
	s_mov_b32 s6, -1
	v_cvt_f32_f64_e32 v147, v[133:134]
	v_cvt_f32_f64_e32 v135, v[135:136]
	;; [unrolled: 1-line block ×4, first 2 shown]
	v_add_f64 v[133:134], v[2:3], v[122:123]
	v_cvt_f32_f64_e32 v138, v[143:144]
	v_cvt_f32_f64_e32 v139, v[141:142]
	;; [unrolled: 1-line block ×3, first 2 shown]
	v_min3_f32 v135, v147, v135, v221
	v_min_f32_e32 v136, v136, v137
	v_cvt_f32_f64_e32 v133, v[133:134]
	v_min3_f32 v132, v132, v136, v135
	v_add_co_u32 v136, vcc_lo, v128, v160
	v_add_co_ci_u32_e64 v137, null, v129, v161, vcc_lo
	v_cvt_f64_f32_e32 v[134:135], v132
	v_min3_f32 v132, v138, v139, v219
	s_mov_b32 vcc_lo, s0
	v_min3_f32 v132, v140, v133, v132
	v_max_f32_e32 v133, v132, v132
	global_store_dwordx2 v[136:137], v[134:135], off
	s_cbranch_vccz .LBB164_67
; %bb.66:
	v_min_f32_e32 v132, 0, v133
	v_add_co_u32 v136, vcc_lo, v128, v166
	v_add_co_ci_u32_e64 v137, null, v129, v167, vcc_lo
	v_cvt_f64_f32_e32 v[134:135], v132
	s_mov_b32 s6, 0
	global_store_dwordx2 v[136:137], v[134:135], off
.LBB164_67:
	v_mov_b32_e32 v132, 0
	s_andn2_b32 vcc_lo, exec_lo, s6
	s_cbranch_vccnz .LBB164_69
; %bb.68:
	v_add_co_u32 v134, vcc_lo, v130, v166
	v_add_co_ci_u32_e64 v135, null, v131, v167, vcc_lo
	global_load_dwordx2 v[134:135], v[134:135], off
	s_waitcnt vmcnt(0)
	v_mul_f64 v[134:135], s[2:3], v[134:135]
	v_cvt_f32_f64_e32 v132, v[134:135]
	v_add_co_u32 v134, vcc_lo, v128, v166
	v_add_co_ci_u32_e64 v135, null, v129, v167, vcc_lo
	v_add_co_u32 v130, vcc_lo, v130, v164
	v_add_co_ci_u32_e64 v131, null, v131, v165, vcc_lo
	v_min_f32_e32 v132, v132, v133
	v_cvt_f64_f32_e32 v[132:133], v132
	global_store_dwordx2 v[134:135], v[132:133], off
	global_load_dwordx2 v[130:131], v[130:131], off
	s_waitcnt vmcnt(0)
	v_mul_f64 v[130:131], s[2:3], v[130:131]
	v_cvt_f32_f64_e32 v132, v[130:131]
.LBB164_69:
	v_add_f64 v[124:125], v[4:5], v[124:125]
	v_add_f64 v[126:127], v[6:7], v[126:127]
	;; [unrolled: 1-line block ×4, first 2 shown]
	s_waitcnt lgkmcnt(21)
	v_add_f64 v[130:131], v[30:31], v[118:119]
	v_add_f64 v[133:134], v[28:29], v[116:117]
	v_add_co_u32 v128, vcc_lo, v128, v164
	v_add_co_ci_u32_e64 v129, null, v129, v165, vcc_lo
	s_mov_b32 s6, -1
	v_cvt_f32_f64_e32 v124, v[124:125]
	v_cvt_f32_f64_e32 v125, v[126:127]
	;; [unrolled: 1-line block ×4, first 2 shown]
	s_waitcnt lgkmcnt(20)
	v_add_f64 v[120:121], v[24:25], v[112:113]
	v_add_f64 v[122:123], v[26:27], v[114:115]
	v_cvt_f32_f64_e32 v133, v[133:134]
	v_cvt_f32_f64_e32 v130, v[130:131]
	v_add_nc_u32_e32 v131, 40, v168
	v_min3_f32 v124, v124, v125, v217
	v_min_f32_e32 v125, v126, v127
	v_cvt_f32_f64_e32 v134, v[120:121]
	v_cvt_f32_f64_e32 v135, v[122:123]
	v_mad_i64_i32 v[120:121], null, v131, s9, 0
	v_min3_f32 v122, v132, v125, v124
	v_min3_f32 v124, v133, v130, v230
	v_cvt_f64_f32_e32 v[126:127], v122
	v_mad_i64_i32 v[122:123], null, v131, s1, 0
	v_lshlrev_b64 v[120:121], 3, v[120:121]
	v_add_co_u32 v120, vcc_lo, s4, v120
	v_lshlrev_b64 v[122:123], 3, v[122:123]
	v_add_co_ci_u32_e64 v121, null, s5, v121, vcc_lo
	v_min3_f32 v124, v134, v135, v124
	v_add_co_u32 v122, vcc_lo, s14, v122
	v_add_co_ci_u32_e64 v123, null, s15, v123, vcc_lo
	v_max_f32_e32 v125, v124, v124
	s_mov_b32 vcc_lo, s0
	global_store_dwordx2 v[128:129], v[126:127], off
	s_cbranch_vccz .LBB164_71
; %bb.70:
	v_min_f32_e32 v124, 0, v125
	v_add_co_u32 v128, vcc_lo, v120, v162
	v_add_co_ci_u32_e64 v129, null, v121, v163, vcc_lo
	v_cvt_f64_f32_e32 v[126:127], v124
	s_mov_b32 s6, 0
	global_store_dwordx2 v[128:129], v[126:127], off
.LBB164_71:
	v_mov_b32_e32 v124, 0
	s_andn2_b32 vcc_lo, exec_lo, s6
	s_cbranch_vccnz .LBB164_73
; %bb.72:
	v_add_co_u32 v126, vcc_lo, v122, v162
	v_add_co_ci_u32_e64 v127, null, v123, v163, vcc_lo
	global_load_dwordx2 v[126:127], v[126:127], off
	s_waitcnt vmcnt(0)
	v_mul_f64 v[126:127], s[2:3], v[126:127]
	v_cvt_f32_f64_e32 v124, v[126:127]
	v_add_co_u32 v126, vcc_lo, v120, v162
	v_add_co_ci_u32_e64 v127, null, v121, v163, vcc_lo
	v_add_co_u32 v128, vcc_lo, v122, v160
	v_add_co_ci_u32_e64 v129, null, v123, v161, vcc_lo
	v_min_f32_e32 v124, v124, v125
	v_cvt_f64_f32_e32 v[124:125], v124
	global_store_dwordx2 v[126:127], v[124:125], off
	global_load_dwordx2 v[124:125], v[128:129], off
	s_waitcnt vmcnt(0)
	v_mul_f64 v[124:125], s[2:3], v[124:125]
	v_cvt_f32_f64_e32 v124, v[124:125]
.LBB164_73:
	v_add_f64 v[125:126], v[20:21], v[116:117]
	v_add_f64 v[127:128], v[22:23], v[118:119]
	v_add_f64 v[129:130], v[12:13], v[112:113]
	v_add_f64 v[131:132], v[14:15], v[114:115]
	v_add_f64 v[133:134], v[10:11], v[118:119]
	v_add_f64 v[135:136], v[8:9], v[116:117]
	v_add_f64 v[137:138], v[0:1], v[112:113]
	s_mov_b32 s6, -1
	v_cvt_f32_f64_e32 v139, v[125:126]
	v_cvt_f32_f64_e32 v127, v[127:128]
	;; [unrolled: 1-line block ×4, first 2 shown]
	v_add_f64 v[125:126], v[2:3], v[114:115]
	v_cvt_f32_f64_e32 v130, v[135:136]
	v_cvt_f32_f64_e32 v131, v[133:134]
	;; [unrolled: 1-line block ×3, first 2 shown]
	v_min3_f32 v127, v139, v127, v228
	v_min_f32_e32 v128, v128, v129
	v_cvt_f32_f64_e32 v125, v[125:126]
	v_min3_f32 v124, v124, v128, v127
	v_add_co_u32 v128, vcc_lo, v120, v160
	v_add_co_ci_u32_e64 v129, null, v121, v161, vcc_lo
	v_cvt_f64_f32_e32 v[126:127], v124
	v_min3_f32 v124, v130, v131, v229
	s_mov_b32 vcc_lo, s0
	v_min3_f32 v124, v132, v125, v124
	v_max_f32_e32 v125, v124, v124
	global_store_dwordx2 v[128:129], v[126:127], off
	s_cbranch_vccz .LBB164_75
; %bb.74:
	v_min_f32_e32 v124, 0, v125
	v_add_co_u32 v128, vcc_lo, v120, v166
	v_add_co_ci_u32_e64 v129, null, v121, v167, vcc_lo
	v_cvt_f64_f32_e32 v[126:127], v124
	s_mov_b32 s6, 0
	global_store_dwordx2 v[128:129], v[126:127], off
.LBB164_75:
	v_mov_b32_e32 v124, 0
	s_andn2_b32 vcc_lo, exec_lo, s6
	s_cbranch_vccnz .LBB164_77
; %bb.76:
	v_add_co_u32 v126, vcc_lo, v122, v166
	v_add_co_ci_u32_e64 v127, null, v123, v167, vcc_lo
	global_load_dwordx2 v[126:127], v[126:127], off
	s_waitcnt vmcnt(0)
	v_mul_f64 v[126:127], s[2:3], v[126:127]
	v_cvt_f32_f64_e32 v124, v[126:127]
	v_add_co_u32 v126, vcc_lo, v120, v166
	v_add_co_ci_u32_e64 v127, null, v121, v167, vcc_lo
	v_add_co_u32 v122, vcc_lo, v122, v164
	v_add_co_ci_u32_e64 v123, null, v123, v165, vcc_lo
	v_min_f32_e32 v124, v124, v125
	v_cvt_f64_f32_e32 v[124:125], v124
	global_store_dwordx2 v[126:127], v[124:125], off
	global_load_dwordx2 v[122:123], v[122:123], off
	s_waitcnt vmcnt(0)
	v_mul_f64 v[122:123], s[2:3], v[122:123]
	v_cvt_f32_f64_e32 v124, v[122:123]
.LBB164_77:
	v_add_f64 v[116:117], v[4:5], v[116:117]
	v_add_f64 v[118:119], v[6:7], v[118:119]
	;; [unrolled: 1-line block ×4, first 2 shown]
	s_waitcnt lgkmcnt(19)
	v_add_f64 v[122:123], v[30:31], v[110:111]
	v_add_f64 v[125:126], v[28:29], v[108:109]
	v_add_co_u32 v120, vcc_lo, v120, v164
	v_add_co_ci_u32_e64 v121, null, v121, v165, vcc_lo
	s_mov_b32 s6, -1
	v_cvt_f32_f64_e32 v116, v[116:117]
	v_cvt_f32_f64_e32 v117, v[118:119]
	;; [unrolled: 1-line block ×4, first 2 shown]
	s_waitcnt lgkmcnt(18)
	v_add_f64 v[112:113], v[24:25], v[104:105]
	v_add_f64 v[114:115], v[26:27], v[106:107]
	v_cvt_f32_f64_e32 v125, v[125:126]
	v_cvt_f32_f64_e32 v122, v[122:123]
	v_add_nc_u32_e32 v123, 48, v168
	v_min3_f32 v116, v116, v117, v226
	v_min_f32_e32 v117, v118, v119
	v_cvt_f32_f64_e32 v126, v[112:113]
	v_cvt_f32_f64_e32 v127, v[114:115]
	v_mad_i64_i32 v[112:113], null, v123, s9, 0
	v_min3_f32 v114, v124, v117, v116
	v_min3_f32 v116, v125, v122, v196
	v_cvt_f64_f32_e32 v[118:119], v114
	v_mad_i64_i32 v[114:115], null, v123, s1, 0
	v_lshlrev_b64 v[112:113], 3, v[112:113]
	v_add_co_u32 v112, vcc_lo, s4, v112
	v_lshlrev_b64 v[114:115], 3, v[114:115]
	v_add_co_ci_u32_e64 v113, null, s5, v113, vcc_lo
	v_min3_f32 v116, v126, v127, v116
	v_add_co_u32 v114, vcc_lo, s14, v114
	v_add_co_ci_u32_e64 v115, null, s15, v115, vcc_lo
	v_max_f32_e32 v117, v116, v116
	s_mov_b32 vcc_lo, s0
	global_store_dwordx2 v[120:121], v[118:119], off
	s_cbranch_vccz .LBB164_79
; %bb.78:
	v_min_f32_e32 v116, 0, v117
	v_add_co_u32 v120, vcc_lo, v112, v162
	v_add_co_ci_u32_e64 v121, null, v113, v163, vcc_lo
	v_cvt_f64_f32_e32 v[118:119], v116
	s_mov_b32 s6, 0
	global_store_dwordx2 v[120:121], v[118:119], off
.LBB164_79:
	v_mov_b32_e32 v116, 0
	s_andn2_b32 vcc_lo, exec_lo, s6
	s_cbranch_vccnz .LBB164_81
; %bb.80:
	v_add_co_u32 v118, vcc_lo, v114, v162
	v_add_co_ci_u32_e64 v119, null, v115, v163, vcc_lo
	global_load_dwordx2 v[118:119], v[118:119], off
	s_waitcnt vmcnt(0)
	v_mul_f64 v[118:119], s[2:3], v[118:119]
	v_cvt_f32_f64_e32 v116, v[118:119]
	v_add_co_u32 v118, vcc_lo, v112, v162
	v_add_co_ci_u32_e64 v119, null, v113, v163, vcc_lo
	v_add_co_u32 v120, vcc_lo, v114, v160
	v_add_co_ci_u32_e64 v121, null, v115, v161, vcc_lo
	v_min_f32_e32 v116, v116, v117
	v_cvt_f64_f32_e32 v[116:117], v116
	global_store_dwordx2 v[118:119], v[116:117], off
	global_load_dwordx2 v[116:117], v[120:121], off
	s_waitcnt vmcnt(0)
	v_mul_f64 v[116:117], s[2:3], v[116:117]
	v_cvt_f32_f64_e32 v116, v[116:117]
.LBB164_81:
	v_add_f64 v[117:118], v[20:21], v[108:109]
	v_add_f64 v[119:120], v[22:23], v[110:111]
	;; [unrolled: 1-line block ×7, first 2 shown]
	s_mov_b32 s6, -1
	v_cvt_f32_f64_e32 v131, v[117:118]
	v_cvt_f32_f64_e32 v119, v[119:120]
	;; [unrolled: 1-line block ×4, first 2 shown]
	v_add_f64 v[117:118], v[2:3], v[106:107]
	v_cvt_f32_f64_e32 v122, v[127:128]
	v_cvt_f32_f64_e32 v123, v[125:126]
	v_cvt_f32_f64_e32 v124, v[129:130]
	v_min3_f32 v119, v131, v119, v255
	v_min_f32_e32 v120, v120, v121
	v_cvt_f32_f64_e32 v117, v[117:118]
	v_min3_f32 v116, v116, v120, v119
	v_add_co_u32 v120, vcc_lo, v112, v160
	v_add_co_ci_u32_e64 v121, null, v113, v161, vcc_lo
	v_cvt_f64_f32_e32 v[118:119], v116
	v_min3_f32 v116, v122, v123, v225
	s_mov_b32 vcc_lo, s0
	v_min3_f32 v116, v124, v117, v116
	v_max_f32_e32 v117, v116, v116
	global_store_dwordx2 v[120:121], v[118:119], off
	s_cbranch_vccz .LBB164_83
; %bb.82:
	v_min_f32_e32 v116, 0, v117
	v_add_co_u32 v120, vcc_lo, v112, v166
	v_add_co_ci_u32_e64 v121, null, v113, v167, vcc_lo
	v_cvt_f64_f32_e32 v[118:119], v116
	s_mov_b32 s6, 0
	global_store_dwordx2 v[120:121], v[118:119], off
.LBB164_83:
	v_mov_b32_e32 v116, 0
	s_andn2_b32 vcc_lo, exec_lo, s6
	s_cbranch_vccnz .LBB164_85
; %bb.84:
	v_add_co_u32 v118, vcc_lo, v114, v166
	v_add_co_ci_u32_e64 v119, null, v115, v167, vcc_lo
	global_load_dwordx2 v[118:119], v[118:119], off
	s_waitcnt vmcnt(0)
	v_mul_f64 v[118:119], s[2:3], v[118:119]
	v_cvt_f32_f64_e32 v116, v[118:119]
	v_add_co_u32 v118, vcc_lo, v112, v166
	v_add_co_ci_u32_e64 v119, null, v113, v167, vcc_lo
	v_add_co_u32 v114, vcc_lo, v114, v164
	v_add_co_ci_u32_e64 v115, null, v115, v165, vcc_lo
	v_min_f32_e32 v116, v116, v117
	v_cvt_f64_f32_e32 v[116:117], v116
	global_store_dwordx2 v[118:119], v[116:117], off
	global_load_dwordx2 v[114:115], v[114:115], off
	s_waitcnt vmcnt(0)
	v_mul_f64 v[114:115], s[2:3], v[114:115]
	v_cvt_f32_f64_e32 v116, v[114:115]
.LBB164_85:
	v_add_f64 v[108:109], v[4:5], v[108:109]
	v_add_f64 v[110:111], v[6:7], v[110:111]
	;; [unrolled: 1-line block ×4, first 2 shown]
	s_waitcnt lgkmcnt(17)
	v_add_f64 v[114:115], v[30:31], v[102:103]
	v_add_f64 v[117:118], v[28:29], v[100:101]
	v_add_co_u32 v112, vcc_lo, v112, v164
	v_add_co_ci_u32_e64 v113, null, v113, v165, vcc_lo
	s_mov_b32 s6, -1
	v_cvt_f32_f64_e32 v108, v[108:109]
	v_cvt_f32_f64_e32 v109, v[110:111]
	;; [unrolled: 1-line block ×4, first 2 shown]
	s_waitcnt lgkmcnt(16)
	v_add_f64 v[104:105], v[24:25], v[96:97]
	v_add_f64 v[106:107], v[26:27], v[98:99]
	v_cvt_f32_f64_e32 v117, v[117:118]
	v_cvt_f32_f64_e32 v114, v[114:115]
	v_add_nc_u32_e32 v115, 56, v168
	v_min3_f32 v108, v108, v109, v222
	v_min_f32_e32 v109, v110, v111
	v_cvt_f32_f64_e32 v118, v[104:105]
	v_cvt_f32_f64_e32 v119, v[106:107]
	v_mad_i64_i32 v[104:105], null, v115, s9, 0
	v_min3_f32 v106, v116, v109, v108
	v_min3_f32 v108, v117, v114, v220
	v_cvt_f64_f32_e32 v[110:111], v106
	v_mad_i64_i32 v[106:107], null, v115, s1, 0
	v_lshlrev_b64 v[104:105], 3, v[104:105]
	v_add_co_u32 v104, vcc_lo, s4, v104
	v_lshlrev_b64 v[106:107], 3, v[106:107]
	v_add_co_ci_u32_e64 v105, null, s5, v105, vcc_lo
	v_min3_f32 v108, v118, v119, v108
	v_add_co_u32 v106, vcc_lo, s14, v106
	v_add_co_ci_u32_e64 v107, null, s15, v107, vcc_lo
	v_max_f32_e32 v109, v108, v108
	s_mov_b32 vcc_lo, s0
	global_store_dwordx2 v[112:113], v[110:111], off
	s_cbranch_vccz .LBB164_87
; %bb.86:
	v_min_f32_e32 v108, 0, v109
	v_add_co_u32 v112, vcc_lo, v104, v162
	v_add_co_ci_u32_e64 v113, null, v105, v163, vcc_lo
	v_cvt_f64_f32_e32 v[110:111], v108
	s_mov_b32 s6, 0
	global_store_dwordx2 v[112:113], v[110:111], off
.LBB164_87:
	v_mov_b32_e32 v108, 0
	s_andn2_b32 vcc_lo, exec_lo, s6
	s_cbranch_vccnz .LBB164_89
; %bb.88:
	v_add_co_u32 v110, vcc_lo, v106, v162
	v_add_co_ci_u32_e64 v111, null, v107, v163, vcc_lo
	global_load_dwordx2 v[110:111], v[110:111], off
	s_waitcnt vmcnt(0)
	v_mul_f64 v[110:111], s[2:3], v[110:111]
	v_cvt_f32_f64_e32 v108, v[110:111]
	v_add_co_u32 v110, vcc_lo, v104, v162
	v_add_co_ci_u32_e64 v111, null, v105, v163, vcc_lo
	v_add_co_u32 v112, vcc_lo, v106, v160
	v_add_co_ci_u32_e64 v113, null, v107, v161, vcc_lo
	v_min_f32_e32 v108, v108, v109
	v_cvt_f64_f32_e32 v[108:109], v108
	global_store_dwordx2 v[110:111], v[108:109], off
	global_load_dwordx2 v[108:109], v[112:113], off
	s_waitcnt vmcnt(0)
	v_mul_f64 v[108:109], s[2:3], v[108:109]
	v_cvt_f32_f64_e32 v108, v[108:109]
.LBB164_89:
	v_add_f64 v[109:110], v[20:21], v[100:101]
	v_add_f64 v[111:112], v[22:23], v[102:103]
	;; [unrolled: 1-line block ×7, first 2 shown]
	s_mov_b32 s6, -1
	v_cvt_f32_f64_e32 v123, v[109:110]
	v_cvt_f32_f64_e32 v111, v[111:112]
	;; [unrolled: 1-line block ×4, first 2 shown]
	v_add_f64 v[109:110], v[2:3], v[98:99]
	v_cvt_f32_f64_e32 v114, v[119:120]
	v_cvt_f32_f64_e32 v115, v[117:118]
	;; [unrolled: 1-line block ×3, first 2 shown]
	v_min3_f32 v111, v123, v111, v216
	v_min_f32_e32 v112, v112, v113
	v_cvt_f32_f64_e32 v109, v[109:110]
	v_min3_f32 v108, v108, v112, v111
	v_add_co_u32 v112, vcc_lo, v104, v160
	v_add_co_ci_u32_e64 v113, null, v105, v161, vcc_lo
	v_cvt_f64_f32_e32 v[110:111], v108
	v_min3_f32 v108, v114, v115, v218
	s_mov_b32 vcc_lo, s0
	v_min3_f32 v108, v116, v109, v108
	v_max_f32_e32 v109, v108, v108
	global_store_dwordx2 v[112:113], v[110:111], off
	s_cbranch_vccz .LBB164_91
; %bb.90:
	v_min_f32_e32 v108, 0, v109
	v_add_co_u32 v112, vcc_lo, v104, v166
	v_add_co_ci_u32_e64 v113, null, v105, v167, vcc_lo
	v_cvt_f64_f32_e32 v[110:111], v108
	s_mov_b32 s6, 0
	global_store_dwordx2 v[112:113], v[110:111], off
.LBB164_91:
	v_mov_b32_e32 v108, 0
	s_andn2_b32 vcc_lo, exec_lo, s6
	s_cbranch_vccnz .LBB164_93
; %bb.92:
	v_add_co_u32 v110, vcc_lo, v106, v166
	v_add_co_ci_u32_e64 v111, null, v107, v167, vcc_lo
	global_load_dwordx2 v[110:111], v[110:111], off
	s_waitcnt vmcnt(0)
	v_mul_f64 v[110:111], s[2:3], v[110:111]
	v_cvt_f32_f64_e32 v108, v[110:111]
	v_add_co_u32 v110, vcc_lo, v104, v166
	v_add_co_ci_u32_e64 v111, null, v105, v167, vcc_lo
	v_add_co_u32 v106, vcc_lo, v106, v164
	v_add_co_ci_u32_e64 v107, null, v107, v165, vcc_lo
	v_min_f32_e32 v108, v108, v109
	v_cvt_f64_f32_e32 v[108:109], v108
	global_store_dwordx2 v[110:111], v[108:109], off
	global_load_dwordx2 v[106:107], v[106:107], off
	s_waitcnt vmcnt(0)
	v_mul_f64 v[106:107], s[2:3], v[106:107]
	v_cvt_f32_f64_e32 v108, v[106:107]
.LBB164_93:
	v_add_f64 v[100:101], v[4:5], v[100:101]
	v_add_f64 v[102:103], v[6:7], v[102:103]
	v_add_f64 v[96:97], v[16:17], v[96:97]
	v_add_f64 v[98:99], v[18:19], v[98:99]
	s_waitcnt lgkmcnt(15)
	v_add_f64 v[106:107], v[30:31], v[94:95]
	v_add_f64 v[109:110], v[28:29], v[92:93]
	v_add_co_u32 v104, vcc_lo, v104, v164
	v_add_co_ci_u32_e64 v105, null, v105, v165, vcc_lo
	s_mov_b32 s6, -1
	v_cvt_f32_f64_e32 v100, v[100:101]
	v_cvt_f32_f64_e32 v101, v[102:103]
	;; [unrolled: 1-line block ×4, first 2 shown]
	s_waitcnt lgkmcnt(14)
	v_add_f64 v[96:97], v[24:25], v[88:89]
	v_add_f64 v[98:99], v[26:27], v[90:91]
	v_cvt_f32_f64_e32 v109, v[109:110]
	v_cvt_f32_f64_e32 v106, v[106:107]
	v_add_nc_u32_e32 v107, 64, v168
	v_min3_f32 v100, v100, v101, v199
	v_min_f32_e32 v101, v102, v103
	v_cvt_f32_f64_e32 v110, v[96:97]
	v_cvt_f32_f64_e32 v111, v[98:99]
	v_mad_i64_i32 v[96:97], null, v107, s9, 0
	v_min3_f32 v98, v108, v101, v100
	v_min3_f32 v100, v109, v106, v198
	v_cvt_f64_f32_e32 v[102:103], v98
	v_mad_i64_i32 v[98:99], null, v107, s1, 0
	v_lshlrev_b64 v[96:97], 3, v[96:97]
	v_add_co_u32 v96, vcc_lo, s4, v96
	v_lshlrev_b64 v[98:99], 3, v[98:99]
	v_add_co_ci_u32_e64 v97, null, s5, v97, vcc_lo
	v_min3_f32 v100, v110, v111, v100
	v_add_co_u32 v98, vcc_lo, s14, v98
	v_add_co_ci_u32_e64 v99, null, s15, v99, vcc_lo
	v_max_f32_e32 v101, v100, v100
	s_mov_b32 vcc_lo, s0
	global_store_dwordx2 v[104:105], v[102:103], off
	s_cbranch_vccz .LBB164_95
; %bb.94:
	v_min_f32_e32 v100, 0, v101
	v_add_co_u32 v104, vcc_lo, v96, v162
	v_add_co_ci_u32_e64 v105, null, v97, v163, vcc_lo
	v_cvt_f64_f32_e32 v[102:103], v100
	s_mov_b32 s6, 0
	global_store_dwordx2 v[104:105], v[102:103], off
.LBB164_95:
	v_mov_b32_e32 v100, 0
	s_andn2_b32 vcc_lo, exec_lo, s6
	s_cbranch_vccnz .LBB164_97
; %bb.96:
	v_add_co_u32 v102, vcc_lo, v98, v162
	v_add_co_ci_u32_e64 v103, null, v99, v163, vcc_lo
	global_load_dwordx2 v[102:103], v[102:103], off
	s_waitcnt vmcnt(0)
	v_mul_f64 v[102:103], s[2:3], v[102:103]
	v_cvt_f32_f64_e32 v100, v[102:103]
	v_add_co_u32 v102, vcc_lo, v96, v162
	v_add_co_ci_u32_e64 v103, null, v97, v163, vcc_lo
	v_add_co_u32 v104, vcc_lo, v98, v160
	v_add_co_ci_u32_e64 v105, null, v99, v161, vcc_lo
	v_min_f32_e32 v100, v100, v101
	v_cvt_f64_f32_e32 v[100:101], v100
	global_store_dwordx2 v[102:103], v[100:101], off
	global_load_dwordx2 v[100:101], v[104:105], off
	s_waitcnt vmcnt(0)
	v_mul_f64 v[100:101], s[2:3], v[100:101]
	v_cvt_f32_f64_e32 v100, v[100:101]
.LBB164_97:
	v_add_f64 v[101:102], v[20:21], v[92:93]
	v_add_f64 v[103:104], v[22:23], v[94:95]
	v_add_f64 v[105:106], v[12:13], v[88:89]
	v_add_f64 v[107:108], v[14:15], v[90:91]
	v_add_f64 v[109:110], v[10:11], v[94:95]
	v_add_f64 v[111:112], v[8:9], v[92:93]
	v_add_f64 v[113:114], v[0:1], v[88:89]
	s_mov_b32 s6, -1
	v_cvt_f32_f64_e32 v115, v[101:102]
	v_cvt_f32_f64_e32 v103, v[103:104]
	;; [unrolled: 1-line block ×4, first 2 shown]
	v_add_f64 v[101:102], v[2:3], v[90:91]
	v_cvt_f32_f64_e32 v106, v[111:112]
	v_cvt_f32_f64_e32 v107, v[109:110]
	;; [unrolled: 1-line block ×3, first 2 shown]
	v_min3_f32 v103, v115, v103, v197
	v_min_f32_e32 v104, v104, v105
	v_cvt_f32_f64_e32 v101, v[101:102]
	v_min3_f32 v100, v100, v104, v103
	v_add_co_u32 v104, vcc_lo, v96, v160
	v_add_co_ci_u32_e64 v105, null, v97, v161, vcc_lo
	v_cvt_f64_f32_e32 v[102:103], v100
	v_min3_f32 v100, v106, v107, v195
	s_mov_b32 vcc_lo, s0
	v_min3_f32 v100, v108, v101, v100
	v_max_f32_e32 v101, v100, v100
	global_store_dwordx2 v[104:105], v[102:103], off
	s_cbranch_vccz .LBB164_99
; %bb.98:
	v_min_f32_e32 v100, 0, v101
	v_add_co_u32 v104, vcc_lo, v96, v166
	v_add_co_ci_u32_e64 v105, null, v97, v167, vcc_lo
	v_cvt_f64_f32_e32 v[102:103], v100
	s_mov_b32 s6, 0
	global_store_dwordx2 v[104:105], v[102:103], off
.LBB164_99:
	v_mov_b32_e32 v100, 0
	s_andn2_b32 vcc_lo, exec_lo, s6
	s_cbranch_vccnz .LBB164_101
; %bb.100:
	v_add_co_u32 v102, vcc_lo, v98, v166
	v_add_co_ci_u32_e64 v103, null, v99, v167, vcc_lo
	global_load_dwordx2 v[102:103], v[102:103], off
	s_waitcnt vmcnt(0)
	v_mul_f64 v[102:103], s[2:3], v[102:103]
	v_cvt_f32_f64_e32 v100, v[102:103]
	v_add_co_u32 v102, vcc_lo, v96, v166
	v_add_co_ci_u32_e64 v103, null, v97, v167, vcc_lo
	v_add_co_u32 v98, vcc_lo, v98, v164
	v_add_co_ci_u32_e64 v99, null, v99, v165, vcc_lo
	v_min_f32_e32 v100, v100, v101
	v_cvt_f64_f32_e32 v[100:101], v100
	global_store_dwordx2 v[102:103], v[100:101], off
	global_load_dwordx2 v[98:99], v[98:99], off
	s_waitcnt vmcnt(0)
	v_mul_f64 v[98:99], s[2:3], v[98:99]
	v_cvt_f32_f64_e32 v100, v[98:99]
.LBB164_101:
	v_add_f64 v[92:93], v[4:5], v[92:93]
	v_add_f64 v[94:95], v[6:7], v[94:95]
	;; [unrolled: 1-line block ×4, first 2 shown]
	s_waitcnt lgkmcnt(13)
	v_add_f64 v[98:99], v[30:31], v[86:87]
	v_add_f64 v[101:102], v[28:29], v[84:85]
	v_add_co_u32 v96, vcc_lo, v96, v164
	v_add_co_ci_u32_e64 v97, null, v97, v165, vcc_lo
	s_mov_b32 s6, -1
	v_cvt_f32_f64_e32 v92, v[92:93]
	v_cvt_f32_f64_e32 v93, v[94:95]
	;; [unrolled: 1-line block ×4, first 2 shown]
	s_waitcnt lgkmcnt(12)
	v_add_f64 v[88:89], v[24:25], v[80:81]
	v_add_f64 v[90:91], v[26:27], v[82:83]
	v_cvt_f32_f64_e32 v101, v[101:102]
	v_cvt_f32_f64_e32 v98, v[98:99]
	v_add_nc_u32_e32 v99, 0x48, v168
	v_min3_f32 v92, v92, v93, v192
	v_min_f32_e32 v93, v94, v95
	v_cvt_f32_f64_e32 v102, v[88:89]
	v_cvt_f32_f64_e32 v103, v[90:91]
	v_mad_i64_i32 v[88:89], null, v99, s9, 0
	v_min3_f32 v90, v100, v93, v92
	v_min3_f32 v92, v101, v98, v215
	v_cvt_f64_f32_e32 v[94:95], v90
	v_mad_i64_i32 v[90:91], null, v99, s1, 0
	v_lshlrev_b64 v[88:89], 3, v[88:89]
	v_add_co_u32 v88, vcc_lo, s4, v88
	v_lshlrev_b64 v[90:91], 3, v[90:91]
	v_add_co_ci_u32_e64 v89, null, s5, v89, vcc_lo
	v_min3_f32 v92, v102, v103, v92
	v_add_co_u32 v90, vcc_lo, s14, v90
	v_add_co_ci_u32_e64 v91, null, s15, v91, vcc_lo
	v_max_f32_e32 v93, v92, v92
	s_mov_b32 vcc_lo, s0
	global_store_dwordx2 v[96:97], v[94:95], off
	s_cbranch_vccz .LBB164_103
; %bb.102:
	v_min_f32_e32 v92, 0, v93
	v_add_co_u32 v96, vcc_lo, v88, v162
	v_add_co_ci_u32_e64 v97, null, v89, v163, vcc_lo
	v_cvt_f64_f32_e32 v[94:95], v92
	s_mov_b32 s6, 0
	global_store_dwordx2 v[96:97], v[94:95], off
.LBB164_103:
	v_mov_b32_e32 v92, 0
	s_andn2_b32 vcc_lo, exec_lo, s6
	s_cbranch_vccnz .LBB164_105
; %bb.104:
	v_add_co_u32 v94, vcc_lo, v90, v162
	v_add_co_ci_u32_e64 v95, null, v91, v163, vcc_lo
	global_load_dwordx2 v[94:95], v[94:95], off
	s_waitcnt vmcnt(0)
	v_mul_f64 v[94:95], s[2:3], v[94:95]
	v_cvt_f32_f64_e32 v92, v[94:95]
	v_add_co_u32 v94, vcc_lo, v88, v162
	v_add_co_ci_u32_e64 v95, null, v89, v163, vcc_lo
	v_add_co_u32 v96, vcc_lo, v90, v160
	v_add_co_ci_u32_e64 v97, null, v91, v161, vcc_lo
	v_min_f32_e32 v92, v92, v93
	v_cvt_f64_f32_e32 v[92:93], v92
	global_store_dwordx2 v[94:95], v[92:93], off
	global_load_dwordx2 v[92:93], v[96:97], off
	s_waitcnt vmcnt(0)
	v_mul_f64 v[92:93], s[2:3], v[92:93]
	v_cvt_f32_f64_e32 v92, v[92:93]
.LBB164_105:
	v_add_f64 v[93:94], v[20:21], v[84:85]
	v_add_f64 v[95:96], v[22:23], v[86:87]
	;; [unrolled: 1-line block ×7, first 2 shown]
	s_mov_b32 s6, -1
	v_cvt_f32_f64_e32 v107, v[93:94]
	v_cvt_f32_f64_e32 v95, v[95:96]
	;; [unrolled: 1-line block ×4, first 2 shown]
	v_add_f64 v[93:94], v[2:3], v[82:83]
	v_cvt_f32_f64_e32 v98, v[103:104]
	v_cvt_f32_f64_e32 v99, v[101:102]
	;; [unrolled: 1-line block ×3, first 2 shown]
	v_min3_f32 v95, v107, v95, v247
	v_min_f32_e32 v96, v96, v97
	v_cvt_f32_f64_e32 v93, v[93:94]
	v_min3_f32 v92, v92, v96, v95
	v_add_co_u32 v96, vcc_lo, v88, v160
	v_add_co_ci_u32_e64 v97, null, v89, v161, vcc_lo
	v_cvt_f64_f32_e32 v[94:95], v92
	v_min3_f32 v92, v98, v99, v248
	s_mov_b32 vcc_lo, s0
	v_min3_f32 v92, v100, v93, v92
	v_max_f32_e32 v93, v92, v92
	global_store_dwordx2 v[96:97], v[94:95], off
	s_cbranch_vccz .LBB164_107
; %bb.106:
	v_min_f32_e32 v92, 0, v93
	v_add_co_u32 v96, vcc_lo, v88, v166
	v_add_co_ci_u32_e64 v97, null, v89, v167, vcc_lo
	v_cvt_f64_f32_e32 v[94:95], v92
	s_mov_b32 s6, 0
	global_store_dwordx2 v[96:97], v[94:95], off
.LBB164_107:
	v_mov_b32_e32 v92, 0
	s_andn2_b32 vcc_lo, exec_lo, s6
	s_cbranch_vccnz .LBB164_109
; %bb.108:
	v_add_co_u32 v94, vcc_lo, v90, v166
	v_add_co_ci_u32_e64 v95, null, v91, v167, vcc_lo
	global_load_dwordx2 v[94:95], v[94:95], off
	s_waitcnt vmcnt(0)
	v_mul_f64 v[94:95], s[2:3], v[94:95]
	v_cvt_f32_f64_e32 v92, v[94:95]
	v_add_co_u32 v94, vcc_lo, v88, v166
	v_add_co_ci_u32_e64 v95, null, v89, v167, vcc_lo
	v_add_co_u32 v90, vcc_lo, v90, v164
	v_add_co_ci_u32_e64 v91, null, v91, v165, vcc_lo
	v_min_f32_e32 v92, v92, v93
	v_cvt_f64_f32_e32 v[92:93], v92
	global_store_dwordx2 v[94:95], v[92:93], off
	global_load_dwordx2 v[90:91], v[90:91], off
	s_waitcnt vmcnt(0)
	v_mul_f64 v[90:91], s[2:3], v[90:91]
	v_cvt_f32_f64_e32 v92, v[90:91]
.LBB164_109:
	v_add_f64 v[84:85], v[4:5], v[84:85]
	v_add_f64 v[86:87], v[6:7], v[86:87]
	v_add_f64 v[80:81], v[16:17], v[80:81]
	v_add_f64 v[82:83], v[18:19], v[82:83]
	s_waitcnt lgkmcnt(11)
	v_add_f64 v[90:91], v[30:31], v[78:79]
	v_add_f64 v[93:94], v[28:29], v[76:77]
	v_add_co_u32 v88, vcc_lo, v88, v164
	v_add_co_ci_u32_e64 v89, null, v89, v165, vcc_lo
	s_mov_b32 s6, -1
	v_cvt_f32_f64_e32 v84, v[84:85]
	v_cvt_f32_f64_e32 v85, v[86:87]
	;; [unrolled: 1-line block ×4, first 2 shown]
	s_waitcnt lgkmcnt(10)
	v_add_f64 v[80:81], v[24:25], v[72:73]
	v_add_f64 v[82:83], v[26:27], v[74:75]
	v_cvt_f32_f64_e32 v93, v[93:94]
	v_cvt_f32_f64_e32 v90, v[90:91]
	v_add_nc_u32_e32 v91, 0x50, v168
	v_min3_f32 v84, v84, v85, v246
	v_min_f32_e32 v85, v86, v87
	v_cvt_f32_f64_e32 v94, v[80:81]
	v_cvt_f32_f64_e32 v95, v[82:83]
	v_mad_i64_i32 v[80:81], null, v91, s9, 0
	v_min3_f32 v82, v92, v85, v84
	v_min3_f32 v84, v93, v90, v245
	v_cvt_f64_f32_e32 v[86:87], v82
	v_mad_i64_i32 v[82:83], null, v91, s1, 0
	v_lshlrev_b64 v[80:81], 3, v[80:81]
	v_add_co_u32 v80, vcc_lo, s4, v80
	v_lshlrev_b64 v[82:83], 3, v[82:83]
	v_add_co_ci_u32_e64 v81, null, s5, v81, vcc_lo
	v_min3_f32 v84, v94, v95, v84
	v_add_co_u32 v82, vcc_lo, s14, v82
	v_add_co_ci_u32_e64 v83, null, s15, v83, vcc_lo
	v_max_f32_e32 v85, v84, v84
	s_mov_b32 vcc_lo, s0
	global_store_dwordx2 v[88:89], v[86:87], off
	s_cbranch_vccz .LBB164_111
; %bb.110:
	v_min_f32_e32 v84, 0, v85
	v_add_co_u32 v88, vcc_lo, v80, v162
	v_add_co_ci_u32_e64 v89, null, v81, v163, vcc_lo
	v_cvt_f64_f32_e32 v[86:87], v84
	s_mov_b32 s6, 0
	global_store_dwordx2 v[88:89], v[86:87], off
.LBB164_111:
	v_mov_b32_e32 v84, 0
	s_andn2_b32 vcc_lo, exec_lo, s6
	s_cbranch_vccnz .LBB164_113
; %bb.112:
	v_add_co_u32 v86, vcc_lo, v82, v162
	v_add_co_ci_u32_e64 v87, null, v83, v163, vcc_lo
	global_load_dwordx2 v[86:87], v[86:87], off
	s_waitcnt vmcnt(0)
	v_mul_f64 v[86:87], s[2:3], v[86:87]
	v_cvt_f32_f64_e32 v84, v[86:87]
	v_add_co_u32 v86, vcc_lo, v80, v162
	v_add_co_ci_u32_e64 v87, null, v81, v163, vcc_lo
	v_add_co_u32 v88, vcc_lo, v82, v160
	v_add_co_ci_u32_e64 v89, null, v83, v161, vcc_lo
	v_min_f32_e32 v84, v84, v85
	v_cvt_f64_f32_e32 v[84:85], v84
	global_store_dwordx2 v[86:87], v[84:85], off
	global_load_dwordx2 v[84:85], v[88:89], off
	s_waitcnt vmcnt(0)
	v_mul_f64 v[84:85], s[2:3], v[84:85]
	v_cvt_f32_f64_e32 v84, v[84:85]
.LBB164_113:
	v_add_f64 v[85:86], v[20:21], v[76:77]
	v_add_f64 v[87:88], v[22:23], v[78:79]
	;; [unrolled: 1-line block ×7, first 2 shown]
	s_mov_b32 s6, -1
	v_cvt_f32_f64_e32 v99, v[85:86]
	v_cvt_f32_f64_e32 v87, v[87:88]
	;; [unrolled: 1-line block ×4, first 2 shown]
	v_add_f64 v[85:86], v[2:3], v[74:75]
	v_cvt_f32_f64_e32 v90, v[95:96]
	v_cvt_f32_f64_e32 v91, v[93:94]
	;; [unrolled: 1-line block ×3, first 2 shown]
	v_min3_f32 v87, v99, v87, v208
	v_min_f32_e32 v88, v88, v89
	v_cvt_f32_f64_e32 v85, v[85:86]
	v_min3_f32 v84, v84, v88, v87
	v_add_co_u32 v88, vcc_lo, v80, v160
	v_add_co_ci_u32_e64 v89, null, v81, v161, vcc_lo
	v_cvt_f64_f32_e32 v[86:87], v84
	v_min3_f32 v84, v90, v91, v227
	s_mov_b32 vcc_lo, s0
	v_min3_f32 v84, v92, v85, v84
	v_max_f32_e32 v85, v84, v84
	global_store_dwordx2 v[88:89], v[86:87], off
	s_cbranch_vccz .LBB164_115
; %bb.114:
	v_min_f32_e32 v84, 0, v85
	v_add_co_u32 v88, vcc_lo, v80, v166
	v_add_co_ci_u32_e64 v89, null, v81, v167, vcc_lo
	v_cvt_f64_f32_e32 v[86:87], v84
	s_mov_b32 s6, 0
	global_store_dwordx2 v[88:89], v[86:87], off
.LBB164_115:
	v_mov_b32_e32 v84, 0
	s_andn2_b32 vcc_lo, exec_lo, s6
	s_cbranch_vccnz .LBB164_117
; %bb.116:
	v_add_co_u32 v86, vcc_lo, v82, v166
	v_add_co_ci_u32_e64 v87, null, v83, v167, vcc_lo
	global_load_dwordx2 v[86:87], v[86:87], off
	s_waitcnt vmcnt(0)
	v_mul_f64 v[86:87], s[2:3], v[86:87]
	v_cvt_f32_f64_e32 v84, v[86:87]
	v_add_co_u32 v86, vcc_lo, v80, v166
	v_add_co_ci_u32_e64 v87, null, v81, v167, vcc_lo
	v_add_co_u32 v82, vcc_lo, v82, v164
	v_add_co_ci_u32_e64 v83, null, v83, v165, vcc_lo
	v_min_f32_e32 v84, v84, v85
	v_cvt_f64_f32_e32 v[84:85], v84
	global_store_dwordx2 v[86:87], v[84:85], off
	global_load_dwordx2 v[82:83], v[82:83], off
	s_waitcnt vmcnt(0)
	v_mul_f64 v[82:83], s[2:3], v[82:83]
	v_cvt_f32_f64_e32 v84, v[82:83]
.LBB164_117:
	v_add_f64 v[76:77], v[4:5], v[76:77]
	v_add_f64 v[78:79], v[6:7], v[78:79]
	;; [unrolled: 1-line block ×4, first 2 shown]
	s_waitcnt lgkmcnt(9)
	v_add_f64 v[82:83], v[30:31], v[70:71]
	v_add_f64 v[85:86], v[28:29], v[68:69]
	v_add_co_u32 v80, vcc_lo, v80, v164
	v_add_co_ci_u32_e64 v81, null, v81, v165, vcc_lo
	s_mov_b32 s6, -1
	v_cvt_f32_f64_e32 v76, v[76:77]
	v_cvt_f32_f64_e32 v77, v[78:79]
	;; [unrolled: 1-line block ×4, first 2 shown]
	s_waitcnt lgkmcnt(8)
	v_add_f64 v[72:73], v[24:25], v[64:65]
	v_add_f64 v[74:75], v[26:27], v[66:67]
	v_cvt_f32_f64_e32 v85, v[85:86]
	v_cvt_f32_f64_e32 v82, v[82:83]
	v_add_nc_u32_e32 v83, 0x58, v168
	v_min3_f32 v76, v76, v77, v194
	v_min_f32_e32 v77, v78, v79
	v_cvt_f32_f64_e32 v86, v[72:73]
	v_cvt_f32_f64_e32 v87, v[74:75]
	v_mad_i64_i32 v[72:73], null, v83, s9, 0
	v_min3_f32 v74, v84, v77, v76
	v_min3_f32 v76, v85, v82, v193
	v_cvt_f64_f32_e32 v[78:79], v74
	v_mad_i64_i32 v[74:75], null, v83, s1, 0
	v_lshlrev_b64 v[72:73], 3, v[72:73]
	v_add_co_u32 v72, vcc_lo, s4, v72
	v_lshlrev_b64 v[74:75], 3, v[74:75]
	v_add_co_ci_u32_e64 v73, null, s5, v73, vcc_lo
	v_min3_f32 v76, v86, v87, v76
	v_add_co_u32 v74, vcc_lo, s14, v74
	v_add_co_ci_u32_e64 v75, null, s15, v75, vcc_lo
	v_max_f32_e32 v77, v76, v76
	s_mov_b32 vcc_lo, s0
	global_store_dwordx2 v[80:81], v[78:79], off
	s_cbranch_vccz .LBB164_119
; %bb.118:
	v_min_f32_e32 v76, 0, v77
	v_add_co_u32 v80, vcc_lo, v72, v162
	v_add_co_ci_u32_e64 v81, null, v73, v163, vcc_lo
	v_cvt_f64_f32_e32 v[78:79], v76
	s_mov_b32 s6, 0
	global_store_dwordx2 v[80:81], v[78:79], off
.LBB164_119:
	v_mov_b32_e32 v76, 0
	s_andn2_b32 vcc_lo, exec_lo, s6
	s_cbranch_vccnz .LBB164_121
; %bb.120:
	v_add_co_u32 v78, vcc_lo, v74, v162
	v_add_co_ci_u32_e64 v79, null, v75, v163, vcc_lo
	global_load_dwordx2 v[78:79], v[78:79], off
	s_waitcnt vmcnt(0)
	v_mul_f64 v[78:79], s[2:3], v[78:79]
	v_cvt_f32_f64_e32 v76, v[78:79]
	v_add_co_u32 v78, vcc_lo, v72, v162
	v_add_co_ci_u32_e64 v79, null, v73, v163, vcc_lo
	v_add_co_u32 v80, vcc_lo, v74, v160
	v_add_co_ci_u32_e64 v81, null, v75, v161, vcc_lo
	v_min_f32_e32 v76, v76, v77
	v_cvt_f64_f32_e32 v[76:77], v76
	global_store_dwordx2 v[78:79], v[76:77], off
	global_load_dwordx2 v[76:77], v[80:81], off
	s_waitcnt vmcnt(0)
	v_mul_f64 v[76:77], s[2:3], v[76:77]
	v_cvt_f32_f64_e32 v76, v[76:77]
.LBB164_121:
	v_add_f64 v[77:78], v[20:21], v[68:69]
	v_add_f64 v[79:80], v[22:23], v[70:71]
	;; [unrolled: 1-line block ×7, first 2 shown]
	s_mov_b32 s6, -1
	v_cvt_f32_f64_e32 v91, v[77:78]
	v_cvt_f32_f64_e32 v79, v[79:80]
	;; [unrolled: 1-line block ×4, first 2 shown]
	v_add_f64 v[77:78], v[2:3], v[66:67]
	v_cvt_f32_f64_e32 v82, v[87:88]
	v_cvt_f32_f64_e32 v83, v[85:86]
	;; [unrolled: 1-line block ×3, first 2 shown]
	v_min3_f32 v79, v91, v79, v214
	v_min_f32_e32 v80, v80, v81
	v_cvt_f32_f64_e32 v77, v[77:78]
	v_min3_f32 v76, v76, v80, v79
	v_add_co_u32 v80, vcc_lo, v72, v160
	v_add_co_ci_u32_e64 v81, null, v73, v161, vcc_lo
	v_cvt_f64_f32_e32 v[78:79], v76
	v_min3_f32 v76, v82, v83, v209
	s_mov_b32 vcc_lo, s0
	v_min3_f32 v76, v84, v77, v76
	v_max_f32_e32 v77, v76, v76
	global_store_dwordx2 v[80:81], v[78:79], off
	s_cbranch_vccz .LBB164_123
; %bb.122:
	v_min_f32_e32 v76, 0, v77
	v_add_co_u32 v80, vcc_lo, v72, v166
	v_add_co_ci_u32_e64 v81, null, v73, v167, vcc_lo
	v_cvt_f64_f32_e32 v[78:79], v76
	s_mov_b32 s6, 0
	global_store_dwordx2 v[80:81], v[78:79], off
.LBB164_123:
	v_mov_b32_e32 v76, 0
	s_andn2_b32 vcc_lo, exec_lo, s6
	s_cbranch_vccnz .LBB164_125
; %bb.124:
	v_add_co_u32 v78, vcc_lo, v74, v166
	v_add_co_ci_u32_e64 v79, null, v75, v167, vcc_lo
	global_load_dwordx2 v[78:79], v[78:79], off
	s_waitcnt vmcnt(0)
	v_mul_f64 v[78:79], s[2:3], v[78:79]
	v_cvt_f32_f64_e32 v76, v[78:79]
	v_add_co_u32 v78, vcc_lo, v72, v166
	v_add_co_ci_u32_e64 v79, null, v73, v167, vcc_lo
	v_add_co_u32 v74, vcc_lo, v74, v164
	v_add_co_ci_u32_e64 v75, null, v75, v165, vcc_lo
	v_min_f32_e32 v76, v76, v77
	v_cvt_f64_f32_e32 v[76:77], v76
	global_store_dwordx2 v[78:79], v[76:77], off
	global_load_dwordx2 v[74:75], v[74:75], off
	s_waitcnt vmcnt(0)
	v_mul_f64 v[74:75], s[2:3], v[74:75]
	v_cvt_f32_f64_e32 v76, v[74:75]
.LBB164_125:
	v_add_f64 v[68:69], v[4:5], v[68:69]
	v_add_f64 v[70:71], v[6:7], v[70:71]
	;; [unrolled: 1-line block ×4, first 2 shown]
	s_waitcnt lgkmcnt(7)
	v_add_f64 v[74:75], v[30:31], v[62:63]
	v_add_f64 v[77:78], v[28:29], v[60:61]
	v_add_co_u32 v72, vcc_lo, v72, v164
	v_add_co_ci_u32_e64 v73, null, v73, v165, vcc_lo
	s_mov_b32 s6, -1
	v_cvt_f32_f64_e32 v68, v[68:69]
	v_cvt_f32_f64_e32 v69, v[70:71]
	;; [unrolled: 1-line block ×4, first 2 shown]
	s_waitcnt lgkmcnt(6)
	v_add_f64 v[64:65], v[24:25], v[56:57]
	v_add_f64 v[66:67], v[26:27], v[58:59]
	v_cvt_f32_f64_e32 v77, v[77:78]
	v_cvt_f32_f64_e32 v74, v[74:75]
	v_add_nc_u32_e32 v75, 0x60, v168
	v_min3_f32 v68, v68, v69, v207
	v_min_f32_e32 v69, v70, v71
	v_cvt_f32_f64_e32 v78, v[64:65]
	v_cvt_f32_f64_e32 v79, v[66:67]
	v_mad_i64_i32 v[64:65], null, v75, s9, 0
	v_min3_f32 v66, v76, v69, v68
	v_min3_f32 v68, v77, v74, v206
	v_cvt_f64_f32_e32 v[70:71], v66
	v_mad_i64_i32 v[66:67], null, v75, s1, 0
	v_lshlrev_b64 v[64:65], 3, v[64:65]
	v_add_co_u32 v64, vcc_lo, s4, v64
	v_lshlrev_b64 v[66:67], 3, v[66:67]
	v_add_co_ci_u32_e64 v65, null, s5, v65, vcc_lo
	v_min3_f32 v68, v78, v79, v68
	v_add_co_u32 v66, vcc_lo, s14, v66
	v_add_co_ci_u32_e64 v67, null, s15, v67, vcc_lo
	v_max_f32_e32 v69, v68, v68
	s_mov_b32 vcc_lo, s0
	global_store_dwordx2 v[72:73], v[70:71], off
	s_cbranch_vccz .LBB164_127
; %bb.126:
	v_min_f32_e32 v68, 0, v69
	v_add_co_u32 v72, vcc_lo, v64, v162
	v_add_co_ci_u32_e64 v73, null, v65, v163, vcc_lo
	v_cvt_f64_f32_e32 v[70:71], v68
	s_mov_b32 s6, 0
	global_store_dwordx2 v[72:73], v[70:71], off
.LBB164_127:
	v_mov_b32_e32 v68, 0
	s_andn2_b32 vcc_lo, exec_lo, s6
	s_cbranch_vccnz .LBB164_129
; %bb.128:
	v_add_co_u32 v70, vcc_lo, v66, v162
	v_add_co_ci_u32_e64 v71, null, v67, v163, vcc_lo
	global_load_dwordx2 v[70:71], v[70:71], off
	s_waitcnt vmcnt(0)
	v_mul_f64 v[70:71], s[2:3], v[70:71]
	v_cvt_f32_f64_e32 v68, v[70:71]
	v_add_co_u32 v70, vcc_lo, v64, v162
	v_add_co_ci_u32_e64 v71, null, v65, v163, vcc_lo
	v_add_co_u32 v72, vcc_lo, v66, v160
	v_add_co_ci_u32_e64 v73, null, v67, v161, vcc_lo
	v_min_f32_e32 v68, v68, v69
	v_cvt_f64_f32_e32 v[68:69], v68
	global_store_dwordx2 v[70:71], v[68:69], off
	global_load_dwordx2 v[68:69], v[72:73], off
	s_waitcnt vmcnt(0)
	v_mul_f64 v[68:69], s[2:3], v[68:69]
	v_cvt_f32_f64_e32 v68, v[68:69]
.LBB164_129:
	v_add_f64 v[69:70], v[20:21], v[60:61]
	v_add_f64 v[71:72], v[22:23], v[62:63]
	;; [unrolled: 1-line block ×7, first 2 shown]
	s_mov_b32 s6, -1
	v_cvt_f32_f64_e32 v83, v[69:70]
	v_cvt_f32_f64_e32 v71, v[71:72]
	;; [unrolled: 1-line block ×4, first 2 shown]
	v_add_f64 v[69:70], v[2:3], v[58:59]
	v_cvt_f32_f64_e32 v74, v[79:80]
	v_cvt_f32_f64_e32 v75, v[77:78]
	;; [unrolled: 1-line block ×3, first 2 shown]
	v_min3_f32 v71, v83, v71, v204
	v_min_f32_e32 v72, v72, v73
	v_cvt_f32_f64_e32 v69, v[69:70]
	v_min3_f32 v68, v68, v72, v71
	v_add_co_u32 v72, vcc_lo, v64, v160
	v_add_co_ci_u32_e64 v73, null, v65, v161, vcc_lo
	v_cvt_f64_f32_e32 v[70:71], v68
	v_min3_f32 v68, v74, v75, v205
	s_mov_b32 vcc_lo, s0
	v_min3_f32 v68, v76, v69, v68
	v_max_f32_e32 v69, v68, v68
	global_store_dwordx2 v[72:73], v[70:71], off
	s_cbranch_vccz .LBB164_131
; %bb.130:
	v_min_f32_e32 v68, 0, v69
	v_add_co_u32 v72, vcc_lo, v64, v166
	v_add_co_ci_u32_e64 v73, null, v65, v167, vcc_lo
	v_cvt_f64_f32_e32 v[70:71], v68
	s_mov_b32 s6, 0
	global_store_dwordx2 v[72:73], v[70:71], off
.LBB164_131:
	v_mov_b32_e32 v68, 0
	s_andn2_b32 vcc_lo, exec_lo, s6
	s_cbranch_vccnz .LBB164_133
; %bb.132:
	v_add_co_u32 v70, vcc_lo, v66, v166
	v_add_co_ci_u32_e64 v71, null, v67, v167, vcc_lo
	global_load_dwordx2 v[70:71], v[70:71], off
	s_waitcnt vmcnt(0)
	v_mul_f64 v[70:71], s[2:3], v[70:71]
	v_cvt_f32_f64_e32 v68, v[70:71]
	v_add_co_u32 v70, vcc_lo, v64, v166
	v_add_co_ci_u32_e64 v71, null, v65, v167, vcc_lo
	v_add_co_u32 v66, vcc_lo, v66, v164
	v_add_co_ci_u32_e64 v67, null, v67, v165, vcc_lo
	v_min_f32_e32 v68, v68, v69
	v_cvt_f64_f32_e32 v[68:69], v68
	global_store_dwordx2 v[70:71], v[68:69], off
	global_load_dwordx2 v[66:67], v[66:67], off
	s_waitcnt vmcnt(0)
	v_mul_f64 v[66:67], s[2:3], v[66:67]
	v_cvt_f32_f64_e32 v68, v[66:67]
.LBB164_133:
	v_add_f64 v[60:61], v[4:5], v[60:61]
	v_add_f64 v[62:63], v[6:7], v[62:63]
	;; [unrolled: 1-line block ×4, first 2 shown]
	s_waitcnt lgkmcnt(5)
	v_add_f64 v[66:67], v[30:31], v[54:55]
	v_add_f64 v[69:70], v[28:29], v[52:53]
	v_add_co_u32 v64, vcc_lo, v64, v164
	v_add_co_ci_u32_e64 v65, null, v65, v165, vcc_lo
	s_mov_b32 s6, -1
	v_cvt_f32_f64_e32 v60, v[60:61]
	v_cvt_f32_f64_e32 v61, v[62:63]
	;; [unrolled: 1-line block ×4, first 2 shown]
	s_waitcnt lgkmcnt(4)
	v_add_f64 v[56:57], v[24:25], v[48:49]
	v_add_f64 v[58:59], v[26:27], v[50:51]
	v_cvt_f32_f64_e32 v69, v[69:70]
	v_cvt_f32_f64_e32 v66, v[66:67]
	v_add_nc_u32_e32 v67, 0x68, v168
	v_min3_f32 v60, v60, v61, v203
	v_min_f32_e32 v61, v62, v63
	v_cvt_f32_f64_e32 v70, v[56:57]
	v_cvt_f32_f64_e32 v71, v[58:59]
	v_mad_i64_i32 v[56:57], null, v67, s9, 0
	v_min3_f32 v58, v68, v61, v60
	v_min3_f32 v60, v69, v66, v202
	v_cvt_f64_f32_e32 v[62:63], v58
	v_mad_i64_i32 v[58:59], null, v67, s1, 0
	v_lshlrev_b64 v[56:57], 3, v[56:57]
	v_add_co_u32 v56, vcc_lo, s4, v56
	v_lshlrev_b64 v[58:59], 3, v[58:59]
	v_add_co_ci_u32_e64 v57, null, s5, v57, vcc_lo
	v_min3_f32 v60, v70, v71, v60
	v_add_co_u32 v58, vcc_lo, s14, v58
	v_add_co_ci_u32_e64 v59, null, s15, v59, vcc_lo
	v_max_f32_e32 v61, v60, v60
	s_mov_b32 vcc_lo, s0
	global_store_dwordx2 v[64:65], v[62:63], off
	s_cbranch_vccz .LBB164_135
; %bb.134:
	v_min_f32_e32 v60, 0, v61
	v_add_co_u32 v64, vcc_lo, v56, v162
	v_add_co_ci_u32_e64 v65, null, v57, v163, vcc_lo
	v_cvt_f64_f32_e32 v[62:63], v60
	s_mov_b32 s6, 0
	global_store_dwordx2 v[64:65], v[62:63], off
.LBB164_135:
	v_mov_b32_e32 v60, 0
	s_andn2_b32 vcc_lo, exec_lo, s6
	s_cbranch_vccnz .LBB164_137
; %bb.136:
	v_add_co_u32 v62, vcc_lo, v58, v162
	v_add_co_ci_u32_e64 v63, null, v59, v163, vcc_lo
	global_load_dwordx2 v[62:63], v[62:63], off
	s_waitcnt vmcnt(0)
	v_mul_f64 v[62:63], s[2:3], v[62:63]
	v_cvt_f32_f64_e32 v60, v[62:63]
	v_add_co_u32 v62, vcc_lo, v56, v162
	v_add_co_ci_u32_e64 v63, null, v57, v163, vcc_lo
	v_add_co_u32 v64, vcc_lo, v58, v160
	v_add_co_ci_u32_e64 v65, null, v59, v161, vcc_lo
	v_min_f32_e32 v60, v60, v61
	v_cvt_f64_f32_e32 v[60:61], v60
	global_store_dwordx2 v[62:63], v[60:61], off
	global_load_dwordx2 v[60:61], v[64:65], off
	s_waitcnt vmcnt(0)
	v_mul_f64 v[60:61], s[2:3], v[60:61]
	v_cvt_f32_f64_e32 v60, v[60:61]
.LBB164_137:
	v_add_f64 v[61:62], v[20:21], v[52:53]
	v_add_f64 v[63:64], v[22:23], v[54:55]
	;; [unrolled: 1-line block ×7, first 2 shown]
	s_mov_b32 s6, -1
	v_cvt_f32_f64_e32 v75, v[61:62]
	v_cvt_f32_f64_e32 v63, v[63:64]
	;; [unrolled: 1-line block ×4, first 2 shown]
	v_add_f64 v[61:62], v[2:3], v[50:51]
	v_cvt_f32_f64_e32 v66, v[71:72]
	v_cvt_f32_f64_e32 v67, v[69:70]
	;; [unrolled: 1-line block ×3, first 2 shown]
	v_min3_f32 v63, v75, v63, v200
	v_min_f32_e32 v64, v64, v65
	v_cvt_f32_f64_e32 v61, v[61:62]
	v_min3_f32 v60, v60, v64, v63
	v_add_co_u32 v64, vcc_lo, v56, v160
	v_add_co_ci_u32_e64 v65, null, v57, v161, vcc_lo
	v_cvt_f64_f32_e32 v[62:63], v60
	v_min3_f32 v60, v66, v67, v201
	s_mov_b32 vcc_lo, s0
	v_min3_f32 v60, v68, v61, v60
	v_max_f32_e32 v61, v60, v60
	global_store_dwordx2 v[64:65], v[62:63], off
	s_cbranch_vccz .LBB164_139
; %bb.138:
	v_min_f32_e32 v60, 0, v61
	v_add_co_u32 v64, vcc_lo, v56, v166
	v_add_co_ci_u32_e64 v65, null, v57, v167, vcc_lo
	v_cvt_f64_f32_e32 v[62:63], v60
	s_mov_b32 s6, 0
	global_store_dwordx2 v[64:65], v[62:63], off
.LBB164_139:
	v_mov_b32_e32 v60, 0
	s_andn2_b32 vcc_lo, exec_lo, s6
	s_cbranch_vccnz .LBB164_141
; %bb.140:
	v_add_co_u32 v62, vcc_lo, v58, v166
	v_add_co_ci_u32_e64 v63, null, v59, v167, vcc_lo
	global_load_dwordx2 v[62:63], v[62:63], off
	s_waitcnt vmcnt(0)
	v_mul_f64 v[62:63], s[2:3], v[62:63]
	v_cvt_f32_f64_e32 v60, v[62:63]
	v_add_co_u32 v62, vcc_lo, v56, v166
	v_add_co_ci_u32_e64 v63, null, v57, v167, vcc_lo
	v_add_co_u32 v58, vcc_lo, v58, v164
	v_add_co_ci_u32_e64 v59, null, v59, v165, vcc_lo
	v_min_f32_e32 v60, v60, v61
	v_cvt_f64_f32_e32 v[60:61], v60
	global_store_dwordx2 v[62:63], v[60:61], off
	global_load_dwordx2 v[58:59], v[58:59], off
	s_waitcnt vmcnt(0)
	v_mul_f64 v[58:59], s[2:3], v[58:59]
	v_cvt_f32_f64_e32 v60, v[58:59]
.LBB164_141:
	v_add_f64 v[52:53], v[4:5], v[52:53]
	v_add_f64 v[54:55], v[6:7], v[54:55]
	;; [unrolled: 1-line block ×4, first 2 shown]
	s_waitcnt lgkmcnt(3)
	v_add_f64 v[58:59], v[30:31], v[46:47]
	v_add_f64 v[61:62], v[28:29], v[44:45]
	v_add_co_u32 v56, vcc_lo, v56, v164
	v_add_co_ci_u32_e64 v57, null, v57, v165, vcc_lo
	s_mov_b32 s6, -1
	v_cvt_f32_f64_e32 v52, v[52:53]
	v_cvt_f32_f64_e32 v53, v[54:55]
	v_cvt_f32_f64_e32 v54, v[48:49]
	v_cvt_f32_f64_e32 v55, v[50:51]
	s_waitcnt lgkmcnt(2)
	v_add_f64 v[48:49], v[24:25], v[40:41]
	v_add_f64 v[50:51], v[26:27], v[42:43]
	v_cvt_f32_f64_e32 v61, v[61:62]
	v_cvt_f32_f64_e32 v58, v[58:59]
	v_add_nc_u32_e32 v59, 0x70, v168
	v_min3_f32 v52, v52, v53, v190
	v_min_f32_e32 v53, v54, v55
	v_cvt_f32_f64_e32 v62, v[48:49]
	v_cvt_f32_f64_e32 v63, v[50:51]
	v_mad_i64_i32 v[48:49], null, v59, s9, 0
	v_min3_f32 v50, v60, v53, v52
	v_min3_f32 v52, v61, v58, v189
	v_cvt_f64_f32_e32 v[54:55], v50
	v_mad_i64_i32 v[50:51], null, v59, s1, 0
	v_lshlrev_b64 v[48:49], 3, v[48:49]
	v_add_co_u32 v48, vcc_lo, s4, v48
	v_lshlrev_b64 v[50:51], 3, v[50:51]
	v_add_co_ci_u32_e64 v49, null, s5, v49, vcc_lo
	v_min3_f32 v52, v62, v63, v52
	v_add_co_u32 v50, vcc_lo, s14, v50
	v_add_co_ci_u32_e64 v51, null, s15, v51, vcc_lo
	v_max_f32_e32 v53, v52, v52
	s_mov_b32 vcc_lo, s0
	global_store_dwordx2 v[56:57], v[54:55], off
	s_cbranch_vccz .LBB164_143
; %bb.142:
	v_min_f32_e32 v52, 0, v53
	v_add_co_u32 v56, vcc_lo, v48, v162
	v_add_co_ci_u32_e64 v57, null, v49, v163, vcc_lo
	v_cvt_f64_f32_e32 v[54:55], v52
	s_mov_b32 s6, 0
	global_store_dwordx2 v[56:57], v[54:55], off
.LBB164_143:
	v_mov_b32_e32 v52, 0
	s_andn2_b32 vcc_lo, exec_lo, s6
	s_cbranch_vccnz .LBB164_145
; %bb.144:
	v_add_co_u32 v54, vcc_lo, v50, v162
	v_add_co_ci_u32_e64 v55, null, v51, v163, vcc_lo
	global_load_dwordx2 v[54:55], v[54:55], off
	s_waitcnt vmcnt(0)
	v_mul_f64 v[54:55], s[2:3], v[54:55]
	v_cvt_f32_f64_e32 v52, v[54:55]
	v_add_co_u32 v54, vcc_lo, v48, v162
	v_add_co_ci_u32_e64 v55, null, v49, v163, vcc_lo
	v_add_co_u32 v56, vcc_lo, v50, v160
	v_add_co_ci_u32_e64 v57, null, v51, v161, vcc_lo
	v_min_f32_e32 v52, v52, v53
	v_cvt_f64_f32_e32 v[52:53], v52
	global_store_dwordx2 v[54:55], v[52:53], off
	global_load_dwordx2 v[52:53], v[56:57], off
	s_waitcnt vmcnt(0)
	v_mul_f64 v[52:53], s[2:3], v[52:53]
	v_cvt_f32_f64_e32 v52, v[52:53]
.LBB164_145:
	v_add_f64 v[53:54], v[20:21], v[44:45]
	v_add_f64 v[55:56], v[22:23], v[46:47]
	;; [unrolled: 1-line block ×7, first 2 shown]
	s_mov_b32 s6, -1
	v_cvt_f32_f64_e32 v67, v[53:54]
	v_cvt_f32_f64_e32 v55, v[55:56]
	;; [unrolled: 1-line block ×4, first 2 shown]
	v_add_f64 v[53:54], v[2:3], v[42:43]
	v_cvt_f32_f64_e32 v58, v[63:64]
	v_cvt_f32_f64_e32 v59, v[61:62]
	;; [unrolled: 1-line block ×3, first 2 shown]
	v_min3_f32 v55, v67, v55, v186
	v_min_f32_e32 v56, v56, v57
	v_cvt_f32_f64_e32 v53, v[53:54]
	v_min3_f32 v52, v52, v56, v55
	v_add_co_u32 v56, vcc_lo, v48, v160
	v_add_co_ci_u32_e64 v57, null, v49, v161, vcc_lo
	v_cvt_f64_f32_e32 v[54:55], v52
	v_min3_f32 v52, v58, v59, v187
	s_mov_b32 vcc_lo, s0
	v_min3_f32 v52, v60, v53, v52
	v_max_f32_e32 v53, v52, v52
	global_store_dwordx2 v[56:57], v[54:55], off
	s_cbranch_vccz .LBB164_147
; %bb.146:
	v_min_f32_e32 v52, 0, v53
	v_add_co_u32 v56, vcc_lo, v48, v166
	v_add_co_ci_u32_e64 v57, null, v49, v167, vcc_lo
	v_cvt_f64_f32_e32 v[54:55], v52
	s_mov_b32 s6, 0
	global_store_dwordx2 v[56:57], v[54:55], off
.LBB164_147:
	v_mov_b32_e32 v52, 0
	s_andn2_b32 vcc_lo, exec_lo, s6
	s_cbranch_vccnz .LBB164_149
; %bb.148:
	v_add_co_u32 v54, vcc_lo, v50, v166
	v_add_co_ci_u32_e64 v55, null, v51, v167, vcc_lo
	global_load_dwordx2 v[54:55], v[54:55], off
	s_waitcnt vmcnt(0)
	v_mul_f64 v[54:55], s[2:3], v[54:55]
	v_cvt_f32_f64_e32 v52, v[54:55]
	v_add_co_u32 v54, vcc_lo, v48, v166
	v_add_co_ci_u32_e64 v55, null, v49, v167, vcc_lo
	v_add_co_u32 v50, vcc_lo, v50, v164
	v_add_co_ci_u32_e64 v51, null, v51, v165, vcc_lo
	v_min_f32_e32 v52, v52, v53
	v_cvt_f64_f32_e32 v[52:53], v52
	global_store_dwordx2 v[54:55], v[52:53], off
	global_load_dwordx2 v[50:51], v[50:51], off
	s_waitcnt vmcnt(0)
	v_mul_f64 v[50:51], s[2:3], v[50:51]
	v_cvt_f32_f64_e32 v52, v[50:51]
.LBB164_149:
	v_add_f64 v[44:45], v[4:5], v[44:45]
	v_add_f64 v[46:47], v[6:7], v[46:47]
	;; [unrolled: 1-line block ×4, first 2 shown]
	s_waitcnt lgkmcnt(1)
	v_add_f64 v[30:31], v[30:31], v[34:35]
	v_add_f64 v[28:29], v[28:29], v[32:33]
	s_waitcnt lgkmcnt(0)
	v_add_f64 v[24:25], v[24:25], v[36:37]
	v_add_f64 v[26:27], v[26:27], v[38:39]
	v_cvt_f32_f64_e32 v44, v[44:45]
	v_cvt_f32_f64_e32 v45, v[46:47]
	;; [unrolled: 1-line block ×8, first 2 shown]
	v_min3_f32 v30, v44, v45, v185
	v_min_f32_e32 v31, v40, v41
	v_add_nc_u32_e32 v40, 0x78, v168
	v_min3_f32 v28, v28, v29, v184
	v_min3_f32 v26, v52, v31, v30
	v_mad_i64_i32 v[24:25], null, v40, s9, 0
	v_min3_f32 v28, v42, v43, v28
	v_cvt_f64_f32_e32 v[30:31], v26
	v_mad_i64_i32 v[26:27], null, v40, s1, 0
	v_add_co_u32 v40, vcc_lo, v48, v164
	v_lshlrev_b64 v[24:25], 3, v[24:25]
	v_add_co_ci_u32_e64 v41, null, v49, v165, vcc_lo
	v_max_f32_e32 v29, v28, v28
	v_lshlrev_b64 v[26:27], 3, v[26:27]
	s_mov_b32 s1, -1
	v_add_co_u32 v24, vcc_lo, s4, v24
	v_add_co_ci_u32_e64 v25, null, s5, v25, vcc_lo
	v_add_co_u32 v26, vcc_lo, s14, v26
	v_add_co_ci_u32_e64 v27, null, s15, v27, vcc_lo
	s_mov_b32 vcc_lo, s0
	global_store_dwordx2 v[40:41], v[30:31], off
	s_cbranch_vccz .LBB164_151
; %bb.150:
	v_min_f32_e32 v28, 0, v29
	v_add_co_u32 v40, vcc_lo, v24, v162
	v_add_co_ci_u32_e64 v41, null, v25, v163, vcc_lo
	v_cvt_f64_f32_e32 v[30:31], v28
	s_mov_b32 s1, 0
	global_store_dwordx2 v[40:41], v[30:31], off
.LBB164_151:
	v_mov_b32_e32 v28, 0
	s_andn2_b32 vcc_lo, exec_lo, s1
	s_cbranch_vccnz .LBB164_153
; %bb.152:
	v_add_co_u32 v30, vcc_lo, v26, v162
	v_add_co_ci_u32_e64 v31, null, v27, v163, vcc_lo
	global_load_dwordx2 v[30:31], v[30:31], off
	s_waitcnt vmcnt(0)
	v_mul_f64 v[30:31], s[2:3], v[30:31]
	v_cvt_f32_f64_e32 v28, v[30:31]
	v_add_co_u32 v30, vcc_lo, v24, v162
	v_add_co_ci_u32_e64 v31, null, v25, v163, vcc_lo
	v_add_co_u32 v40, vcc_lo, v26, v160
	v_add_co_ci_u32_e64 v41, null, v27, v161, vcc_lo
	v_min_f32_e32 v28, v28, v29
	v_cvt_f64_f32_e32 v[28:29], v28
	global_store_dwordx2 v[30:31], v[28:29], off
	global_load_dwordx2 v[28:29], v[40:41], off
	s_waitcnt vmcnt(0)
	v_mul_f64 v[28:29], s[2:3], v[28:29]
	v_cvt_f32_f64_e32 v28, v[28:29]
.LBB164_153:
	v_add_f64 v[20:21], v[20:21], v[32:33]
	v_add_f64 v[22:23], v[22:23], v[34:35]
	;; [unrolled: 1-line block ×8, first 2 shown]
	s_mov_b32 s1, -1
	v_cvt_f32_f64_e32 v20, v[20:21]
	v_cvt_f32_f64_e32 v21, v[22:23]
	;; [unrolled: 1-line block ×8, first 2 shown]
	v_min3_f32 v1, v20, v21, v183
	v_min_f32_e32 v10, v12, v13
	v_min3_f32 v1, v28, v10, v1
	v_cvt_f64_f32_e32 v[2:3], v1
	v_min3_f32 v1, v8, v9, v182
	v_add_co_u32 v8, vcc_lo, v24, v160
	v_add_co_ci_u32_e64 v9, null, v25, v161, vcc_lo
	v_min3_f32 v0, v0, v11, v1
	s_mov_b32 vcc_lo, s0
	v_max_f32_e32 v1, v0, v0
	global_store_dwordx2 v[8:9], v[2:3], off
	s_cbranch_vccz .LBB164_155
; %bb.154:
	v_min_f32_e32 v0, 0, v1
	v_add_co_u32 v8, vcc_lo, v24, v166
	v_add_co_ci_u32_e64 v9, null, v25, v167, vcc_lo
	v_cvt_f64_f32_e32 v[2:3], v0
	s_mov_b32 s1, 0
	global_store_dwordx2 v[8:9], v[2:3], off
.LBB164_155:
	v_mov_b32_e32 v0, 0
	s_andn2_b32 vcc_lo, exec_lo, s1
	s_cbranch_vccnz .LBB164_157
; %bb.156:
	v_add_co_u32 v2, vcc_lo, v26, v166
	v_add_co_ci_u32_e64 v3, null, v27, v167, vcc_lo
	global_load_dwordx2 v[2:3], v[2:3], off
	s_waitcnt vmcnt(0)
	v_mul_f64 v[2:3], s[2:3], v[2:3]
	v_cvt_f32_f64_e32 v0, v[2:3]
	v_add_co_u32 v2, vcc_lo, v24, v166
	v_add_co_ci_u32_e64 v3, null, v25, v167, vcc_lo
	v_add_co_u32 v8, vcc_lo, v26, v164
	v_add_co_ci_u32_e64 v9, null, v27, v165, vcc_lo
	v_min_f32_e32 v0, v0, v1
	v_cvt_f64_f32_e32 v[0:1], v0
	global_store_dwordx2 v[2:3], v[0:1], off
	global_load_dwordx2 v[0:1], v[8:9], off
	s_waitcnt vmcnt(0)
	v_mul_f64 v[0:1], s[2:3], v[0:1]
	v_cvt_f32_f64_e32 v0, v[0:1]
.LBB164_157:
	v_add_f64 v[1:2], v[16:17], v[36:37]
	v_add_f64 v[8:9], v[18:19], v[38:39]
	v_add_f64 v[3:4], v[4:5], v[32:33]
	v_add_f64 v[5:6], v[6:7], v[34:35]
	v_cvt_f32_f64_e32 v1, v[1:2]
	v_cvt_f32_f64_e32 v2, v[8:9]
	v_cvt_f32_f64_e32 v3, v[3:4]
	v_cvt_f32_f64_e32 v4, v[5:6]
	v_min_f32_e32 v1, v1, v2
	v_min3_f32 v2, v3, v4, v181
	v_min3_f32 v0, v0, v1, v2
	v_add_co_u32 v2, vcc_lo, v24, v164
	v_add_co_ci_u32_e64 v3, null, v25, v165, vcc_lo
	v_cvt_f64_f32_e32 v[0:1], v0
	global_store_dwordx2 v[2:3], v[0:1], off
	s_endpgm
	.section	.rodata,"a",@progbits
	.p2align	6, 0x0
	.amdhsa_kernel _ZN12_GLOBAL__N_120geam_min_plus_kernelId15HIP_vector_typeIdLj2EEdLi32ELi8ELi128ELi128ELi4ELi4ELi64ELi4ELi64ELc84ELc78ELb0ELb0ELb1EdKddEEviiiT16_PT17_ilS6_ilS4_S6_ilPT18_ili26rocblas_geam_ex_operation_
		.amdhsa_group_segment_fixed_size 16384
		.amdhsa_private_segment_fixed_size 184
		.amdhsa_kernarg_size 136
		.amdhsa_user_sgpr_count 6
		.amdhsa_user_sgpr_private_segment_buffer 1
		.amdhsa_user_sgpr_dispatch_ptr 0
		.amdhsa_user_sgpr_queue_ptr 0
		.amdhsa_user_sgpr_kernarg_segment_ptr 1
		.amdhsa_user_sgpr_dispatch_id 0
		.amdhsa_user_sgpr_flat_scratch_init 0
		.amdhsa_user_sgpr_private_segment_size 0
		.amdhsa_wavefront_size32 1
		.amdhsa_uses_dynamic_stack 0
		.amdhsa_system_sgpr_private_segment_wavefront_offset 1
		.amdhsa_system_sgpr_workgroup_id_x 1
		.amdhsa_system_sgpr_workgroup_id_y 0
		.amdhsa_system_sgpr_workgroup_id_z 1
		.amdhsa_system_sgpr_workgroup_info 0
		.amdhsa_system_vgpr_workitem_id 1
		.amdhsa_next_free_vgpr 256
		.amdhsa_next_free_sgpr 28
		.amdhsa_reserve_vcc 1
		.amdhsa_reserve_flat_scratch 0
		.amdhsa_float_round_mode_32 0
		.amdhsa_float_round_mode_16_64 0
		.amdhsa_float_denorm_mode_32 3
		.amdhsa_float_denorm_mode_16_64 3
		.amdhsa_dx10_clamp 1
		.amdhsa_ieee_mode 1
		.amdhsa_fp16_overflow 0
		.amdhsa_workgroup_processor_mode 1
		.amdhsa_memory_ordered 1
		.amdhsa_forward_progress 1
		.amdhsa_shared_vgpr_count 0
		.amdhsa_exception_fp_ieee_invalid_op 0
		.amdhsa_exception_fp_denorm_src 0
		.amdhsa_exception_fp_ieee_div_zero 0
		.amdhsa_exception_fp_ieee_overflow 0
		.amdhsa_exception_fp_ieee_underflow 0
		.amdhsa_exception_fp_ieee_inexact 0
		.amdhsa_exception_int_div_zero 0
	.end_amdhsa_kernel
	.section	.text._ZN12_GLOBAL__N_120geam_min_plus_kernelId15HIP_vector_typeIdLj2EEdLi32ELi8ELi128ELi128ELi4ELi4ELi64ELi4ELi64ELc84ELc78ELb0ELb0ELb1EdKddEEviiiT16_PT17_ilS6_ilS4_S6_ilPT18_ili26rocblas_geam_ex_operation_,"axG",@progbits,_ZN12_GLOBAL__N_120geam_min_plus_kernelId15HIP_vector_typeIdLj2EEdLi32ELi8ELi128ELi128ELi4ELi4ELi64ELi4ELi64ELc84ELc78ELb0ELb0ELb1EdKddEEviiiT16_PT17_ilS6_ilS4_S6_ilPT18_ili26rocblas_geam_ex_operation_,comdat
.Lfunc_end164:
	.size	_ZN12_GLOBAL__N_120geam_min_plus_kernelId15HIP_vector_typeIdLj2EEdLi32ELi8ELi128ELi128ELi4ELi4ELi64ELi4ELi64ELc84ELc78ELb0ELb0ELb1EdKddEEviiiT16_PT17_ilS6_ilS4_S6_ilPT18_ili26rocblas_geam_ex_operation_, .Lfunc_end164-_ZN12_GLOBAL__N_120geam_min_plus_kernelId15HIP_vector_typeIdLj2EEdLi32ELi8ELi128ELi128ELi4ELi4ELi64ELi4ELi64ELc84ELc78ELb0ELb0ELb1EdKddEEviiiT16_PT17_ilS6_ilS4_S6_ilPT18_ili26rocblas_geam_ex_operation_
                                        ; -- End function
	.set _ZN12_GLOBAL__N_120geam_min_plus_kernelId15HIP_vector_typeIdLj2EEdLi32ELi8ELi128ELi128ELi4ELi4ELi64ELi4ELi64ELc84ELc78ELb0ELb0ELb1EdKddEEviiiT16_PT17_ilS6_ilS4_S6_ilPT18_ili26rocblas_geam_ex_operation_.num_vgpr, 256
	.set _ZN12_GLOBAL__N_120geam_min_plus_kernelId15HIP_vector_typeIdLj2EEdLi32ELi8ELi128ELi128ELi4ELi4ELi64ELi4ELi64ELc84ELc78ELb0ELb0ELb1EdKddEEviiiT16_PT17_ilS6_ilS4_S6_ilPT18_ili26rocblas_geam_ex_operation_.num_agpr, 0
	.set _ZN12_GLOBAL__N_120geam_min_plus_kernelId15HIP_vector_typeIdLj2EEdLi32ELi8ELi128ELi128ELi4ELi4ELi64ELi4ELi64ELc84ELc78ELb0ELb0ELb1EdKddEEviiiT16_PT17_ilS6_ilS4_S6_ilPT18_ili26rocblas_geam_ex_operation_.numbered_sgpr, 28
	.set _ZN12_GLOBAL__N_120geam_min_plus_kernelId15HIP_vector_typeIdLj2EEdLi32ELi8ELi128ELi128ELi4ELi4ELi64ELi4ELi64ELc84ELc78ELb0ELb0ELb1EdKddEEviiiT16_PT17_ilS6_ilS4_S6_ilPT18_ili26rocblas_geam_ex_operation_.num_named_barrier, 0
	.set _ZN12_GLOBAL__N_120geam_min_plus_kernelId15HIP_vector_typeIdLj2EEdLi32ELi8ELi128ELi128ELi4ELi4ELi64ELi4ELi64ELc84ELc78ELb0ELb0ELb1EdKddEEviiiT16_PT17_ilS6_ilS4_S6_ilPT18_ili26rocblas_geam_ex_operation_.private_seg_size, 184
	.set _ZN12_GLOBAL__N_120geam_min_plus_kernelId15HIP_vector_typeIdLj2EEdLi32ELi8ELi128ELi128ELi4ELi4ELi64ELi4ELi64ELc84ELc78ELb0ELb0ELb1EdKddEEviiiT16_PT17_ilS6_ilS4_S6_ilPT18_ili26rocblas_geam_ex_operation_.uses_vcc, 1
	.set _ZN12_GLOBAL__N_120geam_min_plus_kernelId15HIP_vector_typeIdLj2EEdLi32ELi8ELi128ELi128ELi4ELi4ELi64ELi4ELi64ELc84ELc78ELb0ELb0ELb1EdKddEEviiiT16_PT17_ilS6_ilS4_S6_ilPT18_ili26rocblas_geam_ex_operation_.uses_flat_scratch, 0
	.set _ZN12_GLOBAL__N_120geam_min_plus_kernelId15HIP_vector_typeIdLj2EEdLi32ELi8ELi128ELi128ELi4ELi4ELi64ELi4ELi64ELc84ELc78ELb0ELb0ELb1EdKddEEviiiT16_PT17_ilS6_ilS4_S6_ilPT18_ili26rocblas_geam_ex_operation_.has_dyn_sized_stack, 0
	.set _ZN12_GLOBAL__N_120geam_min_plus_kernelId15HIP_vector_typeIdLj2EEdLi32ELi8ELi128ELi128ELi4ELi4ELi64ELi4ELi64ELc84ELc78ELb0ELb0ELb1EdKddEEviiiT16_PT17_ilS6_ilS4_S6_ilPT18_ili26rocblas_geam_ex_operation_.has_recursion, 0
	.set _ZN12_GLOBAL__N_120geam_min_plus_kernelId15HIP_vector_typeIdLj2EEdLi32ELi8ELi128ELi128ELi4ELi4ELi64ELi4ELi64ELc84ELc78ELb0ELb0ELb1EdKddEEviiiT16_PT17_ilS6_ilS4_S6_ilPT18_ili26rocblas_geam_ex_operation_.has_indirect_call, 0
	.section	.AMDGPU.csdata,"",@progbits
; Kernel info:
; codeLenInByte = 28952
; TotalNumSgprs: 30
; NumVgprs: 256
; ScratchSize: 184
; MemoryBound: 0
; FloatMode: 240
; IeeeMode: 1
; LDSByteSize: 16384 bytes/workgroup (compile time only)
; SGPRBlocks: 0
; VGPRBlocks: 31
; NumSGPRsForWavesPerEU: 30
; NumVGPRsForWavesPerEU: 256
; Occupancy: 4
; WaveLimiterHint : 0
; COMPUTE_PGM_RSRC2:SCRATCH_EN: 1
; COMPUTE_PGM_RSRC2:USER_SGPR: 6
; COMPUTE_PGM_RSRC2:TRAP_HANDLER: 0
; COMPUTE_PGM_RSRC2:TGID_X_EN: 1
; COMPUTE_PGM_RSRC2:TGID_Y_EN: 0
; COMPUTE_PGM_RSRC2:TGID_Z_EN: 1
; COMPUTE_PGM_RSRC2:TIDIG_COMP_CNT: 1
	.section	.text._ZN12_GLOBAL__N_120geam_min_plus_kernelId15HIP_vector_typeIdLj2EEdLi32ELi8ELi128ELi128ELi4ELi4ELi64ELi4ELi64ELc84ELc78ELb0ELb1ELb1EPKdS3_dEEviiiT16_PT17_ilS7_ilS5_S7_ilPT18_ili26rocblas_geam_ex_operation_,"axG",@progbits,_ZN12_GLOBAL__N_120geam_min_plus_kernelId15HIP_vector_typeIdLj2EEdLi32ELi8ELi128ELi128ELi4ELi4ELi64ELi4ELi64ELc84ELc78ELb0ELb1ELb1EPKdS3_dEEviiiT16_PT17_ilS7_ilS5_S7_ilPT18_ili26rocblas_geam_ex_operation_,comdat
	.globl	_ZN12_GLOBAL__N_120geam_min_plus_kernelId15HIP_vector_typeIdLj2EEdLi32ELi8ELi128ELi128ELi4ELi4ELi64ELi4ELi64ELc84ELc78ELb0ELb1ELb1EPKdS3_dEEviiiT16_PT17_ilS7_ilS5_S7_ilPT18_ili26rocblas_geam_ex_operation_ ; -- Begin function _ZN12_GLOBAL__N_120geam_min_plus_kernelId15HIP_vector_typeIdLj2EEdLi32ELi8ELi128ELi128ELi4ELi4ELi64ELi4ELi64ELc84ELc78ELb0ELb1ELb1EPKdS3_dEEviiiT16_PT17_ilS7_ilS5_S7_ilPT18_ili26rocblas_geam_ex_operation_
	.p2align	8
	.type	_ZN12_GLOBAL__N_120geam_min_plus_kernelId15HIP_vector_typeIdLj2EEdLi32ELi8ELi128ELi128ELi4ELi4ELi64ELi4ELi64ELc84ELc78ELb0ELb1ELb1EPKdS3_dEEviiiT16_PT17_ilS7_ilS5_S7_ilPT18_ili26rocblas_geam_ex_operation_,@function
_ZN12_GLOBAL__N_120geam_min_plus_kernelId15HIP_vector_typeIdLj2EEdLi32ELi8ELi128ELi128ELi4ELi4ELi64ELi4ELi64ELc84ELc78ELb0ELb1ELb1EPKdS3_dEEviiiT16_PT17_ilS7_ilS5_S7_ilPT18_ili26rocblas_geam_ex_operation_: ; @_ZN12_GLOBAL__N_120geam_min_plus_kernelId15HIP_vector_typeIdLj2EEdLi32ELi8ELi128ELi128ELi4ELi4ELi64ELi4ELi64ELc84ELc78ELb0ELb1ELb1EPKdS3_dEEviiiT16_PT17_ilS7_ilS5_S7_ilPT18_ili26rocblas_geam_ex_operation_
; %bb.0:
	s_load_dwordx4 s[12:15], s[4:5], 0x10
	s_mov_b64 s[38:39], s[2:3]
	s_mov_b64 s[36:37], s[0:1]
	s_mov_b32 s20, s7
	s_mov_b32 s21, 0
	s_add_u32 s36, s36, s8
	s_addc_u32 s37, s37, 0
	s_lshl_b64 s[16:17], s[20:21], 3
	s_clause 0x1
	s_load_dwordx4 s[0:3], s[4:5], 0x28
	s_load_dwordx2 s[28:29], s[4:5], 0x50
	v_mov_b32_e32 v163, v1
	v_mov_b32_e32 v162, v0
	s_mov_b64 s[24:25], 0
	s_mov_b64 s[26:27], 0
	s_waitcnt lgkmcnt(0)
	s_add_u32 s8, s12, s16
	s_addc_u32 s9, s13, s17
	s_load_dwordx2 s[22:23], s[8:9], 0x0
	s_load_dwordx4 s[8:11], s[4:5], 0x40
	s_waitcnt lgkmcnt(0)
	v_cmp_eq_f64_e64 s12, s[22:23], 0
	v_cmp_neq_f64_e64 s7, s[22:23], 0
	s_add_u32 s10, s10, s16
	s_addc_u32 s11, s11, s17
	s_and_b32 vcc_lo, exec_lo, s12
	s_cbranch_vccnz .LBB165_2
; %bb.1:
	s_mul_i32 s1, s1, s20
	s_mul_hi_u32 s12, s0, s20
	s_mul_i32 s0, s0, s20
	s_add_i32 s1, s12, s1
	s_lshl_b64 s[0:1], s[0:1], 3
	s_add_u32 s26, s14, s0
	s_addc_u32 s27, s15, s1
.LBB165_2:
	s_load_dwordx2 s[16:17], s[10:11], 0x0
	s_andn2_b32 vcc_lo, exec_lo, s7
	s_cbranch_vccnz .LBB165_4
; %bb.3:
	s_mul_i32 s0, s9, s20
	s_mul_hi_u32 s1, s8, s20
	s_add_i32 s1, s1, s0
	s_mul_i32 s0, s8, s20
	s_lshl_b64 s[0:1], s[0:1], 3
	s_add_u32 s24, s2, s0
	s_addc_u32 s25, s3, s1
.LBB165_4:
	s_waitcnt lgkmcnt(0)
	v_cmp_eq_f64_e64 s0, s[16:17], 0
	v_cmp_neq_f64_e64 s7, s[16:17], 0
	s_load_dwordx4 s[12:15], s[4:5], 0x60
	s_mov_b64 s[18:19], 0
	s_and_b32 vcc_lo, exec_lo, s0
	s_cbranch_vccnz .LBB165_6
; %bb.5:
	s_waitcnt lgkmcnt(0)
	s_mul_i32 s0, s13, s20
	s_mul_hi_u32 s1, s12, s20
	s_add_i32 s1, s1, s0
	s_mul_i32 s0, s12, s20
	s_lshl_b64 s[0:1], s[0:1], 3
	s_add_u32 s18, s28, s0
	s_addc_u32 s19, s29, s1
.LBB165_6:
	s_clause 0x1
	s_load_dwordx4 s[8:11], s[4:5], 0x0
	s_load_dword s28, s[4:5], 0x20
	v_and_b32_e32 v1, 3, v162
	v_cmp_eq_f64_e64 s21, s[22:23], 0
	buffer_store_dword v1, off, s[36:39], 0 offset:60 ; 4-byte Folded Spill
	s_waitcnt lgkmcnt(0)
	s_add_i32 s0, s8, -1
	s_ashr_i32 s1, s0, 31
	s_lshr_b32 s1, s1, 25
	s_add_i32 s0, s0, s1
	s_ashr_i32 s0, s0, 7
	s_add_i32 s1, s0, 1
	s_not_b32 s0, s0
	v_cvt_f32_u32_e32 v0, s1
	v_rcp_iflag_f32_e32 v0, v0
	v_mul_f32_e32 v0, 0x4f7ffffe, v0
	v_cvt_u32_f32_e32 v0, v0
	v_readfirstlane_b32 s2, v0
	v_lshl_add_u32 v0, v163, 5, v162
	s_mul_i32 s0, s0, s2
	v_lshrrev_b32_e32 v12, 2, v0
	s_mul_hi_u32 s0, s2, s0
	s_add_i32 s2, s2, s0
	s_mul_hi_u32 s0, s6, s2
	s_mul_i32 s2, s0, s1
	s_add_i32 s3, s0, 1
	s_sub_i32 s2, s6, s2
	s_sub_i32 s11, s2, s1
	s_cmp_ge_u32 s2, s1
	s_cselect_b32 s0, s3, s0
	s_cselect_b32 s2, s11, s2
	s_add_i32 s3, s0, 1
	s_cmp_ge_u32 s2, s1
	s_cselect_b32 s2, s3, s0
	s_add_i32 s13, s10, -1
	s_mul_i32 s0, s2, s1
	v_min_i32_e32 v2, s13, v1
	s_sub_i32 s0, s6, s0
	v_cmp_le_i32_e64 s3, s10, v1
	s_lshl_b32 s11, s0, 7
	v_ashrrev_i32_e32 v3, 31, v2
	v_add_nc_u32_e32 v90, s11, v12
	v_lshlrev_b64 v[6:7], 3, v[2:3]
	v_cmp_le_i32_e32 vcc_lo, s8, v90
	v_add_co_u32 v8, s0, s26, v6
	v_add_co_ci_u32_e64 v9, null, s27, v7, s0
	s_or_b32 s0, s3, vcc_lo
	v_cndmask_b32_e64 v3, 0, 0x7fefffff, s0
	v_cndmask_b32_e64 v2, 0, -1, s0
	s_nor_b32 s0, s21, s0
	s_and_saveexec_b32 s1, s0
	s_cbranch_execz .LBB165_8
; %bb.7:
	v_mad_i64_i32 v[2:3], null, v90, s28, 0
	v_lshlrev_b64 v[2:3], 3, v[2:3]
	v_add_co_u32 v2, s0, v8, v2
	v_add_co_ci_u32_e64 v3, null, v9, v3, s0
	global_load_dwordx2 v[2:3], v[2:3], off
	s_waitcnt vmcnt(0)
	v_mul_f64 v[2:3], s[22:23], v[2:3]
.LBB165_8:
	s_or_b32 exec_lo, exec_lo, s1
	v_add_nc_u32_e32 v91, 64, v90
	v_cmp_le_i32_e64 s0, s8, v91
	s_or_b32 s1, s3, s0
	v_cndmask_b32_e64 v5, 0, 0x7fefffff, s1
	v_cndmask_b32_e64 v4, 0, -1, s1
	s_nor_b32 s1, s21, s1
	s_and_saveexec_b32 s6, s1
	s_cbranch_execz .LBB165_10
; %bb.9:
	v_mad_i64_i32 v[4:5], null, v91, s28, 0
	v_lshlrev_b64 v[4:5], 3, v[4:5]
	v_add_co_u32 v4, s1, v8, v4
	v_add_co_ci_u32_e64 v5, null, v9, v5, s1
	global_load_dwordx2 v[4:5], v[4:5], off
	s_waitcnt vmcnt(0)
	v_mul_f64 v[4:5], s[22:23], v[4:5]
.LBB165_10:
	s_or_b32 exec_lo, exec_lo, s6
	s_load_dword s29, s[4:5], 0x38
	s_lshl_b32 s12, s2, 7
	v_add_co_u32 v10, s2, s24, v6
	v_add_nc_u32_e32 v92, s12, v12
	v_add_co_ci_u32_e64 v11, null, s25, v7, s2
	v_cmp_le_i32_e64 s1, s9, v92
	s_or_b32 s2, s3, s1
	v_cndmask_b32_e64 v7, 0, 0x7fefffff, s2
	v_cndmask_b32_e64 v6, 0, -1, s2
	s_nor_b32 s2, s21, s2
	s_and_saveexec_b32 s6, s2
	s_cbranch_execz .LBB165_12
; %bb.11:
	s_waitcnt lgkmcnt(0)
	v_mad_i64_i32 v[6:7], null, v92, s29, 0
	v_lshlrev_b64 v[6:7], 3, v[6:7]
	v_add_co_u32 v6, s2, v10, v6
	v_add_co_ci_u32_e64 v7, null, v11, v7, s2
	global_load_dwordx2 v[6:7], v[6:7], off
	s_waitcnt vmcnt(0)
	v_mul_f64 v[6:7], s[22:23], v[6:7]
.LBB165_12:
	s_or_b32 exec_lo, exec_lo, s6
	v_add_nc_u32_e32 v93, 64, v92
	v_cmp_le_i32_e64 s2, s9, v93
	s_or_b32 s3, s3, s2
	v_cndmask_b32_e64 v9, 0, 0x7fefffff, s3
	v_cndmask_b32_e64 v8, 0, -1, s3
	s_nor_b32 s3, s21, s3
	s_and_saveexec_b32 s6, s3
	s_cbranch_execz .LBB165_14
; %bb.13:
	s_waitcnt lgkmcnt(0)
	v_mad_i64_i32 v[8:9], null, v93, s29, 0
	v_lshlrev_b64 v[8:9], 3, v[8:9]
	v_add_co_u32 v8, s3, v10, v8
	v_add_co_ci_u32_e64 v9, null, v11, v9, s3
	global_load_dwordx2 v[8:9], v[8:9], off
	s_waitcnt vmcnt(0)
	v_mul_f64 v[8:9], s[22:23], v[8:9]
.LBB165_14:
	s_or_b32 exec_lo, exec_lo, s6
	v_and_b32_e32 v0, 3, v162
	v_or_b32_e32 v0, 4, v0
	v_min_i32_e32 v10, s13, v0
	v_cmp_le_i32_e64 s3, s10, v0
	v_ashrrev_i32_e32 v11, 31, v10
	s_or_b32 s30, s3, vcc_lo
	v_cndmask_b32_e64 v87, 0, 0x7fefffff, s30
	v_cndmask_b32_e64 v86, 0, -1, s30
	v_lshlrev_b64 v[10:11], 3, v[10:11]
	v_add_co_u32 v13, s6, s26, v10
	v_add_co_ci_u32_e64 v14, null, s27, v11, s6
	s_nor_b32 s6, s21, s30
	s_and_saveexec_b32 s30, s6
	s_cbranch_execz .LBB165_16
; %bb.15:
	v_mad_i64_i32 v[15:16], null, v90, s28, 0
	v_lshlrev_b64 v[15:16], 3, v[15:16]
	v_add_co_u32 v15, s6, v13, v15
	v_add_co_ci_u32_e64 v16, null, v14, v16, s6
	global_load_dwordx2 v[15:16], v[15:16], off
	s_waitcnt vmcnt(0)
	v_mul_f64 v[86:87], s[22:23], v[15:16]
.LBB165_16:
	s_or_b32 exec_lo, exec_lo, s30
	s_or_b32 s6, s3, s0
	v_cndmask_b32_e64 v89, 0, 0x7fefffff, s6
	v_cndmask_b32_e64 v88, 0, -1, s6
	s_nor_b32 s6, s21, s6
	s_and_saveexec_b32 s30, s6
	s_cbranch_execz .LBB165_18
; %bb.17:
	v_mad_i64_i32 v[15:16], null, v91, s28, 0
	v_lshlrev_b64 v[15:16], 3, v[15:16]
	v_add_co_u32 v13, s6, v13, v15
	v_add_co_ci_u32_e64 v14, null, v14, v16, s6
	global_load_dwordx2 v[13:14], v[13:14], off
	s_waitcnt vmcnt(0)
	v_mul_f64 v[88:89], s[22:23], v[13:14]
.LBB165_18:
	s_or_b32 exec_lo, exec_lo, s30
	v_add_co_u32 v10, s6, s24, v10
	v_add_co_ci_u32_e64 v11, null, s25, v11, s6
	s_or_b32 s6, s3, s1
	v_cndmask_b32_e64 v83, 0, 0x7fefffff, s6
	v_cndmask_b32_e64 v82, 0, -1, s6
	s_nor_b32 s6, s21, s6
	s_and_saveexec_b32 s30, s6
	s_cbranch_execz .LBB165_20
; %bb.19:
	s_waitcnt lgkmcnt(0)
	v_mad_i64_i32 v[13:14], null, v92, s29, 0
	v_lshlrev_b64 v[13:14], 3, v[13:14]
	v_add_co_u32 v13, s6, v10, v13
	v_add_co_ci_u32_e64 v14, null, v11, v14, s6
	global_load_dwordx2 v[13:14], v[13:14], off
	s_waitcnt vmcnt(0)
	v_mul_f64 v[82:83], s[22:23], v[13:14]
.LBB165_20:
	s_or_b32 exec_lo, exec_lo, s30
	s_or_b32 s3, s3, s2
	v_cndmask_b32_e64 v85, 0, 0x7fefffff, s3
	v_cndmask_b32_e64 v84, 0, -1, s3
	s_nor_b32 s3, s21, s3
	s_and_saveexec_b32 s6, s3
	s_cbranch_execz .LBB165_22
; %bb.21:
	s_waitcnt lgkmcnt(0)
	v_mad_i64_i32 v[13:14], null, v93, s29, 0
	v_lshlrev_b64 v[13:14], 3, v[13:14]
	v_add_co_u32 v10, s3, v10, v13
	v_add_co_ci_u32_e64 v11, null, v11, v14, s3
	global_load_dwordx2 v[10:11], v[10:11], off
	s_waitcnt vmcnt(0)
	v_mul_f64 v[84:85], s[22:23], v[10:11]
.LBB165_22:
	s_or_b32 exec_lo, exec_lo, s6
	v_lshlrev_b32_e32 v0, 5, v12
	v_and_b32_e32 v1, 3, v162
	v_lshlrev_b32_e32 v158, 5, v162
	v_lshlrev_b32_e32 v164, 5, v163
	s_cmp_lt_i32 s10, 9
	v_lshl_or_b32 v165, v1, 3, v0
	ds_write2st64_b64 v165, v[2:3], v[4:5] offset1:4
	ds_write2st64_b64 v165, v[6:7], v[8:9] offset0:16 offset1:20
	s_waitcnt lgkmcnt(0)
	s_waitcnt_vscnt null, 0x0
	s_barrier
	buffer_gl0_inv
	ds_read_b128 v[6:9], v158 offset:1024
	ds_read_b128 v[10:13], v158 offset:2048
	;; [unrolled: 1-line block ×18, first 2 shown]
	ds_read_b128 v[94:97], v158
	ds_read_b128 v[2:5], v158 offset:16
	ds_read_b128 v[98:101], v164 offset:8192
	;; [unrolled: 1-line block ×3, first 2 shown]
	s_waitcnt lgkmcnt(1)
	v_add_f64 v[102:103], v[96:97], v[100:101]
	v_add_f64 v[104:105], v[94:95], v[98:99]
	s_waitcnt lgkmcnt(0)
	v_add_f64 v[160:161], v[2:3], v[18:19]
	v_cvt_f32_f64_e32 v1, v[102:103]
	v_cvt_f32_f64_e32 v0, v[104:105]
	v_add_f64 v[102:103], v[8:9], v[100:101]
	v_add_f64 v[104:105], v[6:7], v[98:99]
	v_min3_f32 v157, v0, v1, 0x7f800000
	v_cvt_f32_f64_e32 v1, v[102:103]
	v_cvt_f32_f64_e32 v0, v[104:105]
	v_add_f64 v[102:103], v[12:13], v[100:101]
	v_add_f64 v[104:105], v[10:11], v[98:99]
	;; [unrolled: 1-line block ×4, first 2 shown]
	v_min3_f32 v156, v0, v1, 0x7f800000
	v_cvt_f32_f64_e32 v1, v[102:103]
	v_cvt_f32_f64_e32 v0, v[104:105]
	v_min3_f32 v155, v0, v1, 0x7f800000
	v_cvt_f32_f64_e32 v0, v[98:99]
	v_cvt_f32_f64_e32 v1, v[100:101]
	v_add_f64 v[98:99], v[96:97], v[24:25]
	v_add_f64 v[100:101], v[94:95], v[22:23]
	v_min3_f32 v154, v0, v1, 0x7f800000
	v_cvt_f32_f64_e32 v1, v[98:99]
	v_cvt_f32_f64_e32 v0, v[100:101]
	v_add_f64 v[98:99], v[8:9], v[24:25]
	v_add_f64 v[100:101], v[6:7], v[22:23]
	;; [unrolled: 5-line block ×3, first 2 shown]
	v_add_f64 v[24:25], v[16:17], v[24:25]
	v_add_f64 v[22:23], v[14:15], v[22:23]
	v_min3_f32 v152, v0, v1, 0x7f800000
	v_cvt_f32_f64_e32 v1, v[98:99]
	v_cvt_f32_f64_e32 v0, v[100:101]
	v_min3_f32 v151, v0, v1, 0x7f800000
	v_cvt_f32_f64_e32 v0, v[22:23]
	v_cvt_f32_f64_e32 v1, v[24:25]
	v_add_f64 v[22:23], v[96:97], v[28:29]
	v_add_f64 v[24:25], v[94:95], v[26:27]
	v_min3_f32 v150, v0, v1, 0x7f800000
	v_cvt_f32_f64_e32 v1, v[22:23]
	v_cvt_f32_f64_e32 v0, v[24:25]
	v_add_f64 v[22:23], v[8:9], v[28:29]
	v_add_f64 v[24:25], v[6:7], v[26:27]
	;; [unrolled: 5-line block ×50, first 2 shown]
	v_add_f64 v[8:9], v[8:9], v[80:81]
	v_add_f64 v[6:7], v[6:7], v[78:79]
	v_min3_f32 v101, v0, v1, 0x7f800000
	v_cvt_f32_f64_e32 v1, v[22:23]
	v_cvt_f32_f64_e32 v0, v[24:25]
	v_add_f64 v[22:23], v[12:13], v[76:77]
	v_add_f64 v[24:25], v[10:11], v[74:75]
	v_min3_f32 v100, v0, v1, 0x7f800000
	v_cvt_f32_f64_e32 v1, v[22:23]
	v_cvt_f32_f64_e32 v0, v[24:25]
	;; [unrolled: 5-line block ×4, first 2 shown]
	v_min3_f32 v97, v0, v1, 0x7f800000
	v_cvt_f32_f64_e32 v0, v[6:7]
	v_cvt_f32_f64_e32 v1, v[8:9]
	v_add_f64 v[6:7], v[12:13], v[80:81]
	v_add_f64 v[8:9], v[10:11], v[78:79]
	v_min3_f32 v96, v0, v1, 0x7f800000
	v_cvt_f32_f64_e32 v1, v[6:7]
	v_cvt_f32_f64_e32 v0, v[8:9]
	v_add_f64 v[6:7], v[16:17], v[80:81]
	v_add_f64 v[8:9], v[14:15], v[78:79]
	ds_read_b128 v[14:17], v158 offset:1040
	ds_read_b128 v[10:13], v158 offset:2064
	buffer_store_dword v158, off, s[36:39], 0 offset:56 ; 4-byte Folded Spill
	v_min3_f32 v95, v0, v1, 0x7f800000
	v_cvt_f32_f64_e32 v1, v[6:7]
	v_cvt_f32_f64_e32 v0, v[8:9]
	ds_read_b128 v[6:9], v158 offset:3088
	ds_read_b128 v[78:81], v164 offset:8464
	;; [unrolled: 1-line block ×16, first 2 shown]
	v_add_f64 v[158:159], v[4:5], v[20:21]
	v_min3_f32 v94, v0, v1, 0x7f800000
	v_cvt_f32_f64_e32 v0, v[160:161]
	v_cvt_f32_f64_e32 v1, v[158:159]
	s_waitcnt lgkmcnt(17)
	v_add_f64 v[159:160], v[14:15], v[18:19]
	v_min3_f32 v222, v0, v1, v157
	v_add_f64 v[157:158], v[16:17], v[20:21]
	v_cvt_f32_f64_e32 v0, v[159:160]
	v_cvt_f32_f64_e32 v1, v[157:158]
	s_waitcnt lgkmcnt(16)
	v_add_f64 v[158:159], v[10:11], v[18:19]
	s_waitcnt lgkmcnt(15)
	v_add_f64 v[18:19], v[6:7], v[18:19]
	v_min3_f32 v221, v0, v1, v156
	v_add_f64 v[156:157], v[12:13], v[20:21]
	v_cvt_f32_f64_e32 v0, v[158:159]
	v_add_f64 v[20:21], v[8:9], v[20:21]
	v_cvt_f32_f64_e32 v1, v[156:157]
	v_min3_f32 v220, v0, v1, v155
	v_cvt_f32_f64_e32 v0, v[18:19]
	v_cvt_f32_f64_e32 v1, v[20:21]
	s_waitcnt lgkmcnt(14)
	v_add_f64 v[18:19], v[4:5], v[80:81]
	v_add_f64 v[20:21], v[2:3], v[78:79]
	v_min3_f32 v219, v0, v1, v154
	v_cvt_f32_f64_e32 v1, v[18:19]
	v_cvt_f32_f64_e32 v0, v[20:21]
	v_add_f64 v[18:19], v[16:17], v[80:81]
	v_add_f64 v[20:21], v[14:15], v[78:79]
	v_min3_f32 v244, v0, v1, v153
	v_cvt_f32_f64_e32 v1, v[18:19]
	v_cvt_f32_f64_e32 v0, v[20:21]
	v_add_f64 v[18:19], v[12:13], v[80:81]
	v_add_f64 v[20:21], v[10:11], v[78:79]
	v_min3_f32 v243, v0, v1, v152
	v_cvt_f32_f64_e32 v1, v[18:19]
	v_cvt_f32_f64_e32 v0, v[20:21]
	v_add_f64 v[18:19], v[8:9], v[80:81]
	v_add_f64 v[20:21], v[6:7], v[78:79]
	v_min3_f32 v242, v0, v1, v151
	v_cvt_f32_f64_e32 v1, v[18:19]
	v_cvt_f32_f64_e32 v0, v[20:21]
	s_waitcnt lgkmcnt(13)
	v_add_f64 v[18:19], v[4:5], v[76:77]
	v_add_f64 v[20:21], v[2:3], v[74:75]
	v_min3_f32 v241, v0, v1, v150
	v_cvt_f32_f64_e32 v1, v[18:19]
	v_cvt_f32_f64_e32 v0, v[20:21]
	v_add_f64 v[18:19], v[16:17], v[76:77]
	v_add_f64 v[20:21], v[14:15], v[74:75]
	v_min3_f32 v240, v0, v1, v149
	v_cvt_f32_f64_e32 v1, v[18:19]
	v_cvt_f32_f64_e32 v0, v[20:21]
	v_add_f64 v[18:19], v[12:13], v[76:77]
	v_add_f64 v[20:21], v[10:11], v[74:75]
	v_min3_f32 v239, v0, v1, v148
	v_cvt_f32_f64_e32 v1, v[18:19]
	v_cvt_f32_f64_e32 v0, v[20:21]
	v_add_f64 v[18:19], v[8:9], v[76:77]
	v_add_f64 v[20:21], v[6:7], v[74:75]
	;; [unrolled: 21-line block ×10, first 2 shown]
	v_min3_f32 v212, v0, v1, v115
	v_cvt_f32_f64_e32 v1, v[18:19]
	v_cvt_f32_f64_e32 v0, v[20:21]
	s_waitcnt lgkmcnt(4)
	v_add_f64 v[18:19], v[4:5], v[40:41]
	v_add_f64 v[20:21], v[2:3], v[38:39]
	v_min3_f32 v210, v0, v1, v114
	v_cvt_f32_f64_e32 v1, v[18:19]
	v_cvt_f32_f64_e32 v0, v[20:21]
	v_add_f64 v[18:19], v[16:17], v[40:41]
	v_add_f64 v[20:21], v[14:15], v[38:39]
	v_min3_f32 v0, v0, v1, v113
	v_cvt_f32_f64_e32 v1, v[18:19]
	v_add_f64 v[18:19], v[12:13], v[40:41]
	buffer_store_dword v0, off, s[36:39], 0 ; 4-byte Folded Spill
	v_cvt_f32_f64_e32 v0, v[20:21]
	v_add_f64 v[20:21], v[10:11], v[38:39]
	ds_write2st64_b64 v165, v[86:87], v[88:89] offset0:8 offset1:12
	ds_write2st64_b64 v165, v[82:83], v[84:85] offset0:24 offset1:28
	s_waitcnt lgkmcnt(0)
	s_waitcnt_vscnt null, 0x0
	s_barrier
	buffer_gl0_inv
	buffer_store_dword v162, off, s[36:39], 0 offset:104 ; 4-byte Folded Spill
	buffer_store_dword v163, off, s[36:39], 0 offset:108 ; 4-byte Folded Spill
	;; [unrolled: 1-line block ×3, first 2 shown]
	v_min3_f32 v200, v0, v1, v112
	v_cvt_f32_f64_e32 v0, v[20:21]
	v_cvt_f32_f64_e32 v1, v[18:19]
	v_add_f64 v[18:19], v[8:9], v[40:41]
	v_add_f64 v[20:21], v[6:7], v[38:39]
	v_min3_f32 v199, v0, v1, v111
	v_cvt_f32_f64_e32 v1, v[18:19]
	v_cvt_f32_f64_e32 v0, v[20:21]
	v_add_f64 v[18:19], v[4:5], v[36:37]
	v_add_f64 v[20:21], v[2:3], v[34:35]
	;; [unrolled: 5-line block ×10, first 2 shown]
	v_add_f64 v[4:5], v[4:5], v[24:25]
	v_add_f64 v[2:3], v[2:3], v[22:23]
	v_min3_f32 v190, v0, v1, v102
	v_cvt_f32_f64_e32 v1, v[18:19]
	v_cvt_f32_f64_e32 v0, v[20:21]
	v_add_f64 v[18:19], v[16:17], v[28:29]
	v_add_f64 v[20:21], v[14:15], v[26:27]
	v_min3_f32 v189, v0, v1, v101
	v_cvt_f32_f64_e32 v1, v[18:19]
	v_cvt_f32_f64_e32 v0, v[20:21]
	;; [unrolled: 5-line block ×4, first 2 shown]
	v_min3_f32 v186, v0, v1, v98
	v_cvt_f32_f64_e32 v0, v[2:3]
	v_cvt_f32_f64_e32 v1, v[4:5]
	v_add_f64 v[2:3], v[16:17], v[24:25]
	v_add_f64 v[4:5], v[14:15], v[22:23]
	v_min3_f32 v185, v0, v1, v97
	v_cvt_f32_f64_e32 v1, v[2:3]
	v_cvt_f32_f64_e32 v0, v[4:5]
	v_add_f64 v[2:3], v[12:13], v[24:25]
	v_add_f64 v[4:5], v[10:11], v[22:23]
	;; [unrolled: 5-line block ×3, first 2 shown]
	v_min3_f32 v183, v0, v1, v95
	v_cvt_f32_f64_e32 v1, v[2:3]
	v_cvt_f32_f64_e32 v0, v[4:5]
	v_min3_f32 v182, v0, v1, v94
	s_cbranch_scc1 .LBB165_41
; %bb.23:
	v_mad_i64_i32 v[2:3], null, v90, s28, 0
	v_lshl_add_u32 v0, v162, 5, 0x1000
	v_mad_i64_i32 v[4:5], null, v91, s28, 0
	v_mad_i64_i32 v[6:7], null, v92, s29, 0
	buffer_store_dword v0, off, s[36:39], 0 offset:68 ; 4-byte Folded Spill
	v_lshlrev_b64 v[0:1], 3, v[2:3]
	v_mad_i64_i32 v[8:9], null, v93, s29, 0
	v_or_b32_e32 v202, 0x2000, v164
	v_lshl_add_u32 v204, v163, 5, 0x3000
	s_add_i32 s28, s10, -8
	buffer_store_dword v0, off, s[36:39], 0 offset:72 ; 4-byte Folded Spill
	buffer_store_dword v1, off, s[36:39], 0 offset:76 ; 4-byte Folded Spill
	v_lshlrev_b64 v[0:1], 3, v[4:5]
	s_mov_b32 s29, 0
	buffer_store_dword v0, off, s[36:39], 0 offset:80 ; 4-byte Folded Spill
	buffer_store_dword v1, off, s[36:39], 0 offset:84 ; 4-byte Folded Spill
	v_lshlrev_b64 v[0:1], 3, v[6:7]
	buffer_store_dword v0, off, s[36:39], 0 offset:88 ; 4-byte Folded Spill
	buffer_store_dword v1, off, s[36:39], 0 offset:92 ; 4-byte Folded Spill
	v_lshlrev_b64 v[0:1], 3, v[8:9]
	buffer_store_dword v0, off, s[36:39], 0 offset:96 ; 4-byte Folded Spill
	buffer_store_dword v1, off, s[36:39], 0 offset:100 ; 4-byte Folded Spill
	;; [unrolled: 1-line block ×3, first 2 shown]
	s_branch .LBB165_25
.LBB165_24:                             ;   in Loop: Header=BB165_25 Depth=1
	s_or_b32 exec_lo, exec_lo, s6
	v_add_f64 v[249:250], v[100:101], v[160:161]
	v_add_f64 v[251:252], v[98:99], v[158:159]
	;; [unrolled: 1-line block ×24, first 2 shown]
	v_cvt_f32_f64_e32 v251, v[251:252]
	v_cvt_f32_f64_e32 v162, v[162:163]
	;; [unrolled: 1-line block ×10, first 2 shown]
	v_add_f64 v[0:1], v[98:99], v[146:147]
	v_cvt_f32_f64_e32 v249, v[249:250]
	v_cvt_f32_f64_e32 v186, v[150:151]
	v_add_f64 v[150:151], v[100:101], v[148:149]
	v_cvt_f32_f64_e32 v160, v[168:169]
	v_cvt_f32_f64_e32 v167, v[178:179]
	;; [unrolled: 1-line block ×12, first 2 shown]
	v_min3_f32 v152, v162, v163, v221
	v_add_f64 v[162:163], v[96:97], v[148:149]
	v_min3_f32 v154, v158, v159, v219
	v_add_f64 v[190:191], v[100:101], v[140:141]
	v_add_f64 v[192:193], v[98:99], v[138:139]
	;; [unrolled: 1-line block ×3, first 2 shown]
	v_cvt_f32_f64_e32 v0, v[0:1]
	v_min3_f32 v153, v164, v165, v220
	v_add_f64 v[164:165], v[88:89], v[148:149]
	v_cvt_f32_f64_e32 v1, v[150:151]
	v_min3_f32 v151, v251, v249, v222
	v_min3_f32 v155, v160, v161, v244
	v_min3_f32 v156, v166, v167, v243
	v_add_f64 v[166:167], v[86:87], v[146:147]
	v_min3_f32 v157, v168, v169, v242
	v_min3_f32 v158, v178, v179, v241
	;; [unrolled: 1-line block ×3, first 2 shown]
	v_add_f64 v[178:179], v[100:101], v[144:145]
	v_min3_f32 v160, v182, v183, v239
	v_add_f64 v[180:181], v[98:99], v[142:143]
	v_min3_f32 v161, v184, v185, v238
	v_min3_f32 v249, v186, v187, v224
	v_add_f64 v[182:183], v[96:97], v[144:145]
	v_add_f64 v[184:185], v[94:95], v[142:143]
	;; [unrolled: 1-line block ×9, first 2 shown]
	v_min3_f32 v150, v0, v1, v236
	v_add_f64 v[0:1], v[94:95], v[146:147]
	v_add_f64 v[146:147], v[82:83], v[146:147]
	;; [unrolled: 1-line block ×5, first 2 shown]
	v_cvt_f32_f64_e32 v149, v[166:167]
	v_add_f64 v[166:167], v[94:95], v[130:131]
	v_cvt_f32_f64_e32 v178, v[178:179]
	s_add_i32 s29, s29, 8
	v_cvt_f32_f64_e32 v180, v[180:181]
	s_cmp_ge_i32 s29, s28
	v_cvt_f32_f64_e32 v181, v[182:183]
	v_cvt_f32_f64_e32 v179, v[184:185]
	;; [unrolled: 1-line block ×6, first 2 shown]
	v_add_f64 v[140:141], v[94:95], v[134:135]
	v_add_f64 v[144:145], v[86:87], v[134:135]
	v_cvt_f32_f64_e32 v242, v[168:169]
	v_cvt_f32_f64_e32 v182, v[188:189]
	;; [unrolled: 1-line block ×5, first 2 shown]
	v_add_f64 v[146:147], v[88:89], v[136:137]
	v_cvt_f32_f64_e32 v184, v[142:143]
	v_cvt_f32_f64_e32 v189, v[194:195]
	v_add_f64 v[142:143], v[96:97], v[136:137]
	v_add_f64 v[162:163], v[98:99], v[130:131]
	;; [unrolled: 1-line block ×3, first 2 shown]
	v_cvt_f32_f64_e32 v187, v[190:191]
	v_cvt_f32_f64_e32 v188, v[196:197]
	;; [unrolled: 1-line block ×4, first 2 shown]
	v_add_f64 v[138:139], v[100:101], v[136:137]
	v_add_f64 v[136:137], v[84:85], v[136:137]
	v_cvt_f32_f64_e32 v190, v[240:241]
	v_cvt_f32_f64_e32 v196, v[140:141]
	;; [unrolled: 1-line block ×3, first 2 shown]
	v_add_f64 v[140:141], v[94:95], v[126:127]
	v_min3_f32 v148, v0, v1, v235
	v_add_f64 v[0:1], v[98:99], v[134:135]
	v_add_f64 v[134:135], v[82:83], v[134:135]
	v_cvt_f32_f64_e32 v235, v[164:165]
	v_add_f64 v[164:165], v[100:101], v[132:133]
	v_cvt_f32_f64_e32 v145, v[146:147]
	v_cvt_f32_f64_e32 v197, v[142:143]
	;; [unrolled: 1-line block ×3, first 2 shown]
	v_add_f64 v[142:143], v[96:97], v[128:129]
	v_add_f64 v[162:163], v[88:89], v[128:129]
	v_min3_f32 v229, v236, v242, v229
	v_cvt_f32_f64_e32 v195, v[138:139]
	v_cvt_f32_f64_e32 v147, v[136:137]
	v_add_f64 v[136:137], v[98:99], v[126:127]
	v_add_f64 v[138:139], v[100:101], v[128:129]
	v_cvt_f32_f64_e32 v243, v[140:141]
	v_cvt_f32_f64_e32 v194, v[0:1]
	;; [unrolled: 1-line block ×3, first 2 shown]
	v_add_f64 v[0:1], v[86:87], v[130:131]
	v_add_f64 v[134:135], v[88:89], v[132:133]
	;; [unrolled: 1-line block ×4, first 2 shown]
	v_cvt_f32_f64_e32 v164, v[164:165]
	v_cvt_f32_f64_e32 v165, v[166:167]
	;; [unrolled: 1-line block ×4, first 2 shown]
	v_min3_f32 v140, v144, v145, v225
	v_min3_f32 v149, v149, v235, v223
	v_cvt_f32_f64_e32 v240, v[136:137]
	v_cvt_f32_f64_e32 v241, v[138:139]
	v_min3_f32 v136, v190, v191, v216
	v_min3_f32 v137, v192, v193, v215
	v_add_f64 v[215:216], v[96:97], v[116:117]
	v_min3_f32 v139, v196, v197, v227
	v_add_f64 v[190:191], v[88:89], v[120:121]
	v_add_f64 v[192:193], v[98:99], v[114:115]
	;; [unrolled: 1-line block ×3, first 2 shown]
	v_min3_f32 v138, v194, v195, v228
	v_add_f64 v[194:195], v[100:101], v[116:117]
	v_cvt_f32_f64_e32 v167, v[0:1]
	v_cvt_f32_f64_e32 v168, v[134:135]
	;; [unrolled: 1-line block ×4, first 2 shown]
	v_add_f64 v[0:1], v[86:87], v[126:127]
	v_min3_f32 v130, v180, v178, v226
	v_min3_f32 v131, v179, v181, v246
	;; [unrolled: 1-line block ×6, first 2 shown]
	v_cvt_f32_f64_e32 v218, v[162:163]
	v_add_f64 v[162:163], v[100:101], v[124:125]
	v_add_f64 v[164:165], v[94:95], v[122:123]
	v_add_f64 v[178:179], v[88:89], v[124:125]
	v_min3_f32 v132, v182, v183, v237
	v_min3_f32 v133, v184, v185, v234
	v_add_f64 v[180:181], v[98:99], v[118:119]
	v_add_f64 v[182:183], v[100:101], v[120:121]
	;; [unrolled: 1-line block ×6, first 2 shown]
	v_min3_f32 v144, v167, v168, v231
	v_add_f64 v[166:167], v[96:97], v[124:125]
	v_min3_f32 v145, v169, v239, v230
	v_cvt_f32_f64_e32 v217, v[0:1]
	v_add_f64 v[0:1], v[82:83], v[126:127]
	v_add_f64 v[126:127], v[84:85], v[128:129]
	;; [unrolled: 1-line block ×7, first 2 shown]
	v_cvt_f32_f64_e32 v222, v[162:163]
	v_add_f64 v[162:163], v[84:85], v[116:117]
	v_cvt_f32_f64_e32 v226, v[178:179]
	v_add_f64 v[178:179], v[96:97], v[112:113]
	v_cvt_f32_f64_e32 v223, v[164:165]
	v_cvt_f32_f64_e32 v227, v[180:181]
	;; [unrolled: 1-line block ×13, first 2 shown]
	v_add_f64 v[126:127], v[88:89], v[116:117]
	v_cvt_f32_f64_e32 v192, v[215:216]
	v_cvt_f32_f64_e32 v122, v[122:123]
	;; [unrolled: 1-line block ×4, first 2 shown]
	v_add_f64 v[0:1], v[86:87], v[114:115]
	v_cvt_f32_f64_e32 v221, v[128:129]
	v_cvt_f32_f64_e32 v224, v[166:167]
	;; [unrolled: 1-line block ×3, first 2 shown]
	v_add_f64 v[128:129], v[82:83], v[114:115]
	v_add_f64 v[164:165], v[98:99], v[110:111]
	;; [unrolled: 1-line block ×6, first 2 shown]
	v_cvt_f32_f64_e32 v195, v[178:179]
	v_add_f64 v[178:179], v[100:101], v[104:105]
	v_min3_f32 v119, v184, v185, v201
	v_add_f64 v[184:185], v[86:87], v[102:103]
	v_min3_f32 v120, v186, v187, v212
	;; [unrolled: 2-line block ×3, first 2 shown]
	v_min3_f32 v146, v240, v241, v214
	v_min3_f32 v147, v243, v244, v213
	;; [unrolled: 1-line block ×4, first 2 shown]
	buffer_load_dword v122, off, s[36:39], 0 ; 4-byte Folded Reload
	v_min3_f32 v121, v188, v121, v210
	v_min3_f32 v123, v191, v192, v200
	v_cvt_f32_f64_e32 v188, v[0:1]
	v_cvt_f32_f64_e32 v191, v[162:163]
	v_add_f64 v[0:1], v[82:83], v[110:111]
	v_add_f64 v[110:111], v[84:85], v[112:113]
	v_add_f64 v[112:113], v[98:99], v[106:107]
	v_add_f64 v[162:163], v[96:97], v[108:109]
	v_cvt_f32_f64_e32 v192, v[164:165]
	v_cvt_f32_f64_e32 v194, v[168:169]
	;; [unrolled: 1-line block ×3, first 2 shown]
	v_add_f64 v[164:165], v[86:87], v[106:107]
	v_add_f64 v[168:169], v[98:99], v[102:103]
	;; [unrolled: 1-line block ×4, first 2 shown]
	v_cvt_f32_f64_e32 v197, v[182:183]
	v_add_f64 v[182:183], v[96:97], v[104:105]
	v_cvt_f32_f64_e32 v193, v[166:167]
	v_add_f64 v[166:167], v[88:89], v[108:109]
	v_add_f64 v[104:105], v[84:85], v[104:105]
	;; [unrolled: 1-line block ×4, first 2 shown]
	v_min3_f32 v125, v219, v220, v209
	v_min3_f32 v114, v221, v222, v208
	;; [unrolled: 1-line block ×4, first 2 shown]
	v_cvt_f32_f64_e32 v200, v[0:1]
	v_cvt_f32_f64_e32 v110, v[110:111]
	;; [unrolled: 1-line block ×3, first 2 shown]
	v_add_f64 v[0:1], v[86:87], v[90:91]
	v_min3_f32 v116, v225, v226, v171
	s_waitcnt vmcnt(0)
	v_min3_f32 v122, v189, v190, v122
	v_cvt_f32_f64_e32 v189, v[126:127]
	v_add_f64 v[126:127], v[100:101], v[108:109]
	v_add_f64 v[100:101], v[100:101], v[92:93]
	v_cvt_f32_f64_e32 v190, v[128:129]
	v_add_f64 v[128:129], v[94:95], v[106:107]
	v_add_f64 v[106:107], v[82:83], v[106:107]
	;; [unrolled: 1-line block ×4, first 2 shown]
	v_cvt_f32_f64_e32 v112, v[126:127]
	v_cvt_f32_f64_e32 v126, v[162:163]
	;; [unrolled: 1-line block ×4, first 2 shown]
	v_add_f64 v[100:101], v[82:83], v[90:91]
	buffer_load_dword v82, off, s[36:39], 0 offset:36 ; 4-byte Folded Reload
	v_cvt_f32_f64_e32 v127, v[164:165]
	v_cvt_f32_f64_e32 v163, v[180:181]
	;; [unrolled: 1-line block ×6, first 2 shown]
	v_add_f64 v[102:103], v[84:85], v[92:93]
	v_cvt_f32_f64_e32 v165, v[184:185]
	v_cvt_f32_f64_e32 v166, v[186:187]
	;; [unrolled: 1-line block ×9, first 2 shown]
	v_add_f64 v[98:99], v[88:89], v[92:93]
	v_add_f64 v[104:105], v[2:3], v[78:79]
	;; [unrolled: 1-line block ×3, first 2 shown]
	v_min3_f32 v94, v200, v110, v247
	v_min3_f32 v95, v111, v112, v206
	v_cvt_f32_f64_e32 v182, v[100:101]
	v_add_f64 v[100:101], v[10:11], v[78:79]
	v_add_f64 v[110:111], v[8:9], v[76:77]
	v_min3_f32 v96, v188, v189, v199
	v_min3_f32 v89, v113, v126, v170
	;; [unrolled: 1-line block ×3, first 2 shown]
	v_add_f64 v[112:113], v[10:11], v[74:75]
	v_cvt_f32_f64_e32 v183, v[102:103]
	v_add_f64 v[102:103], v[12:13], v[80:81]
	v_add_f64 v[126:127], v[12:13], v[76:77]
	v_min3_f32 v91, v192, v193, v255
	v_min3_f32 v88, v109, v162, v174
	;; [unrolled: 1-line block ×5, first 2 shown]
	v_add_f64 v[108:109], v[6:7], v[74:75]
	v_add_f64 v[128:129], v[2:3], v[70:71]
	v_cvt_f32_f64_e32 v181, v[98:99]
	v_cvt_f32_f64_e32 v184, v[104:105]
	;; [unrolled: 1-line block ×3, first 2 shown]
	v_add_f64 v[98:99], v[8:9], v[80:81]
	v_add_f64 v[80:81], v[16:17], v[80:81]
	;; [unrolled: 1-line block ×6, first 2 shown]
	v_min3_f32 v93, v196, v197, v248
	v_cvt_f32_f64_e32 v98, v[98:99]
	v_cvt_f32_f64_e32 v99, v[100:101]
	;; [unrolled: 1-line block ×12, first 2 shown]
	v_add_f64 v[74:75], v[8:9], v[68:69]
	v_add_f64 v[76:77], v[10:11], v[66:67]
	v_add_f64 v[80:81], v[14:15], v[66:67]
	v_cvt_f32_f64_e32 v188, v[104:105]
	v_min3_f32 v102, v184, v185, v151
	v_min3_f32 v104, v99, v100, v153
	;; [unrolled: 1-line block ×5, first 2 shown]
	v_add_f64 v[157:158], v[4:5], v[56:57]
	v_min3_f32 v106, v188, v106, v155
	v_add_f64 v[155:156], v[2:3], v[54:55]
	v_cvt_f32_f64_e32 v155, v[155:156]
	v_cvt_f32_f64_e32 v156, v[157:158]
	v_min3_f32 v213, v155, v156, v138
	s_waitcnt vmcnt(0)
	v_min3_f32 v85, v163, v164, v82
	buffer_load_dword v82, off, s[36:39], 0 offset:24 ; 4-byte Folded Reload
	v_add_f64 v[162:163], v[4:5], v[72:73]
	v_cvt_f32_f64_e32 v126, v[162:163]
	v_min3_f32 v110, v113, v126, v159
	s_waitcnt vmcnt(0)
	v_min3_f32 v86, v165, v166, v82
	buffer_load_dword v82, off, s[36:39], 0 offset:20 ; 4-byte Folded Reload
	v_add_f64 v[164:165], v[6:7], v[70:71]
	v_cvt_f32_f64_e32 v127, v[164:165]
	v_cvt_f32_f64_e32 v165, v[80:81]
	v_add_f64 v[80:81], v[16:17], v[64:65]
	s_waitcnt vmcnt(0)
	v_min3_f32 v83, v167, v168, v82
	buffer_load_dword v82, off, s[36:39], 0 offset:16 ; 4-byte Folded Reload
	v_add_f64 v[166:167], v[8:9], v[72:73]
	v_cvt_f32_f64_e32 v128, v[166:167]
	v_min3_f32 v111, v127, v128, v160
	v_add_f64 v[126:127], v[6:7], v[58:59]
	s_waitcnt vmcnt(0)
	v_min3_f32 v84, v169, v178, v82
	buffer_load_dword v82, off, s[36:39], 0 offset:12 ; 4-byte Folded Reload
	v_add_f64 v[168:169], v[10:11], v[70:71]
	v_add_f64 v[70:71], v[14:15], v[70:71]
	v_cvt_f32_f64_e32 v129, v[168:169]
	v_cvt_f32_f64_e32 v163, v[70:71]
	v_add_f64 v[70:71], v[4:5], v[68:69]
	v_cvt_f32_f64_e32 v169, v[126:127]
	v_add_f64 v[126:127], v[6:7], v[46:47]
	;; [unrolled: 2-line block ×3, first 2 shown]
	s_waitcnt vmcnt(0)
	v_min3_f32 v82, v179, v180, v82
	v_cvt_f32_f64_e32 v180, v[0:1]
	v_add_f64 v[0:1], v[6:7], v[78:79]
	v_add_f64 v[78:79], v[14:15], v[78:79]
	;; [unrolled: 1-line block ×4, first 2 shown]
	v_cvt_f32_f64_e32 v186, v[0:1]
	v_cvt_f32_f64_e32 v101, v[78:79]
	;; [unrolled: 1-line block ×4, first 2 shown]
	v_add_f64 v[0:1], v[2:3], v[66:67]
	v_add_f64 v[72:73], v[6:7], v[66:67]
	;; [unrolled: 1-line block ×4, first 2 shown]
	buffer_load_dword v66, off, s[36:39], 0 offset:8 ; 4-byte Folded Reload
	v_min3_f32 v103, v186, v98, v152
	v_min3_f32 v105, v101, v187, v154
	;; [unrolled: 1-line block ×4, first 2 shown]
	v_cvt_f32_f64_e32 v159, v[0:1]
	v_cvt_f32_f64_e32 v161, v[72:73]
	;; [unrolled: 1-line block ×6, first 2 shown]
	v_add_f64 v[0:1], v[2:3], v[62:63]
	v_add_f64 v[68:69], v[4:5], v[64:65]
	;; [unrolled: 1-line block ×13, first 2 shown]
	v_min3_f32 v62, v159, v160, v150
	v_min3_f32 v63, v161, v162, v148
	v_cvt_f32_f64_e32 v161, v[70:71]
	v_min3_f32 v64, v163, v164, v149
	v_min3_f32 v65, v165, v166, v229
	v_cvt_f32_f64_e32 v159, v[0:1]
	v_cvt_f32_f64_e32 v160, v[68:69]
	;; [unrolled: 1-line block ×13, first 2 shown]
	v_add_f64 v[0:1], v[6:7], v[54:55]
	v_add_f64 v[58:59], v[8:9], v[56:57]
	;; [unrolled: 1-line block ×17, first 2 shown]
	v_cvt_f32_f64_e32 v152, v[151:152]
	v_add_f64 v[148:149], v[10:11], v[46:47]
	v_add_f64 v[150:151], v[12:13], v[48:49]
	;; [unrolled: 1-line block ×4, first 2 shown]
	v_cvt_f32_f64_e32 v157, v[0:1]
	v_cvt_f32_f64_e32 v58, v[58:59]
	;; [unrolled: 1-line block ×18, first 2 shown]
	v_add_f64 v[78:79], v[10:11], v[34:35]
	v_add_f64 v[80:81], v[12:13], v[36:37]
	v_cvt_f32_f64_e32 v73, v[148:149]
	v_cvt_f32_f64_e32 v74, v[150:151]
	;; [unrolled: 1-line block ×4, first 2 shown]
	v_add_f64 v[0:1], v[2:3], v[42:43]
	v_min3_f32 v215, v59, v60, v140
	v_add_f64 v[46:47], v[4:5], v[44:45]
	v_min3_f32 v216, v54, v55, v141
	;; [unrolled: 2-line block ×5, first 2 shown]
	v_min3_f32 v214, v157, v58, v139
	v_min3_f32 v220, v50, v51, v145
	v_add_f64 v[50:51], v[12:13], v[44:45]
	v_min3_f32 v221, v52, v53, v146
	v_add_f64 v[52:53], v[2:3], v[38:39]
	v_min3_f32 v222, v71, v72, v147
	v_add_f64 v[70:71], v[2:3], v[34:35]
	v_add_f64 v[58:59], v[8:9], v[40:41]
	v_add_f64 v[68:69], v[12:13], v[40:41]
	v_min3_f32 v223, v73, v74, v124
	v_add_f64 v[38:39], v[14:15], v[38:39]
	v_min3_f32 v224, v75, v48, v125
	v_cvt_f32_f64_e32 v98, v[0:1]
	v_add_f64 v[0:1], v[6:7], v[42:43]
	v_cvt_f32_f64_e32 v99, v[46:47]
	v_add_f64 v[46:47], v[8:9], v[44:45]
	v_add_f64 v[48:49], v[10:11], v[42:43]
	;; [unrolled: 1-line block ×10, first 2 shown]
	v_min3_f32 v126, v159, v160, v130
	v_cvt_f32_f64_e32 v52, v[52:53]
	v_cvt_f32_f64_e32 v53, v[54:55]
	;; [unrolled: 1-line block ×10, first 2 shown]
	v_add_f64 v[38:39], v[8:9], v[32:33]
	v_cvt_f32_f64_e32 v101, v[46:47]
	v_cvt_f32_f64_e32 v48, v[48:49]
	v_cvt_f32_f64_e32 v49, v[50:51]
	v_cvt_f32_f64_e32 v50, v[42:43]
	v_cvt_f32_f64_e32 v51, v[44:45]
	v_cvt_f32_f64_e32 v59, v[40:41]
	v_cvt_f32_f64_e32 v61, v[72:73]
	v_cvt_f32_f64_e32 v73, v[36:37]
	v_add_f64 v[36:37], v[6:7], v[30:31]
	v_add_f64 v[40:41], v[10:11], v[30:31]
	;; [unrolled: 1-line block ×5, first 2 shown]
	v_cvt_f32_f64_e32 v100, v[0:1]
	v_cvt_f32_f64_e32 v72, v[34:35]
	v_add_f64 v[0:1], v[2:3], v[30:31]
	v_add_f64 v[34:35], v[4:5], v[32:33]
	v_min3_f32 v188, v70, v71, v96
	s_clause 0x1
	buffer_load_dword v70, off, s[36:39], 0 offset:56
	buffer_load_dword v67, off, s[36:39], 0 offset:4
	v_add_f64 v[30:31], v[14:15], v[30:31]
	v_add_f64 v[32:33], v[16:17], v[32:33]
	v_min3_f32 v184, v56, v57, v120
	v_cvt_f32_f64_e32 v68, v[74:75]
	v_min3_f32 v227, v48, v49, v116
	v_cvt_f32_f64_e32 v69, v[76:77]
	v_min3_f32 v228, v50, v51, v117
	v_cvt_f32_f64_e32 v51, v[38:39]
	v_add_f64 v[38:39], v[4:5], v[24:25]
	v_add_f64 v[4:5], v[4:5], v[20:21]
	v_cvt_f32_f64_e32 v50, v[36:37]
	v_add_f64 v[36:37], v[2:3], v[22:23]
	v_add_f64 v[2:3], v[2:3], v[18:19]
	v_cvt_f32_f64_e32 v56, v[44:45]
	v_cvt_f32_f64_e32 v57, v[46:47]
	v_add_f64 v[44:45], v[10:11], v[22:23]
	v_add_f64 v[46:47], v[12:13], v[24:25]
	v_cvt_f32_f64_e32 v48, v[0:1]
	v_cvt_f32_f64_e32 v49, v[34:35]
	v_add_f64 v[0:1], v[6:7], v[26:27]
	v_add_f64 v[34:35], v[12:13], v[28:29]
	;; [unrolled: 1-line block ×3, first 2 shown]
	v_min3_f32 v185, v58, v59, v121
	v_min3_f32 v186, v60, v61, v122
	;; [unrolled: 1-line block ×12, first 2 shown]
	v_cvt_f32_f64_e32 v2, v[2:3]
	v_cvt_f32_f64_e32 v3, v[4:5]
	v_min3_f32 v194, v56, v57, v95
	v_min3_f32 v211, v152, v153, v136
	;; [unrolled: 1-line block ×4, first 2 shown]
	v_cvt_f32_f64_e32 v0, v[0:1]
	v_min3_f32 v205, v2, v3, v84
	s_waitcnt vmcnt(2)
	v_min3_f32 v66, v180, v181, v66
	s_waitcnt vmcnt(1)
	ds_read_b128 v[58:61], v70
	s_waitcnt vmcnt(0)
	v_min3_f32 v67, v182, v183, v67
	v_min3_f32 v182, v52, v53, v118
	v_cvt_f32_f64_e32 v52, v[40:41]
	v_cvt_f32_f64_e32 v53, v[42:43]
	v_add_f64 v[40:41], v[6:7], v[22:23]
	v_add_f64 v[42:43], v[8:9], v[24:25]
	;; [unrolled: 1-line block ×4, first 2 shown]
	v_min3_f32 v183, v54, v55, v119
	v_cvt_f32_f64_e32 v54, v[30:31]
	v_cvt_f32_f64_e32 v55, v[32:33]
	v_add_f64 v[30:31], v[8:9], v[28:29]
	v_add_f64 v[32:33], v[10:11], v[26:27]
	v_add_f64 v[26:27], v[14:15], v[26:27]
	v_add_f64 v[28:29], v[16:17], v[28:29]
	v_add_f64 v[6:7], v[6:7], v[18:19]
	v_add_f64 v[8:9], v[8:9], v[20:21]
	v_add_f64 v[10:11], v[10:11], v[18:19]
	v_add_f64 v[14:15], v[14:15], v[18:19]
	v_add_f64 v[16:17], v[16:17], v[20:21]
	ds_read_b128 v[18:21], v202
	v_min3_f32 v192, v52, v53, v93
	v_cvt_f32_f64_e32 v22, v[22:23]
	v_cvt_f32_f64_e32 v23, v[24:25]
	v_min3_f32 v193, v54, v55, v94
	v_cvt_f32_f64_e32 v1, v[30:31]
	v_cvt_f32_f64_e32 v30, v[32:33]
	;; [unrolled: 1-line block ×13, first 2 shown]
	ds_read_b128 v[54:57], v70 offset:1024
	ds_read_b128 v[42:45], v70 offset:2048
	;; [unrolled: 1-line block ×3, first 2 shown]
	v_cvt_f32_f64_e32 v6, v[10:11]
	v_cvt_f32_f64_e32 v7, v[12:13]
	v_min3_f32 v201, v22, v23, v83
	ds_read_b128 v[22:25], v202 offset:256
	v_cvt_f32_f64_e32 v8, v[14:15]
	v_cvt_f32_f64_e32 v9, v[16:17]
	v_min3_f32 v195, v0, v1, v89
	s_waitcnt lgkmcnt(4)
	v_add_f64 v[0:1], v[60:61], v[20:21]
	v_min3_f32 v196, v30, v31, v90
	v_add_f64 v[46:47], v[58:59], v[18:19]
	v_min3_f32 v197, v26, v27, v87
	v_min3_f32 v198, v28, v29, v88
	v_min3_f32 v199, v32, v33, v85
	v_min3_f32 v200, v34, v35, v86
	s_waitcnt lgkmcnt(3)
	v_add_f64 v[48:49], v[56:57], v[20:21]
	v_min3_f32 v206, v4, v5, v82
	s_waitcnt lgkmcnt(2)
	v_add_f64 v[78:79], v[42:43], v[18:19]
	s_waitcnt lgkmcnt(1)
	v_add_f64 v[80:81], v[40:41], v[20:21]
	v_add_f64 v[82:83], v[38:39], v[18:19]
	;; [unrolled: 1-line block ×3, first 2 shown]
	s_waitcnt lgkmcnt(0)
	v_add_f64 v[84:85], v[58:59], v[22:23]
	v_add_f64 v[86:87], v[60:61], v[24:25]
	;; [unrolled: 1-line block ×6, first 2 shown]
	v_min3_f32 v142, v6, v7, v66
	v_min3_f32 v143, v8, v9, v67
	ds_read_b128 v[34:37], v202 offset:512
	ds_read_b128 v[66:69], v202 offset:768
	;; [unrolled: 1-line block ×6, first 2 shown]
	v_add_f64 v[52:53], v[44:45], v[20:21]
	ds_read_b128 v[2:5], v70 offset:3088
	ds_read_b128 v[26:29], v202 offset:272
	;; [unrolled: 1-line block ×10, first 2 shown]
	v_cvt_f32_f64_e32 v145, v[0:1]
	v_add_f64 v[0:1], v[40:41], v[24:25]
	v_add_f64 v[22:23], v[38:39], v[22:23]
	v_cvt_f32_f64_e32 v148, v[78:79]
	v_cvt_f32_f64_e32 v151, v[80:81]
	;; [unrolled: 1-line block ×10, first 2 shown]
	s_waitcnt lgkmcnt(15)
	v_add_f64 v[24:25], v[60:61], v[36:37]
	v_add_f64 v[78:79], v[58:59], v[34:35]
	;; [unrolled: 1-line block ×8, first 2 shown]
	s_waitcnt lgkmcnt(14)
	v_add_f64 v[116:117], v[60:61], v[68:69]
	v_add_f64 v[122:123], v[58:59], v[66:67]
	;; [unrolled: 1-line block ×8, first 2 shown]
	s_waitcnt lgkmcnt(7)
	v_add_f64 v[134:135], v[58:59], v[18:19]
	v_add_f64 v[136:137], v[60:61], v[20:21]
	;; [unrolled: 1-line block ×4, first 2 shown]
	v_cvt_f32_f64_e32 v146, v[50:51]
	v_cvt_f32_f64_e32 v147, v[48:49]
	;; [unrolled: 1-line block ×25, first 2 shown]
	v_min3_f32 v144, v144, v145, v102
	v_min3_f32 v145, v146, v147, v103
	;; [unrolled: 1-line block ×14, first 2 shown]
	v_add_f64 v[102:103], v[44:45], v[20:21]
	v_min3_f32 v158, v124, v125, v64
	v_add_f64 v[114:115], v[42:43], v[18:19]
	v_min3_f32 v159, v128, v129, v65
	;; [unrolled: 2-line block ×4, first 2 shown]
	s_waitcnt lgkmcnt(6)
	v_add_f64 v[106:107], v[60:61], v[120:121]
	v_add_f64 v[126:127], v[58:59], v[118:119]
	;; [unrolled: 1-line block ×8, first 2 shown]
	s_waitcnt lgkmcnt(5)
	v_add_f64 v[118:119], v[60:61], v[231:232]
	v_add_f64 v[134:135], v[58:59], v[229:230]
	v_add_f64 v[120:121], v[56:57], v[231:232]
	v_add_f64 v[136:137], v[54:55], v[229:230]
	v_add_f64 v[122:123], v[44:45], v[231:232]
	v_add_f64 v[138:139], v[42:43], v[229:230]
	v_add_f64 v[124:125], v[40:41], v[231:232]
	v_add_f64 v[140:141], v[38:39], v[229:230]
	s_waitcnt lgkmcnt(4)
	v_add_f64 v[0:1], v[58:59], v[74:75]
	v_add_f64 v[162:163], v[60:61], v[76:77]
	v_cvt_f32_f64_e32 v164, v[114:115]
	v_cvt_f32_f64_e32 v165, v[102:103]
	v_cvt_f32_f64_e32 v166, v[116:117]
	v_cvt_f32_f64_e32 v167, v[104:105]
	v_cvt_f32_f64_e32 v169, v[106:107]
	v_cvt_f32_f64_e32 v168, v[126:127]
	v_add_f64 v[102:103], v[54:55], v[74:75]
	v_cvt_f32_f64_e32 v178, v[128:129]
	v_add_f64 v[104:105], v[44:45], v[76:77]
	v_cvt_f32_f64_e32 v180, v[130:131]
	v_cvt_f32_f64_e32 v230, v[112:113]
	v_cvt_f32_f64_e32 v229, v[132:133]
	v_cvt_f32_f64_e32 v232, v[118:119]
	v_cvt_f32_f64_e32 v231, v[134:135]
	v_cvt_f32_f64_e32 v234, v[120:121]
	v_cvt_f32_f64_e32 v233, v[136:137]
	v_cvt_f32_f64_e32 v236, v[122:123]
	v_cvt_f32_f64_e32 v235, v[138:139]
	v_add_f64 v[106:107], v[42:43], v[74:75]
	v_cvt_f32_f64_e32 v140, v[140:141]
	v_cvt_f32_f64_e32 v141, v[124:125]
	;; [unrolled: 1-line block ×3, first 2 shown]
	v_add_f64 v[0:1], v[56:57], v[76:77]
	s_waitcnt lgkmcnt(3)
	v_add_f64 v[112:113], v[60:61], v[72:73]
	v_add_f64 v[114:115], v[58:59], v[70:71]
	;; [unrolled: 1-line block ×8, first 2 shown]
	s_waitcnt lgkmcnt(2)
	v_add_f64 v[128:129], v[58:59], v[90:91]
	v_add_f64 v[130:131], v[60:61], v[92:93]
	;; [unrolled: 1-line block ×6, first 2 shown]
	v_cvt_f32_f64_e32 v179, v[108:109]
	v_cvt_f32_f64_e32 v181, v[110:111]
	;; [unrolled: 1-line block ×3, first 2 shown]
	v_add_f64 v[108:109], v[40:41], v[76:77]
	v_add_f64 v[110:111], v[38:39], v[74:75]
	;; [unrolled: 1-line block ×4, first 2 shown]
	v_cvt_f32_f64_e32 v163, v[102:103]
	v_cvt_f32_f64_e32 v0, v[0:1]
	;; [unrolled: 1-line block ×18, first 2 shown]
	ds_read_b128 v[50:53], v202 offset:528
	ds_read_b128 v[46:49], v202 offset:784
	ds_read_b128 v[34:37], v202 offset:1040
	ds_read_b128 v[86:89], v202 offset:3072
	ds_read_b128 v[82:85], v202 offset:3328
	ds_read_b128 v[78:81], v202 offset:3584
	ds_read_b128 v[66:69], v202 offset:3840
	v_cvt_f32_f64_e32 v239, v[110:111]
	v_cvt_f32_f64_e32 v240, v[108:109]
	;; [unrolled: 1-line block ×4, first 2 shown]
	v_min3_f32 v134, v164, v165, v207
	v_min3_f32 v135, v166, v167, v208
	;; [unrolled: 1-line block ×16, first 2 shown]
	s_waitcnt lgkmcnt(8)
	v_add_f64 v[0:1], v[60:61], v[100:101]
	v_add_f64 v[122:123], v[58:59], v[98:99]
	;; [unrolled: 1-line block ×8, first 2 shown]
	s_waitcnt lgkmcnt(7)
	v_add_f64 v[138:139], v[60:61], v[96:97]
	v_add_f64 v[140:141], v[58:59], v[94:95]
	v_add_f64 v[162:163], v[56:57], v[96:97]
	v_add_f64 v[164:165], v[54:55], v[94:95]
	v_add_f64 v[166:167], v[44:45], v[96:97]
	v_add_f64 v[168:169], v[42:43], v[94:95]
	v_add_f64 v[178:179], v[40:41], v[96:97]
	v_add_f64 v[180:181], v[38:39], v[94:95]
	s_waitcnt lgkmcnt(3)
	v_add_f64 v[207:208], v[58:59], v[86:87]
	v_add_f64 v[209:210], v[60:61], v[88:89]
	v_min3_f32 v105, v229, v230, v212
	v_min3_f32 v106, v231, v232, v213
	v_min3_f32 v107, v233, v234, v214
	v_min3_f32 v108, v235, v236, v215
	v_min3_f32 v113, v239, v240, v220
	v_min3_f32 v121, v90, v91, v228
	v_add_f64 v[211:212], v[54:55], v[86:87]
	v_add_f64 v[213:214], v[56:57], v[88:89]
	v_cvt_f32_f64_e32 v219, v[122:123]
	v_cvt_f32_f64_e32 v220, v[0:1]
	;; [unrolled: 1-line block ×18, first 2 shown]
	v_add_f64 v[0:1], v[40:41], v[88:89]
	v_add_f64 v[122:123], v[38:39], v[86:87]
	s_waitcnt lgkmcnt(2)
	v_add_f64 v[124:125], v[60:61], v[84:85]
	v_add_f64 v[126:127], v[58:59], v[82:83]
	v_add_f64 v[128:129], v[56:57], v[84:85]
	v_add_f64 v[130:131], v[54:55], v[82:83]
	v_add_f64 v[132:133], v[44:45], v[84:85]
	v_add_f64 v[136:137], v[42:43], v[82:83]
	v_add_f64 v[138:139], v[40:41], v[84:85]
	v_add_f64 v[140:141], v[38:39], v[82:83]
	s_waitcnt lgkmcnt(1)
	v_add_f64 v[162:163], v[60:61], v[80:81]
	v_add_f64 v[164:165], v[58:59], v[78:79]
	v_add_f64 v[166:167], v[56:57], v[80:81]
	v_add_f64 v[168:169], v[54:55], v[78:79]
	v_add_f64 v[178:179], v[44:45], v[80:81]
	v_add_f64 v[180:181], v[42:43], v[78:79]
	;; [unrolled: 9-line block ×3, first 2 shown]
	v_cvt_f32_f64_e32 v123, v[122:123]
	v_cvt_f32_f64_e32 v0, v[0:1]
	;; [unrolled: 1-line block ×26, first 2 shown]
	v_min3_f32 v136, v219, v220, v182
	v_min3_f32 v137, v221, v222, v183
	;; [unrolled: 1-line block ×8, first 2 shown]
	v_add_f64 v[0:1], v[42:43], v[66:67]
	v_min3_f32 v129, v133, v138, v199
	v_add_f64 v[42:43], v[44:45], v[68:69]
	v_min3_f32 v130, v139, v140, v200
	v_add_f64 v[38:39], v[38:39], v[66:67]
	v_min3_f32 v131, v141, v162, v201
	v_add_f64 v[40:41], v[40:41], v[68:69]
	v_min3_f32 v132, v163, v164, v205
	v_add_f64 v[44:45], v[14:15], v[30:31]
	v_min3_f32 v133, v165, v166, v206
	v_add_f64 v[66:67], v[16:17], v[32:33]
	v_add_f64 v[68:69], v[10:11], v[30:31]
	;; [unrolled: 1-line block ×15, first 2 shown]
	v_min3_f32 v54, v223, v224, v184
	v_min3_f32 v55, v225, v226, v185
	;; [unrolled: 1-line block ×9, first 2 shown]
	v_add_f64 v[184:185], v[14:15], v[50:51]
	v_add_f64 v[186:187], v[16:17], v[52:53]
	v_cvt_f32_f64_e32 v188, v[0:1]
	v_cvt_f32_f64_e32 v189, v[42:43]
	;; [unrolled: 1-line block ×19, first 2 shown]
	v_add_f64 v[0:1], v[10:11], v[50:51]
	v_add_f64 v[26:27], v[12:13], v[52:53]
	;; [unrolled: 1-line block ×22, first 2 shown]
	v_cvt_f32_f64_e32 v0, v[0:1]
	v_cvt_f32_f64_e32 v1, v[26:27]
	;; [unrolled: 1-line block ×22, first 2 shown]
	ds_read_b128 v[22:25], v202 offset:1296
	ds_read_b128 v[18:21], v202 offset:1552
	v_min3_f32 v239, v0, v1, v153
	v_min3_f32 v238, v28, v29, v154
	ds_read_b128 v[62:65], v202 offset:1808
	ds_read_b128 v[74:77], v202 offset:2064
	v_min3_f32 v224, v30, v31, v155
	v_min3_f32 v236, v32, v33, v156
	;; [unrolled: 4-line block ×3, first 2 shown]
	v_cvt_f32_f64_e32 v179, v[182:183]
	v_min3_f32 v229, v42, v43, v159
	v_min3_f32 v222, v192, v193, v144
	;; [unrolled: 1-line block ×7, first 2 shown]
	s_waitcnt lgkmcnt(5)
	v_add_f64 v[0:1], v[14:15], v[22:23]
	v_min3_f32 v234, v34, v35, v135
	v_add_f64 v[28:29], v[16:17], v[24:25]
	v_add_f64 v[30:31], v[10:11], v[22:23]
	;; [unrolled: 1-line block ×7, first 2 shown]
	s_waitcnt lgkmcnt(4)
	v_add_f64 v[38:39], v[14:15], v[18:19]
	v_add_f64 v[40:41], v[16:17], v[20:21]
	;; [unrolled: 1-line block ×8, first 2 shown]
	v_min3_f32 v219, v198, v199, v147
	v_min3_f32 v244, v200, v201, v148
	;; [unrolled: 1-line block ×3, first 2 shown]
	s_waitcnt lgkmcnt(3)
	v_add_f64 v[66:67], v[10:11], v[62:63]
	v_add_f64 v[68:69], v[12:13], v[64:65]
	v_cvt_f32_f64_e32 v140, v[0:1]
	v_add_f64 v[0:1], v[2:3], v[62:63]
	v_cvt_f32_f64_e32 v141, v[28:29]
	s_waitcnt lgkmcnt(2)
	v_add_f64 v[28:29], v[12:13], v[76:77]
	v_cvt_f32_f64_e32 v182, v[184:185]
	v_cvt_f32_f64_e32 v144, v[34:35]
	;; [unrolled: 1-line block ×7, first 2 shown]
	v_add_f64 v[22:23], v[16:17], v[76:77]
	v_add_f64 v[24:25], v[10:11], v[74:75]
	;; [unrolled: 1-line block ×4, first 2 shown]
	v_cvt_f32_f64_e32 v154, v[18:19]
	v_cvt_f32_f64_e32 v155, v[20:21]
	v_add_f64 v[18:19], v[4:5], v[64:65]
	v_add_f64 v[20:21], v[14:15], v[74:75]
	s_waitcnt lgkmcnt(1)
	v_add_f64 v[38:39], v[14:15], v[70:71]
	v_add_f64 v[40:41], v[16:17], v[72:73]
	v_cvt_f32_f64_e32 v183, v[186:187]
	v_min3_f32 v26, v188, v189, v142
	v_min3_f32 v27, v190, v191, v143
	;; [unrolled: 1-line block ×4, first 2 shown]
	v_add_f64 v[50:51], v[14:15], v[62:63]
	v_cvt_f32_f64_e32 v142, v[30:31]
	v_cvt_f32_f64_e32 v143, v[32:33]
	;; [unrolled: 1-line block ×6, first 2 shown]
	v_add_f64 v[30:31], v[6:7], v[74:75]
	v_add_f64 v[32:33], v[8:9], v[76:77]
	;; [unrolled: 1-line block ×4, first 2 shown]
	s_waitcnt lgkmcnt(0)
	v_add_f64 v[66:67], v[10:11], v[90:91]
	v_add_f64 v[68:69], v[12:13], v[92:93]
	v_cvt_f32_f64_e32 v0, v[0:1]
	v_cvt_f32_f64_e32 v1, v[18:19]
	;; [unrolled: 1-line block ×10, first 2 shown]
	ds_read_b128 v[98:101], v202 offset:2832
	ds_read_b128 v[94:97], v202 offset:3088
	v_min3_f32 v240, v182, v183, v152
	v_add_f64 v[52:53], v[16:17], v[64:65]
	v_add_f64 v[134:135], v[6:7], v[62:63]
	;; [unrolled: 1-line block ×3, first 2 shown]
	v_cvt_f32_f64_e32 v152, v[46:47]
	v_cvt_f32_f64_e32 v156, v[50:51]
	v_add_f64 v[46:47], v[6:7], v[70:71]
	v_add_f64 v[50:51], v[2:3], v[70:71]
	;; [unrolled: 1-line block ×4, first 2 shown]
	v_cvt_f32_f64_e32 v22, v[30:31]
	v_cvt_f32_f64_e32 v23, v[32:33]
	v_cvt_f32_f64_e32 v30, v[42:43]
	v_cvt_f32_f64_e32 v31, v[44:45]
	v_cvt_f32_f64_e32 v38, v[66:67]
	v_cvt_f32_f64_e32 v39, v[68:69]
	v_min3_f32 v230, v0, v1, v113
	v_min3_f32 v214, v18, v19, v114
	;; [unrolled: 1-line block ×4, first 2 shown]
	v_add_f64 v[0:1], v[6:7], v[90:91]
	v_add_f64 v[18:19], v[8:9], v[92:93]
	s_waitcnt lgkmcnt(1)
	v_add_f64 v[24:25], v[14:15], v[98:99]
	v_add_f64 v[28:29], v[16:17], v[100:101]
	s_waitcnt lgkmcnt(0)
	v_add_f64 v[42:43], v[14:15], v[94:95]
	v_add_f64 v[44:45], v[16:17], v[96:97]
	ds_read_b128 v[86:89], v202 offset:3344
	ds_read_b128 v[82:85], v202 offset:3600
	;; [unrolled: 1-line block ×3, first 2 shown]
	v_cvt_f32_f64_e32 v157, v[52:53]
	v_add_f64 v[52:53], v[4:5], v[72:73]
	v_cvt_f32_f64_e32 v32, v[46:47]
	v_cvt_f32_f64_e32 v34, v[50:51]
	;; [unrolled: 1-line block ×4, first 2 shown]
	v_min3_f32 v213, v20, v21, v115
	v_min3_f32 v211, v22, v23, v116
	;; [unrolled: 1-line block ×3, first 2 shown]
	v_add_f64 v[20:21], v[2:3], v[90:91]
	v_add_f64 v[22:23], v[4:5], v[92:93]
	v_add_f64 v[38:39], v[2:3], v[98:99]
	v_add_f64 v[40:41], v[4:5], v[100:101]
	v_add_f64 v[46:47], v[10:11], v[94:95]
	v_add_f64 v[50:51], v[6:7], v[94:95]
	v_add_f64 v[62:63], v[2:3], v[94:95]
	v_add_f64 v[64:65], v[4:5], v[96:97]
	v_cvt_f32_f64_e32 v70, v[0:1]
	v_cvt_f32_f64_e32 v71, v[18:19]
	;; [unrolled: 1-line block ×6, first 2 shown]
	s_waitcnt lgkmcnt(2)
	v_add_f64 v[0:1], v[10:11], v[86:87]
	v_add_f64 v[18:19], v[12:13], v[88:89]
	;; [unrolled: 1-line block ×4, first 2 shown]
	s_waitcnt lgkmcnt(1)
	v_add_f64 v[42:43], v[2:3], v[82:83]
	v_add_f64 v[44:45], v[4:5], v[84:85]
	s_waitcnt lgkmcnt(0)
	v_add_f64 v[2:3], v[2:3], v[78:79]
	v_add_f64 v[4:5], v[4:5], v[80:81]
	buffer_load_dword v165, off, s[36:39], 0 offset:64 ; 4-byte Folded Reload
	v_cvt_f32_f64_e32 v153, v[48:49]
	v_add_f64 v[48:49], v[8:9], v[72:73]
	v_cvt_f32_f64_e32 v35, v[52:53]
	v_min3_f32 v207, v30, v31, v119
	v_min3_f32 v203, v36, v37, v136
	v_add_f64 v[30:31], v[10:11], v[98:99]
	v_add_f64 v[36:37], v[8:9], v[100:101]
	;; [unrolled: 1-line block ×5, first 2 shown]
	v_cvt_f32_f64_e32 v72, v[20:21]
	v_cvt_f32_f64_e32 v73, v[22:23]
	;; [unrolled: 1-line block ×6, first 2 shown]
	v_add_f64 v[20:21], v[6:7], v[86:87]
	v_add_f64 v[22:23], v[8:9], v[88:89]
	;; [unrolled: 1-line block ×3, first 2 shown]
	v_cvt_f32_f64_e32 v2, v[2:3]
	v_cvt_f32_f64_e32 v3, v[4:5]
	v_min3_f32 v4, v74, v75, v56
	v_add_f64 v[40:41], v[8:9], v[84:85]
	v_cvt_f32_f64_e32 v33, v[48:49]
	v_min3_f32 v205, v34, v35, v121
	v_add_f64 v[34:35], v[6:7], v[98:99]
	buffer_store_dword v4, off, s[36:39], 0 ; 4-byte Folded Spill
	v_add_f64 v[48:49], v[12:13], v[96:97]
	v_cvt_f32_f64_e32 v76, v[30:31]
	v_cvt_f32_f64_e32 v91, v[36:37]
	v_add_f64 v[30:31], v[14:15], v[82:83]
	v_add_f64 v[36:37], v[12:13], v[84:85]
	;; [unrolled: 1-line block ×5, first 2 shown]
	v_cvt_f32_f64_e32 v134, v[134:135]
	v_min3_f32 v192, v0, v1, v125
	v_cvt_f32_f64_e32 v135, v[138:139]
	v_cvt_f32_f64_e32 v46, v[46:47]
	v_cvt_f32_f64_e32 v18, v[20:21]
	v_cvt_f32_f64_e32 v19, v[22:23]
	v_cvt_f32_f64_e32 v20, v[24:25]
	v_min3_f32 v182, v2, v3, v27
	s_clause 0x3
	buffer_load_dword v1, off, s[36:39], 0 offset:40
	buffer_load_dword v2, off, s[36:39], 0 offset:44
	;; [unrolled: 1-line block ×4, first 2 shown]
	v_cvt_f32_f64_e32 v21, v[28:29]
	v_min3_f32 v206, v32, v33, v120
	v_add_f64 v[32:33], v[12:13], v[100:101]
	v_cvt_f32_f64_e32 v90, v[34:35]
	v_add_f64 v[34:35], v[10:11], v[82:83]
	v_add_f64 v[10:11], v[10:11], v[78:79]
	;; [unrolled: 1-line block ×3, first 2 shown]
	v_cvt_f32_f64_e32 v47, v[48:49]
	v_cvt_f32_f64_e32 v48, v[50:51]
	;; [unrolled: 1-line block ×16, first 2 shown]
	v_min3_f32 v218, v140, v141, v102
	v_cvt_f32_f64_e32 v77, v[32:33]
	v_add_f64 v[32:33], v[16:17], v[84:85]
	v_add_f64 v[16:17], v[16:17], v[80:81]
	v_cvt_f32_f64_e32 v24, v[34:35]
	v_cvt_f32_f64_e32 v10, v[10:11]
	v_cvt_f32_f64_e32 v11, v[12:13]
	v_min3_f32 v217, v142, v143, v103
	v_min3_f32 v216, v144, v145, v104
	;; [unrolled: 1-line block ×17, first 2 shown]
	v_cvt_f32_f64_e32 v23, v[32:33]
	v_cvt_f32_f64_e32 v15, v[16:17]
	v_min3_f32 v248, v48, v49, v122
	v_min3_f32 v247, v50, v51, v123
	;; [unrolled: 1-line block ×12, first 2 shown]
	s_waitcnt vmcnt(4)
	v_add_nc_u32_e32 v0, 0x1000, v165
	s_waitcnt vmcnt(0)
	ds_write2st64_b64 v0, v[1:2], v[3:4] offset1:4
	s_clause 0x1
	buffer_load_dword v1, off, s[36:39], 0 offset:28
	buffer_load_dword v2, off, s[36:39], 0 offset:32
	v_add_nc_u32_e32 v0, 0x3000, v165
	s_waitcnt vmcnt(0)
	ds_write2st64_b64 v0, v[1:2], v[172:173] offset1:4
	s_waitcnt lgkmcnt(0)
	s_waitcnt_vscnt null, 0x0
	s_barrier
	buffer_gl0_inv
	s_cbranch_scc1 .LBB165_41
.LBB165_25:                             ; =>This Inner Loop Header: Depth=1
	buffer_load_dword v0, off, s[36:39], 0 offset:60 ; 4-byte Folded Reload
	s_waitcnt vmcnt(0)
	v_add_nc_u32_e32 v10, s29, v0
	v_add_nc_u32_e32 v0, 8, v10
	v_min_i32_e32 v2, s13, v0
	v_cmp_le_i32_e64 s3, s10, v0
	v_ashrrev_i32_e32 v3, 31, v2
	s_or_b32 s30, vcc_lo, s3
	v_lshlrev_b64 v[6:7], 3, v[2:3]
	v_cndmask_b32_e64 v3, 0, 0x7fefffff, s30
	v_cndmask_b32_e64 v2, 0, -1, s30
	v_add_co_u32 v8, s6, s26, v6
	v_add_co_ci_u32_e64 v9, null, s27, v7, s6
	s_nor_b32 s6, s21, s30
	s_and_saveexec_b32 s30, s6
	s_cbranch_execz .LBB165_27
; %bb.26:                               ;   in Loop: Header=BB165_25 Depth=1
	s_clause 0x1
	buffer_load_dword v0, off, s[36:39], 0 offset:72
	buffer_load_dword v1, off, s[36:39], 0 offset:76
	s_waitcnt vmcnt(1)
	v_add_co_u32 v2, s6, v8, v0
	s_waitcnt vmcnt(0)
	v_add_co_ci_u32_e64 v3, null, v9, v1, s6
	global_load_dwordx2 v[2:3], v[2:3], off
	s_waitcnt vmcnt(0)
	v_mul_f64 v[2:3], s[22:23], v[2:3]
.LBB165_27:                             ;   in Loop: Header=BB165_25 Depth=1
	s_or_b32 exec_lo, exec_lo, s30
	s_or_b32 s6, s0, s3
	v_cndmask_b32_e64 v5, 0, 0x7fefffff, s6
	v_cndmask_b32_e64 v4, 0, -1, s6
	s_nor_b32 s6, s21, s6
	s_and_saveexec_b32 s30, s6
	s_cbranch_execz .LBB165_29
; %bb.28:                               ;   in Loop: Header=BB165_25 Depth=1
	s_clause 0x1
	buffer_load_dword v0, off, s[36:39], 0 offset:80
	buffer_load_dword v1, off, s[36:39], 0 offset:84
	s_waitcnt vmcnt(1)
	v_add_co_u32 v4, s6, v8, v0
	s_waitcnt vmcnt(0)
	v_add_co_ci_u32_e64 v5, null, v9, v1, s6
	global_load_dwordx2 v[4:5], v[4:5], off
	s_waitcnt vmcnt(0)
	v_mul_f64 v[4:5], s[22:23], v[4:5]
.LBB165_29:                             ;   in Loop: Header=BB165_25 Depth=1
	s_or_b32 exec_lo, exec_lo, s30
	v_add_co_u32 v11, s6, s24, v6
	v_add_co_ci_u32_e64 v12, null, s25, v7, s6
	s_or_b32 s6, s1, s3
	v_cndmask_b32_e64 v7, 0, 0x7fefffff, s6
	v_cndmask_b32_e64 v6, 0, -1, s6
	s_nor_b32 s6, s21, s6
	s_and_saveexec_b32 s30, s6
	s_cbranch_execz .LBB165_31
; %bb.30:                               ;   in Loop: Header=BB165_25 Depth=1
	s_clause 0x1
	buffer_load_dword v0, off, s[36:39], 0 offset:88
	buffer_load_dword v1, off, s[36:39], 0 offset:92
	s_waitcnt vmcnt(1)
	v_add_co_u32 v6, s6, v11, v0
	s_waitcnt vmcnt(0)
	v_add_co_ci_u32_e64 v7, null, v12, v1, s6
	global_load_dwordx2 v[6:7], v[6:7], off
	s_waitcnt vmcnt(0)
	v_mul_f64 v[6:7], s[22:23], v[6:7]
.LBB165_31:                             ;   in Loop: Header=BB165_25 Depth=1
	s_or_b32 exec_lo, exec_lo, s30
	s_or_b32 s3, s2, s3
	v_cndmask_b32_e64 v9, 0, 0x7fefffff, s3
	v_cndmask_b32_e64 v8, 0, -1, s3
	s_nor_b32 s3, s21, s3
	s_and_saveexec_b32 s6, s3
	s_cbranch_execz .LBB165_33
; %bb.32:                               ;   in Loop: Header=BB165_25 Depth=1
	s_clause 0x1
	buffer_load_dword v0, off, s[36:39], 0 offset:96
	buffer_load_dword v1, off, s[36:39], 0 offset:100
	s_waitcnt vmcnt(1)
	v_add_co_u32 v8, s3, v11, v0
	s_waitcnt vmcnt(0)
	v_add_co_ci_u32_e64 v9, null, v12, v1, s3
	global_load_dwordx2 v[8:9], v[8:9], off
	s_waitcnt vmcnt(0)
	v_mul_f64 v[8:9], s[22:23], v[8:9]
.LBB165_33:                             ;   in Loop: Header=BB165_25 Depth=1
	s_or_b32 exec_lo, exec_lo, s6
	ds_write2st64_b64 v165, v[2:3], v[4:5] offset1:4
	ds_read_b128 v[158:161], v204
	ds_read_b128 v[78:81], v204 offset:16
	buffer_load_dword v14, off, s[36:39], 0 offset:68 ; 4-byte Folded Reload
	v_add_nc_u32_e32 v1, 0x2000, v165
	v_add_nc_u32_e32 v0, 12, v10
	s_waitcnt vmcnt(0)
	ds_read_b128 v[98:101], v14
	ds_read_b128 v[2:5], v14 offset:16
	ds_write2st64_b64 v1, v[6:7], v[8:9] offset1:4
	ds_read_b128 v[94:97], v14 offset:1024
	ds_read_b128 v[6:9], v14 offset:1040
	;; [unrolled: 1-line block ×36, first 2 shown]
	v_min_i32_e32 v170, s13, v0
	v_cmp_le_i32_e64 s3, s10, v0
	s_waitcnt lgkmcnt(0)
	s_waitcnt_vscnt null, 0x0
	s_barrier
	buffer_gl0_inv
	v_ashrrev_i32_e32 v171, 31, v170
	s_or_b32 s6, vcc_lo, s3
	v_cndmask_b32_e64 v163, 0, 0x7fefffff, s6
	s_nor_b32 s31, s21, s6
	v_lshlrev_b64 v[170:171], 3, v[170:171]
	v_cndmask_b32_e64 v162, 0, -1, s6
	v_add_co_u32 v172, s6, s26, v170
	v_add_co_ci_u32_e64 v173, null, s27, v171, s6
	s_and_saveexec_b32 s30, s31
	s_cbranch_execz .LBB165_35
; %bb.34:                               ;   in Loop: Header=BB165_25 Depth=1
	s_clause 0x1
	buffer_load_dword v0, off, s[36:39], 0 offset:72
	buffer_load_dword v1, off, s[36:39], 0 offset:76
	s_waitcnt vmcnt(1)
	v_add_co_u32 v174, s6, v172, v0
	s_waitcnt vmcnt(0)
	v_add_co_ci_u32_e64 v175, null, v173, v1, s6
	global_load_dwordx2 v[174:175], v[174:175], off
	s_waitcnt vmcnt(0)
	v_mul_f64 v[162:163], s[22:23], v[174:175]
.LBB165_35:                             ;   in Loop: Header=BB165_25 Depth=1
	s_or_b32 exec_lo, exec_lo, s30
	s_or_b32 s6, s0, s3
	v_cndmask_b32_e64 v167, 0, 0x7fefffff, s6
	v_cndmask_b32_e64 v166, 0, -1, s6
	s_nor_b32 s6, s21, s6
	s_and_saveexec_b32 s30, s6
	s_cbranch_execz .LBB165_37
; %bb.36:                               ;   in Loop: Header=BB165_25 Depth=1
	s_clause 0x1
	buffer_load_dword v0, off, s[36:39], 0 offset:80
	buffer_load_dword v1, off, s[36:39], 0 offset:84
	s_waitcnt vmcnt(1)
	v_add_co_u32 v172, s6, v172, v0
	s_waitcnt vmcnt(0)
	v_add_co_ci_u32_e64 v173, null, v173, v1, s6
	global_load_dwordx2 v[172:173], v[172:173], off
	s_waitcnt vmcnt(0)
	v_mul_f64 v[166:167], s[22:23], v[172:173]
.LBB165_37:                             ;   in Loop: Header=BB165_25 Depth=1
	s_or_b32 exec_lo, exec_lo, s30
	v_add_co_u32 v249, s6, s24, v170
	v_add_co_ci_u32_e64 v250, null, s25, v171, s6
	s_or_b32 s6, s1, s3
	v_cndmask_b32_e64 v1, 0, 0x7fefffff, s6
	v_cndmask_b32_e64 v0, 0, -1, s6
	s_nor_b32 s6, s21, s6
	s_and_saveexec_b32 s30, s6
	s_cbranch_execz .LBB165_39
; %bb.38:                               ;   in Loop: Header=BB165_25 Depth=1
	s_clause 0x1
	buffer_load_dword v0, off, s[36:39], 0 offset:88
	buffer_load_dword v1, off, s[36:39], 0 offset:92
	s_waitcnt vmcnt(1)
	v_add_co_u32 v170, s6, v249, v0
	s_waitcnt vmcnt(0)
	v_add_co_ci_u32_e64 v171, null, v250, v1, s6
	global_load_dwordx2 v[170:171], v[170:171], off
	s_waitcnt vmcnt(0)
	v_mul_f64 v[0:1], s[22:23], v[170:171]
.LBB165_39:                             ;   in Loop: Header=BB165_25 Depth=1
	s_or_b32 exec_lo, exec_lo, s30
	s_or_b32 s3, s2, s3
	v_mov_b32_e32 v171, v206
	v_mov_b32_e32 v175, v196
	v_mov_b32_e32 v206, v193
	v_mov_b32_e32 v170, v192
	v_mov_b32_e32 v177, v191
	v_mov_b32_e32 v176, v190
	v_mov_b32_e32 v174, v189
	v_cndmask_b32_e64 v173, 0, 0x7fefffff, s3
	v_cndmask_b32_e64 v172, 0, -1, s3
	s_nor_b32 s3, s21, s3
	buffer_store_dword v166, off, s[36:39], 0 offset:48 ; 4-byte Folded Spill
	buffer_store_dword v167, off, s[36:39], 0 offset:52 ; 4-byte Folded Spill
	;; [unrolled: 1-line block ×13, first 2 shown]
	s_and_saveexec_b32 s6, s3
	s_cbranch_execz .LBB165_24
; %bb.40:                               ;   in Loop: Header=BB165_25 Depth=1
	s_clause 0x1
	buffer_load_dword v0, off, s[36:39], 0 offset:96
	buffer_load_dword v1, off, s[36:39], 0 offset:100
	s_waitcnt vmcnt(1)
	v_add_co_u32 v172, s3, v249, v0
	s_waitcnt vmcnt(0)
	v_add_co_ci_u32_e64 v173, null, v250, v1, s3
	global_load_dwordx2 v[172:173], v[172:173], off
	s_waitcnt vmcnt(0)
	v_mul_f64 v[172:173], s[22:23], v[172:173]
	s_branch .LBB165_24
.LBB165_41:
	s_clause 0x2
	s_load_dwordx2 s[0:1], s[4:5], 0x78
	s_load_dword s6, s[4:5], 0x58
	s_load_dword s5, s[4:5], 0x70
	buffer_load_dword v0, off, s[36:39], 0 offset:56 ; 4-byte Folded Reload
	v_cndmask_b32_e64 v168, 0, 1, s7
	s_waitcnt vmcnt(0)
	ds_read_b128 v[38:41], v0 offset:4096
	ds_read_b128 v[34:37], v0 offset:4112
	buffer_load_dword v1, off, s[36:39], 0 offset:112 ; 4-byte Folded Reload
	s_waitcnt lgkmcnt(0)
	s_mul_i32 s1, s1, s20
	s_mul_hi_u32 s2, s0, s20
	s_mul_i32 s0, s0, s20
	s_add_i32 s1, s2, s1
	s_waitcnt vmcnt(0)
	ds_read_b128 v[158:161], v1 offset:12288
	ds_read_b128 v[154:157], v1 offset:12304
	;; [unrolled: 1-line block ×30, first 2 shown]
	buffer_load_dword v0, off, s[36:39], 0 offset:108 ; 4-byte Folded Reload
	ds_read_b128 v[62:65], v1 offset:15360
	ds_read_b128 v[58:61], v1 offset:15376
	;; [unrolled: 1-line block ×6, first 2 shown]
	s_lshl_b64 s[0:1], s[0:1], 3
	s_add_u32 s10, s14, s0
	s_waitcnt vmcnt(0)
	v_add_nc_u32_e32 v169, s12, v0
	buffer_load_dword v0, off, s[36:39], 0 offset:104 ; 4-byte Folded Reload
	ds_read_b128 v[14:17], v1 offset:16128
	ds_read_b128 v[10:13], v1 offset:16144
	v_mad_i64_i32 v[162:163], null, v169, s6, 0
	v_mad_i64_i32 v[164:165], null, v169, s5, 0
	v_cmp_gt_i32_e64 s4, s9, v169
	v_lshlrev_b64 v[162:163], 3, v[162:163]
	v_lshlrev_b64 v[164:165], 3, v[164:165]
	v_add_co_u32 v172, vcc_lo, s18, v162
	v_add_co_ci_u32_e64 v173, null, s19, v163, vcc_lo
	v_add_co_u32 v170, vcc_lo, s10, v164
	s_waitcnt vmcnt(0)
	v_add_nc_u32_e32 v0, s11, v0
	s_addc_u32 s11, s15, s1
	v_add_co_ci_u32_e64 v171, null, s11, v165, vcc_lo
	v_cmp_gt_i32_e64 s0, s8, v0
	v_ashrrev_i32_e32 v1, 31, v0
	s_and_b32 s2, s0, s4
	s_and_saveexec_b32 s1, s2
	s_cbranch_execz .LBB165_46
; %bb.42:
	s_andn2_b32 vcc_lo, exec_lo, s7
	s_cbranch_vccnz .LBB165_44
; %bb.43:
	v_lshlrev_b64 v[162:163], 3, v[0:1]
	buffer_load_dword v164, off, s[36:39], 0 ; 4-byte Folded Reload
	v_add_co_u32 v162, vcc_lo, v172, v162
	v_add_co_ci_u32_e64 v163, null, v173, v163, vcc_lo
	global_load_dwordx2 v[162:163], v[162:163], off
	s_waitcnt vmcnt(0)
	v_mul_f64 v[162:163], s[16:17], v[162:163]
	v_cvt_f32_f64_e32 v162, v[162:163]
	s_branch .LBB165_45
.LBB165_44:
	buffer_load_dword v164, off, s[36:39], 0 ; 4-byte Folded Reload
	v_mov_b32_e32 v162, 0
.LBB165_45:
	s_waitcnt vmcnt(0)
	buffer_store_dword v164, off, s[36:39], 0 ; 4-byte Folded Spill
	s_waitcnt lgkmcnt(37)
	v_add_f64 v[163:164], v[38:39], v[158:159]
	v_add_f64 v[165:166], v[40:41], v[160:161]
	s_waitcnt lgkmcnt(36)
	v_add_f64 v[174:175], v[34:35], v[154:155]
	v_add_f64 v[176:177], v[36:37], v[156:157]
	v_cvt_f32_f64_e32 v163, v[163:164]
	v_cvt_f32_f64_e32 v164, v[165:166]
	;; [unrolled: 1-line block ×4, first 2 shown]
	v_min3_f32 v163, v163, v164, v222
	v_min_f32_e32 v164, v165, v166
	v_min3_f32 v162, v162, v164, v163
	v_lshlrev_b64 v[164:165], 3, v[0:1]
	v_cvt_f64_f32_e32 v[162:163], v162
	v_add_co_u32 v164, vcc_lo, v170, v164
	v_add_co_ci_u32_e64 v165, null, v171, v165, vcc_lo
	global_store_dwordx2 v[164:165], v[162:163], off
.LBB165_46:
	s_or_b32 exec_lo, exec_lo, s1
	v_add_nc_u32_e32 v162, 32, v0
	v_cmp_gt_i32_e64 s1, s8, v162
	v_ashrrev_i32_e32 v163, 31, v162
	s_and_b32 s3, s1, s4
	s_and_saveexec_b32 s2, s3
	s_cbranch_execz .LBB165_51
; %bb.47:
	v_cmp_ne_u32_e32 vcc_lo, 1, v168
	s_cbranch_vccnz .LBB165_49
; %bb.48:
	v_lshlrev_b64 v[164:165], 3, v[162:163]
	buffer_load_dword v166, off, s[36:39], 0 ; 4-byte Folded Reload
	v_add_co_u32 v164, vcc_lo, v172, v164
	v_add_co_ci_u32_e64 v165, null, v173, v165, vcc_lo
	global_load_dwordx2 v[164:165], v[164:165], off
	s_waitcnt vmcnt(0)
	v_mul_f64 v[164:165], s[16:17], v[164:165]
	v_cvt_f32_f64_e32 v164, v[164:165]
	s_branch .LBB165_50
.LBB165_49:
	buffer_load_dword v166, off, s[36:39], 0 ; 4-byte Folded Reload
	v_mov_b32_e32 v164, 0
.LBB165_50:
	s_waitcnt vmcnt(0)
	buffer_store_dword v166, off, s[36:39], 0 ; 4-byte Folded Spill
	s_waitcnt lgkmcnt(35)
	v_add_f64 v[165:166], v[26:27], v[158:159]
	v_add_f64 v[174:175], v[28:29], v[160:161]
	s_waitcnt lgkmcnt(34)
	v_add_f64 v[176:177], v[30:31], v[154:155]
	v_add_f64 v[178:179], v[32:33], v[156:157]
	v_cvt_f32_f64_e32 v165, v[165:166]
	v_cvt_f32_f64_e32 v166, v[174:175]
	;; [unrolled: 1-line block ×4, first 2 shown]
	v_min3_f32 v165, v165, v166, v221
	v_min_f32_e32 v166, v167, v174
	v_min3_f32 v164, v164, v166, v165
	v_lshlrev_b64 v[166:167], 3, v[162:163]
	v_cvt_f64_f32_e32 v[164:165], v164
	v_add_co_u32 v166, vcc_lo, v170, v166
	v_add_co_ci_u32_e64 v167, null, v171, v167, vcc_lo
	global_store_dwordx2 v[166:167], v[164:165], off
.LBB165_51:
	s_or_b32 exec_lo, exec_lo, s2
	v_add_nc_u32_e32 v164, 64, v0
	v_cmp_gt_i32_e64 s2, s8, v164
	v_ashrrev_i32_e32 v165, 31, v164
	s_and_b32 s7, s2, s4
	s_and_saveexec_b32 s3, s7
	s_cbranch_execz .LBB165_56
; %bb.52:
	v_cmp_ne_u32_e32 vcc_lo, 1, v168
	s_cbranch_vccnz .LBB165_54
; %bb.53:
	v_lshlrev_b64 v[166:167], 3, v[164:165]
	buffer_load_dword v174, off, s[36:39], 0 ; 4-byte Folded Reload
	v_add_co_u32 v166, vcc_lo, v172, v166
	v_add_co_ci_u32_e64 v167, null, v173, v167, vcc_lo
	global_load_dwordx2 v[166:167], v[166:167], off
	s_waitcnt vmcnt(0)
	v_mul_f64 v[166:167], s[16:17], v[166:167]
	v_cvt_f32_f64_e32 v166, v[166:167]
	s_branch .LBB165_55
.LBB165_54:
	buffer_load_dword v174, off, s[36:39], 0 ; 4-byte Folded Reload
	v_mov_b32_e32 v166, 0
.LBB165_55:
	s_waitcnt vmcnt(0)
	buffer_store_dword v174, off, s[36:39], 0 ; 4-byte Folded Spill
	s_waitcnt lgkmcnt(33)
	v_add_f64 v[174:175], v[22:23], v[158:159]
	v_add_f64 v[176:177], v[24:25], v[160:161]
	s_waitcnt lgkmcnt(32)
	v_add_f64 v[178:179], v[18:19], v[154:155]
	v_add_f64 v[180:181], v[20:21], v[156:157]
	v_cvt_f32_f64_e32 v167, v[174:175]
	v_cvt_f32_f64_e32 v174, v[176:177]
	;; [unrolled: 1-line block ×4, first 2 shown]
	v_min3_f32 v167, v167, v174, v220
	v_min_f32_e32 v174, v175, v176
	v_min3_f32 v166, v166, v174, v167
	v_lshlrev_b64 v[174:175], 3, v[164:165]
	v_cvt_f64_f32_e32 v[166:167], v166
	v_add_co_u32 v174, vcc_lo, v170, v174
	v_add_co_ci_u32_e64 v175, null, v171, v175, vcc_lo
	global_store_dwordx2 v[174:175], v[166:167], off
.LBB165_56:
	s_or_b32 exec_lo, exec_lo, s3
	v_add_nc_u32_e32 v166, 0x60, v0
	v_cmp_gt_i32_e64 s3, s8, v166
	v_ashrrev_i32_e32 v167, 31, v166
	s_and_b32 s7, s3, s4
	s_and_saveexec_b32 s4, s7
	s_cbranch_execz .LBB165_61
; %bb.57:
	v_cmp_ne_u32_e32 vcc_lo, 1, v168
	s_cbranch_vccnz .LBB165_59
; %bb.58:
	v_lshlrev_b64 v[174:175], 3, v[166:167]
	v_add_co_u32 v172, vcc_lo, v172, v174
	v_add_co_ci_u32_e64 v173, null, v173, v175, vcc_lo
	global_load_dwordx2 v[172:173], v[172:173], off
	s_waitcnt vmcnt(0)
	v_mul_f64 v[172:173], s[16:17], v[172:173]
	v_cvt_f32_f64_e32 v172, v[172:173]
	s_branch .LBB165_60
.LBB165_59:
	v_mov_b32_e32 v172, 0
.LBB165_60:
	s_waitcnt lgkmcnt(31)
	v_add_f64 v[158:159], v[6:7], v[158:159]
	v_add_f64 v[160:161], v[8:9], v[160:161]
	s_waitcnt lgkmcnt(30)
	v_add_f64 v[154:155], v[2:3], v[154:155]
	v_add_f64 v[156:157], v[4:5], v[156:157]
	v_cvt_f32_f64_e32 v158, v[158:159]
	v_cvt_f32_f64_e32 v159, v[160:161]
	;; [unrolled: 1-line block ×4, first 2 shown]
	v_min3_f32 v156, v158, v159, v219
	v_min_f32_e32 v154, v154, v155
	v_min3_f32 v154, v172, v154, v156
	v_lshlrev_b64 v[156:157], 3, v[166:167]
	v_cvt_f64_f32_e32 v[154:155], v154
	v_add_co_u32 v156, vcc_lo, v170, v156
	v_add_co_ci_u32_e64 v157, null, v171, v157, vcc_lo
	global_store_dwordx2 v[156:157], v[154:155], off
.LBB165_61:
	s_or_b32 exec_lo, exec_lo, s4
	s_waitcnt lgkmcnt(37)
	v_add_nc_u32_e32 v158, 8, v169
	s_waitcnt lgkmcnt(36)
	v_mad_i64_i32 v[154:155], null, v158, s6, 0
	v_mad_i64_i32 v[156:157], null, v158, s5, 0
	v_cmp_gt_i32_e64 s4, s9, v158
	v_lshlrev_b64 v[154:155], 3, v[154:155]
	s_and_b32 s8, s0, s4
	v_lshlrev_b64 v[158:159], 3, v[156:157]
	v_add_co_u32 v156, vcc_lo, s18, v154
	v_add_co_ci_u32_e64 v157, null, s19, v155, vcc_lo
	v_add_co_u32 v154, vcc_lo, s10, v158
	v_add_co_ci_u32_e64 v155, null, s11, v159, vcc_lo
	s_and_saveexec_b32 s7, s8
	s_cbranch_execnz .LBB165_65
; %bb.62:
	s_or_b32 exec_lo, exec_lo, s7
	s_and_b32 s8, s1, s4
	s_and_saveexec_b32 s7, s8
	s_cbranch_execnz .LBB165_69
.LBB165_63:
	s_or_b32 exec_lo, exec_lo, s7
	s_and_b32 s8, s2, s4
	s_and_saveexec_b32 s7, s8
	s_cbranch_execnz .LBB165_73
.LBB165_64:
	s_or_b32 exec_lo, exec_lo, s7
	s_and_b32 s7, s3, s4
	s_and_saveexec_b32 s4, s7
	s_cbranch_execnz .LBB165_77
	s_branch .LBB165_81
.LBB165_65:
	v_cmp_ne_u32_e32 vcc_lo, 1, v168
	s_cbranch_vccnz .LBB165_67
; %bb.66:
	v_lshlrev_b64 v[158:159], 3, v[0:1]
	v_add_co_u32 v158, vcc_lo, v156, v158
	v_add_co_ci_u32_e64 v159, null, v157, v159, vcc_lo
	global_load_dwordx2 v[158:159], v[158:159], off
	s_waitcnt vmcnt(0)
	v_mul_f64 v[158:159], s[16:17], v[158:159]
	v_cvt_f32_f64_e32 v158, v[158:159]
	s_branch .LBB165_68
.LBB165_67:
	v_mov_b32_e32 v158, 0
.LBB165_68:
	s_waitcnt lgkmcnt(29)
	v_add_f64 v[159:160], v[38:39], v[150:151]
	v_add_f64 v[170:171], v[40:41], v[152:153]
	s_waitcnt lgkmcnt(28)
	v_add_f64 v[172:173], v[34:35], v[146:147]
	v_add_f64 v[174:175], v[36:37], v[148:149]
	v_cvt_f32_f64_e32 v159, v[159:160]
	v_cvt_f32_f64_e32 v160, v[170:171]
	;; [unrolled: 1-line block ×4, first 2 shown]
	v_min3_f32 v159, v159, v160, v244
	v_min_f32_e32 v160, v161, v170
	v_min3_f32 v158, v158, v160, v159
	v_lshlrev_b64 v[160:161], 3, v[0:1]
	v_cvt_f64_f32_e32 v[158:159], v158
	v_add_co_u32 v160, vcc_lo, v154, v160
	v_add_co_ci_u32_e64 v161, null, v155, v161, vcc_lo
	global_store_dwordx2 v[160:161], v[158:159], off
	s_or_b32 exec_lo, exec_lo, s7
	s_and_b32 s8, s1, s4
	s_and_saveexec_b32 s7, s8
	s_cbranch_execz .LBB165_63
.LBB165_69:
	v_cmp_ne_u32_e32 vcc_lo, 1, v168
	s_cbranch_vccnz .LBB165_71
; %bb.70:
	v_lshlrev_b64 v[158:159], 3, v[162:163]
	v_add_co_u32 v158, vcc_lo, v156, v158
	v_add_co_ci_u32_e64 v159, null, v157, v159, vcc_lo
	global_load_dwordx2 v[158:159], v[158:159], off
	s_waitcnt vmcnt(0)
	v_mul_f64 v[158:159], s[16:17], v[158:159]
	v_cvt_f32_f64_e32 v158, v[158:159]
	s_branch .LBB165_72
.LBB165_71:
	v_mov_b32_e32 v158, 0
.LBB165_72:
	s_waitcnt lgkmcnt(29)
	v_add_f64 v[159:160], v[26:27], v[150:151]
	v_add_f64 v[170:171], v[28:29], v[152:153]
	s_waitcnt lgkmcnt(28)
	v_add_f64 v[172:173], v[30:31], v[146:147]
	v_add_f64 v[174:175], v[32:33], v[148:149]
	v_cvt_f32_f64_e32 v159, v[159:160]
	v_cvt_f32_f64_e32 v160, v[170:171]
	;; [unrolled: 1-line block ×4, first 2 shown]
	v_min3_f32 v159, v159, v160, v243
	v_min_f32_e32 v160, v161, v170
	v_min3_f32 v158, v158, v160, v159
	v_lshlrev_b64 v[160:161], 3, v[162:163]
	v_cvt_f64_f32_e32 v[158:159], v158
	v_add_co_u32 v160, vcc_lo, v154, v160
	v_add_co_ci_u32_e64 v161, null, v155, v161, vcc_lo
	global_store_dwordx2 v[160:161], v[158:159], off
	s_or_b32 exec_lo, exec_lo, s7
	s_and_b32 s8, s2, s4
	s_and_saveexec_b32 s7, s8
	s_cbranch_execz .LBB165_64
.LBB165_73:
	v_cmp_ne_u32_e32 vcc_lo, 1, v168
	s_cbranch_vccnz .LBB165_75
; %bb.74:
	v_lshlrev_b64 v[158:159], 3, v[164:165]
	v_add_co_u32 v158, vcc_lo, v156, v158
	v_add_co_ci_u32_e64 v159, null, v157, v159, vcc_lo
	global_load_dwordx2 v[158:159], v[158:159], off
	s_waitcnt vmcnt(0)
	v_mul_f64 v[158:159], s[16:17], v[158:159]
	v_cvt_f32_f64_e32 v158, v[158:159]
	s_branch .LBB165_76
.LBB165_75:
	v_mov_b32_e32 v158, 0
.LBB165_76:
	s_waitcnt lgkmcnt(29)
	v_add_f64 v[159:160], v[22:23], v[150:151]
	v_add_f64 v[170:171], v[24:25], v[152:153]
	s_waitcnt lgkmcnt(28)
	v_add_f64 v[172:173], v[18:19], v[146:147]
	v_add_f64 v[174:175], v[20:21], v[148:149]
	v_cvt_f32_f64_e32 v159, v[159:160]
	v_cvt_f32_f64_e32 v160, v[170:171]
	;; [unrolled: 1-line block ×4, first 2 shown]
	v_min3_f32 v159, v159, v160, v242
	v_min_f32_e32 v160, v161, v170
	v_min3_f32 v158, v158, v160, v159
	v_lshlrev_b64 v[160:161], 3, v[164:165]
	v_cvt_f64_f32_e32 v[158:159], v158
	v_add_co_u32 v160, vcc_lo, v154, v160
	v_add_co_ci_u32_e64 v161, null, v155, v161, vcc_lo
	global_store_dwordx2 v[160:161], v[158:159], off
	s_or_b32 exec_lo, exec_lo, s7
	s_and_b32 s7, s3, s4
	s_and_saveexec_b32 s4, s7
	s_cbranch_execz .LBB165_81
.LBB165_77:
	v_cmp_ne_u32_e32 vcc_lo, 1, v168
	s_cbranch_vccnz .LBB165_79
; %bb.78:
	v_lshlrev_b64 v[158:159], 3, v[166:167]
	v_add_co_u32 v156, vcc_lo, v156, v158
	v_add_co_ci_u32_e64 v157, null, v157, v159, vcc_lo
	global_load_dwordx2 v[156:157], v[156:157], off
	s_waitcnt vmcnt(0)
	v_mul_f64 v[156:157], s[16:17], v[156:157]
	v_cvt_f32_f64_e32 v156, v[156:157]
	s_branch .LBB165_80
.LBB165_79:
	v_mov_b32_e32 v156, 0
.LBB165_80:
	s_waitcnt lgkmcnt(29)
	v_add_f64 v[150:151], v[6:7], v[150:151]
	v_add_f64 v[152:153], v[8:9], v[152:153]
	s_waitcnt lgkmcnt(28)
	v_add_f64 v[146:147], v[2:3], v[146:147]
	v_add_f64 v[148:149], v[4:5], v[148:149]
	v_cvt_f32_f64_e32 v150, v[150:151]
	v_cvt_f32_f64_e32 v151, v[152:153]
	v_cvt_f32_f64_e32 v146, v[146:147]
	v_cvt_f32_f64_e32 v147, v[148:149]
	v_min3_f32 v148, v150, v151, v241
	v_min_f32_e32 v146, v146, v147
	v_min3_f32 v146, v156, v146, v148
	v_lshlrev_b64 v[148:149], 3, v[166:167]
	v_cvt_f64_f32_e32 v[146:147], v146
	v_add_co_u32 v148, vcc_lo, v154, v148
	v_add_co_ci_u32_e64 v149, null, v155, v149, vcc_lo
	global_store_dwordx2 v[148:149], v[146:147], off
.LBB165_81:
	s_or_b32 exec_lo, exec_lo, s4
	s_waitcnt lgkmcnt(29)
	v_add_nc_u32_e32 v150, 16, v169
	s_waitcnt lgkmcnt(28)
	v_mad_i64_i32 v[146:147], null, v150, s6, 0
	v_mad_i64_i32 v[148:149], null, v150, s5, 0
	v_cmp_gt_i32_e64 s4, s9, v150
	v_lshlrev_b64 v[146:147], 3, v[146:147]
	s_and_b32 s8, s0, s4
	v_lshlrev_b64 v[150:151], 3, v[148:149]
	v_add_co_u32 v148, vcc_lo, s18, v146
	v_add_co_ci_u32_e64 v149, null, s19, v147, vcc_lo
	v_add_co_u32 v146, vcc_lo, s10, v150
	v_add_co_ci_u32_e64 v147, null, s11, v151, vcc_lo
	s_and_saveexec_b32 s7, s8
	s_cbranch_execnz .LBB165_85
; %bb.82:
	s_or_b32 exec_lo, exec_lo, s7
	s_and_b32 s8, s1, s4
	s_and_saveexec_b32 s7, s8
	s_cbranch_execnz .LBB165_89
.LBB165_83:
	s_or_b32 exec_lo, exec_lo, s7
	s_and_b32 s8, s2, s4
	s_and_saveexec_b32 s7, s8
	s_cbranch_execnz .LBB165_93
.LBB165_84:
	s_or_b32 exec_lo, exec_lo, s7
	s_and_b32 s7, s3, s4
	s_and_saveexec_b32 s4, s7
	s_cbranch_execnz .LBB165_97
	s_branch .LBB165_101
.LBB165_85:
	v_cmp_ne_u32_e32 vcc_lo, 1, v168
	s_cbranch_vccnz .LBB165_87
; %bb.86:
	v_lshlrev_b64 v[150:151], 3, v[0:1]
	v_add_co_u32 v150, vcc_lo, v148, v150
	v_add_co_ci_u32_e64 v151, null, v149, v151, vcc_lo
	global_load_dwordx2 v[150:151], v[150:151], off
	s_waitcnt vmcnt(0)
	v_mul_f64 v[150:151], s[16:17], v[150:151]
	v_cvt_f32_f64_e32 v150, v[150:151]
	s_branch .LBB165_88
.LBB165_87:
	v_mov_b32_e32 v150, 0
.LBB165_88:
	s_waitcnt lgkmcnt(27)
	v_add_f64 v[151:152], v[38:39], v[142:143]
	v_add_f64 v[153:154], v[40:41], v[144:145]
	s_waitcnt lgkmcnt(26)
	v_add_f64 v[155:156], v[34:35], v[138:139]
	v_add_f64 v[157:158], v[36:37], v[140:141]
	v_cvt_f32_f64_e32 v151, v[151:152]
	v_cvt_f32_f64_e32 v152, v[153:154]
	v_cvt_f32_f64_e32 v153, v[155:156]
	v_cvt_f32_f64_e32 v154, v[157:158]
	v_min3_f32 v151, v151, v152, v240
	v_min_f32_e32 v152, v153, v154
	v_min3_f32 v150, v150, v152, v151
	v_lshlrev_b64 v[152:153], 3, v[0:1]
	v_cvt_f64_f32_e32 v[150:151], v150
	v_add_co_u32 v152, vcc_lo, v146, v152
	v_add_co_ci_u32_e64 v153, null, v147, v153, vcc_lo
	global_store_dwordx2 v[152:153], v[150:151], off
	s_or_b32 exec_lo, exec_lo, s7
	s_and_b32 s8, s1, s4
	s_and_saveexec_b32 s7, s8
	s_cbranch_execz .LBB165_83
.LBB165_89:
	v_cmp_ne_u32_e32 vcc_lo, 1, v168
	s_cbranch_vccnz .LBB165_91
; %bb.90:
	v_lshlrev_b64 v[150:151], 3, v[162:163]
	v_add_co_u32 v150, vcc_lo, v148, v150
	v_add_co_ci_u32_e64 v151, null, v149, v151, vcc_lo
	global_load_dwordx2 v[150:151], v[150:151], off
	s_waitcnt vmcnt(0)
	v_mul_f64 v[150:151], s[16:17], v[150:151]
	v_cvt_f32_f64_e32 v150, v[150:151]
	s_branch .LBB165_92
.LBB165_91:
	v_mov_b32_e32 v150, 0
.LBB165_92:
	s_waitcnt lgkmcnt(27)
	v_add_f64 v[151:152], v[26:27], v[142:143]
	v_add_f64 v[153:154], v[28:29], v[144:145]
	s_waitcnt lgkmcnt(26)
	v_add_f64 v[155:156], v[30:31], v[138:139]
	v_add_f64 v[157:158], v[32:33], v[140:141]
	v_cvt_f32_f64_e32 v151, v[151:152]
	v_cvt_f32_f64_e32 v152, v[153:154]
	;; [unrolled: 1-line block ×4, first 2 shown]
	v_min3_f32 v151, v151, v152, v239
	v_min_f32_e32 v152, v153, v154
	v_min3_f32 v150, v150, v152, v151
	v_lshlrev_b64 v[152:153], 3, v[162:163]
	v_cvt_f64_f32_e32 v[150:151], v150
	v_add_co_u32 v152, vcc_lo, v146, v152
	v_add_co_ci_u32_e64 v153, null, v147, v153, vcc_lo
	global_store_dwordx2 v[152:153], v[150:151], off
	s_or_b32 exec_lo, exec_lo, s7
	s_and_b32 s8, s2, s4
	s_and_saveexec_b32 s7, s8
	s_cbranch_execz .LBB165_84
.LBB165_93:
	v_cmp_ne_u32_e32 vcc_lo, 1, v168
	s_cbranch_vccnz .LBB165_95
; %bb.94:
	v_lshlrev_b64 v[150:151], 3, v[164:165]
	v_add_co_u32 v150, vcc_lo, v148, v150
	v_add_co_ci_u32_e64 v151, null, v149, v151, vcc_lo
	global_load_dwordx2 v[150:151], v[150:151], off
	s_waitcnt vmcnt(0)
	v_mul_f64 v[150:151], s[16:17], v[150:151]
	v_cvt_f32_f64_e32 v150, v[150:151]
	s_branch .LBB165_96
.LBB165_95:
	v_mov_b32_e32 v150, 0
.LBB165_96:
	s_waitcnt lgkmcnt(27)
	v_add_f64 v[151:152], v[22:23], v[142:143]
	v_add_f64 v[153:154], v[24:25], v[144:145]
	s_waitcnt lgkmcnt(26)
	v_add_f64 v[155:156], v[18:19], v[138:139]
	v_add_f64 v[157:158], v[20:21], v[140:141]
	v_cvt_f32_f64_e32 v151, v[151:152]
	v_cvt_f32_f64_e32 v152, v[153:154]
	;; [unrolled: 1-line block ×4, first 2 shown]
	v_min3_f32 v151, v151, v152, v238
	v_min_f32_e32 v152, v153, v154
	v_min3_f32 v150, v150, v152, v151
	v_lshlrev_b64 v[152:153], 3, v[164:165]
	v_cvt_f64_f32_e32 v[150:151], v150
	v_add_co_u32 v152, vcc_lo, v146, v152
	v_add_co_ci_u32_e64 v153, null, v147, v153, vcc_lo
	global_store_dwordx2 v[152:153], v[150:151], off
	s_or_b32 exec_lo, exec_lo, s7
	s_and_b32 s7, s3, s4
	s_and_saveexec_b32 s4, s7
	s_cbranch_execz .LBB165_101
.LBB165_97:
	v_cmp_ne_u32_e32 vcc_lo, 1, v168
	s_cbranch_vccnz .LBB165_99
; %bb.98:
	v_lshlrev_b64 v[150:151], 3, v[166:167]
	v_add_co_u32 v148, vcc_lo, v148, v150
	v_add_co_ci_u32_e64 v149, null, v149, v151, vcc_lo
	global_load_dwordx2 v[148:149], v[148:149], off
	s_waitcnt vmcnt(0)
	v_mul_f64 v[148:149], s[16:17], v[148:149]
	v_cvt_f32_f64_e32 v148, v[148:149]
	s_branch .LBB165_100
.LBB165_99:
	v_mov_b32_e32 v148, 0
.LBB165_100:
	s_waitcnt lgkmcnt(27)
	v_add_f64 v[142:143], v[6:7], v[142:143]
	v_add_f64 v[144:145], v[8:9], v[144:145]
	s_waitcnt lgkmcnt(26)
	v_add_f64 v[138:139], v[2:3], v[138:139]
	v_add_f64 v[140:141], v[4:5], v[140:141]
	v_cvt_f32_f64_e32 v142, v[142:143]
	v_cvt_f32_f64_e32 v143, v[144:145]
	;; [unrolled: 1-line block ×4, first 2 shown]
	v_min3_f32 v140, v142, v143, v224
	v_min_f32_e32 v138, v138, v139
	v_min3_f32 v138, v148, v138, v140
	v_lshlrev_b64 v[140:141], 3, v[166:167]
	v_cvt_f64_f32_e32 v[138:139], v138
	v_add_co_u32 v140, vcc_lo, v146, v140
	v_add_co_ci_u32_e64 v141, null, v147, v141, vcc_lo
	global_store_dwordx2 v[140:141], v[138:139], off
.LBB165_101:
	s_or_b32 exec_lo, exec_lo, s4
	s_waitcnt lgkmcnt(27)
	v_add_nc_u32_e32 v142, 24, v169
	s_waitcnt lgkmcnt(26)
	v_mad_i64_i32 v[138:139], null, v142, s6, 0
	v_mad_i64_i32 v[140:141], null, v142, s5, 0
	v_cmp_gt_i32_e64 s4, s9, v142
	v_lshlrev_b64 v[138:139], 3, v[138:139]
	s_and_b32 s8, s0, s4
	v_lshlrev_b64 v[142:143], 3, v[140:141]
	v_add_co_u32 v140, vcc_lo, s18, v138
	v_add_co_ci_u32_e64 v141, null, s19, v139, vcc_lo
	v_add_co_u32 v138, vcc_lo, s10, v142
	v_add_co_ci_u32_e64 v139, null, s11, v143, vcc_lo
	s_and_saveexec_b32 s7, s8
	s_cbranch_execnz .LBB165_105
; %bb.102:
	s_or_b32 exec_lo, exec_lo, s7
	s_and_b32 s8, s1, s4
	s_and_saveexec_b32 s7, s8
	s_cbranch_execnz .LBB165_109
.LBB165_103:
	s_or_b32 exec_lo, exec_lo, s7
	s_and_b32 s8, s2, s4
	s_and_saveexec_b32 s7, s8
	s_cbranch_execnz .LBB165_113
.LBB165_104:
	s_or_b32 exec_lo, exec_lo, s7
	s_and_b32 s7, s3, s4
	s_and_saveexec_b32 s4, s7
	s_cbranch_execnz .LBB165_117
	s_branch .LBB165_121
.LBB165_105:
	v_cmp_ne_u32_e32 vcc_lo, 1, v168
	s_cbranch_vccnz .LBB165_107
; %bb.106:
	v_lshlrev_b64 v[142:143], 3, v[0:1]
	v_add_co_u32 v142, vcc_lo, v140, v142
	v_add_co_ci_u32_e64 v143, null, v141, v143, vcc_lo
	global_load_dwordx2 v[142:143], v[142:143], off
	s_waitcnt vmcnt(0)
	v_mul_f64 v[142:143], s[16:17], v[142:143]
	v_cvt_f32_f64_e32 v142, v[142:143]
	s_branch .LBB165_108
.LBB165_107:
	v_mov_b32_e32 v142, 0
.LBB165_108:
	s_waitcnt lgkmcnt(25)
	v_add_f64 v[143:144], v[38:39], v[134:135]
	v_add_f64 v[145:146], v[40:41], v[136:137]
	s_waitcnt lgkmcnt(24)
	v_add_f64 v[147:148], v[34:35], v[130:131]
	v_add_f64 v[149:150], v[36:37], v[132:133]
	v_cvt_f32_f64_e32 v143, v[143:144]
	v_cvt_f32_f64_e32 v144, v[145:146]
	;; [unrolled: 1-line block ×4, first 2 shown]
	v_min3_f32 v143, v143, v144, v236
	v_min_f32_e32 v144, v145, v146
	v_min3_f32 v142, v142, v144, v143
	v_lshlrev_b64 v[144:145], 3, v[0:1]
	v_cvt_f64_f32_e32 v[142:143], v142
	v_add_co_u32 v144, vcc_lo, v138, v144
	v_add_co_ci_u32_e64 v145, null, v139, v145, vcc_lo
	global_store_dwordx2 v[144:145], v[142:143], off
	s_or_b32 exec_lo, exec_lo, s7
	s_and_b32 s8, s1, s4
	s_and_saveexec_b32 s7, s8
	s_cbranch_execz .LBB165_103
.LBB165_109:
	v_cmp_ne_u32_e32 vcc_lo, 1, v168
	s_cbranch_vccnz .LBB165_111
; %bb.110:
	v_lshlrev_b64 v[142:143], 3, v[162:163]
	v_add_co_u32 v142, vcc_lo, v140, v142
	v_add_co_ci_u32_e64 v143, null, v141, v143, vcc_lo
	global_load_dwordx2 v[142:143], v[142:143], off
	s_waitcnt vmcnt(0)
	v_mul_f64 v[142:143], s[16:17], v[142:143]
	v_cvt_f32_f64_e32 v142, v[142:143]
	s_branch .LBB165_112
.LBB165_111:
	v_mov_b32_e32 v142, 0
.LBB165_112:
	s_waitcnt lgkmcnt(25)
	v_add_f64 v[143:144], v[26:27], v[134:135]
	v_add_f64 v[145:146], v[28:29], v[136:137]
	s_waitcnt lgkmcnt(24)
	v_add_f64 v[147:148], v[30:31], v[130:131]
	v_add_f64 v[149:150], v[32:33], v[132:133]
	v_cvt_f32_f64_e32 v143, v[143:144]
	v_cvt_f32_f64_e32 v144, v[145:146]
	;; [unrolled: 1-line block ×4, first 2 shown]
	v_min3_f32 v143, v143, v144, v235
	v_min_f32_e32 v144, v145, v146
	v_min3_f32 v142, v142, v144, v143
	v_lshlrev_b64 v[144:145], 3, v[162:163]
	v_cvt_f64_f32_e32 v[142:143], v142
	v_add_co_u32 v144, vcc_lo, v138, v144
	v_add_co_ci_u32_e64 v145, null, v139, v145, vcc_lo
	global_store_dwordx2 v[144:145], v[142:143], off
	s_or_b32 exec_lo, exec_lo, s7
	s_and_b32 s8, s2, s4
	s_and_saveexec_b32 s7, s8
	s_cbranch_execz .LBB165_104
.LBB165_113:
	v_cmp_ne_u32_e32 vcc_lo, 1, v168
	s_cbranch_vccnz .LBB165_115
; %bb.114:
	v_lshlrev_b64 v[142:143], 3, v[164:165]
	v_add_co_u32 v142, vcc_lo, v140, v142
	v_add_co_ci_u32_e64 v143, null, v141, v143, vcc_lo
	global_load_dwordx2 v[142:143], v[142:143], off
	s_waitcnt vmcnt(0)
	v_mul_f64 v[142:143], s[16:17], v[142:143]
	v_cvt_f32_f64_e32 v142, v[142:143]
	s_branch .LBB165_116
.LBB165_115:
	v_mov_b32_e32 v142, 0
.LBB165_116:
	s_waitcnt lgkmcnt(25)
	v_add_f64 v[143:144], v[22:23], v[134:135]
	v_add_f64 v[145:146], v[24:25], v[136:137]
	s_waitcnt lgkmcnt(24)
	v_add_f64 v[147:148], v[18:19], v[130:131]
	v_add_f64 v[149:150], v[20:21], v[132:133]
	v_cvt_f32_f64_e32 v143, v[143:144]
	v_cvt_f32_f64_e32 v144, v[145:146]
	;; [unrolled: 1-line block ×4, first 2 shown]
	v_min3_f32 v143, v143, v144, v223
	v_min_f32_e32 v144, v145, v146
	v_min3_f32 v142, v142, v144, v143
	v_lshlrev_b64 v[144:145], 3, v[164:165]
	v_cvt_f64_f32_e32 v[142:143], v142
	v_add_co_u32 v144, vcc_lo, v138, v144
	v_add_co_ci_u32_e64 v145, null, v139, v145, vcc_lo
	global_store_dwordx2 v[144:145], v[142:143], off
	s_or_b32 exec_lo, exec_lo, s7
	s_and_b32 s7, s3, s4
	s_and_saveexec_b32 s4, s7
	s_cbranch_execz .LBB165_121
.LBB165_117:
	v_cmp_ne_u32_e32 vcc_lo, 1, v168
	s_cbranch_vccnz .LBB165_119
; %bb.118:
	v_lshlrev_b64 v[142:143], 3, v[166:167]
	v_add_co_u32 v140, vcc_lo, v140, v142
	v_add_co_ci_u32_e64 v141, null, v141, v143, vcc_lo
	global_load_dwordx2 v[140:141], v[140:141], off
	s_waitcnt vmcnt(0)
	v_mul_f64 v[140:141], s[16:17], v[140:141]
	v_cvt_f32_f64_e32 v140, v[140:141]
	s_branch .LBB165_120
.LBB165_119:
	v_mov_b32_e32 v140, 0
.LBB165_120:
	s_waitcnt lgkmcnt(25)
	v_add_f64 v[134:135], v[6:7], v[134:135]
	v_add_f64 v[136:137], v[8:9], v[136:137]
	s_waitcnt lgkmcnt(24)
	v_add_f64 v[130:131], v[2:3], v[130:131]
	v_add_f64 v[132:133], v[4:5], v[132:133]
	v_cvt_f32_f64_e32 v134, v[134:135]
	v_cvt_f32_f64_e32 v135, v[136:137]
	;; [unrolled: 1-line block ×4, first 2 shown]
	v_min3_f32 v132, v134, v135, v229
	v_min_f32_e32 v130, v130, v131
	v_min3_f32 v130, v140, v130, v132
	v_lshlrev_b64 v[132:133], 3, v[166:167]
	v_cvt_f64_f32_e32 v[130:131], v130
	v_add_co_u32 v132, vcc_lo, v138, v132
	v_add_co_ci_u32_e64 v133, null, v139, v133, vcc_lo
	global_store_dwordx2 v[132:133], v[130:131], off
.LBB165_121:
	s_or_b32 exec_lo, exec_lo, s4
	s_waitcnt lgkmcnt(25)
	v_add_nc_u32_e32 v134, 32, v169
	s_waitcnt lgkmcnt(24)
	v_mad_i64_i32 v[130:131], null, v134, s6, 0
	v_mad_i64_i32 v[132:133], null, v134, s5, 0
	v_cmp_gt_i32_e64 s4, s9, v134
	v_lshlrev_b64 v[130:131], 3, v[130:131]
	s_and_b32 s8, s0, s4
	v_lshlrev_b64 v[134:135], 3, v[132:133]
	v_add_co_u32 v132, vcc_lo, s18, v130
	v_add_co_ci_u32_e64 v133, null, s19, v131, vcc_lo
	v_add_co_u32 v130, vcc_lo, s10, v134
	v_add_co_ci_u32_e64 v131, null, s11, v135, vcc_lo
	s_and_saveexec_b32 s7, s8
	s_cbranch_execnz .LBB165_125
; %bb.122:
	s_or_b32 exec_lo, exec_lo, s7
	s_and_b32 s8, s1, s4
	s_and_saveexec_b32 s7, s8
	s_cbranch_execnz .LBB165_129
.LBB165_123:
	s_or_b32 exec_lo, exec_lo, s7
	s_and_b32 s8, s2, s4
	s_and_saveexec_b32 s7, s8
	s_cbranch_execnz .LBB165_133
.LBB165_124:
	s_or_b32 exec_lo, exec_lo, s7
	s_and_b32 s7, s3, s4
	s_and_saveexec_b32 s4, s7
	s_cbranch_execnz .LBB165_137
	s_branch .LBB165_141
.LBB165_125:
	v_cmp_ne_u32_e32 vcc_lo, 1, v168
	s_cbranch_vccnz .LBB165_127
; %bb.126:
	v_lshlrev_b64 v[134:135], 3, v[0:1]
	v_add_co_u32 v134, vcc_lo, v132, v134
	v_add_co_ci_u32_e64 v135, null, v133, v135, vcc_lo
	global_load_dwordx2 v[134:135], v[134:135], off
	s_waitcnt vmcnt(0)
	v_mul_f64 v[134:135], s[16:17], v[134:135]
	v_cvt_f32_f64_e32 v134, v[134:135]
	s_branch .LBB165_128
.LBB165_127:
	v_mov_b32_e32 v134, 0
.LBB165_128:
	s_waitcnt lgkmcnt(23)
	v_add_f64 v[135:136], v[38:39], v[126:127]
	v_add_f64 v[137:138], v[40:41], v[128:129]
	s_waitcnt lgkmcnt(22)
	v_add_f64 v[139:140], v[34:35], v[122:123]
	v_add_f64 v[141:142], v[36:37], v[124:125]
	v_cvt_f32_f64_e32 v135, v[135:136]
	v_cvt_f32_f64_e32 v136, v[137:138]
	;; [unrolled: 1-line block ×4, first 2 shown]
	v_min3_f32 v135, v135, v136, v226
	v_min_f32_e32 v136, v137, v138
	v_min3_f32 v134, v134, v136, v135
	v_lshlrev_b64 v[136:137], 3, v[0:1]
	v_cvt_f64_f32_e32 v[134:135], v134
	v_add_co_u32 v136, vcc_lo, v130, v136
	v_add_co_ci_u32_e64 v137, null, v131, v137, vcc_lo
	global_store_dwordx2 v[136:137], v[134:135], off
	s_or_b32 exec_lo, exec_lo, s7
	s_and_b32 s8, s1, s4
	s_and_saveexec_b32 s7, s8
	s_cbranch_execz .LBB165_123
.LBB165_129:
	v_cmp_ne_u32_e32 vcc_lo, 1, v168
	s_cbranch_vccnz .LBB165_131
; %bb.130:
	v_lshlrev_b64 v[134:135], 3, v[162:163]
	v_add_co_u32 v134, vcc_lo, v132, v134
	v_add_co_ci_u32_e64 v135, null, v133, v135, vcc_lo
	global_load_dwordx2 v[134:135], v[134:135], off
	s_waitcnt vmcnt(0)
	v_mul_f64 v[134:135], s[16:17], v[134:135]
	v_cvt_f32_f64_e32 v134, v[134:135]
	s_branch .LBB165_132
.LBB165_131:
	v_mov_b32_e32 v134, 0
.LBB165_132:
	s_waitcnt lgkmcnt(23)
	v_add_f64 v[135:136], v[26:27], v[126:127]
	v_add_f64 v[137:138], v[28:29], v[128:129]
	s_waitcnt lgkmcnt(22)
	v_add_f64 v[139:140], v[30:31], v[122:123]
	v_add_f64 v[141:142], v[32:33], v[124:125]
	v_cvt_f32_f64_e32 v135, v[135:136]
	v_cvt_f32_f64_e32 v136, v[137:138]
	;; [unrolled: 1-line block ×4, first 2 shown]
	v_min3_f32 v135, v135, v136, v246
	v_min_f32_e32 v136, v137, v138
	v_min3_f32 v134, v134, v136, v135
	v_lshlrev_b64 v[136:137], 3, v[162:163]
	v_cvt_f64_f32_e32 v[134:135], v134
	v_add_co_u32 v136, vcc_lo, v130, v136
	v_add_co_ci_u32_e64 v137, null, v131, v137, vcc_lo
	global_store_dwordx2 v[136:137], v[134:135], off
	s_or_b32 exec_lo, exec_lo, s7
	s_and_b32 s8, s2, s4
	s_and_saveexec_b32 s7, s8
	s_cbranch_execz .LBB165_124
.LBB165_133:
	v_cmp_ne_u32_e32 vcc_lo, 1, v168
	s_cbranch_vccnz .LBB165_135
; %bb.134:
	v_lshlrev_b64 v[134:135], 3, v[164:165]
	v_add_co_u32 v134, vcc_lo, v132, v134
	v_add_co_ci_u32_e64 v135, null, v133, v135, vcc_lo
	global_load_dwordx2 v[134:135], v[134:135], off
	s_waitcnt vmcnt(0)
	v_mul_f64 v[134:135], s[16:17], v[134:135]
	v_cvt_f32_f64_e32 v134, v[134:135]
	s_branch .LBB165_136
.LBB165_135:
	v_mov_b32_e32 v134, 0
.LBB165_136:
	s_waitcnt lgkmcnt(23)
	v_add_f64 v[135:136], v[22:23], v[126:127]
	v_add_f64 v[137:138], v[24:25], v[128:129]
	s_waitcnt lgkmcnt(22)
	v_add_f64 v[139:140], v[18:19], v[122:123]
	v_add_f64 v[141:142], v[20:21], v[124:125]
	v_cvt_f32_f64_e32 v135, v[135:136]
	v_cvt_f32_f64_e32 v136, v[137:138]
	;; [unrolled: 1-line block ×4, first 2 shown]
	v_min3_f32 v135, v135, v136, v237
	v_min_f32_e32 v136, v137, v138
	v_min3_f32 v134, v134, v136, v135
	v_lshlrev_b64 v[136:137], 3, v[164:165]
	v_cvt_f64_f32_e32 v[134:135], v134
	v_add_co_u32 v136, vcc_lo, v130, v136
	v_add_co_ci_u32_e64 v137, null, v131, v137, vcc_lo
	global_store_dwordx2 v[136:137], v[134:135], off
	s_or_b32 exec_lo, exec_lo, s7
	s_and_b32 s7, s3, s4
	s_and_saveexec_b32 s4, s7
	s_cbranch_execz .LBB165_141
.LBB165_137:
	v_cmp_ne_u32_e32 vcc_lo, 1, v168
	s_cbranch_vccnz .LBB165_139
; %bb.138:
	v_lshlrev_b64 v[134:135], 3, v[166:167]
	v_add_co_u32 v132, vcc_lo, v132, v134
	v_add_co_ci_u32_e64 v133, null, v133, v135, vcc_lo
	global_load_dwordx2 v[132:133], v[132:133], off
	s_waitcnt vmcnt(0)
	v_mul_f64 v[132:133], s[16:17], v[132:133]
	v_cvt_f32_f64_e32 v132, v[132:133]
	s_branch .LBB165_140
.LBB165_139:
	v_mov_b32_e32 v132, 0
.LBB165_140:
	s_waitcnt lgkmcnt(23)
	v_add_f64 v[126:127], v[6:7], v[126:127]
	v_add_f64 v[128:129], v[8:9], v[128:129]
	s_waitcnt lgkmcnt(22)
	v_add_f64 v[122:123], v[2:3], v[122:123]
	v_add_f64 v[124:125], v[4:5], v[124:125]
	v_cvt_f32_f64_e32 v126, v[126:127]
	v_cvt_f32_f64_e32 v127, v[128:129]
	;; [unrolled: 1-line block ×4, first 2 shown]
	v_min3_f32 v124, v126, v127, v234
	v_min_f32_e32 v122, v122, v123
	v_min3_f32 v122, v132, v122, v124
	v_lshlrev_b64 v[124:125], 3, v[166:167]
	v_cvt_f64_f32_e32 v[122:123], v122
	v_add_co_u32 v124, vcc_lo, v130, v124
	v_add_co_ci_u32_e64 v125, null, v131, v125, vcc_lo
	global_store_dwordx2 v[124:125], v[122:123], off
.LBB165_141:
	s_or_b32 exec_lo, exec_lo, s4
	s_waitcnt lgkmcnt(23)
	v_add_nc_u32_e32 v126, 40, v169
	s_waitcnt lgkmcnt(22)
	v_mad_i64_i32 v[122:123], null, v126, s6, 0
	v_mad_i64_i32 v[124:125], null, v126, s5, 0
	v_cmp_gt_i32_e64 s4, s9, v126
	v_lshlrev_b64 v[122:123], 3, v[122:123]
	s_and_b32 s8, s0, s4
	v_lshlrev_b64 v[126:127], 3, v[124:125]
	v_add_co_u32 v124, vcc_lo, s18, v122
	v_add_co_ci_u32_e64 v125, null, s19, v123, vcc_lo
	v_add_co_u32 v122, vcc_lo, s10, v126
	v_add_co_ci_u32_e64 v123, null, s11, v127, vcc_lo
	s_and_saveexec_b32 s7, s8
	s_cbranch_execnz .LBB165_145
; %bb.142:
	s_or_b32 exec_lo, exec_lo, s7
	s_and_b32 s8, s1, s4
	s_and_saveexec_b32 s7, s8
	s_cbranch_execnz .LBB165_149
.LBB165_143:
	s_or_b32 exec_lo, exec_lo, s7
	s_and_b32 s8, s2, s4
	s_and_saveexec_b32 s7, s8
	s_cbranch_execnz .LBB165_153
.LBB165_144:
	s_or_b32 exec_lo, exec_lo, s7
	s_and_b32 s7, s3, s4
	s_and_saveexec_b32 s4, s7
	s_cbranch_execnz .LBB165_157
	s_branch .LBB165_161
.LBB165_145:
	v_cmp_ne_u32_e32 vcc_lo, 1, v168
	s_cbranch_vccnz .LBB165_147
; %bb.146:
	v_lshlrev_b64 v[126:127], 3, v[0:1]
	v_add_co_u32 v126, vcc_lo, v124, v126
	v_add_co_ci_u32_e64 v127, null, v125, v127, vcc_lo
	global_load_dwordx2 v[126:127], v[126:127], off
	s_waitcnt vmcnt(0)
	v_mul_f64 v[126:127], s[16:17], v[126:127]
	v_cvt_f32_f64_e32 v126, v[126:127]
	s_branch .LBB165_148
.LBB165_147:
	v_mov_b32_e32 v126, 0
.LBB165_148:
	s_waitcnt lgkmcnt(21)
	v_add_f64 v[127:128], v[38:39], v[118:119]
	v_add_f64 v[129:130], v[40:41], v[120:121]
	s_waitcnt lgkmcnt(20)
	v_add_f64 v[131:132], v[34:35], v[114:115]
	v_add_f64 v[133:134], v[36:37], v[116:117]
	v_cvt_f32_f64_e32 v127, v[127:128]
	v_cvt_f32_f64_e32 v128, v[129:130]
	;; [unrolled: 1-line block ×4, first 2 shown]
	v_min3_f32 v127, v127, v128, v218
	v_min_f32_e32 v128, v129, v130
	v_min3_f32 v126, v126, v128, v127
	v_lshlrev_b64 v[128:129], 3, v[0:1]
	v_cvt_f64_f32_e32 v[126:127], v126
	v_add_co_u32 v128, vcc_lo, v122, v128
	v_add_co_ci_u32_e64 v129, null, v123, v129, vcc_lo
	global_store_dwordx2 v[128:129], v[126:127], off
	s_or_b32 exec_lo, exec_lo, s7
	s_and_b32 s8, s1, s4
	s_and_saveexec_b32 s7, s8
	s_cbranch_execz .LBB165_143
.LBB165_149:
	v_cmp_ne_u32_e32 vcc_lo, 1, v168
	s_cbranch_vccnz .LBB165_151
; %bb.150:
	v_lshlrev_b64 v[126:127], 3, v[162:163]
	v_add_co_u32 v126, vcc_lo, v124, v126
	v_add_co_ci_u32_e64 v127, null, v125, v127, vcc_lo
	global_load_dwordx2 v[126:127], v[126:127], off
	s_waitcnt vmcnt(0)
	v_mul_f64 v[126:127], s[16:17], v[126:127]
	v_cvt_f32_f64_e32 v126, v[126:127]
	s_branch .LBB165_152
.LBB165_151:
	v_mov_b32_e32 v126, 0
.LBB165_152:
	s_waitcnt lgkmcnt(21)
	v_add_f64 v[127:128], v[26:27], v[118:119]
	v_add_f64 v[129:130], v[28:29], v[120:121]
	s_waitcnt lgkmcnt(20)
	v_add_f64 v[131:132], v[30:31], v[114:115]
	v_add_f64 v[133:134], v[32:33], v[116:117]
	v_cvt_f32_f64_e32 v127, v[127:128]
	v_cvt_f32_f64_e32 v128, v[129:130]
	;; [unrolled: 1-line block ×4, first 2 shown]
	v_min3_f32 v127, v127, v128, v217
	v_min_f32_e32 v128, v129, v130
	v_min3_f32 v126, v126, v128, v127
	v_lshlrev_b64 v[128:129], 3, v[162:163]
	v_cvt_f64_f32_e32 v[126:127], v126
	v_add_co_u32 v128, vcc_lo, v122, v128
	v_add_co_ci_u32_e64 v129, null, v123, v129, vcc_lo
	global_store_dwordx2 v[128:129], v[126:127], off
	s_or_b32 exec_lo, exec_lo, s7
	s_and_b32 s8, s2, s4
	s_and_saveexec_b32 s7, s8
	s_cbranch_execz .LBB165_144
.LBB165_153:
	v_cmp_ne_u32_e32 vcc_lo, 1, v168
	s_cbranch_vccnz .LBB165_155
; %bb.154:
	v_lshlrev_b64 v[126:127], 3, v[164:165]
	v_add_co_u32 v126, vcc_lo, v124, v126
	v_add_co_ci_u32_e64 v127, null, v125, v127, vcc_lo
	global_load_dwordx2 v[126:127], v[126:127], off
	s_waitcnt vmcnt(0)
	v_mul_f64 v[126:127], s[16:17], v[126:127]
	v_cvt_f32_f64_e32 v126, v[126:127]
	s_branch .LBB165_156
.LBB165_155:
	v_mov_b32_e32 v126, 0
.LBB165_156:
	s_waitcnt lgkmcnt(21)
	v_add_f64 v[127:128], v[22:23], v[118:119]
	v_add_f64 v[129:130], v[24:25], v[120:121]
	s_waitcnt lgkmcnt(20)
	v_add_f64 v[131:132], v[18:19], v[114:115]
	v_add_f64 v[133:134], v[20:21], v[116:117]
	v_cvt_f32_f64_e32 v127, v[127:128]
	v_cvt_f32_f64_e32 v128, v[129:130]
	;; [unrolled: 1-line block ×4, first 2 shown]
	v_min3_f32 v127, v127, v128, v216
	v_min_f32_e32 v128, v129, v130
	v_min3_f32 v126, v126, v128, v127
	v_lshlrev_b64 v[128:129], 3, v[164:165]
	v_cvt_f64_f32_e32 v[126:127], v126
	v_add_co_u32 v128, vcc_lo, v122, v128
	v_add_co_ci_u32_e64 v129, null, v123, v129, vcc_lo
	global_store_dwordx2 v[128:129], v[126:127], off
	s_or_b32 exec_lo, exec_lo, s7
	s_and_b32 s7, s3, s4
	s_and_saveexec_b32 s4, s7
	s_cbranch_execz .LBB165_161
.LBB165_157:
	v_cmp_ne_u32_e32 vcc_lo, 1, v168
	s_cbranch_vccnz .LBB165_159
; %bb.158:
	v_lshlrev_b64 v[126:127], 3, v[166:167]
	v_add_co_u32 v124, vcc_lo, v124, v126
	v_add_co_ci_u32_e64 v125, null, v125, v127, vcc_lo
	global_load_dwordx2 v[124:125], v[124:125], off
	s_waitcnt vmcnt(0)
	v_mul_f64 v[124:125], s[16:17], v[124:125]
	v_cvt_f32_f64_e32 v124, v[124:125]
	s_branch .LBB165_160
.LBB165_159:
	v_mov_b32_e32 v124, 0
.LBB165_160:
	s_waitcnt lgkmcnt(21)
	v_add_f64 v[118:119], v[6:7], v[118:119]
	v_add_f64 v[120:121], v[8:9], v[120:121]
	s_waitcnt lgkmcnt(20)
	v_add_f64 v[114:115], v[2:3], v[114:115]
	v_add_f64 v[116:117], v[4:5], v[116:117]
	v_cvt_f32_f64_e32 v118, v[118:119]
	v_cvt_f32_f64_e32 v119, v[120:121]
	;; [unrolled: 1-line block ×4, first 2 shown]
	v_min3_f32 v116, v118, v119, v215
	v_min_f32_e32 v114, v114, v115
	v_min3_f32 v114, v124, v114, v116
	v_lshlrev_b64 v[116:117], 3, v[166:167]
	v_cvt_f64_f32_e32 v[114:115], v114
	v_add_co_u32 v116, vcc_lo, v122, v116
	v_add_co_ci_u32_e64 v117, null, v123, v117, vcc_lo
	global_store_dwordx2 v[116:117], v[114:115], off
.LBB165_161:
	s_or_b32 exec_lo, exec_lo, s4
	s_waitcnt lgkmcnt(21)
	v_add_nc_u32_e32 v118, 48, v169
	s_waitcnt lgkmcnt(20)
	v_mad_i64_i32 v[114:115], null, v118, s6, 0
	v_mad_i64_i32 v[116:117], null, v118, s5, 0
	v_cmp_gt_i32_e64 s4, s9, v118
	v_lshlrev_b64 v[114:115], 3, v[114:115]
	s_and_b32 s8, s0, s4
	v_lshlrev_b64 v[118:119], 3, v[116:117]
	v_add_co_u32 v116, vcc_lo, s18, v114
	v_add_co_ci_u32_e64 v117, null, s19, v115, vcc_lo
	v_add_co_u32 v114, vcc_lo, s10, v118
	v_add_co_ci_u32_e64 v115, null, s11, v119, vcc_lo
	s_and_saveexec_b32 s7, s8
	s_cbranch_execnz .LBB165_165
; %bb.162:
	s_or_b32 exec_lo, exec_lo, s7
	s_and_b32 s8, s1, s4
	s_and_saveexec_b32 s7, s8
	s_cbranch_execnz .LBB165_169
.LBB165_163:
	s_or_b32 exec_lo, exec_lo, s7
	s_and_b32 s8, s2, s4
	s_and_saveexec_b32 s7, s8
	s_cbranch_execnz .LBB165_173
.LBB165_164:
	s_or_b32 exec_lo, exec_lo, s7
	s_and_b32 s7, s3, s4
	s_and_saveexec_b32 s4, s7
	s_cbranch_execnz .LBB165_177
	s_branch .LBB165_181
.LBB165_165:
	v_cmp_ne_u32_e32 vcc_lo, 1, v168
	s_cbranch_vccnz .LBB165_167
; %bb.166:
	v_lshlrev_b64 v[118:119], 3, v[0:1]
	v_add_co_u32 v118, vcc_lo, v116, v118
	v_add_co_ci_u32_e64 v119, null, v117, v119, vcc_lo
	global_load_dwordx2 v[118:119], v[118:119], off
	s_waitcnt vmcnt(0)
	v_mul_f64 v[118:119], s[16:17], v[118:119]
	v_cvt_f32_f64_e32 v118, v[118:119]
	s_branch .LBB165_168
.LBB165_167:
	v_mov_b32_e32 v118, 0
.LBB165_168:
	s_waitcnt lgkmcnt(19)
	v_add_f64 v[119:120], v[38:39], v[110:111]
	v_add_f64 v[121:122], v[40:41], v[112:113]
	s_waitcnt lgkmcnt(18)
	v_add_f64 v[123:124], v[34:35], v[106:107]
	v_add_f64 v[125:126], v[36:37], v[108:109]
	v_cvt_f32_f64_e32 v119, v[119:120]
	v_cvt_f32_f64_e32 v120, v[121:122]
	;; [unrolled: 1-line block ×4, first 2 shown]
	v_min3_f32 v119, v119, v120, v228
	v_min_f32_e32 v120, v121, v122
	v_min3_f32 v118, v118, v120, v119
	v_lshlrev_b64 v[120:121], 3, v[0:1]
	v_cvt_f64_f32_e32 v[118:119], v118
	v_add_co_u32 v120, vcc_lo, v114, v120
	v_add_co_ci_u32_e64 v121, null, v115, v121, vcc_lo
	global_store_dwordx2 v[120:121], v[118:119], off
	s_or_b32 exec_lo, exec_lo, s7
	s_and_b32 s8, s1, s4
	s_and_saveexec_b32 s7, s8
	s_cbranch_execz .LBB165_163
.LBB165_169:
	v_cmp_ne_u32_e32 vcc_lo, 1, v168
	s_cbranch_vccnz .LBB165_171
; %bb.170:
	v_lshlrev_b64 v[118:119], 3, v[162:163]
	v_add_co_u32 v118, vcc_lo, v116, v118
	v_add_co_ci_u32_e64 v119, null, v117, v119, vcc_lo
	global_load_dwordx2 v[118:119], v[118:119], off
	s_waitcnt vmcnt(0)
	v_mul_f64 v[118:119], s[16:17], v[118:119]
	v_cvt_f32_f64_e32 v118, v[118:119]
	s_branch .LBB165_172
.LBB165_171:
	v_mov_b32_e32 v118, 0
.LBB165_172:
	s_waitcnt lgkmcnt(19)
	v_add_f64 v[119:120], v[26:27], v[110:111]
	v_add_f64 v[121:122], v[28:29], v[112:113]
	s_waitcnt lgkmcnt(18)
	v_add_f64 v[123:124], v[30:31], v[106:107]
	v_add_f64 v[125:126], v[32:33], v[108:109]
	v_cvt_f32_f64_e32 v119, v[119:120]
	v_cvt_f32_f64_e32 v120, v[121:122]
	;; [unrolled: 1-line block ×4, first 2 shown]
	v_min3_f32 v119, v119, v120, v227
	v_min_f32_e32 v120, v121, v122
	v_min3_f32 v118, v118, v120, v119
	v_lshlrev_b64 v[120:121], 3, v[162:163]
	v_cvt_f64_f32_e32 v[118:119], v118
	v_add_co_u32 v120, vcc_lo, v114, v120
	v_add_co_ci_u32_e64 v121, null, v115, v121, vcc_lo
	global_store_dwordx2 v[120:121], v[118:119], off
	s_or_b32 exec_lo, exec_lo, s7
	s_and_b32 s8, s2, s4
	s_and_saveexec_b32 s7, s8
	s_cbranch_execz .LBB165_164
.LBB165_173:
	v_cmp_ne_u32_e32 vcc_lo, 1, v168
	s_cbranch_vccnz .LBB165_175
; %bb.174:
	v_lshlrev_b64 v[118:119], 3, v[164:165]
	v_add_co_u32 v118, vcc_lo, v116, v118
	v_add_co_ci_u32_e64 v119, null, v117, v119, vcc_lo
	global_load_dwordx2 v[118:119], v[118:119], off
	s_waitcnt vmcnt(0)
	v_mul_f64 v[118:119], s[16:17], v[118:119]
	v_cvt_f32_f64_e32 v118, v[118:119]
	s_branch .LBB165_176
.LBB165_175:
	v_mov_b32_e32 v118, 0
.LBB165_176:
	s_waitcnt lgkmcnt(19)
	v_add_f64 v[119:120], v[22:23], v[110:111]
	v_add_f64 v[121:122], v[24:25], v[112:113]
	s_waitcnt lgkmcnt(18)
	v_add_f64 v[123:124], v[18:19], v[106:107]
	v_add_f64 v[125:126], v[20:21], v[108:109]
	v_cvt_f32_f64_e32 v119, v[119:120]
	v_cvt_f32_f64_e32 v120, v[121:122]
	;; [unrolled: 1-line block ×4, first 2 shown]
	v_min3_f32 v119, v119, v120, v225
	v_min_f32_e32 v120, v121, v122
	v_min3_f32 v118, v118, v120, v119
	v_lshlrev_b64 v[120:121], 3, v[164:165]
	v_cvt_f64_f32_e32 v[118:119], v118
	v_add_co_u32 v120, vcc_lo, v114, v120
	v_add_co_ci_u32_e64 v121, null, v115, v121, vcc_lo
	global_store_dwordx2 v[120:121], v[118:119], off
	s_or_b32 exec_lo, exec_lo, s7
	s_and_b32 s7, s3, s4
	s_and_saveexec_b32 s4, s7
	s_cbranch_execz .LBB165_181
.LBB165_177:
	v_cmp_ne_u32_e32 vcc_lo, 1, v168
	s_cbranch_vccnz .LBB165_179
; %bb.178:
	v_lshlrev_b64 v[118:119], 3, v[166:167]
	v_add_co_u32 v116, vcc_lo, v116, v118
	v_add_co_ci_u32_e64 v117, null, v117, v119, vcc_lo
	global_load_dwordx2 v[116:117], v[116:117], off
	s_waitcnt vmcnt(0)
	v_mul_f64 v[116:117], s[16:17], v[116:117]
	v_cvt_f32_f64_e32 v116, v[116:117]
	s_branch .LBB165_180
.LBB165_179:
	v_mov_b32_e32 v116, 0
.LBB165_180:
	s_waitcnt lgkmcnt(19)
	v_add_f64 v[110:111], v[6:7], v[110:111]
	v_add_f64 v[112:113], v[8:9], v[112:113]
	s_waitcnt lgkmcnt(18)
	v_add_f64 v[106:107], v[2:3], v[106:107]
	v_add_f64 v[108:109], v[4:5], v[108:109]
	v_cvt_f32_f64_e32 v110, v[110:111]
	v_cvt_f32_f64_e32 v111, v[112:113]
	;; [unrolled: 1-line block ×4, first 2 shown]
	v_min3_f32 v108, v110, v111, v245
	v_min_f32_e32 v106, v106, v107
	v_min3_f32 v106, v116, v106, v108
	v_lshlrev_b64 v[108:109], 3, v[166:167]
	v_cvt_f64_f32_e32 v[106:107], v106
	v_add_co_u32 v108, vcc_lo, v114, v108
	v_add_co_ci_u32_e64 v109, null, v115, v109, vcc_lo
	global_store_dwordx2 v[108:109], v[106:107], off
.LBB165_181:
	s_or_b32 exec_lo, exec_lo, s4
	s_waitcnt lgkmcnt(19)
	v_add_nc_u32_e32 v110, 56, v169
	s_waitcnt lgkmcnt(18)
	v_mad_i64_i32 v[106:107], null, v110, s6, 0
	v_mad_i64_i32 v[108:109], null, v110, s5, 0
	v_cmp_gt_i32_e64 s4, s9, v110
	v_lshlrev_b64 v[106:107], 3, v[106:107]
	s_and_b32 s8, s0, s4
	v_lshlrev_b64 v[110:111], 3, v[108:109]
	v_add_co_u32 v108, vcc_lo, s18, v106
	v_add_co_ci_u32_e64 v109, null, s19, v107, vcc_lo
	v_add_co_u32 v106, vcc_lo, s10, v110
	v_add_co_ci_u32_e64 v107, null, s11, v111, vcc_lo
	s_and_saveexec_b32 s7, s8
	s_cbranch_execnz .LBB165_185
; %bb.182:
	s_or_b32 exec_lo, exec_lo, s7
	s_and_b32 s8, s1, s4
	s_and_saveexec_b32 s7, s8
	s_cbranch_execnz .LBB165_189
.LBB165_183:
	s_or_b32 exec_lo, exec_lo, s7
	s_and_b32 s8, s2, s4
	s_and_saveexec_b32 s7, s8
	s_cbranch_execnz .LBB165_193
.LBB165_184:
	s_or_b32 exec_lo, exec_lo, s7
	s_and_b32 s7, s3, s4
	s_and_saveexec_b32 s4, s7
	s_cbranch_execnz .LBB165_197
	s_branch .LBB165_201
.LBB165_185:
	v_cmp_ne_u32_e32 vcc_lo, 1, v168
	s_cbranch_vccnz .LBB165_187
; %bb.186:
	v_lshlrev_b64 v[110:111], 3, v[0:1]
	v_add_co_u32 v110, vcc_lo, v108, v110
	v_add_co_ci_u32_e64 v111, null, v109, v111, vcc_lo
	global_load_dwordx2 v[110:111], v[110:111], off
	s_waitcnt vmcnt(0)
	v_mul_f64 v[110:111], s[16:17], v[110:111]
	v_cvt_f32_f64_e32 v110, v[110:111]
	s_branch .LBB165_188
.LBB165_187:
	v_mov_b32_e32 v110, 0
.LBB165_188:
	s_waitcnt lgkmcnt(17)
	v_add_f64 v[111:112], v[38:39], v[102:103]
	v_add_f64 v[113:114], v[40:41], v[104:105]
	s_waitcnt lgkmcnt(16)
	v_add_f64 v[115:116], v[34:35], v[98:99]
	v_add_f64 v[117:118], v[36:37], v[100:101]
	v_cvt_f32_f64_e32 v111, v[111:112]
	v_cvt_f32_f64_e32 v112, v[113:114]
	;; [unrolled: 1-line block ×4, first 2 shown]
	v_min3_f32 v111, v111, v112, v233
	v_min_f32_e32 v112, v113, v114
	v_min3_f32 v110, v110, v112, v111
	v_lshlrev_b64 v[112:113], 3, v[0:1]
	v_cvt_f64_f32_e32 v[110:111], v110
	v_add_co_u32 v112, vcc_lo, v106, v112
	v_add_co_ci_u32_e64 v113, null, v107, v113, vcc_lo
	global_store_dwordx2 v[112:113], v[110:111], off
	s_or_b32 exec_lo, exec_lo, s7
	s_and_b32 s8, s1, s4
	s_and_saveexec_b32 s7, s8
	s_cbranch_execz .LBB165_183
.LBB165_189:
	v_cmp_ne_u32_e32 vcc_lo, 1, v168
	s_cbranch_vccnz .LBB165_191
; %bb.190:
	v_lshlrev_b64 v[110:111], 3, v[162:163]
	v_add_co_u32 v110, vcc_lo, v108, v110
	v_add_co_ci_u32_e64 v111, null, v109, v111, vcc_lo
	global_load_dwordx2 v[110:111], v[110:111], off
	s_waitcnt vmcnt(0)
	v_mul_f64 v[110:111], s[16:17], v[110:111]
	v_cvt_f32_f64_e32 v110, v[110:111]
	s_branch .LBB165_192
.LBB165_191:
	v_mov_b32_e32 v110, 0
.LBB165_192:
	s_waitcnt lgkmcnt(17)
	v_add_f64 v[111:112], v[26:27], v[102:103]
	v_add_f64 v[113:114], v[28:29], v[104:105]
	s_waitcnt lgkmcnt(16)
	v_add_f64 v[115:116], v[30:31], v[98:99]
	v_add_f64 v[117:118], v[32:33], v[100:101]
	v_cvt_f32_f64_e32 v111, v[111:112]
	v_cvt_f32_f64_e32 v112, v[113:114]
	v_cvt_f32_f64_e32 v113, v[115:116]
	v_cvt_f32_f64_e32 v114, v[117:118]
	v_min3_f32 v111, v111, v112, v232
	v_min_f32_e32 v112, v113, v114
	v_min3_f32 v110, v110, v112, v111
	v_lshlrev_b64 v[112:113], 3, v[162:163]
	v_cvt_f64_f32_e32 v[110:111], v110
	v_add_co_u32 v112, vcc_lo, v106, v112
	v_add_co_ci_u32_e64 v113, null, v107, v113, vcc_lo
	global_store_dwordx2 v[112:113], v[110:111], off
	s_or_b32 exec_lo, exec_lo, s7
	s_and_b32 s8, s2, s4
	s_and_saveexec_b32 s7, s8
	s_cbranch_execz .LBB165_184
.LBB165_193:
	v_cmp_ne_u32_e32 vcc_lo, 1, v168
	s_cbranch_vccnz .LBB165_195
; %bb.194:
	v_lshlrev_b64 v[110:111], 3, v[164:165]
	v_add_co_u32 v110, vcc_lo, v108, v110
	v_add_co_ci_u32_e64 v111, null, v109, v111, vcc_lo
	global_load_dwordx2 v[110:111], v[110:111], off
	s_waitcnt vmcnt(0)
	v_mul_f64 v[110:111], s[16:17], v[110:111]
	v_cvt_f32_f64_e32 v110, v[110:111]
	s_branch .LBB165_196
.LBB165_195:
	v_mov_b32_e32 v110, 0
.LBB165_196:
	s_waitcnt lgkmcnt(17)
	v_add_f64 v[111:112], v[22:23], v[102:103]
	v_add_f64 v[113:114], v[24:25], v[104:105]
	s_waitcnt lgkmcnt(16)
	v_add_f64 v[115:116], v[18:19], v[98:99]
	v_add_f64 v[117:118], v[20:21], v[100:101]
	v_cvt_f32_f64_e32 v111, v[111:112]
	v_cvt_f32_f64_e32 v112, v[113:114]
	;; [unrolled: 1-line block ×4, first 2 shown]
	v_min3_f32 v111, v111, v112, v231
	v_min_f32_e32 v112, v113, v114
	v_min3_f32 v110, v110, v112, v111
	v_lshlrev_b64 v[112:113], 3, v[164:165]
	v_cvt_f64_f32_e32 v[110:111], v110
	v_add_co_u32 v112, vcc_lo, v106, v112
	v_add_co_ci_u32_e64 v113, null, v107, v113, vcc_lo
	global_store_dwordx2 v[112:113], v[110:111], off
	s_or_b32 exec_lo, exec_lo, s7
	s_and_b32 s7, s3, s4
	s_and_saveexec_b32 s4, s7
	s_cbranch_execz .LBB165_201
.LBB165_197:
	v_cmp_ne_u32_e32 vcc_lo, 1, v168
	s_cbranch_vccnz .LBB165_199
; %bb.198:
	v_lshlrev_b64 v[110:111], 3, v[166:167]
	v_add_co_u32 v108, vcc_lo, v108, v110
	v_add_co_ci_u32_e64 v109, null, v109, v111, vcc_lo
	global_load_dwordx2 v[108:109], v[108:109], off
	s_waitcnt vmcnt(0)
	v_mul_f64 v[108:109], s[16:17], v[108:109]
	v_cvt_f32_f64_e32 v108, v[108:109]
	s_branch .LBB165_200
.LBB165_199:
	v_mov_b32_e32 v108, 0
.LBB165_200:
	s_waitcnt lgkmcnt(17)
	v_add_f64 v[102:103], v[6:7], v[102:103]
	v_add_f64 v[104:105], v[8:9], v[104:105]
	s_waitcnt lgkmcnt(16)
	v_add_f64 v[98:99], v[2:3], v[98:99]
	v_add_f64 v[100:101], v[4:5], v[100:101]
	v_cvt_f32_f64_e32 v102, v[102:103]
	v_cvt_f32_f64_e32 v103, v[104:105]
	;; [unrolled: 1-line block ×4, first 2 shown]
	v_min3_f32 v100, v102, v103, v230
	v_min_f32_e32 v98, v98, v99
	v_min3_f32 v98, v108, v98, v100
	v_lshlrev_b64 v[100:101], 3, v[166:167]
	v_cvt_f64_f32_e32 v[98:99], v98
	v_add_co_u32 v100, vcc_lo, v106, v100
	v_add_co_ci_u32_e64 v101, null, v107, v101, vcc_lo
	global_store_dwordx2 v[100:101], v[98:99], off
.LBB165_201:
	s_or_b32 exec_lo, exec_lo, s4
	s_waitcnt lgkmcnt(17)
	v_add_nc_u32_e32 v102, 64, v169
	s_waitcnt lgkmcnt(16)
	v_mad_i64_i32 v[98:99], null, v102, s6, 0
	v_mad_i64_i32 v[100:101], null, v102, s5, 0
	v_cmp_gt_i32_e64 s4, s9, v102
	v_lshlrev_b64 v[98:99], 3, v[98:99]
	s_and_b32 s8, s0, s4
	v_lshlrev_b64 v[102:103], 3, v[100:101]
	v_add_co_u32 v100, vcc_lo, s18, v98
	v_add_co_ci_u32_e64 v101, null, s19, v99, vcc_lo
	v_add_co_u32 v98, vcc_lo, s10, v102
	v_add_co_ci_u32_e64 v99, null, s11, v103, vcc_lo
	s_and_saveexec_b32 s7, s8
	s_cbranch_execnz .LBB165_205
; %bb.202:
	s_or_b32 exec_lo, exec_lo, s7
	s_and_b32 s8, s1, s4
	s_and_saveexec_b32 s7, s8
	s_cbranch_execnz .LBB165_209
.LBB165_203:
	s_or_b32 exec_lo, exec_lo, s7
	s_and_b32 s8, s2, s4
	s_and_saveexec_b32 s7, s8
	s_cbranch_execnz .LBB165_213
.LBB165_204:
	s_or_b32 exec_lo, exec_lo, s7
	s_and_b32 s7, s3, s4
	s_and_saveexec_b32 s4, s7
	s_cbranch_execnz .LBB165_217
	s_branch .LBB165_221
.LBB165_205:
	v_cmp_ne_u32_e32 vcc_lo, 1, v168
	s_cbranch_vccnz .LBB165_207
; %bb.206:
	v_lshlrev_b64 v[102:103], 3, v[0:1]
	v_add_co_u32 v102, vcc_lo, v100, v102
	v_add_co_ci_u32_e64 v103, null, v101, v103, vcc_lo
	global_load_dwordx2 v[102:103], v[102:103], off
	s_waitcnt vmcnt(0)
	v_mul_f64 v[102:103], s[16:17], v[102:103]
	v_cvt_f32_f64_e32 v102, v[102:103]
	s_branch .LBB165_208
.LBB165_207:
	v_mov_b32_e32 v102, 0
.LBB165_208:
	s_waitcnt lgkmcnt(15)
	v_add_f64 v[103:104], v[38:39], v[94:95]
	v_add_f64 v[105:106], v[40:41], v[96:97]
	s_waitcnt lgkmcnt(14)
	v_add_f64 v[107:108], v[34:35], v[90:91]
	v_add_f64 v[109:110], v[36:37], v[92:93]
	v_cvt_f32_f64_e32 v103, v[103:104]
	v_cvt_f32_f64_e32 v104, v[105:106]
	;; [unrolled: 1-line block ×4, first 2 shown]
	v_min3_f32 v103, v103, v104, v214
	v_min_f32_e32 v104, v105, v106
	v_min3_f32 v102, v102, v104, v103
	v_lshlrev_b64 v[104:105], 3, v[0:1]
	v_cvt_f64_f32_e32 v[102:103], v102
	v_add_co_u32 v104, vcc_lo, v98, v104
	v_add_co_ci_u32_e64 v105, null, v99, v105, vcc_lo
	global_store_dwordx2 v[104:105], v[102:103], off
	s_or_b32 exec_lo, exec_lo, s7
	s_and_b32 s8, s1, s4
	s_and_saveexec_b32 s7, s8
	s_cbranch_execz .LBB165_203
.LBB165_209:
	v_cmp_ne_u32_e32 vcc_lo, 1, v168
	s_cbranch_vccnz .LBB165_211
; %bb.210:
	v_lshlrev_b64 v[102:103], 3, v[162:163]
	v_add_co_u32 v102, vcc_lo, v100, v102
	v_add_co_ci_u32_e64 v103, null, v101, v103, vcc_lo
	global_load_dwordx2 v[102:103], v[102:103], off
	s_waitcnt vmcnt(0)
	v_mul_f64 v[102:103], s[16:17], v[102:103]
	v_cvt_f32_f64_e32 v102, v[102:103]
	s_branch .LBB165_212
.LBB165_211:
	v_mov_b32_e32 v102, 0
.LBB165_212:
	s_waitcnt lgkmcnt(15)
	v_add_f64 v[103:104], v[26:27], v[94:95]
	v_add_f64 v[105:106], v[28:29], v[96:97]
	s_waitcnt lgkmcnt(14)
	v_add_f64 v[107:108], v[30:31], v[90:91]
	v_add_f64 v[109:110], v[32:33], v[92:93]
	v_cvt_f32_f64_e32 v103, v[103:104]
	v_cvt_f32_f64_e32 v104, v[105:106]
	;; [unrolled: 1-line block ×4, first 2 shown]
	v_min3_f32 v103, v103, v104, v213
	v_min_f32_e32 v104, v105, v106
	v_min3_f32 v102, v102, v104, v103
	v_lshlrev_b64 v[104:105], 3, v[162:163]
	v_cvt_f64_f32_e32 v[102:103], v102
	v_add_co_u32 v104, vcc_lo, v98, v104
	v_add_co_ci_u32_e64 v105, null, v99, v105, vcc_lo
	global_store_dwordx2 v[104:105], v[102:103], off
	s_or_b32 exec_lo, exec_lo, s7
	s_and_b32 s8, s2, s4
	s_and_saveexec_b32 s7, s8
	s_cbranch_execz .LBB165_204
.LBB165_213:
	v_cmp_ne_u32_e32 vcc_lo, 1, v168
	s_cbranch_vccnz .LBB165_215
; %bb.214:
	v_lshlrev_b64 v[102:103], 3, v[164:165]
	v_add_co_u32 v102, vcc_lo, v100, v102
	v_add_co_ci_u32_e64 v103, null, v101, v103, vcc_lo
	global_load_dwordx2 v[102:103], v[102:103], off
	s_waitcnt vmcnt(0)
	v_mul_f64 v[102:103], s[16:17], v[102:103]
	v_cvt_f32_f64_e32 v102, v[102:103]
	s_branch .LBB165_216
.LBB165_215:
	v_mov_b32_e32 v102, 0
.LBB165_216:
	s_waitcnt lgkmcnt(15)
	v_add_f64 v[103:104], v[22:23], v[94:95]
	v_add_f64 v[105:106], v[24:25], v[96:97]
	s_waitcnt lgkmcnt(14)
	v_add_f64 v[107:108], v[18:19], v[90:91]
	v_add_f64 v[109:110], v[20:21], v[92:93]
	v_cvt_f32_f64_e32 v103, v[103:104]
	v_cvt_f32_f64_e32 v104, v[105:106]
	;; [unrolled: 1-line block ×4, first 2 shown]
	v_min3_f32 v103, v103, v104, v211
	v_min_f32_e32 v104, v105, v106
	v_min3_f32 v102, v102, v104, v103
	v_lshlrev_b64 v[104:105], 3, v[164:165]
	v_cvt_f64_f32_e32 v[102:103], v102
	v_add_co_u32 v104, vcc_lo, v98, v104
	v_add_co_ci_u32_e64 v105, null, v99, v105, vcc_lo
	global_store_dwordx2 v[104:105], v[102:103], off
	s_or_b32 exec_lo, exec_lo, s7
	s_and_b32 s7, s3, s4
	s_and_saveexec_b32 s4, s7
	s_cbranch_execz .LBB165_221
.LBB165_217:
	v_cmp_ne_u32_e32 vcc_lo, 1, v168
	s_cbranch_vccnz .LBB165_219
; %bb.218:
	v_lshlrev_b64 v[102:103], 3, v[166:167]
	v_add_co_u32 v100, vcc_lo, v100, v102
	v_add_co_ci_u32_e64 v101, null, v101, v103, vcc_lo
	global_load_dwordx2 v[100:101], v[100:101], off
	s_waitcnt vmcnt(0)
	v_mul_f64 v[100:101], s[16:17], v[100:101]
	v_cvt_f32_f64_e32 v100, v[100:101]
	s_branch .LBB165_220
.LBB165_219:
	v_mov_b32_e32 v100, 0
.LBB165_220:
	s_waitcnt lgkmcnt(15)
	v_add_f64 v[94:95], v[6:7], v[94:95]
	v_add_f64 v[96:97], v[8:9], v[96:97]
	s_waitcnt lgkmcnt(14)
	v_add_f64 v[90:91], v[2:3], v[90:91]
	v_add_f64 v[92:93], v[4:5], v[92:93]
	v_cvt_f32_f64_e32 v94, v[94:95]
	v_cvt_f32_f64_e32 v95, v[96:97]
	;; [unrolled: 1-line block ×4, first 2 shown]
	v_min3_f32 v92, v94, v95, v209
	v_min_f32_e32 v90, v90, v91
	v_min3_f32 v90, v100, v90, v92
	v_lshlrev_b64 v[92:93], 3, v[166:167]
	v_cvt_f64_f32_e32 v[90:91], v90
	v_add_co_u32 v92, vcc_lo, v98, v92
	v_add_co_ci_u32_e64 v93, null, v99, v93, vcc_lo
	global_store_dwordx2 v[92:93], v[90:91], off
.LBB165_221:
	s_or_b32 exec_lo, exec_lo, s4
	s_waitcnt lgkmcnt(15)
	v_add_nc_u32_e32 v94, 0x48, v169
	s_waitcnt lgkmcnt(14)
	v_mad_i64_i32 v[90:91], null, v94, s6, 0
	v_mad_i64_i32 v[92:93], null, v94, s5, 0
	v_cmp_gt_i32_e64 s4, s9, v94
	v_lshlrev_b64 v[90:91], 3, v[90:91]
	s_and_b32 s8, s0, s4
	v_lshlrev_b64 v[94:95], 3, v[92:93]
	v_add_co_u32 v92, vcc_lo, s18, v90
	v_add_co_ci_u32_e64 v93, null, s19, v91, vcc_lo
	v_add_co_u32 v90, vcc_lo, s10, v94
	v_add_co_ci_u32_e64 v91, null, s11, v95, vcc_lo
	s_and_saveexec_b32 s7, s8
	s_cbranch_execnz .LBB165_225
; %bb.222:
	s_or_b32 exec_lo, exec_lo, s7
	s_and_b32 s8, s1, s4
	s_and_saveexec_b32 s7, s8
	s_cbranch_execnz .LBB165_229
.LBB165_223:
	s_or_b32 exec_lo, exec_lo, s7
	s_and_b32 s8, s2, s4
	s_and_saveexec_b32 s7, s8
	s_cbranch_execnz .LBB165_233
.LBB165_224:
	s_or_b32 exec_lo, exec_lo, s7
	s_and_b32 s7, s3, s4
	s_and_saveexec_b32 s4, s7
	s_cbranch_execnz .LBB165_237
	s_branch .LBB165_241
.LBB165_225:
	v_cmp_ne_u32_e32 vcc_lo, 1, v168
	s_cbranch_vccnz .LBB165_227
; %bb.226:
	v_lshlrev_b64 v[94:95], 3, v[0:1]
	v_add_co_u32 v94, vcc_lo, v92, v94
	v_add_co_ci_u32_e64 v95, null, v93, v95, vcc_lo
	global_load_dwordx2 v[94:95], v[94:95], off
	s_waitcnt vmcnt(0)
	v_mul_f64 v[94:95], s[16:17], v[94:95]
	v_cvt_f32_f64_e32 v94, v[94:95]
	s_branch .LBB165_228
.LBB165_227:
	v_mov_b32_e32 v94, 0
.LBB165_228:
	s_waitcnt lgkmcnt(13)
	v_add_f64 v[95:96], v[38:39], v[86:87]
	v_add_f64 v[97:98], v[40:41], v[88:89]
	s_waitcnt lgkmcnt(12)
	v_add_f64 v[99:100], v[34:35], v[82:83]
	v_add_f64 v[101:102], v[36:37], v[84:85]
	v_cvt_f32_f64_e32 v95, v[95:96]
	v_cvt_f32_f64_e32 v96, v[97:98]
	;; [unrolled: 1-line block ×4, first 2 shown]
	v_min3_f32 v95, v95, v96, v208
	v_min_f32_e32 v96, v97, v98
	v_min3_f32 v94, v94, v96, v95
	v_lshlrev_b64 v[96:97], 3, v[0:1]
	v_cvt_f64_f32_e32 v[94:95], v94
	v_add_co_u32 v96, vcc_lo, v90, v96
	v_add_co_ci_u32_e64 v97, null, v91, v97, vcc_lo
	global_store_dwordx2 v[96:97], v[94:95], off
	s_or_b32 exec_lo, exec_lo, s7
	s_and_b32 s8, s1, s4
	s_and_saveexec_b32 s7, s8
	s_cbranch_execz .LBB165_223
.LBB165_229:
	v_cmp_ne_u32_e32 vcc_lo, 1, v168
	s_cbranch_vccnz .LBB165_231
; %bb.230:
	v_lshlrev_b64 v[94:95], 3, v[162:163]
	v_add_co_u32 v94, vcc_lo, v92, v94
	v_add_co_ci_u32_e64 v95, null, v93, v95, vcc_lo
	global_load_dwordx2 v[94:95], v[94:95], off
	s_waitcnt vmcnt(0)
	v_mul_f64 v[94:95], s[16:17], v[94:95]
	v_cvt_f32_f64_e32 v94, v[94:95]
	s_branch .LBB165_232
.LBB165_231:
	v_mov_b32_e32 v94, 0
.LBB165_232:
	s_waitcnt lgkmcnt(13)
	v_add_f64 v[95:96], v[26:27], v[86:87]
	v_add_f64 v[97:98], v[28:29], v[88:89]
	s_waitcnt lgkmcnt(12)
	v_add_f64 v[99:100], v[30:31], v[82:83]
	v_add_f64 v[101:102], v[32:33], v[84:85]
	v_cvt_f32_f64_e32 v95, v[95:96]
	v_cvt_f32_f64_e32 v96, v[97:98]
	;; [unrolled: 1-line block ×4, first 2 shown]
	v_min3_f32 v95, v95, v96, v207
	v_min_f32_e32 v96, v97, v98
	v_min3_f32 v94, v94, v96, v95
	v_lshlrev_b64 v[96:97], 3, v[162:163]
	v_cvt_f64_f32_e32 v[94:95], v94
	v_add_co_u32 v96, vcc_lo, v90, v96
	v_add_co_ci_u32_e64 v97, null, v91, v97, vcc_lo
	global_store_dwordx2 v[96:97], v[94:95], off
	s_or_b32 exec_lo, exec_lo, s7
	s_and_b32 s8, s2, s4
	s_and_saveexec_b32 s7, s8
	s_cbranch_execz .LBB165_224
.LBB165_233:
	v_cmp_ne_u32_e32 vcc_lo, 1, v168
	s_cbranch_vccnz .LBB165_235
; %bb.234:
	v_lshlrev_b64 v[94:95], 3, v[164:165]
	v_add_co_u32 v94, vcc_lo, v92, v94
	v_add_co_ci_u32_e64 v95, null, v93, v95, vcc_lo
	global_load_dwordx2 v[94:95], v[94:95], off
	s_waitcnt vmcnt(0)
	v_mul_f64 v[94:95], s[16:17], v[94:95]
	v_cvt_f32_f64_e32 v94, v[94:95]
	s_branch .LBB165_236
.LBB165_235:
	v_mov_b32_e32 v94, 0
.LBB165_236:
	s_waitcnt lgkmcnt(13)
	v_add_f64 v[95:96], v[22:23], v[86:87]
	v_add_f64 v[97:98], v[24:25], v[88:89]
	s_waitcnt lgkmcnt(12)
	v_add_f64 v[99:100], v[18:19], v[82:83]
	v_add_f64 v[101:102], v[20:21], v[84:85]
	v_cvt_f32_f64_e32 v95, v[95:96]
	v_cvt_f32_f64_e32 v96, v[97:98]
	;; [unrolled: 1-line block ×4, first 2 shown]
	v_min3_f32 v95, v95, v96, v206
	v_min_f32_e32 v96, v97, v98
	v_min3_f32 v94, v94, v96, v95
	v_lshlrev_b64 v[96:97], 3, v[164:165]
	v_cvt_f64_f32_e32 v[94:95], v94
	v_add_co_u32 v96, vcc_lo, v90, v96
	v_add_co_ci_u32_e64 v97, null, v91, v97, vcc_lo
	global_store_dwordx2 v[96:97], v[94:95], off
	s_or_b32 exec_lo, exec_lo, s7
	s_and_b32 s7, s3, s4
	s_and_saveexec_b32 s4, s7
	s_cbranch_execz .LBB165_241
.LBB165_237:
	v_cmp_ne_u32_e32 vcc_lo, 1, v168
	s_cbranch_vccnz .LBB165_239
; %bb.238:
	v_lshlrev_b64 v[94:95], 3, v[166:167]
	v_add_co_u32 v92, vcc_lo, v92, v94
	v_add_co_ci_u32_e64 v93, null, v93, v95, vcc_lo
	global_load_dwordx2 v[92:93], v[92:93], off
	s_waitcnt vmcnt(0)
	v_mul_f64 v[92:93], s[16:17], v[92:93]
	v_cvt_f32_f64_e32 v92, v[92:93]
	s_branch .LBB165_240
.LBB165_239:
	v_mov_b32_e32 v92, 0
.LBB165_240:
	s_waitcnt lgkmcnt(13)
	v_add_f64 v[86:87], v[6:7], v[86:87]
	v_add_f64 v[88:89], v[8:9], v[88:89]
	s_waitcnt lgkmcnt(12)
	v_add_f64 v[82:83], v[2:3], v[82:83]
	v_add_f64 v[84:85], v[4:5], v[84:85]
	v_cvt_f32_f64_e32 v86, v[86:87]
	v_cvt_f32_f64_e32 v87, v[88:89]
	;; [unrolled: 1-line block ×4, first 2 shown]
	v_min3_f32 v84, v86, v87, v205
	v_min_f32_e32 v82, v82, v83
	v_min3_f32 v82, v92, v82, v84
	v_lshlrev_b64 v[84:85], 3, v[166:167]
	v_cvt_f64_f32_e32 v[82:83], v82
	v_add_co_u32 v84, vcc_lo, v90, v84
	v_add_co_ci_u32_e64 v85, null, v91, v85, vcc_lo
	global_store_dwordx2 v[84:85], v[82:83], off
.LBB165_241:
	s_or_b32 exec_lo, exec_lo, s4
	s_waitcnt lgkmcnt(13)
	v_add_nc_u32_e32 v86, 0x50, v169
	s_waitcnt lgkmcnt(12)
	v_mad_i64_i32 v[82:83], null, v86, s6, 0
	v_mad_i64_i32 v[84:85], null, v86, s5, 0
	v_cmp_gt_i32_e64 s4, s9, v86
	v_lshlrev_b64 v[82:83], 3, v[82:83]
	s_and_b32 s8, s0, s4
	v_lshlrev_b64 v[86:87], 3, v[84:85]
	v_add_co_u32 v84, vcc_lo, s18, v82
	v_add_co_ci_u32_e64 v85, null, s19, v83, vcc_lo
	v_add_co_u32 v82, vcc_lo, s10, v86
	v_add_co_ci_u32_e64 v83, null, s11, v87, vcc_lo
	s_and_saveexec_b32 s7, s8
	s_cbranch_execnz .LBB165_245
; %bb.242:
	s_or_b32 exec_lo, exec_lo, s7
	s_and_b32 s8, s1, s4
	s_and_saveexec_b32 s7, s8
	s_cbranch_execnz .LBB165_249
.LBB165_243:
	s_or_b32 exec_lo, exec_lo, s7
	s_and_b32 s8, s2, s4
	s_and_saveexec_b32 s7, s8
	s_cbranch_execnz .LBB165_253
.LBB165_244:
	s_or_b32 exec_lo, exec_lo, s7
	s_and_b32 s7, s3, s4
	s_and_saveexec_b32 s4, s7
	s_cbranch_execnz .LBB165_257
	s_branch .LBB165_261
.LBB165_245:
	v_cmp_ne_u32_e32 vcc_lo, 1, v168
	s_cbranch_vccnz .LBB165_247
; %bb.246:
	v_lshlrev_b64 v[86:87], 3, v[0:1]
	v_add_co_u32 v86, vcc_lo, v84, v86
	v_add_co_ci_u32_e64 v87, null, v85, v87, vcc_lo
	global_load_dwordx2 v[86:87], v[86:87], off
	s_waitcnt vmcnt(0)
	v_mul_f64 v[86:87], s[16:17], v[86:87]
	v_cvt_f32_f64_e32 v86, v[86:87]
	s_branch .LBB165_248
.LBB165_247:
	v_mov_b32_e32 v86, 0
.LBB165_248:
	s_waitcnt lgkmcnt(11)
	v_add_f64 v[87:88], v[38:39], v[78:79]
	v_add_f64 v[89:90], v[40:41], v[80:81]
	s_waitcnt lgkmcnt(10)
	v_add_f64 v[91:92], v[34:35], v[74:75]
	v_add_f64 v[93:94], v[36:37], v[76:77]
	v_cvt_f32_f64_e32 v87, v[87:88]
	v_cvt_f32_f64_e32 v88, v[89:90]
	v_cvt_f32_f64_e32 v89, v[91:92]
	v_cvt_f32_f64_e32 v90, v[93:94]
	v_min3_f32 v87, v87, v88, v203
	v_min_f32_e32 v88, v89, v90
	v_min3_f32 v86, v86, v88, v87
	v_lshlrev_b64 v[88:89], 3, v[0:1]
	v_cvt_f64_f32_e32 v[86:87], v86
	v_add_co_u32 v88, vcc_lo, v82, v88
	v_add_co_ci_u32_e64 v89, null, v83, v89, vcc_lo
	global_store_dwordx2 v[88:89], v[86:87], off
	s_or_b32 exec_lo, exec_lo, s7
	s_and_b32 s8, s1, s4
	s_and_saveexec_b32 s7, s8
	s_cbranch_execz .LBB165_243
.LBB165_249:
	v_cmp_ne_u32_e32 vcc_lo, 1, v168
	s_cbranch_vccnz .LBB165_251
; %bb.250:
	v_lshlrev_b64 v[86:87], 3, v[162:163]
	v_add_co_u32 v86, vcc_lo, v84, v86
	v_add_co_ci_u32_e64 v87, null, v85, v87, vcc_lo
	global_load_dwordx2 v[86:87], v[86:87], off
	s_waitcnt vmcnt(0)
	v_mul_f64 v[86:87], s[16:17], v[86:87]
	v_cvt_f32_f64_e32 v86, v[86:87]
	s_branch .LBB165_252
.LBB165_251:
	v_mov_b32_e32 v86, 0
.LBB165_252:
	s_waitcnt lgkmcnt(11)
	v_add_f64 v[87:88], v[26:27], v[78:79]
	v_add_f64 v[89:90], v[28:29], v[80:81]
	s_waitcnt lgkmcnt(10)
	v_add_f64 v[91:92], v[30:31], v[74:75]
	v_add_f64 v[93:94], v[32:33], v[76:77]
	v_cvt_f32_f64_e32 v87, v[87:88]
	v_cvt_f32_f64_e32 v88, v[89:90]
	;; [unrolled: 1-line block ×4, first 2 shown]
	v_min3_f32 v87, v87, v88, v201
	v_min_f32_e32 v88, v89, v90
	v_min3_f32 v86, v86, v88, v87
	v_lshlrev_b64 v[88:89], 3, v[162:163]
	v_cvt_f64_f32_e32 v[86:87], v86
	v_add_co_u32 v88, vcc_lo, v82, v88
	v_add_co_ci_u32_e64 v89, null, v83, v89, vcc_lo
	global_store_dwordx2 v[88:89], v[86:87], off
	s_or_b32 exec_lo, exec_lo, s7
	s_and_b32 s8, s2, s4
	s_and_saveexec_b32 s7, s8
	s_cbranch_execz .LBB165_244
.LBB165_253:
	v_cmp_ne_u32_e32 vcc_lo, 1, v168
	s_cbranch_vccnz .LBB165_255
; %bb.254:
	v_lshlrev_b64 v[86:87], 3, v[164:165]
	v_add_co_u32 v86, vcc_lo, v84, v86
	v_add_co_ci_u32_e64 v87, null, v85, v87, vcc_lo
	global_load_dwordx2 v[86:87], v[86:87], off
	s_waitcnt vmcnt(0)
	v_mul_f64 v[86:87], s[16:17], v[86:87]
	v_cvt_f32_f64_e32 v86, v[86:87]
	s_branch .LBB165_256
.LBB165_255:
	v_mov_b32_e32 v86, 0
.LBB165_256:
	s_waitcnt lgkmcnt(11)
	v_add_f64 v[87:88], v[22:23], v[78:79]
	v_add_f64 v[89:90], v[24:25], v[80:81]
	s_waitcnt lgkmcnt(10)
	v_add_f64 v[91:92], v[18:19], v[74:75]
	v_add_f64 v[93:94], v[20:21], v[76:77]
	v_cvt_f32_f64_e32 v87, v[87:88]
	v_cvt_f32_f64_e32 v88, v[89:90]
	v_cvt_f32_f64_e32 v89, v[91:92]
	v_cvt_f32_f64_e32 v90, v[93:94]
	v_min3_f32 v87, v87, v88, v212
	v_min_f32_e32 v88, v89, v90
	v_min3_f32 v86, v86, v88, v87
	v_lshlrev_b64 v[88:89], 3, v[164:165]
	v_cvt_f64_f32_e32 v[86:87], v86
	v_add_co_u32 v88, vcc_lo, v82, v88
	v_add_co_ci_u32_e64 v89, null, v83, v89, vcc_lo
	global_store_dwordx2 v[88:89], v[86:87], off
	s_or_b32 exec_lo, exec_lo, s7
	s_and_b32 s7, s3, s4
	s_and_saveexec_b32 s4, s7
	s_cbranch_execz .LBB165_261
.LBB165_257:
	v_cmp_ne_u32_e32 vcc_lo, 1, v168
	s_cbranch_vccnz .LBB165_259
; %bb.258:
	v_lshlrev_b64 v[86:87], 3, v[166:167]
	v_add_co_u32 v84, vcc_lo, v84, v86
	v_add_co_ci_u32_e64 v85, null, v85, v87, vcc_lo
	global_load_dwordx2 v[84:85], v[84:85], off
	s_waitcnt vmcnt(0)
	v_mul_f64 v[84:85], s[16:17], v[84:85]
	v_cvt_f32_f64_e32 v84, v[84:85]
	s_branch .LBB165_260
.LBB165_259:
	v_mov_b32_e32 v84, 0
.LBB165_260:
	s_waitcnt lgkmcnt(11)
	v_add_f64 v[78:79], v[6:7], v[78:79]
	v_add_f64 v[80:81], v[8:9], v[80:81]
	s_waitcnt lgkmcnt(10)
	v_add_f64 v[74:75], v[2:3], v[74:75]
	v_add_f64 v[76:77], v[4:5], v[76:77]
	v_cvt_f32_f64_e32 v78, v[78:79]
	v_cvt_f32_f64_e32 v79, v[80:81]
	;; [unrolled: 1-line block ×4, first 2 shown]
	v_min3_f32 v76, v78, v79, v210
	v_min_f32_e32 v74, v74, v75
	v_min3_f32 v74, v84, v74, v76
	v_lshlrev_b64 v[76:77], 3, v[166:167]
	v_cvt_f64_f32_e32 v[74:75], v74
	v_add_co_u32 v76, vcc_lo, v82, v76
	v_add_co_ci_u32_e64 v77, null, v83, v77, vcc_lo
	global_store_dwordx2 v[76:77], v[74:75], off
.LBB165_261:
	s_or_b32 exec_lo, exec_lo, s4
	s_waitcnt lgkmcnt(11)
	v_add_nc_u32_e32 v78, 0x58, v169
	s_waitcnt lgkmcnt(10)
	v_mad_i64_i32 v[74:75], null, v78, s6, 0
	v_mad_i64_i32 v[76:77], null, v78, s5, 0
	v_cmp_gt_i32_e64 s4, s9, v78
	v_lshlrev_b64 v[74:75], 3, v[74:75]
	s_and_b32 s8, s0, s4
	v_lshlrev_b64 v[78:79], 3, v[76:77]
	v_add_co_u32 v76, vcc_lo, s18, v74
	v_add_co_ci_u32_e64 v77, null, s19, v75, vcc_lo
	v_add_co_u32 v74, vcc_lo, s10, v78
	v_add_co_ci_u32_e64 v75, null, s11, v79, vcc_lo
	s_and_saveexec_b32 s7, s8
	s_cbranch_execnz .LBB165_265
; %bb.262:
	s_or_b32 exec_lo, exec_lo, s7
	s_and_b32 s8, s1, s4
	s_and_saveexec_b32 s7, s8
	s_cbranch_execnz .LBB165_269
.LBB165_263:
	s_or_b32 exec_lo, exec_lo, s7
	s_and_b32 s8, s2, s4
	s_and_saveexec_b32 s7, s8
	s_cbranch_execnz .LBB165_273
.LBB165_264:
	s_or_b32 exec_lo, exec_lo, s7
	s_and_b32 s7, s3, s4
	s_and_saveexec_b32 s4, s7
	s_cbranch_execnz .LBB165_277
	s_branch .LBB165_281
.LBB165_265:
	v_cmp_ne_u32_e32 vcc_lo, 1, v168
	s_cbranch_vccnz .LBB165_267
; %bb.266:
	v_lshlrev_b64 v[78:79], 3, v[0:1]
	v_add_co_u32 v78, vcc_lo, v76, v78
	v_add_co_ci_u32_e64 v79, null, v77, v79, vcc_lo
	global_load_dwordx2 v[78:79], v[78:79], off
	s_waitcnt vmcnt(0)
	v_mul_f64 v[78:79], s[16:17], v[78:79]
	v_cvt_f32_f64_e32 v78, v[78:79]
	s_branch .LBB165_268
.LBB165_267:
	v_mov_b32_e32 v78, 0
.LBB165_268:
	s_waitcnt lgkmcnt(9)
	v_add_f64 v[79:80], v[38:39], v[70:71]
	v_add_f64 v[81:82], v[40:41], v[72:73]
	s_waitcnt lgkmcnt(8)
	v_add_f64 v[83:84], v[34:35], v[66:67]
	v_add_f64 v[85:86], v[36:37], v[68:69]
	v_cvt_f32_f64_e32 v79, v[79:80]
	v_cvt_f32_f64_e32 v80, v[81:82]
	v_cvt_f32_f64_e32 v81, v[83:84]
	buffer_load_dword v83, off, s[36:39], 0 ; 4-byte Folded Reload
	v_cvt_f32_f64_e32 v82, v[85:86]
	s_waitcnt vmcnt(0)
	v_min3_f32 v79, v79, v80, v83
	v_min_f32_e32 v80, v81, v82
	v_min3_f32 v78, v78, v80, v79
	v_lshlrev_b64 v[80:81], 3, v[0:1]
	v_cvt_f64_f32_e32 v[78:79], v78
	v_add_co_u32 v80, vcc_lo, v74, v80
	v_add_co_ci_u32_e64 v81, null, v75, v81, vcc_lo
	global_store_dwordx2 v[80:81], v[78:79], off
	s_or_b32 exec_lo, exec_lo, s7
	s_and_b32 s8, s1, s4
	s_and_saveexec_b32 s7, s8
	s_cbranch_execz .LBB165_263
.LBB165_269:
	v_cmp_ne_u32_e32 vcc_lo, 1, v168
	s_cbranch_vccnz .LBB165_271
; %bb.270:
	v_lshlrev_b64 v[78:79], 3, v[162:163]
	v_add_co_u32 v78, vcc_lo, v76, v78
	v_add_co_ci_u32_e64 v79, null, v77, v79, vcc_lo
	global_load_dwordx2 v[78:79], v[78:79], off
	s_waitcnt vmcnt(0)
	v_mul_f64 v[78:79], s[16:17], v[78:79]
	v_cvt_f32_f64_e32 v78, v[78:79]
	s_branch .LBB165_272
.LBB165_271:
	v_mov_b32_e32 v78, 0
.LBB165_272:
	s_waitcnt lgkmcnt(9)
	v_add_f64 v[79:80], v[26:27], v[70:71]
	v_add_f64 v[81:82], v[28:29], v[72:73]
	s_waitcnt lgkmcnt(8)
	v_add_f64 v[83:84], v[30:31], v[66:67]
	v_add_f64 v[85:86], v[32:33], v[68:69]
	v_cvt_f32_f64_e32 v79, v[79:80]
	v_cvt_f32_f64_e32 v80, v[81:82]
	;; [unrolled: 1-line block ×4, first 2 shown]
	v_min3_f32 v79, v79, v80, v200
	v_min_f32_e32 v80, v81, v82
	v_min3_f32 v78, v78, v80, v79
	v_lshlrev_b64 v[80:81], 3, v[162:163]
	v_cvt_f64_f32_e32 v[78:79], v78
	v_add_co_u32 v80, vcc_lo, v74, v80
	v_add_co_ci_u32_e64 v81, null, v75, v81, vcc_lo
	global_store_dwordx2 v[80:81], v[78:79], off
	s_or_b32 exec_lo, exec_lo, s7
	s_and_b32 s8, s2, s4
	s_and_saveexec_b32 s7, s8
	s_cbranch_execz .LBB165_264
.LBB165_273:
	v_cmp_ne_u32_e32 vcc_lo, 1, v168
	s_cbranch_vccnz .LBB165_275
; %bb.274:
	v_lshlrev_b64 v[78:79], 3, v[164:165]
	v_add_co_u32 v78, vcc_lo, v76, v78
	v_add_co_ci_u32_e64 v79, null, v77, v79, vcc_lo
	global_load_dwordx2 v[78:79], v[78:79], off
	s_waitcnt vmcnt(0)
	v_mul_f64 v[78:79], s[16:17], v[78:79]
	v_cvt_f32_f64_e32 v78, v[78:79]
	s_branch .LBB165_276
.LBB165_275:
	v_mov_b32_e32 v78, 0
.LBB165_276:
	s_waitcnt lgkmcnt(9)
	v_add_f64 v[79:80], v[22:23], v[70:71]
	v_add_f64 v[81:82], v[24:25], v[72:73]
	s_waitcnt lgkmcnt(8)
	v_add_f64 v[83:84], v[18:19], v[66:67]
	v_add_f64 v[85:86], v[20:21], v[68:69]
	v_cvt_f32_f64_e32 v79, v[79:80]
	v_cvt_f32_f64_e32 v80, v[81:82]
	v_cvt_f32_f64_e32 v81, v[83:84]
	v_cvt_f32_f64_e32 v82, v[85:86]
	v_min3_f32 v79, v79, v80, v199
	v_min_f32_e32 v80, v81, v82
	v_min3_f32 v78, v78, v80, v79
	v_lshlrev_b64 v[80:81], 3, v[164:165]
	v_cvt_f64_f32_e32 v[78:79], v78
	v_add_co_u32 v80, vcc_lo, v74, v80
	v_add_co_ci_u32_e64 v81, null, v75, v81, vcc_lo
	global_store_dwordx2 v[80:81], v[78:79], off
	s_or_b32 exec_lo, exec_lo, s7
	s_and_b32 s7, s3, s4
	s_and_saveexec_b32 s4, s7
	s_cbranch_execz .LBB165_281
.LBB165_277:
	v_cmp_ne_u32_e32 vcc_lo, 1, v168
	s_cbranch_vccnz .LBB165_279
; %bb.278:
	v_lshlrev_b64 v[78:79], 3, v[166:167]
	v_add_co_u32 v76, vcc_lo, v76, v78
	v_add_co_ci_u32_e64 v77, null, v77, v79, vcc_lo
	global_load_dwordx2 v[76:77], v[76:77], off
	s_waitcnt vmcnt(0)
	v_mul_f64 v[76:77], s[16:17], v[76:77]
	v_cvt_f32_f64_e32 v76, v[76:77]
	s_branch .LBB165_280
.LBB165_279:
	v_mov_b32_e32 v76, 0
.LBB165_280:
	s_waitcnt lgkmcnt(9)
	v_add_f64 v[70:71], v[6:7], v[70:71]
	v_add_f64 v[72:73], v[8:9], v[72:73]
	s_waitcnt lgkmcnt(8)
	v_add_f64 v[66:67], v[2:3], v[66:67]
	v_add_f64 v[68:69], v[4:5], v[68:69]
	v_cvt_f32_f64_e32 v70, v[70:71]
	v_cvt_f32_f64_e32 v71, v[72:73]
	;; [unrolled: 1-line block ×4, first 2 shown]
	v_min3_f32 v68, v70, v71, v198
	v_min_f32_e32 v66, v66, v67
	v_min3_f32 v66, v76, v66, v68
	v_lshlrev_b64 v[68:69], 3, v[166:167]
	v_cvt_f64_f32_e32 v[66:67], v66
	v_add_co_u32 v68, vcc_lo, v74, v68
	v_add_co_ci_u32_e64 v69, null, v75, v69, vcc_lo
	global_store_dwordx2 v[68:69], v[66:67], off
.LBB165_281:
	s_or_b32 exec_lo, exec_lo, s4
	s_waitcnt lgkmcnt(9)
	v_add_nc_u32_e32 v70, 0x60, v169
	s_waitcnt lgkmcnt(8)
	v_mad_i64_i32 v[66:67], null, v70, s6, 0
	v_mad_i64_i32 v[68:69], null, v70, s5, 0
	v_cmp_gt_i32_e64 s4, s9, v70
	v_lshlrev_b64 v[66:67], 3, v[66:67]
	s_and_b32 s8, s0, s4
	v_lshlrev_b64 v[70:71], 3, v[68:69]
	v_add_co_u32 v68, vcc_lo, s18, v66
	v_add_co_ci_u32_e64 v69, null, s19, v67, vcc_lo
	v_add_co_u32 v66, vcc_lo, s10, v70
	v_add_co_ci_u32_e64 v67, null, s11, v71, vcc_lo
	s_and_saveexec_b32 s7, s8
	s_cbranch_execnz .LBB165_285
; %bb.282:
	s_or_b32 exec_lo, exec_lo, s7
	s_and_b32 s8, s1, s4
	s_and_saveexec_b32 s7, s8
	s_cbranch_execnz .LBB165_289
.LBB165_283:
	s_or_b32 exec_lo, exec_lo, s7
	s_and_b32 s8, s2, s4
	s_and_saveexec_b32 s7, s8
	s_cbranch_execnz .LBB165_293
.LBB165_284:
	s_or_b32 exec_lo, exec_lo, s7
	s_and_b32 s7, s3, s4
	s_and_saveexec_b32 s4, s7
	s_cbranch_execnz .LBB165_297
	s_branch .LBB165_301
.LBB165_285:
	v_cmp_ne_u32_e32 vcc_lo, 1, v168
	s_cbranch_vccnz .LBB165_287
; %bb.286:
	v_lshlrev_b64 v[70:71], 3, v[0:1]
	v_add_co_u32 v70, vcc_lo, v68, v70
	v_add_co_ci_u32_e64 v71, null, v69, v71, vcc_lo
	global_load_dwordx2 v[70:71], v[70:71], off
	s_waitcnt vmcnt(0)
	v_mul_f64 v[70:71], s[16:17], v[70:71]
	v_cvt_f32_f64_e32 v70, v[70:71]
	s_branch .LBB165_288
.LBB165_287:
	v_mov_b32_e32 v70, 0
.LBB165_288:
	s_waitcnt lgkmcnt(7)
	v_add_f64 v[71:72], v[38:39], v[62:63]
	v_add_f64 v[73:74], v[40:41], v[64:65]
	s_waitcnt lgkmcnt(6)
	v_add_f64 v[75:76], v[34:35], v[58:59]
	v_add_f64 v[77:78], v[36:37], v[60:61]
	v_cvt_f32_f64_e32 v71, v[71:72]
	v_cvt_f32_f64_e32 v72, v[73:74]
	;; [unrolled: 1-line block ×4, first 2 shown]
	v_min3_f32 v71, v71, v72, v255
	v_min_f32_e32 v72, v73, v74
	v_min3_f32 v70, v70, v72, v71
	v_lshlrev_b64 v[72:73], 3, v[0:1]
	v_cvt_f64_f32_e32 v[70:71], v70
	v_add_co_u32 v72, vcc_lo, v66, v72
	v_add_co_ci_u32_e64 v73, null, v67, v73, vcc_lo
	global_store_dwordx2 v[72:73], v[70:71], off
	s_or_b32 exec_lo, exec_lo, s7
	s_and_b32 s8, s1, s4
	s_and_saveexec_b32 s7, s8
	s_cbranch_execz .LBB165_283
.LBB165_289:
	v_cmp_ne_u32_e32 vcc_lo, 1, v168
	s_cbranch_vccnz .LBB165_291
; %bb.290:
	v_lshlrev_b64 v[70:71], 3, v[162:163]
	v_add_co_u32 v70, vcc_lo, v68, v70
	v_add_co_ci_u32_e64 v71, null, v69, v71, vcc_lo
	global_load_dwordx2 v[70:71], v[70:71], off
	s_waitcnt vmcnt(0)
	v_mul_f64 v[70:71], s[16:17], v[70:71]
	v_cvt_f32_f64_e32 v70, v[70:71]
	s_branch .LBB165_292
.LBB165_291:
	v_mov_b32_e32 v70, 0
.LBB165_292:
	s_waitcnt lgkmcnt(7)
	v_add_f64 v[71:72], v[26:27], v[62:63]
	v_add_f64 v[73:74], v[28:29], v[64:65]
	s_waitcnt lgkmcnt(6)
	v_add_f64 v[75:76], v[30:31], v[58:59]
	v_add_f64 v[77:78], v[32:33], v[60:61]
	v_cvt_f32_f64_e32 v71, v[71:72]
	v_cvt_f32_f64_e32 v72, v[73:74]
	;; [unrolled: 1-line block ×4, first 2 shown]
	v_min3_f32 v71, v71, v72, v196
	v_min_f32_e32 v72, v73, v74
	v_min3_f32 v70, v70, v72, v71
	v_lshlrev_b64 v[72:73], 3, v[162:163]
	v_cvt_f64_f32_e32 v[70:71], v70
	v_add_co_u32 v72, vcc_lo, v66, v72
	v_add_co_ci_u32_e64 v73, null, v67, v73, vcc_lo
	global_store_dwordx2 v[72:73], v[70:71], off
	s_or_b32 exec_lo, exec_lo, s7
	s_and_b32 s8, s2, s4
	s_and_saveexec_b32 s7, s8
	s_cbranch_execz .LBB165_284
.LBB165_293:
	v_cmp_ne_u32_e32 vcc_lo, 1, v168
	s_cbranch_vccnz .LBB165_295
; %bb.294:
	v_lshlrev_b64 v[70:71], 3, v[164:165]
	v_add_co_u32 v70, vcc_lo, v68, v70
	v_add_co_ci_u32_e64 v71, null, v69, v71, vcc_lo
	global_load_dwordx2 v[70:71], v[70:71], off
	s_waitcnt vmcnt(0)
	v_mul_f64 v[70:71], s[16:17], v[70:71]
	v_cvt_f32_f64_e32 v70, v[70:71]
	s_branch .LBB165_296
.LBB165_295:
	v_mov_b32_e32 v70, 0
.LBB165_296:
	s_waitcnt lgkmcnt(7)
	v_add_f64 v[71:72], v[22:23], v[62:63]
	v_add_f64 v[73:74], v[24:25], v[64:65]
	s_waitcnt lgkmcnt(6)
	v_add_f64 v[75:76], v[18:19], v[58:59]
	v_add_f64 v[77:78], v[20:21], v[60:61]
	v_cvt_f32_f64_e32 v71, v[71:72]
	v_cvt_f32_f64_e32 v72, v[73:74]
	;; [unrolled: 1-line block ×4, first 2 shown]
	v_min3_f32 v71, v71, v72, v248
	v_min_f32_e32 v72, v73, v74
	v_min3_f32 v70, v70, v72, v71
	v_lshlrev_b64 v[72:73], 3, v[164:165]
	v_cvt_f64_f32_e32 v[70:71], v70
	v_add_co_u32 v72, vcc_lo, v66, v72
	v_add_co_ci_u32_e64 v73, null, v67, v73, vcc_lo
	global_store_dwordx2 v[72:73], v[70:71], off
	s_or_b32 exec_lo, exec_lo, s7
	s_and_b32 s7, s3, s4
	s_and_saveexec_b32 s4, s7
	s_cbranch_execz .LBB165_301
.LBB165_297:
	v_cmp_ne_u32_e32 vcc_lo, 1, v168
	s_cbranch_vccnz .LBB165_299
; %bb.298:
	v_lshlrev_b64 v[70:71], 3, v[166:167]
	v_add_co_u32 v68, vcc_lo, v68, v70
	v_add_co_ci_u32_e64 v69, null, v69, v71, vcc_lo
	global_load_dwordx2 v[68:69], v[68:69], off
	s_waitcnt vmcnt(0)
	v_mul_f64 v[68:69], s[16:17], v[68:69]
	v_cvt_f32_f64_e32 v68, v[68:69]
	s_branch .LBB165_300
.LBB165_299:
	v_mov_b32_e32 v68, 0
.LBB165_300:
	s_waitcnt lgkmcnt(7)
	v_add_f64 v[62:63], v[6:7], v[62:63]
	v_add_f64 v[64:65], v[8:9], v[64:65]
	s_waitcnt lgkmcnt(6)
	v_add_f64 v[58:59], v[2:3], v[58:59]
	v_add_f64 v[60:61], v[4:5], v[60:61]
	v_cvt_f32_f64_e32 v62, v[62:63]
	v_cvt_f32_f64_e32 v63, v[64:65]
	;; [unrolled: 1-line block ×4, first 2 shown]
	v_min3_f32 v60, v62, v63, v247
	v_min_f32_e32 v58, v58, v59
	v_min3_f32 v58, v68, v58, v60
	v_lshlrev_b64 v[60:61], 3, v[166:167]
	v_cvt_f64_f32_e32 v[58:59], v58
	v_add_co_u32 v60, vcc_lo, v66, v60
	v_add_co_ci_u32_e64 v61, null, v67, v61, vcc_lo
	global_store_dwordx2 v[60:61], v[58:59], off
.LBB165_301:
	s_or_b32 exec_lo, exec_lo, s4
	s_waitcnt lgkmcnt(7)
	v_add_nc_u32_e32 v62, 0x68, v169
	s_waitcnt lgkmcnt(6)
	v_mad_i64_i32 v[58:59], null, v62, s6, 0
	v_mad_i64_i32 v[60:61], null, v62, s5, 0
	v_cmp_gt_i32_e64 s4, s9, v62
	v_lshlrev_b64 v[58:59], 3, v[58:59]
	s_and_b32 s8, s0, s4
	v_lshlrev_b64 v[62:63], 3, v[60:61]
	v_add_co_u32 v60, vcc_lo, s18, v58
	v_add_co_ci_u32_e64 v61, null, s19, v59, vcc_lo
	v_add_co_u32 v58, vcc_lo, s10, v62
	v_add_co_ci_u32_e64 v59, null, s11, v63, vcc_lo
	s_and_saveexec_b32 s7, s8
	s_cbranch_execnz .LBB165_305
; %bb.302:
	s_or_b32 exec_lo, exec_lo, s7
	s_and_b32 s8, s1, s4
	s_and_saveexec_b32 s7, s8
	s_cbranch_execnz .LBB165_309
.LBB165_303:
	s_or_b32 exec_lo, exec_lo, s7
	s_and_b32 s8, s2, s4
	s_and_saveexec_b32 s7, s8
	s_cbranch_execnz .LBB165_313
.LBB165_304:
	s_or_b32 exec_lo, exec_lo, s7
	s_and_b32 s7, s3, s4
	s_and_saveexec_b32 s4, s7
	s_cbranch_execnz .LBB165_317
	s_branch .LBB165_321
.LBB165_305:
	v_cmp_ne_u32_e32 vcc_lo, 1, v168
	s_cbranch_vccnz .LBB165_307
; %bb.306:
	v_lshlrev_b64 v[62:63], 3, v[0:1]
	v_add_co_u32 v62, vcc_lo, v60, v62
	v_add_co_ci_u32_e64 v63, null, v61, v63, vcc_lo
	global_load_dwordx2 v[62:63], v[62:63], off
	s_waitcnt vmcnt(0)
	v_mul_f64 v[62:63], s[16:17], v[62:63]
	v_cvt_f32_f64_e32 v62, v[62:63]
	s_branch .LBB165_308
.LBB165_307:
	v_mov_b32_e32 v62, 0
.LBB165_308:
	s_waitcnt lgkmcnt(5)
	v_add_f64 v[63:64], v[38:39], v[54:55]
	v_add_f64 v[65:66], v[40:41], v[56:57]
	s_waitcnt lgkmcnt(4)
	v_add_f64 v[67:68], v[34:35], v[50:51]
	v_add_f64 v[69:70], v[36:37], v[52:53]
	v_cvt_f32_f64_e32 v63, v[63:64]
	v_cvt_f32_f64_e32 v64, v[65:66]
	;; [unrolled: 1-line block ×4, first 2 shown]
	v_min3_f32 v63, v63, v64, v193
	v_min_f32_e32 v64, v65, v66
	v_min3_f32 v62, v62, v64, v63
	v_lshlrev_b64 v[64:65], 3, v[0:1]
	v_cvt_f64_f32_e32 v[62:63], v62
	v_add_co_u32 v64, vcc_lo, v58, v64
	v_add_co_ci_u32_e64 v65, null, v59, v65, vcc_lo
	global_store_dwordx2 v[64:65], v[62:63], off
	s_or_b32 exec_lo, exec_lo, s7
	s_and_b32 s8, s1, s4
	s_and_saveexec_b32 s7, s8
	s_cbranch_execz .LBB165_303
.LBB165_309:
	v_cmp_ne_u32_e32 vcc_lo, 1, v168
	s_cbranch_vccnz .LBB165_311
; %bb.310:
	v_lshlrev_b64 v[62:63], 3, v[162:163]
	v_add_co_u32 v62, vcc_lo, v60, v62
	v_add_co_ci_u32_e64 v63, null, v61, v63, vcc_lo
	global_load_dwordx2 v[62:63], v[62:63], off
	s_waitcnt vmcnt(0)
	v_mul_f64 v[62:63], s[16:17], v[62:63]
	v_cvt_f32_f64_e32 v62, v[62:63]
	s_branch .LBB165_312
.LBB165_311:
	v_mov_b32_e32 v62, 0
.LBB165_312:
	s_waitcnt lgkmcnt(5)
	v_add_f64 v[63:64], v[26:27], v[54:55]
	v_add_f64 v[65:66], v[28:29], v[56:57]
	s_waitcnt lgkmcnt(4)
	v_add_f64 v[67:68], v[30:31], v[50:51]
	v_add_f64 v[69:70], v[32:33], v[52:53]
	v_cvt_f32_f64_e32 v63, v[63:64]
	v_cvt_f32_f64_e32 v64, v[65:66]
	v_cvt_f32_f64_e32 v65, v[67:68]
	v_cvt_f32_f64_e32 v66, v[69:70]
	v_min3_f32 v63, v63, v64, v192
	v_min_f32_e32 v64, v65, v66
	v_min3_f32 v62, v62, v64, v63
	v_lshlrev_b64 v[64:65], 3, v[162:163]
	v_cvt_f64_f32_e32 v[62:63], v62
	v_add_co_u32 v64, vcc_lo, v58, v64
	v_add_co_ci_u32_e64 v65, null, v59, v65, vcc_lo
	global_store_dwordx2 v[64:65], v[62:63], off
	s_or_b32 exec_lo, exec_lo, s7
	s_and_b32 s8, s2, s4
	s_and_saveexec_b32 s7, s8
	s_cbranch_execz .LBB165_304
.LBB165_313:
	v_cmp_ne_u32_e32 vcc_lo, 1, v168
	s_cbranch_vccnz .LBB165_315
; %bb.314:
	v_lshlrev_b64 v[62:63], 3, v[164:165]
	v_add_co_u32 v62, vcc_lo, v60, v62
	v_add_co_ci_u32_e64 v63, null, v61, v63, vcc_lo
	global_load_dwordx2 v[62:63], v[62:63], off
	s_waitcnt vmcnt(0)
	v_mul_f64 v[62:63], s[16:17], v[62:63]
	v_cvt_f32_f64_e32 v62, v[62:63]
	s_branch .LBB165_316
.LBB165_315:
	v_mov_b32_e32 v62, 0
.LBB165_316:
	s_waitcnt lgkmcnt(5)
	v_add_f64 v[63:64], v[22:23], v[54:55]
	v_add_f64 v[65:66], v[24:25], v[56:57]
	s_waitcnt lgkmcnt(4)
	v_add_f64 v[67:68], v[18:19], v[50:51]
	v_add_f64 v[69:70], v[20:21], v[52:53]
	v_cvt_f32_f64_e32 v63, v[63:64]
	v_cvt_f32_f64_e32 v64, v[65:66]
	;; [unrolled: 1-line block ×4, first 2 shown]
	v_min3_f32 v63, v63, v64, v191
	v_min_f32_e32 v64, v65, v66
	v_min3_f32 v62, v62, v64, v63
	v_lshlrev_b64 v[64:65], 3, v[164:165]
	v_cvt_f64_f32_e32 v[62:63], v62
	v_add_co_u32 v64, vcc_lo, v58, v64
	v_add_co_ci_u32_e64 v65, null, v59, v65, vcc_lo
	global_store_dwordx2 v[64:65], v[62:63], off
	s_or_b32 exec_lo, exec_lo, s7
	s_and_b32 s7, s3, s4
	s_and_saveexec_b32 s4, s7
	s_cbranch_execz .LBB165_321
.LBB165_317:
	v_cmp_ne_u32_e32 vcc_lo, 1, v168
	s_cbranch_vccnz .LBB165_319
; %bb.318:
	v_lshlrev_b64 v[62:63], 3, v[166:167]
	v_add_co_u32 v60, vcc_lo, v60, v62
	v_add_co_ci_u32_e64 v61, null, v61, v63, vcc_lo
	global_load_dwordx2 v[60:61], v[60:61], off
	s_waitcnt vmcnt(0)
	v_mul_f64 v[60:61], s[16:17], v[60:61]
	v_cvt_f32_f64_e32 v60, v[60:61]
	s_branch .LBB165_320
.LBB165_319:
	v_mov_b32_e32 v60, 0
.LBB165_320:
	s_waitcnt lgkmcnt(5)
	v_add_f64 v[54:55], v[6:7], v[54:55]
	v_add_f64 v[56:57], v[8:9], v[56:57]
	s_waitcnt lgkmcnt(4)
	v_add_f64 v[50:51], v[2:3], v[50:51]
	v_add_f64 v[52:53], v[4:5], v[52:53]
	v_cvt_f32_f64_e32 v54, v[54:55]
	v_cvt_f32_f64_e32 v55, v[56:57]
	;; [unrolled: 1-line block ×4, first 2 shown]
	v_min3_f32 v52, v54, v55, v190
	v_min_f32_e32 v50, v50, v51
	v_min3_f32 v50, v60, v50, v52
	v_lshlrev_b64 v[52:53], 3, v[166:167]
	v_cvt_f64_f32_e32 v[50:51], v50
	v_add_co_u32 v52, vcc_lo, v58, v52
	v_add_co_ci_u32_e64 v53, null, v59, v53, vcc_lo
	global_store_dwordx2 v[52:53], v[50:51], off
.LBB165_321:
	s_or_b32 exec_lo, exec_lo, s4
	s_waitcnt lgkmcnt(5)
	v_add_nc_u32_e32 v54, 0x70, v169
	s_waitcnt lgkmcnt(4)
	v_mad_i64_i32 v[50:51], null, v54, s6, 0
	v_mad_i64_i32 v[52:53], null, v54, s5, 0
	v_cmp_gt_i32_e64 s4, s9, v54
	v_lshlrev_b64 v[50:51], 3, v[50:51]
	s_and_b32 s8, s0, s4
	v_lshlrev_b64 v[54:55], 3, v[52:53]
	v_add_co_u32 v52, vcc_lo, s18, v50
	v_add_co_ci_u32_e64 v53, null, s19, v51, vcc_lo
	v_add_co_u32 v50, vcc_lo, s10, v54
	v_add_co_ci_u32_e64 v51, null, s11, v55, vcc_lo
	s_and_saveexec_b32 s7, s8
	s_cbranch_execnz .LBB165_325
; %bb.322:
	s_or_b32 exec_lo, exec_lo, s7
	s_and_b32 s8, s1, s4
	s_and_saveexec_b32 s7, s8
	s_cbranch_execnz .LBB165_329
.LBB165_323:
	s_or_b32 exec_lo, exec_lo, s7
	s_and_b32 s8, s2, s4
	s_and_saveexec_b32 s7, s8
	s_cbranch_execnz .LBB165_333
.LBB165_324:
	s_or_b32 exec_lo, exec_lo, s7
	s_and_b32 s7, s3, s4
	s_and_saveexec_b32 s4, s7
	s_cbranch_execnz .LBB165_337
	s_branch .LBB165_341
.LBB165_325:
	v_cmp_ne_u32_e32 vcc_lo, 1, v168
	s_cbranch_vccnz .LBB165_327
; %bb.326:
	v_lshlrev_b64 v[54:55], 3, v[0:1]
	v_add_co_u32 v54, vcc_lo, v52, v54
	v_add_co_ci_u32_e64 v55, null, v53, v55, vcc_lo
	global_load_dwordx2 v[54:55], v[54:55], off
	s_waitcnt vmcnt(0)
	v_mul_f64 v[54:55], s[16:17], v[54:55]
	v_cvt_f32_f64_e32 v54, v[54:55]
	s_branch .LBB165_328
.LBB165_327:
	v_mov_b32_e32 v54, 0
.LBB165_328:
	s_waitcnt lgkmcnt(3)
	v_add_f64 v[55:56], v[38:39], v[46:47]
	v_add_f64 v[57:58], v[40:41], v[48:49]
	s_waitcnt lgkmcnt(2)
	v_add_f64 v[59:60], v[34:35], v[42:43]
	v_add_f64 v[61:62], v[36:37], v[44:45]
	v_cvt_f32_f64_e32 v55, v[55:56]
	v_cvt_f32_f64_e32 v56, v[57:58]
	;; [unrolled: 1-line block ×4, first 2 shown]
	v_min3_f32 v55, v55, v56, v189
	v_min_f32_e32 v56, v57, v58
	v_min3_f32 v54, v54, v56, v55
	v_lshlrev_b64 v[56:57], 3, v[0:1]
	v_cvt_f64_f32_e32 v[54:55], v54
	v_add_co_u32 v56, vcc_lo, v50, v56
	v_add_co_ci_u32_e64 v57, null, v51, v57, vcc_lo
	global_store_dwordx2 v[56:57], v[54:55], off
	s_or_b32 exec_lo, exec_lo, s7
	s_and_b32 s8, s1, s4
	s_and_saveexec_b32 s7, s8
	s_cbranch_execz .LBB165_323
.LBB165_329:
	v_cmp_ne_u32_e32 vcc_lo, 1, v168
	s_cbranch_vccnz .LBB165_331
; %bb.330:
	v_lshlrev_b64 v[54:55], 3, v[162:163]
	v_add_co_u32 v54, vcc_lo, v52, v54
	v_add_co_ci_u32_e64 v55, null, v53, v55, vcc_lo
	global_load_dwordx2 v[54:55], v[54:55], off
	s_waitcnt vmcnt(0)
	v_mul_f64 v[54:55], s[16:17], v[54:55]
	v_cvt_f32_f64_e32 v54, v[54:55]
	s_branch .LBB165_332
.LBB165_331:
	v_mov_b32_e32 v54, 0
.LBB165_332:
	s_waitcnt lgkmcnt(3)
	v_add_f64 v[55:56], v[26:27], v[46:47]
	v_add_f64 v[57:58], v[28:29], v[48:49]
	s_waitcnt lgkmcnt(2)
	v_add_f64 v[59:60], v[30:31], v[42:43]
	v_add_f64 v[61:62], v[32:33], v[44:45]
	v_cvt_f32_f64_e32 v55, v[55:56]
	v_cvt_f32_f64_e32 v56, v[57:58]
	;; [unrolled: 1-line block ×4, first 2 shown]
	v_min3_f32 v55, v55, v56, v188
	v_min_f32_e32 v56, v57, v58
	v_min3_f32 v54, v54, v56, v55
	v_lshlrev_b64 v[56:57], 3, v[162:163]
	v_cvt_f64_f32_e32 v[54:55], v54
	v_add_co_u32 v56, vcc_lo, v50, v56
	v_add_co_ci_u32_e64 v57, null, v51, v57, vcc_lo
	global_store_dwordx2 v[56:57], v[54:55], off
	s_or_b32 exec_lo, exec_lo, s7
	s_and_b32 s8, s2, s4
	s_and_saveexec_b32 s7, s8
	s_cbranch_execz .LBB165_324
.LBB165_333:
	v_cmp_ne_u32_e32 vcc_lo, 1, v168
	s_cbranch_vccnz .LBB165_335
; %bb.334:
	v_lshlrev_b64 v[54:55], 3, v[164:165]
	v_add_co_u32 v54, vcc_lo, v52, v54
	v_add_co_ci_u32_e64 v55, null, v53, v55, vcc_lo
	global_load_dwordx2 v[54:55], v[54:55], off
	s_waitcnt vmcnt(0)
	v_mul_f64 v[54:55], s[16:17], v[54:55]
	v_cvt_f32_f64_e32 v54, v[54:55]
	s_branch .LBB165_336
.LBB165_335:
	v_mov_b32_e32 v54, 0
.LBB165_336:
	s_waitcnt lgkmcnt(3)
	v_add_f64 v[55:56], v[22:23], v[46:47]
	v_add_f64 v[57:58], v[24:25], v[48:49]
	s_waitcnt lgkmcnt(2)
	v_add_f64 v[59:60], v[18:19], v[42:43]
	v_add_f64 v[61:62], v[20:21], v[44:45]
	v_cvt_f32_f64_e32 v55, v[55:56]
	v_cvt_f32_f64_e32 v56, v[57:58]
	v_cvt_f32_f64_e32 v57, v[59:60]
	v_cvt_f32_f64_e32 v58, v[61:62]
	v_min3_f32 v55, v55, v56, v187
	v_min_f32_e32 v56, v57, v58
	v_min3_f32 v54, v54, v56, v55
	v_lshlrev_b64 v[56:57], 3, v[164:165]
	v_cvt_f64_f32_e32 v[54:55], v54
	v_add_co_u32 v56, vcc_lo, v50, v56
	v_add_co_ci_u32_e64 v57, null, v51, v57, vcc_lo
	global_store_dwordx2 v[56:57], v[54:55], off
	s_or_b32 exec_lo, exec_lo, s7
	s_and_b32 s7, s3, s4
	s_and_saveexec_b32 s4, s7
	s_cbranch_execz .LBB165_341
.LBB165_337:
	v_cmp_ne_u32_e32 vcc_lo, 1, v168
	s_cbranch_vccnz .LBB165_339
; %bb.338:
	v_lshlrev_b64 v[54:55], 3, v[166:167]
	v_add_co_u32 v52, vcc_lo, v52, v54
	v_add_co_ci_u32_e64 v53, null, v53, v55, vcc_lo
	global_load_dwordx2 v[52:53], v[52:53], off
	s_waitcnt vmcnt(0)
	v_mul_f64 v[52:53], s[16:17], v[52:53]
	v_cvt_f32_f64_e32 v52, v[52:53]
	s_branch .LBB165_340
.LBB165_339:
	v_mov_b32_e32 v52, 0
.LBB165_340:
	s_waitcnt lgkmcnt(3)
	v_add_f64 v[46:47], v[6:7], v[46:47]
	v_add_f64 v[48:49], v[8:9], v[48:49]
	s_waitcnt lgkmcnt(2)
	v_add_f64 v[42:43], v[2:3], v[42:43]
	v_add_f64 v[44:45], v[4:5], v[44:45]
	v_cvt_f32_f64_e32 v46, v[46:47]
	v_cvt_f32_f64_e32 v47, v[48:49]
	;; [unrolled: 1-line block ×4, first 2 shown]
	v_min3_f32 v44, v46, v47, v186
	v_min_f32_e32 v42, v42, v43
	v_min3_f32 v42, v52, v42, v44
	v_lshlrev_b64 v[44:45], 3, v[166:167]
	v_cvt_f64_f32_e32 v[42:43], v42
	v_add_co_u32 v44, vcc_lo, v50, v44
	v_add_co_ci_u32_e64 v45, null, v51, v45, vcc_lo
	global_store_dwordx2 v[44:45], v[42:43], off
.LBB165_341:
	s_or_b32 exec_lo, exec_lo, s4
	s_waitcnt lgkmcnt(3)
	v_add_nc_u32_e32 v46, 0x78, v169
	s_waitcnt lgkmcnt(2)
	v_mad_i64_i32 v[42:43], null, v46, s6, 0
	v_mad_i64_i32 v[44:45], null, v46, s5, 0
	v_cmp_gt_i32_e64 s4, s9, v46
	v_lshlrev_b64 v[42:43], 3, v[42:43]
	s_and_b32 s5, s0, s4
	v_lshlrev_b64 v[46:47], 3, v[44:45]
	v_add_co_u32 v44, vcc_lo, s18, v42
	v_add_co_ci_u32_e64 v45, null, s19, v43, vcc_lo
	v_add_co_u32 v42, vcc_lo, s10, v46
	v_add_co_ci_u32_e64 v43, null, s11, v47, vcc_lo
	s_and_saveexec_b32 s0, s5
	s_cbranch_execnz .LBB165_346
; %bb.342:
	s_or_b32 exec_lo, exec_lo, s0
	s_and_b32 s1, s1, s4
	s_and_saveexec_b32 s0, s1
	s_cbranch_execnz .LBB165_350
.LBB165_343:
	s_or_b32 exec_lo, exec_lo, s0
	s_and_b32 s1, s2, s4
	s_and_saveexec_b32 s0, s1
	s_cbranch_execnz .LBB165_354
.LBB165_344:
	s_or_b32 exec_lo, exec_lo, s0
	s_and_b32 s0, s3, s4
	s_and_saveexec_b32 s1, s0
	s_cbranch_execnz .LBB165_358
.LBB165_345:
	s_endpgm
.LBB165_346:
	v_cmp_ne_u32_e32 vcc_lo, 1, v168
	v_lshlrev_b64 v[0:1], 3, v[0:1]
	s_cbranch_vccnz .LBB165_348
; %bb.347:
	v_add_co_u32 v46, vcc_lo, v44, v0
	v_add_co_ci_u32_e64 v47, null, v45, v1, vcc_lo
	global_load_dwordx2 v[46:47], v[46:47], off
	s_waitcnt vmcnt(0)
	v_mul_f64 v[46:47], s[16:17], v[46:47]
	v_cvt_f32_f64_e32 v46, v[46:47]
	s_branch .LBB165_349
.LBB165_348:
	v_mov_b32_e32 v46, 0
.LBB165_349:
	s_waitcnt lgkmcnt(1)
	v_add_f64 v[38:39], v[38:39], v[14:15]
	v_add_f64 v[40:41], v[40:41], v[16:17]
	s_waitcnt lgkmcnt(0)
	v_add_f64 v[34:35], v[34:35], v[10:11]
	v_add_f64 v[36:37], v[36:37], v[12:13]
	v_add_co_u32 v0, vcc_lo, v42, v0
	v_add_co_ci_u32_e64 v1, null, v43, v1, vcc_lo
	v_cvt_f32_f64_e32 v38, v[38:39]
	v_cvt_f32_f64_e32 v39, v[40:41]
	;; [unrolled: 1-line block ×4, first 2 shown]
	v_min3_f32 v36, v38, v39, v185
	v_min_f32_e32 v34, v34, v35
	v_min3_f32 v34, v46, v34, v36
	v_cvt_f64_f32_e32 v[34:35], v34
	global_store_dwordx2 v[0:1], v[34:35], off
	s_or_b32 exec_lo, exec_lo, s0
	s_and_b32 s1, s1, s4
	s_and_saveexec_b32 s0, s1
	s_cbranch_execz .LBB165_343
.LBB165_350:
	v_cmp_ne_u32_e32 vcc_lo, 1, v168
	v_lshlrev_b64 v[0:1], 3, v[162:163]
	s_cbranch_vccnz .LBB165_352
; %bb.351:
	v_add_co_u32 v34, vcc_lo, v44, v0
	v_add_co_ci_u32_e64 v35, null, v45, v1, vcc_lo
	global_load_dwordx2 v[34:35], v[34:35], off
	s_waitcnt vmcnt(0)
	v_mul_f64 v[34:35], s[16:17], v[34:35]
	v_cvt_f32_f64_e32 v34, v[34:35]
	s_branch .LBB165_353
.LBB165_352:
	v_mov_b32_e32 v34, 0
.LBB165_353:
	s_waitcnt lgkmcnt(1)
	v_add_f64 v[26:27], v[26:27], v[14:15]
	v_add_f64 v[28:29], v[28:29], v[16:17]
	s_waitcnt lgkmcnt(0)
	v_add_f64 v[30:31], v[30:31], v[10:11]
	v_add_f64 v[32:33], v[32:33], v[12:13]
	v_add_co_u32 v0, vcc_lo, v42, v0
	v_add_co_ci_u32_e64 v1, null, v43, v1, vcc_lo
	v_cvt_f32_f64_e32 v26, v[26:27]
	v_cvt_f32_f64_e32 v27, v[28:29]
	v_cvt_f32_f64_e32 v28, v[30:31]
	v_cvt_f32_f64_e32 v29, v[32:33]
	v_min3_f32 v26, v26, v27, v184
	v_min_f32_e32 v27, v28, v29
	v_min3_f32 v26, v34, v27, v26
	v_cvt_f64_f32_e32 v[26:27], v26
	global_store_dwordx2 v[0:1], v[26:27], off
	s_or_b32 exec_lo, exec_lo, s0
	s_and_b32 s1, s2, s4
	s_and_saveexec_b32 s0, s1
	s_cbranch_execz .LBB165_344
.LBB165_354:
	v_cmp_ne_u32_e32 vcc_lo, 1, v168
	v_lshlrev_b64 v[0:1], 3, v[164:165]
	s_cbranch_vccnz .LBB165_356
; %bb.355:
	v_add_co_u32 v26, vcc_lo, v44, v0
	v_add_co_ci_u32_e64 v27, null, v45, v1, vcc_lo
	global_load_dwordx2 v[26:27], v[26:27], off
	s_waitcnt vmcnt(0)
	v_mul_f64 v[26:27], s[16:17], v[26:27]
	v_cvt_f32_f64_e32 v26, v[26:27]
	s_branch .LBB165_357
.LBB165_356:
	v_mov_b32_e32 v26, 0
.LBB165_357:
	s_waitcnt lgkmcnt(1)
	v_add_f64 v[22:23], v[22:23], v[14:15]
	v_add_f64 v[24:25], v[24:25], v[16:17]
	s_waitcnt lgkmcnt(0)
	v_add_f64 v[18:19], v[18:19], v[10:11]
	v_add_f64 v[20:21], v[20:21], v[12:13]
	v_add_co_u32 v0, vcc_lo, v42, v0
	v_add_co_ci_u32_e64 v1, null, v43, v1, vcc_lo
	v_cvt_f32_f64_e32 v22, v[22:23]
	v_cvt_f32_f64_e32 v23, v[24:25]
	;; [unrolled: 1-line block ×4, first 2 shown]
	v_min3_f32 v20, v22, v23, v183
	v_min_f32_e32 v18, v18, v19
	v_min3_f32 v18, v26, v18, v20
	v_cvt_f64_f32_e32 v[18:19], v18
	global_store_dwordx2 v[0:1], v[18:19], off
	s_or_b32 exec_lo, exec_lo, s0
	s_and_b32 s0, s3, s4
	s_and_saveexec_b32 s1, s0
	s_cbranch_execz .LBB165_345
.LBB165_358:
	v_cmp_ne_u32_e32 vcc_lo, 1, v168
	v_lshlrev_b64 v[0:1], 3, v[166:167]
	s_cbranch_vccnz .LBB165_360
; %bb.359:
	v_add_co_u32 v18, vcc_lo, v44, v0
	v_add_co_ci_u32_e64 v19, null, v45, v1, vcc_lo
	global_load_dwordx2 v[18:19], v[18:19], off
	s_waitcnt vmcnt(0)
	v_mul_f64 v[18:19], s[16:17], v[18:19]
	v_cvt_f32_f64_e32 v18, v[18:19]
	s_branch .LBB165_361
.LBB165_360:
	v_mov_b32_e32 v18, 0
.LBB165_361:
	s_waitcnt lgkmcnt(1)
	v_add_f64 v[6:7], v[6:7], v[14:15]
	v_add_f64 v[8:9], v[8:9], v[16:17]
	s_waitcnt lgkmcnt(0)
	v_add_f64 v[2:3], v[2:3], v[10:11]
	v_add_f64 v[4:5], v[4:5], v[12:13]
	v_add_co_u32 v0, vcc_lo, v42, v0
	v_add_co_ci_u32_e64 v1, null, v43, v1, vcc_lo
	v_cvt_f32_f64_e32 v6, v[6:7]
	v_cvt_f32_f64_e32 v7, v[8:9]
	;; [unrolled: 1-line block ×4, first 2 shown]
	v_min3_f32 v4, v6, v7, v182
	v_min_f32_e32 v2, v2, v3
	v_min3_f32 v2, v18, v2, v4
	v_cvt_f64_f32_e32 v[2:3], v2
	global_store_dwordx2 v[0:1], v[2:3], off
	s_endpgm
	.section	.rodata,"a",@progbits
	.p2align	6, 0x0
	.amdhsa_kernel _ZN12_GLOBAL__N_120geam_min_plus_kernelId15HIP_vector_typeIdLj2EEdLi32ELi8ELi128ELi128ELi4ELi4ELi64ELi4ELi64ELc84ELc78ELb0ELb1ELb1EPKdS3_dEEviiiT16_PT17_ilS7_ilS5_S7_ilPT18_ili26rocblas_geam_ex_operation_
		.amdhsa_group_segment_fixed_size 16384
		.amdhsa_private_segment_fixed_size 120
		.amdhsa_kernarg_size 136
		.amdhsa_user_sgpr_count 6
		.amdhsa_user_sgpr_private_segment_buffer 1
		.amdhsa_user_sgpr_dispatch_ptr 0
		.amdhsa_user_sgpr_queue_ptr 0
		.amdhsa_user_sgpr_kernarg_segment_ptr 1
		.amdhsa_user_sgpr_dispatch_id 0
		.amdhsa_user_sgpr_flat_scratch_init 0
		.amdhsa_user_sgpr_private_segment_size 0
		.amdhsa_wavefront_size32 1
		.amdhsa_uses_dynamic_stack 0
		.amdhsa_system_sgpr_private_segment_wavefront_offset 1
		.amdhsa_system_sgpr_workgroup_id_x 1
		.amdhsa_system_sgpr_workgroup_id_y 0
		.amdhsa_system_sgpr_workgroup_id_z 1
		.amdhsa_system_sgpr_workgroup_info 0
		.amdhsa_system_vgpr_workitem_id 1
		.amdhsa_next_free_vgpr 256
		.amdhsa_next_free_sgpr 40
		.amdhsa_reserve_vcc 1
		.amdhsa_reserve_flat_scratch 0
		.amdhsa_float_round_mode_32 0
		.amdhsa_float_round_mode_16_64 0
		.amdhsa_float_denorm_mode_32 3
		.amdhsa_float_denorm_mode_16_64 3
		.amdhsa_dx10_clamp 1
		.amdhsa_ieee_mode 1
		.amdhsa_fp16_overflow 0
		.amdhsa_workgroup_processor_mode 1
		.amdhsa_memory_ordered 1
		.amdhsa_forward_progress 1
		.amdhsa_shared_vgpr_count 0
		.amdhsa_exception_fp_ieee_invalid_op 0
		.amdhsa_exception_fp_denorm_src 0
		.amdhsa_exception_fp_ieee_div_zero 0
		.amdhsa_exception_fp_ieee_overflow 0
		.amdhsa_exception_fp_ieee_underflow 0
		.amdhsa_exception_fp_ieee_inexact 0
		.amdhsa_exception_int_div_zero 0
	.end_amdhsa_kernel
	.section	.text._ZN12_GLOBAL__N_120geam_min_plus_kernelId15HIP_vector_typeIdLj2EEdLi32ELi8ELi128ELi128ELi4ELi4ELi64ELi4ELi64ELc84ELc78ELb0ELb1ELb1EPKdS3_dEEviiiT16_PT17_ilS7_ilS5_S7_ilPT18_ili26rocblas_geam_ex_operation_,"axG",@progbits,_ZN12_GLOBAL__N_120geam_min_plus_kernelId15HIP_vector_typeIdLj2EEdLi32ELi8ELi128ELi128ELi4ELi4ELi64ELi4ELi64ELc84ELc78ELb0ELb1ELb1EPKdS3_dEEviiiT16_PT17_ilS7_ilS5_S7_ilPT18_ili26rocblas_geam_ex_operation_,comdat
.Lfunc_end165:
	.size	_ZN12_GLOBAL__N_120geam_min_plus_kernelId15HIP_vector_typeIdLj2EEdLi32ELi8ELi128ELi128ELi4ELi4ELi64ELi4ELi64ELc84ELc78ELb0ELb1ELb1EPKdS3_dEEviiiT16_PT17_ilS7_ilS5_S7_ilPT18_ili26rocblas_geam_ex_operation_, .Lfunc_end165-_ZN12_GLOBAL__N_120geam_min_plus_kernelId15HIP_vector_typeIdLj2EEdLi32ELi8ELi128ELi128ELi4ELi4ELi64ELi4ELi64ELc84ELc78ELb0ELb1ELb1EPKdS3_dEEviiiT16_PT17_ilS7_ilS5_S7_ilPT18_ili26rocblas_geam_ex_operation_
                                        ; -- End function
	.set _ZN12_GLOBAL__N_120geam_min_plus_kernelId15HIP_vector_typeIdLj2EEdLi32ELi8ELi128ELi128ELi4ELi4ELi64ELi4ELi64ELc84ELc78ELb0ELb1ELb1EPKdS3_dEEviiiT16_PT17_ilS7_ilS5_S7_ilPT18_ili26rocblas_geam_ex_operation_.num_vgpr, 256
	.set _ZN12_GLOBAL__N_120geam_min_plus_kernelId15HIP_vector_typeIdLj2EEdLi32ELi8ELi128ELi128ELi4ELi4ELi64ELi4ELi64ELc84ELc78ELb0ELb1ELb1EPKdS3_dEEviiiT16_PT17_ilS7_ilS5_S7_ilPT18_ili26rocblas_geam_ex_operation_.num_agpr, 0
	.set _ZN12_GLOBAL__N_120geam_min_plus_kernelId15HIP_vector_typeIdLj2EEdLi32ELi8ELi128ELi128ELi4ELi4ELi64ELi4ELi64ELc84ELc78ELb0ELb1ELb1EPKdS3_dEEviiiT16_PT17_ilS7_ilS5_S7_ilPT18_ili26rocblas_geam_ex_operation_.numbered_sgpr, 40
	.set _ZN12_GLOBAL__N_120geam_min_plus_kernelId15HIP_vector_typeIdLj2EEdLi32ELi8ELi128ELi128ELi4ELi4ELi64ELi4ELi64ELc84ELc78ELb0ELb1ELb1EPKdS3_dEEviiiT16_PT17_ilS7_ilS5_S7_ilPT18_ili26rocblas_geam_ex_operation_.num_named_barrier, 0
	.set _ZN12_GLOBAL__N_120geam_min_plus_kernelId15HIP_vector_typeIdLj2EEdLi32ELi8ELi128ELi128ELi4ELi4ELi64ELi4ELi64ELc84ELc78ELb0ELb1ELb1EPKdS3_dEEviiiT16_PT17_ilS7_ilS5_S7_ilPT18_ili26rocblas_geam_ex_operation_.private_seg_size, 120
	.set _ZN12_GLOBAL__N_120geam_min_plus_kernelId15HIP_vector_typeIdLj2EEdLi32ELi8ELi128ELi128ELi4ELi4ELi64ELi4ELi64ELc84ELc78ELb0ELb1ELb1EPKdS3_dEEviiiT16_PT17_ilS7_ilS5_S7_ilPT18_ili26rocblas_geam_ex_operation_.uses_vcc, 1
	.set _ZN12_GLOBAL__N_120geam_min_plus_kernelId15HIP_vector_typeIdLj2EEdLi32ELi8ELi128ELi128ELi4ELi4ELi64ELi4ELi64ELc84ELc78ELb0ELb1ELb1EPKdS3_dEEviiiT16_PT17_ilS7_ilS5_S7_ilPT18_ili26rocblas_geam_ex_operation_.uses_flat_scratch, 0
	.set _ZN12_GLOBAL__N_120geam_min_plus_kernelId15HIP_vector_typeIdLj2EEdLi32ELi8ELi128ELi128ELi4ELi4ELi64ELi4ELi64ELc84ELc78ELb0ELb1ELb1EPKdS3_dEEviiiT16_PT17_ilS7_ilS5_S7_ilPT18_ili26rocblas_geam_ex_operation_.has_dyn_sized_stack, 0
	.set _ZN12_GLOBAL__N_120geam_min_plus_kernelId15HIP_vector_typeIdLj2EEdLi32ELi8ELi128ELi128ELi4ELi4ELi64ELi4ELi64ELc84ELc78ELb0ELb1ELb1EPKdS3_dEEviiiT16_PT17_ilS7_ilS5_S7_ilPT18_ili26rocblas_geam_ex_operation_.has_recursion, 0
	.set _ZN12_GLOBAL__N_120geam_min_plus_kernelId15HIP_vector_typeIdLj2EEdLi32ELi8ELi128ELi128ELi4ELi4ELi64ELi4ELi64ELc84ELc78ELb0ELb1ELb1EPKdS3_dEEviiiT16_PT17_ilS7_ilS5_S7_ilPT18_ili26rocblas_geam_ex_operation_.has_indirect_call, 0
	.section	.AMDGPU.csdata,"",@progbits
; Kernel info:
; codeLenInByte = 31828
; TotalNumSgprs: 42
; NumVgprs: 256
; ScratchSize: 120
; MemoryBound: 0
; FloatMode: 240
; IeeeMode: 1
; LDSByteSize: 16384 bytes/workgroup (compile time only)
; SGPRBlocks: 0
; VGPRBlocks: 31
; NumSGPRsForWavesPerEU: 42
; NumVGPRsForWavesPerEU: 256
; Occupancy: 4
; WaveLimiterHint : 0
; COMPUTE_PGM_RSRC2:SCRATCH_EN: 1
; COMPUTE_PGM_RSRC2:USER_SGPR: 6
; COMPUTE_PGM_RSRC2:TRAP_HANDLER: 0
; COMPUTE_PGM_RSRC2:TGID_X_EN: 1
; COMPUTE_PGM_RSRC2:TGID_Y_EN: 0
; COMPUTE_PGM_RSRC2:TGID_Z_EN: 1
; COMPUTE_PGM_RSRC2:TIDIG_COMP_CNT: 1
	.section	.text._ZN12_GLOBAL__N_120geam_min_plus_kernelId15HIP_vector_typeIdLj2EEdLi32ELi8ELi128ELi128ELi4ELi4ELi64ELi4ELi64ELc84ELc78ELb1ELb1ELb1EdKddEEviiiT16_PT17_ilS6_ilS4_S6_ilPT18_ili26rocblas_geam_ex_operation_,"axG",@progbits,_ZN12_GLOBAL__N_120geam_min_plus_kernelId15HIP_vector_typeIdLj2EEdLi32ELi8ELi128ELi128ELi4ELi4ELi64ELi4ELi64ELc84ELc78ELb1ELb1ELb1EdKddEEviiiT16_PT17_ilS6_ilS4_S6_ilPT18_ili26rocblas_geam_ex_operation_,comdat
	.globl	_ZN12_GLOBAL__N_120geam_min_plus_kernelId15HIP_vector_typeIdLj2EEdLi32ELi8ELi128ELi128ELi4ELi4ELi64ELi4ELi64ELc84ELc78ELb1ELb1ELb1EdKddEEviiiT16_PT17_ilS6_ilS4_S6_ilPT18_ili26rocblas_geam_ex_operation_ ; -- Begin function _ZN12_GLOBAL__N_120geam_min_plus_kernelId15HIP_vector_typeIdLj2EEdLi32ELi8ELi128ELi128ELi4ELi4ELi64ELi4ELi64ELc84ELc78ELb1ELb1ELb1EdKddEEviiiT16_PT17_ilS6_ilS4_S6_ilPT18_ili26rocblas_geam_ex_operation_
	.p2align	8
	.type	_ZN12_GLOBAL__N_120geam_min_plus_kernelId15HIP_vector_typeIdLj2EEdLi32ELi8ELi128ELi128ELi4ELi4ELi64ELi4ELi64ELc84ELc78ELb1ELb1ELb1EdKddEEviiiT16_PT17_ilS6_ilS4_S6_ilPT18_ili26rocblas_geam_ex_operation_,@function
_ZN12_GLOBAL__N_120geam_min_plus_kernelId15HIP_vector_typeIdLj2EEdLi32ELi8ELi128ELi128ELi4ELi4ELi64ELi4ELi64ELc84ELc78ELb1ELb1ELb1EdKddEEviiiT16_PT17_ilS6_ilS4_S6_ilPT18_ili26rocblas_geam_ex_operation_: ; @_ZN12_GLOBAL__N_120geam_min_plus_kernelId15HIP_vector_typeIdLj2EEdLi32ELi8ELi128ELi128ELi4ELi4ELi64ELi4ELi64ELc84ELc78ELb1ELb1ELb1EdKddEEviiiT16_PT17_ilS6_ilS4_S6_ilPT18_ili26rocblas_geam_ex_operation_
; %bb.0:
	s_mov_b64 s[30:31], s[2:3]
	s_mov_b64 s[28:29], s[0:1]
	v_mov_b32_e32 v163, v1
	s_add_u32 s28, s28, s8
	s_clause 0x1
	s_load_dwordx4 s[8:11], s[4:5], 0x10
	s_load_dwordx4 s[0:3], s[4:5], 0x28
	v_mov_b32_e32 v162, v0
	s_addc_u32 s29, s29, 0
	s_mov_b64 s[22:23], 0
	s_waitcnt lgkmcnt(0)
	v_cmp_eq_f64_e64 s12, s[8:9], 0
	s_and_b32 vcc_lo, exec_lo, s12
	s_cbranch_vccnz .LBB166_2
; %bb.1:
	s_mul_i32 s1, s1, s7
	s_mul_hi_u32 s8, s0, s7
	s_mul_i32 s0, s0, s7
	s_add_i32 s1, s8, s1
	s_lshl_b64 s[0:1], s[0:1], 3
	s_add_u32 s22, s10, s0
	s_addc_u32 s23, s11, s1
.LBB166_2:
	s_clause 0x1
	s_load_dwordx4 s[8:11], s[4:5], 0x40
	s_load_dwordx2 s[0:1], s[4:5], 0x50
	s_andn2_b32 vcc_lo, exec_lo, s12
	s_mov_b32 s12, -1
	s_cbranch_vccnz .LBB166_4
; %bb.3:
	s_mov_b32 s12, 0
.LBB166_4:
	s_mov_b64 s[20:21], 0
	s_andn2_b32 vcc_lo, exec_lo, s12
	s_mov_b64 s[24:25], 0
	s_cbranch_vccnz .LBB166_6
; %bb.5:
	s_waitcnt lgkmcnt(0)
	s_mul_i32 s9, s9, s7
	s_mul_hi_u32 s12, s8, s7
	s_mul_i32 s8, s8, s7
	s_add_i32 s9, s12, s9
	s_lshl_b64 s[8:9], s[8:9], 3
	s_add_u32 s24, s2, s8
	s_addc_u32 s25, s3, s9
.LBB166_6:
	s_waitcnt lgkmcnt(0)
	v_cmp_eq_f64_e64 s2, s[10:11], 0
	v_cmp_neq_f64_e64 s8, s[10:11], 0
	s_load_dwordx4 s[16:19], s[4:5], 0x60
	s_and_b32 vcc_lo, exec_lo, s2
	s_cbranch_vccnz .LBB166_8
; %bb.7:
	s_waitcnt lgkmcnt(0)
	s_mul_i32 s2, s17, s7
	s_mul_hi_u32 s3, s16, s7
	s_add_i32 s3, s3, s2
	s_mul_i32 s2, s16, s7
	s_lshl_b64 s[2:3], s[2:3], 3
	s_add_u32 s20, s0, s2
	s_addc_u32 s21, s1, s3
.LBB166_8:
	s_load_dwordx4 s[12:15], s[4:5], 0x0
	s_waitcnt lgkmcnt(0)
	s_load_dword s16, s[4:5], 0x20
	v_mov_b32_e32 v3, 0x7fefffff
	v_mov_b32_e32 v2, -1
	v_mov_b32_e32 v5, v3
	v_mov_b32_e32 v4, v2
	s_add_i32 s0, s12, -1
	s_ashr_i32 s1, s0, 31
	s_lshr_b32 s1, s1, 25
	s_add_i32 s0, s0, s1
	s_ashr_i32 s0, s0, 7
	s_add_i32 s1, s0, 1
	s_not_b32 s0, s0
	v_cvt_f32_u32_e32 v0, s1
	v_rcp_iflag_f32_e32 v0, v0
	v_mul_f32_e32 v0, 0x4f7ffffe, v0
	v_cvt_u32_f32_e32 v0, v0
	v_readfirstlane_b32 s2, v0
	v_lshl_add_u32 v0, v163, 5, v162
	s_mul_i32 s0, s0, s2
	v_lshrrev_b32_e32 v10, 2, v0
	s_mul_hi_u32 s0, s2, s0
	v_and_b32_e32 v0, 3, v162
	s_add_i32 s2, s2, s0
	s_mul_hi_u32 s0, s6, s2
	v_lshlrev_b32_e32 v1, 3, v0
	s_mul_i32 s2, s0, s1
	s_add_i32 s3, s0, 1
	s_sub_i32 s2, s6, s2
	buffer_store_dword v0, off, s[28:31], 0 offset:160 ; 4-byte Folded Spill
	s_sub_i32 s9, s2, s1
	s_cmp_ge_u32 s2, s1
	buffer_store_dword v1, off, s[28:31], 0 offset:8 ; 4-byte Folded Spill
	s_cselect_b32 s0, s3, s0
	s_cselect_b32 s2, s9, s2
	s_add_i32 s3, s0, 1
	s_cmp_ge_u32 s2, s1
	s_cselect_b32 s2, s3, s0
	v_cmp_le_i32_e64 s3, s14, v0
	s_mul_i32 s0, s2, s1
	s_sub_i32 s0, s6, s0
	s_lshl_b32 s9, s0, 7
	v_add_co_u32 v11, s0, s22, v1
	v_add_nc_u32_e32 v90, s9, v10
	v_add_co_ci_u32_e64 v12, null, s23, 0, s0
	v_cmp_le_i32_e32 vcc_lo, s12, v90
	s_nor_b32 s0, s3, vcc_lo
	s_and_saveexec_b32 s1, s0
	s_cbranch_execz .LBB166_10
; %bb.9:
	s_waitcnt lgkmcnt(0)
	v_mad_i64_i32 v[4:5], null, v90, s16, 0
	v_lshlrev_b64 v[4:5], 3, v[4:5]
	v_add_co_u32 v4, s0, v11, v4
	v_add_co_ci_u32_e64 v5, null, v12, v5, s0
	global_load_dwordx2 v[4:5], v[4:5], off
.LBB166_10:
	s_or_b32 exec_lo, exec_lo, s1
	v_add_nc_u32_e32 v91, 64, v90
	v_cmp_le_i32_e64 s0, s12, v91
	s_nor_b32 s1, s3, s0
	s_and_saveexec_b32 s6, s1
	s_cbranch_execz .LBB166_12
; %bb.11:
	s_waitcnt lgkmcnt(0)
	v_mad_i64_i32 v[2:3], null, v91, s16, 0
	v_lshlrev_b64 v[2:3], 3, v[2:3]
	v_add_co_u32 v2, s1, v11, v2
	v_add_co_ci_u32_e64 v3, null, v12, v3, s1
	global_load_dwordx2 v[2:3], v[2:3], off
.LBB166_12:
	s_or_b32 exec_lo, exec_lo, s6
	buffer_load_dword v0, off, s[28:31], 0 offset:8 ; 4-byte Folded Reload
	s_load_dword s17, s[4:5], 0x38
	s_lshl_b32 s15, s2, 7
	v_mov_b32_e32 v7, 0x7fefffff
	v_add_nc_u32_e32 v92, s15, v10
	v_mov_b32_e32 v6, -1
	v_mov_b32_e32 v9, v7
	v_cmp_le_i32_e64 s1, s13, v92
	v_mov_b32_e32 v8, v6
	s_waitcnt vmcnt(0)
	v_add_co_u32 v13, s2, s24, v0
	v_add_co_ci_u32_e64 v14, null, s25, 0, s2
	s_nor_b32 s2, s3, s1
	s_and_saveexec_b32 s6, s2
	s_cbranch_execz .LBB166_14
; %bb.13:
	s_waitcnt lgkmcnt(0)
	v_mad_i64_i32 v[8:9], null, v92, s17, 0
	v_lshlrev_b64 v[8:9], 3, v[8:9]
	v_add_co_u32 v8, s2, v13, v8
	v_add_co_ci_u32_e64 v9, null, v14, v9, s2
	global_load_dwordx2 v[8:9], v[8:9], off
.LBB166_14:
	s_or_b32 exec_lo, exec_lo, s6
	v_add_nc_u32_e32 v93, 64, v92
	v_cmp_le_i32_e64 s2, s13, v93
	s_nor_b32 s3, s3, s2
	s_and_saveexec_b32 s6, s3
	s_cbranch_execz .LBB166_16
; %bb.15:
	s_waitcnt lgkmcnt(0)
	v_mad_i64_i32 v[6:7], null, v93, s17, 0
	v_lshlrev_b64 v[6:7], 3, v[6:7]
	v_add_co_u32 v6, s3, v13, v6
	v_add_co_ci_u32_e64 v7, null, v14, v7, s3
	global_load_dwordx2 v[6:7], v[6:7], off
.LBB166_16:
	s_or_b32 exec_lo, exec_lo, s6
	v_and_b32_e32 v0, 3, v162
	v_mov_b32_e32 v87, 0x7fefffff
	v_mov_b32_e32 v86, -1
	v_or_b32_e32 v0, 4, v0
	v_mov_b32_e32 v89, v87
	v_mov_b32_e32 v88, v86
	v_cmp_le_i32_e64 s3, s14, v0
	s_nor_b32 s6, s3, vcc_lo
	s_and_saveexec_b32 s26, s6
	s_cbranch_execz .LBB166_18
; %bb.17:
	s_waitcnt lgkmcnt(0)
	v_mad_i64_i32 v[15:16], null, v90, s16, 0
	v_lshlrev_b64 v[15:16], 3, v[15:16]
	v_add_co_u32 v15, s6, v11, v15
	v_add_co_ci_u32_e64 v16, null, v12, v16, s6
	global_load_dwordx2 v[88:89], v[15:16], off offset:32
.LBB166_18:
	s_or_b32 exec_lo, exec_lo, s26
	s_nor_b32 s6, s3, s0
	s_and_saveexec_b32 s26, s6
	s_cbranch_execz .LBB166_20
; %bb.19:
	s_waitcnt lgkmcnt(0)
	v_mad_i64_i32 v[15:16], null, v91, s16, 0
	v_lshlrev_b64 v[15:16], 3, v[15:16]
	v_add_co_u32 v11, s6, v11, v15
	v_add_co_ci_u32_e64 v12, null, v12, v16, s6
	global_load_dwordx2 v[86:87], v[11:12], off offset:32
.LBB166_20:
	s_or_b32 exec_lo, exec_lo, s26
	v_mov_b32_e32 v83, 0x7fefffff
	v_mov_b32_e32 v82, -1
	s_nor_b32 s6, s3, s1
	v_mov_b32_e32 v85, v83
	v_mov_b32_e32 v84, v82
	s_and_saveexec_b32 s26, s6
	s_cbranch_execz .LBB166_22
; %bb.21:
	s_waitcnt lgkmcnt(0)
	v_mad_i64_i32 v[11:12], null, v92, s17, 0
	v_lshlrev_b64 v[11:12], 3, v[11:12]
	v_add_co_u32 v11, s6, v13, v11
	v_add_co_ci_u32_e64 v12, null, v14, v12, s6
	global_load_dwordx2 v[84:85], v[11:12], off offset:32
.LBB166_22:
	s_or_b32 exec_lo, exec_lo, s26
	s_nor_b32 s3, s3, s2
	s_and_saveexec_b32 s6, s3
	s_cbranch_execz .LBB166_24
; %bb.23:
	s_waitcnt lgkmcnt(0)
	v_mad_i64_i32 v[11:12], null, v93, s17, 0
	v_lshlrev_b64 v[11:12], 3, v[11:12]
	v_add_co_u32 v11, s3, v13, v11
	v_add_co_ci_u32_e64 v12, null, v14, v12, s3
	global_load_dwordx2 v[82:83], v[11:12], off offset:32
.LBB166_24:
	s_or_b32 exec_lo, exec_lo, s6
	v_lshlrev_b32_e32 v0, 5, v10
	v_and_b32_e32 v1, 3, v162
	v_lshlrev_b32_e32 v158, 5, v162
	v_lshlrev_b32_e32 v164, 5, v163
	s_cmp_lt_i32 s14, 9
	v_lshl_or_b32 v168, v1, 3, v0
	ds_write2st64_b64 v168, v[4:5], v[2:3] offset1:4
	s_waitcnt vmcnt(0)
	ds_write2st64_b64 v168, v[8:9], v[6:7] offset0:16 offset1:20
	s_waitcnt lgkmcnt(0)
	s_waitcnt_vscnt null, 0x0
	s_barrier
	buffer_gl0_inv
	ds_read_b128 v[6:9], v158 offset:1024
	ds_read_b128 v[10:13], v158 offset:2048
	;; [unrolled: 1-line block ×18, first 2 shown]
	ds_read_b128 v[94:97], v158
	ds_read_b128 v[2:5], v158 offset:16
	ds_read_b128 v[98:101], v164 offset:8192
	;; [unrolled: 1-line block ×3, first 2 shown]
	s_waitcnt lgkmcnt(1)
	v_add_f64 v[102:103], v[96:97], v[100:101]
	v_add_f64 v[104:105], v[94:95], v[98:99]
	s_waitcnt lgkmcnt(0)
	v_add_f64 v[160:161], v[2:3], v[18:19]
	v_cvt_f32_f64_e32 v1, v[102:103]
	v_cvt_f32_f64_e32 v0, v[104:105]
	v_add_f64 v[102:103], v[8:9], v[100:101]
	v_add_f64 v[104:105], v[6:7], v[98:99]
	v_min3_f32 v157, v0, v1, 0x7f800000
	v_cvt_f32_f64_e32 v1, v[102:103]
	v_cvt_f32_f64_e32 v0, v[104:105]
	v_add_f64 v[102:103], v[12:13], v[100:101]
	v_add_f64 v[104:105], v[10:11], v[98:99]
	v_add_f64 v[100:101], v[16:17], v[100:101]
	v_add_f64 v[98:99], v[14:15], v[98:99]
	v_min3_f32 v156, v0, v1, 0x7f800000
	v_cvt_f32_f64_e32 v1, v[102:103]
	v_cvt_f32_f64_e32 v0, v[104:105]
	v_min3_f32 v155, v0, v1, 0x7f800000
	v_cvt_f32_f64_e32 v0, v[98:99]
	v_cvt_f32_f64_e32 v1, v[100:101]
	v_add_f64 v[98:99], v[96:97], v[24:25]
	v_add_f64 v[100:101], v[94:95], v[22:23]
	v_min3_f32 v154, v0, v1, 0x7f800000
	v_cvt_f32_f64_e32 v1, v[98:99]
	v_cvt_f32_f64_e32 v0, v[100:101]
	v_add_f64 v[98:99], v[8:9], v[24:25]
	v_add_f64 v[100:101], v[6:7], v[22:23]
	;; [unrolled: 5-line block ×3, first 2 shown]
	v_add_f64 v[24:25], v[16:17], v[24:25]
	v_add_f64 v[22:23], v[14:15], v[22:23]
	v_min3_f32 v152, v0, v1, 0x7f800000
	v_cvt_f32_f64_e32 v1, v[98:99]
	v_cvt_f32_f64_e32 v0, v[100:101]
	v_min3_f32 v151, v0, v1, 0x7f800000
	v_cvt_f32_f64_e32 v0, v[22:23]
	v_cvt_f32_f64_e32 v1, v[24:25]
	v_add_f64 v[22:23], v[96:97], v[28:29]
	v_add_f64 v[24:25], v[94:95], v[26:27]
	v_min3_f32 v150, v0, v1, 0x7f800000
	v_cvt_f32_f64_e32 v1, v[22:23]
	v_cvt_f32_f64_e32 v0, v[24:25]
	v_add_f64 v[22:23], v[8:9], v[28:29]
	v_add_f64 v[24:25], v[6:7], v[26:27]
	;; [unrolled: 5-line block ×50, first 2 shown]
	v_add_f64 v[8:9], v[8:9], v[80:81]
	v_add_f64 v[6:7], v[6:7], v[78:79]
	v_min3_f32 v101, v0, v1, 0x7f800000
	v_cvt_f32_f64_e32 v1, v[22:23]
	v_cvt_f32_f64_e32 v0, v[24:25]
	v_add_f64 v[22:23], v[12:13], v[76:77]
	v_add_f64 v[24:25], v[10:11], v[74:75]
	v_min3_f32 v100, v0, v1, 0x7f800000
	v_cvt_f32_f64_e32 v1, v[22:23]
	v_cvt_f32_f64_e32 v0, v[24:25]
	;; [unrolled: 5-line block ×4, first 2 shown]
	v_min3_f32 v97, v0, v1, 0x7f800000
	v_cvt_f32_f64_e32 v0, v[6:7]
	v_cvt_f32_f64_e32 v1, v[8:9]
	v_add_f64 v[6:7], v[12:13], v[80:81]
	v_add_f64 v[8:9], v[10:11], v[78:79]
	v_min3_f32 v96, v0, v1, 0x7f800000
	v_cvt_f32_f64_e32 v1, v[6:7]
	v_cvt_f32_f64_e32 v0, v[8:9]
	v_add_f64 v[6:7], v[16:17], v[80:81]
	v_add_f64 v[8:9], v[14:15], v[78:79]
	ds_read_b128 v[14:17], v158 offset:1040
	ds_read_b128 v[10:13], v158 offset:2064
	buffer_store_dword v158, off, s[28:31], 0 offset:156 ; 4-byte Folded Spill
	v_min3_f32 v95, v0, v1, 0x7f800000
	v_cvt_f32_f64_e32 v1, v[6:7]
	v_cvt_f32_f64_e32 v0, v[8:9]
	ds_read_b128 v[6:9], v158 offset:3088
	ds_read_b128 v[78:81], v164 offset:8464
	;; [unrolled: 1-line block ×16, first 2 shown]
	v_add_f64 v[158:159], v[4:5], v[20:21]
	ds_write2st64_b64 v168, v[88:89], v[86:87] offset0:8 offset1:12
	ds_write2st64_b64 v168, v[84:85], v[82:83] offset0:24 offset1:28
	s_waitcnt lgkmcnt(0)
	s_waitcnt_vscnt null, 0x0
	s_barrier
	buffer_gl0_inv
	buffer_store_dword v162, off, s[28:31], 0 offset:180 ; 4-byte Folded Spill
	buffer_store_dword v163, off, s[28:31], 0 offset:184 ; 4-byte Folded Spill
	;; [unrolled: 1-line block ×3, first 2 shown]
	v_min3_f32 v94, v0, v1, 0x7f800000
	v_cvt_f32_f64_e32 v0, v[160:161]
	v_cvt_f32_f64_e32 v1, v[158:159]
	v_add_f64 v[159:160], v[14:15], v[18:19]
	v_min3_f32 v198, v0, v1, v157
	v_add_f64 v[157:158], v[16:17], v[20:21]
	v_cvt_f32_f64_e32 v0, v[159:160]
	v_cvt_f32_f64_e32 v1, v[157:158]
	v_add_f64 v[158:159], v[10:11], v[18:19]
	v_add_f64 v[18:19], v[6:7], v[18:19]
	v_min3_f32 v196, v0, v1, v156
	v_add_f64 v[156:157], v[12:13], v[20:21]
	v_cvt_f32_f64_e32 v0, v[158:159]
	v_add_f64 v[20:21], v[8:9], v[20:21]
	v_cvt_f32_f64_e32 v1, v[156:157]
	v_min3_f32 v245, v0, v1, v155
	v_cvt_f32_f64_e32 v0, v[18:19]
	v_cvt_f32_f64_e32 v1, v[20:21]
	v_add_f64 v[18:19], v[4:5], v[80:81]
	v_add_f64 v[20:21], v[2:3], v[78:79]
	v_min3_f32 v244, v0, v1, v154
	v_cvt_f32_f64_e32 v1, v[18:19]
	v_cvt_f32_f64_e32 v0, v[20:21]
	v_add_f64 v[18:19], v[16:17], v[80:81]
	v_add_f64 v[20:21], v[14:15], v[78:79]
	v_min3_f32 v243, v0, v1, v153
	v_cvt_f32_f64_e32 v1, v[18:19]
	v_cvt_f32_f64_e32 v0, v[20:21]
	v_add_f64 v[18:19], v[12:13], v[80:81]
	v_add_f64 v[20:21], v[10:11], v[78:79]
	v_min3_f32 v242, v0, v1, v152
	v_cvt_f32_f64_e32 v1, v[18:19]
	v_cvt_f32_f64_e32 v0, v[20:21]
	v_add_f64 v[18:19], v[8:9], v[80:81]
	v_add_f64 v[20:21], v[6:7], v[78:79]
	v_min3_f32 v241, v0, v1, v151
	v_cvt_f32_f64_e32 v1, v[18:19]
	v_cvt_f32_f64_e32 v0, v[20:21]
	v_add_f64 v[18:19], v[4:5], v[76:77]
	v_add_f64 v[20:21], v[2:3], v[74:75]
	v_min3_f32 v240, v0, v1, v150
	v_cvt_f32_f64_e32 v1, v[18:19]
	v_cvt_f32_f64_e32 v0, v[20:21]
	v_add_f64 v[18:19], v[16:17], v[76:77]
	v_add_f64 v[20:21], v[14:15], v[74:75]
	v_min3_f32 v239, v0, v1, v149
	v_cvt_f32_f64_e32 v1, v[18:19]
	v_cvt_f32_f64_e32 v0, v[20:21]
	v_add_f64 v[18:19], v[12:13], v[76:77]
	v_add_f64 v[20:21], v[10:11], v[74:75]
	v_min3_f32 v238, v0, v1, v148
	v_cvt_f32_f64_e32 v1, v[18:19]
	v_cvt_f32_f64_e32 v0, v[20:21]
	v_add_f64 v[18:19], v[8:9], v[76:77]
	v_add_f64 v[20:21], v[6:7], v[74:75]
	v_min3_f32 v237, v0, v1, v147
	v_cvt_f32_f64_e32 v1, v[18:19]
	v_cvt_f32_f64_e32 v0, v[20:21]
	v_add_f64 v[18:19], v[4:5], v[72:73]
	v_add_f64 v[20:21], v[2:3], v[70:71]
	v_min3_f32 v236, v0, v1, v146
	v_cvt_f32_f64_e32 v1, v[18:19]
	v_cvt_f32_f64_e32 v0, v[20:21]
	v_add_f64 v[18:19], v[16:17], v[72:73]
	v_add_f64 v[20:21], v[14:15], v[70:71]
	v_min3_f32 v235, v0, v1, v145
	v_cvt_f32_f64_e32 v1, v[18:19]
	v_cvt_f32_f64_e32 v0, v[20:21]
	v_add_f64 v[18:19], v[12:13], v[72:73]
	v_add_f64 v[20:21], v[10:11], v[70:71]
	v_min3_f32 v234, v0, v1, v144
	v_cvt_f32_f64_e32 v1, v[18:19]
	v_cvt_f32_f64_e32 v0, v[20:21]
	v_add_f64 v[18:19], v[8:9], v[72:73]
	v_add_f64 v[20:21], v[6:7], v[70:71]
	v_min3_f32 v233, v0, v1, v143
	v_cvt_f32_f64_e32 v1, v[18:19]
	v_cvt_f32_f64_e32 v0, v[20:21]
	v_add_f64 v[18:19], v[4:5], v[68:69]
	v_add_f64 v[20:21], v[2:3], v[66:67]
	v_min3_f32 v232, v0, v1, v142
	v_cvt_f32_f64_e32 v1, v[18:19]
	v_cvt_f32_f64_e32 v0, v[20:21]
	v_add_f64 v[18:19], v[16:17], v[68:69]
	v_add_f64 v[20:21], v[14:15], v[66:67]
	v_min3_f32 v226, v0, v1, v141
	v_cvt_f32_f64_e32 v1, v[18:19]
	v_cvt_f32_f64_e32 v0, v[20:21]
	v_add_f64 v[18:19], v[12:13], v[68:69]
	v_add_f64 v[20:21], v[10:11], v[66:67]
	v_min3_f32 v223, v0, v1, v140
	v_cvt_f32_f64_e32 v1, v[18:19]
	v_cvt_f32_f64_e32 v0, v[20:21]
	v_add_f64 v[18:19], v[8:9], v[68:69]
	v_add_f64 v[20:21], v[6:7], v[66:67]
	v_min3_f32 v221, v0, v1, v139
	v_cvt_f32_f64_e32 v1, v[18:19]
	v_cvt_f32_f64_e32 v0, v[20:21]
	v_add_f64 v[18:19], v[4:5], v[64:65]
	v_add_f64 v[20:21], v[2:3], v[62:63]
	v_min3_f32 v199, v0, v1, v138
	v_cvt_f32_f64_e32 v1, v[18:19]
	v_cvt_f32_f64_e32 v0, v[20:21]
	v_add_f64 v[18:19], v[16:17], v[64:65]
	v_add_f64 v[20:21], v[14:15], v[62:63]
	v_min3_f32 v231, v0, v1, v137
	v_cvt_f32_f64_e32 v1, v[18:19]
	v_cvt_f32_f64_e32 v0, v[20:21]
	v_add_f64 v[18:19], v[12:13], v[64:65]
	v_add_f64 v[20:21], v[10:11], v[62:63]
	v_min3_f32 v230, v0, v1, v136
	v_cvt_f32_f64_e32 v1, v[18:19]
	v_cvt_f32_f64_e32 v0, v[20:21]
	v_add_f64 v[18:19], v[8:9], v[64:65]
	v_add_f64 v[20:21], v[6:7], v[62:63]
	v_min3_f32 v225, v0, v1, v135
	v_cvt_f32_f64_e32 v1, v[18:19]
	v_cvt_f32_f64_e32 v0, v[20:21]
	v_add_f64 v[18:19], v[4:5], v[60:61]
	v_add_f64 v[20:21], v[2:3], v[58:59]
	v_min3_f32 v229, v0, v1, v134
	v_cvt_f32_f64_e32 v1, v[18:19]
	v_cvt_f32_f64_e32 v0, v[20:21]
	v_add_f64 v[18:19], v[16:17], v[60:61]
	v_add_f64 v[20:21], v[14:15], v[58:59]
	v_min3_f32 v228, v0, v1, v133
	v_cvt_f32_f64_e32 v1, v[18:19]
	v_cvt_f32_f64_e32 v0, v[20:21]
	v_add_f64 v[18:19], v[12:13], v[60:61]
	v_add_f64 v[20:21], v[10:11], v[58:59]
	v_min3_f32 v227, v0, v1, v132
	v_cvt_f32_f64_e32 v1, v[18:19]
	v_cvt_f32_f64_e32 v0, v[20:21]
	v_add_f64 v[18:19], v[8:9], v[60:61]
	v_add_f64 v[20:21], v[6:7], v[58:59]
	v_min3_f32 v251, v0, v1, v131
	v_cvt_f32_f64_e32 v1, v[18:19]
	v_cvt_f32_f64_e32 v0, v[20:21]
	v_add_f64 v[18:19], v[4:5], v[56:57]
	v_add_f64 v[20:21], v[2:3], v[54:55]
	v_min3_f32 v222, v0, v1, v130
	v_cvt_f32_f64_e32 v1, v[18:19]
	v_cvt_f32_f64_e32 v0, v[20:21]
	v_add_f64 v[18:19], v[16:17], v[56:57]
	v_add_f64 v[20:21], v[14:15], v[54:55]
	v_min3_f32 v197, v0, v1, v129
	v_cvt_f32_f64_e32 v1, v[18:19]
	v_cvt_f32_f64_e32 v0, v[20:21]
	v_add_f64 v[18:19], v[12:13], v[56:57]
	v_add_f64 v[20:21], v[10:11], v[54:55]
	v_min3_f32 v220, v0, v1, v128
	v_cvt_f32_f64_e32 v1, v[18:19]
	v_cvt_f32_f64_e32 v0, v[20:21]
	v_add_f64 v[18:19], v[8:9], v[56:57]
	v_add_f64 v[20:21], v[6:7], v[54:55]
	v_min3_f32 v219, v0, v1, v127
	v_cvt_f32_f64_e32 v1, v[18:19]
	v_cvt_f32_f64_e32 v0, v[20:21]
	v_add_f64 v[18:19], v[4:5], v[52:53]
	v_add_f64 v[20:21], v[2:3], v[50:51]
	v_min3_f32 v207, v0, v1, v126
	v_cvt_f32_f64_e32 v1, v[18:19]
	v_cvt_f32_f64_e32 v0, v[20:21]
	v_add_f64 v[18:19], v[16:17], v[52:53]
	v_add_f64 v[20:21], v[14:15], v[50:51]
	v_min3_f32 v206, v0, v1, v125
	v_cvt_f32_f64_e32 v1, v[18:19]
	v_cvt_f32_f64_e32 v0, v[20:21]
	v_add_f64 v[18:19], v[12:13], v[52:53]
	v_add_f64 v[20:21], v[10:11], v[50:51]
	v_min3_f32 v205, v0, v1, v124
	v_cvt_f32_f64_e32 v1, v[18:19]
	v_cvt_f32_f64_e32 v0, v[20:21]
	v_add_f64 v[18:19], v[8:9], v[52:53]
	v_add_f64 v[20:21], v[6:7], v[50:51]
	v_min3_f32 v203, v0, v1, v123
	v_cvt_f32_f64_e32 v1, v[18:19]
	v_cvt_f32_f64_e32 v0, v[20:21]
	v_add_f64 v[18:19], v[4:5], v[48:49]
	v_add_f64 v[20:21], v[2:3], v[46:47]
	v_min3_f32 v201, v0, v1, v122
	v_cvt_f32_f64_e32 v1, v[18:19]
	v_cvt_f32_f64_e32 v0, v[20:21]
	v_add_f64 v[18:19], v[16:17], v[48:49]
	v_add_f64 v[20:21], v[14:15], v[46:47]
	v_min3_f32 v218, v0, v1, v121
	v_cvt_f32_f64_e32 v1, v[18:19]
	v_cvt_f32_f64_e32 v0, v[20:21]
	v_add_f64 v[18:19], v[12:13], v[48:49]
	v_add_f64 v[20:21], v[10:11], v[46:47]
	v_min3_f32 v250, v0, v1, v120
	v_cvt_f32_f64_e32 v1, v[18:19]
	v_cvt_f32_f64_e32 v0, v[20:21]
	v_add_f64 v[18:19], v[8:9], v[48:49]
	v_add_f64 v[20:21], v[6:7], v[46:47]
	v_min3_f32 v249, v0, v1, v119
	v_cvt_f32_f64_e32 v1, v[18:19]
	v_cvt_f32_f64_e32 v0, v[20:21]
	v_add_f64 v[18:19], v[4:5], v[44:45]
	v_add_f64 v[20:21], v[2:3], v[42:43]
	v_min3_f32 v248, v0, v1, v118
	v_cvt_f32_f64_e32 v1, v[18:19]
	v_cvt_f32_f64_e32 v0, v[20:21]
	v_add_f64 v[18:19], v[16:17], v[44:45]
	v_add_f64 v[20:21], v[14:15], v[42:43]
	v_min3_f32 v247, v0, v1, v117
	v_cvt_f32_f64_e32 v1, v[18:19]
	v_cvt_f32_f64_e32 v0, v[20:21]
	v_add_f64 v[18:19], v[12:13], v[44:45]
	v_add_f64 v[20:21], v[10:11], v[42:43]
	v_min3_f32 v246, v0, v1, v116
	v_cvt_f32_f64_e32 v1, v[18:19]
	v_cvt_f32_f64_e32 v0, v[20:21]
	v_add_f64 v[18:19], v[8:9], v[44:45]
	v_add_f64 v[20:21], v[6:7], v[42:43]
	v_min3_f32 v204, v0, v1, v115
	v_cvt_f32_f64_e32 v1, v[18:19]
	v_cvt_f32_f64_e32 v0, v[20:21]
	v_add_f64 v[18:19], v[4:5], v[40:41]
	v_add_f64 v[20:21], v[2:3], v[38:39]
	v_min3_f32 v202, v0, v1, v114
	v_cvt_f32_f64_e32 v1, v[18:19]
	v_cvt_f32_f64_e32 v0, v[20:21]
	v_add_f64 v[18:19], v[16:17], v[40:41]
	v_add_f64 v[20:21], v[14:15], v[38:39]
	v_min3_f32 v200, v0, v1, v113
	v_cvt_f32_f64_e32 v1, v[18:19]
	v_cvt_f32_f64_e32 v0, v[20:21]
	v_add_f64 v[18:19], v[12:13], v[40:41]
	v_add_f64 v[20:21], v[10:11], v[38:39]
	v_min3_f32 v217, v0, v1, v112
	v_cvt_f32_f64_e32 v1, v[18:19]
	v_cvt_f32_f64_e32 v0, v[20:21]
	v_add_f64 v[18:19], v[8:9], v[40:41]
	v_add_f64 v[20:21], v[6:7], v[38:39]
	v_min3_f32 v211, v0, v1, v111
	v_cvt_f32_f64_e32 v1, v[18:19]
	v_cvt_f32_f64_e32 v0, v[20:21]
	v_add_f64 v[18:19], v[4:5], v[36:37]
	v_add_f64 v[20:21], v[2:3], v[34:35]
	v_min3_f32 v210, v0, v1, v110
	v_cvt_f32_f64_e32 v1, v[18:19]
	v_cvt_f32_f64_e32 v0, v[20:21]
	v_add_f64 v[18:19], v[16:17], v[36:37]
	v_add_f64 v[20:21], v[14:15], v[34:35]
	v_min3_f32 v209, v0, v1, v109
	v_cvt_f32_f64_e32 v1, v[18:19]
	v_cvt_f32_f64_e32 v0, v[20:21]
	v_add_f64 v[18:19], v[12:13], v[36:37]
	v_add_f64 v[20:21], v[10:11], v[34:35]
	v_min3_f32 v208, v0, v1, v108
	v_cvt_f32_f64_e32 v1, v[18:19]
	v_cvt_f32_f64_e32 v0, v[20:21]
	v_add_f64 v[18:19], v[8:9], v[36:37]
	v_add_f64 v[20:21], v[6:7], v[34:35]
	v_min3_f32 v195, v0, v1, v107
	v_cvt_f32_f64_e32 v1, v[18:19]
	v_cvt_f32_f64_e32 v0, v[20:21]
	v_add_f64 v[18:19], v[4:5], v[32:33]
	v_add_f64 v[20:21], v[2:3], v[30:31]
	v_min3_f32 v194, v0, v1, v106
	v_cvt_f32_f64_e32 v1, v[18:19]
	v_cvt_f32_f64_e32 v0, v[20:21]
	v_add_f64 v[18:19], v[16:17], v[32:33]
	v_add_f64 v[20:21], v[14:15], v[30:31]
	v_min3_f32 v193, v0, v1, v105
	v_cvt_f32_f64_e32 v1, v[18:19]
	v_cvt_f32_f64_e32 v0, v[20:21]
	v_add_f64 v[18:19], v[12:13], v[32:33]
	v_add_f64 v[20:21], v[10:11], v[30:31]
	v_min3_f32 v192, v0, v1, v104
	v_cvt_f32_f64_e32 v1, v[18:19]
	v_cvt_f32_f64_e32 v0, v[20:21]
	v_add_f64 v[18:19], v[8:9], v[32:33]
	v_add_f64 v[20:21], v[6:7], v[30:31]
	v_min3_f32 v191, v0, v1, v103
	v_cvt_f32_f64_e32 v1, v[18:19]
	v_cvt_f32_f64_e32 v0, v[20:21]
	v_add_f64 v[18:19], v[4:5], v[28:29]
	v_add_f64 v[20:21], v[2:3], v[26:27]
	v_add_f64 v[4:5], v[4:5], v[24:25]
	v_add_f64 v[2:3], v[2:3], v[22:23]
	v_min3_f32 v190, v0, v1, v102
	v_cvt_f32_f64_e32 v1, v[18:19]
	v_cvt_f32_f64_e32 v0, v[20:21]
	v_add_f64 v[18:19], v[16:17], v[28:29]
	v_add_f64 v[20:21], v[14:15], v[26:27]
	v_min3_f32 v189, v0, v1, v101
	v_cvt_f32_f64_e32 v1, v[18:19]
	v_cvt_f32_f64_e32 v0, v[20:21]
	;; [unrolled: 5-line block ×4, first 2 shown]
	v_min3_f32 v186, v0, v1, v98
	v_cvt_f32_f64_e32 v0, v[2:3]
	v_cvt_f32_f64_e32 v1, v[4:5]
	v_add_f64 v[2:3], v[16:17], v[24:25]
	v_add_f64 v[4:5], v[14:15], v[22:23]
	v_min3_f32 v185, v0, v1, v97
	v_cvt_f32_f64_e32 v1, v[2:3]
	v_cvt_f32_f64_e32 v0, v[4:5]
	v_add_f64 v[2:3], v[12:13], v[24:25]
	v_add_f64 v[4:5], v[10:11], v[22:23]
	;; [unrolled: 5-line block ×3, first 2 shown]
	v_min3_f32 v183, v0, v1, v95
	v_cvt_f32_f64_e32 v1, v[2:3]
	v_cvt_f32_f64_e32 v0, v[4:5]
	v_min3_f32 v182, v0, v1, v94
	s_cbranch_scc1 .LBB166_44
; %bb.25:
	v_mad_i64_i32 v[2:3], null, s17, v92, 0
	v_mad_i64_i32 v[4:5], null, s17, v93, 0
	;; [unrolled: 1-line block ×4, first 2 shown]
	v_lshlrev_b64 v[2:3], 3, v[2:3]
	v_or_b32_e32 v0, 0x2000, v164
	v_lshlrev_b64 v[4:5], 3, v[4:5]
	v_mov_b32_e32 v1, 0x7fefffff
	s_add_i32 s16, s14, -8
	s_mov_b32 s17, 0
	v_add_co_u32 v170, s3, s24, v2
	buffer_store_dword v0, off, s[28:31], 0 offset:172 ; 4-byte Folded Spill
	v_lshl_add_u32 v0, v162, 5, 0x1000
	v_add_co_ci_u32_e64 v171, null, s25, v3, s3
	v_lshlrev_b64 v[2:3], 3, v[6:7]
	v_add_co_u32 v172, s3, s24, v4
	v_add_co_ci_u32_e64 v173, null, s25, v5, s3
	v_lshlrev_b64 v[4:5], 3, v[8:9]
	buffer_store_dword v0, off, s[28:31], 0 offset:168 ; 4-byte Folded Spill
	v_lshl_add_u32 v0, v163, 5, 0x3000
	v_add_co_u32 v169, s3, s22, v2
	v_add_co_ci_u32_e64 v174, null, s23, v3, s3
	v_add_co_u32 v175, s3, s22, v4
	buffer_store_dword v0, off, s[28:31], 0 offset:176 ; 4-byte Folded Spill
	v_add_co_ci_u32_e64 v176, null, s23, v5, s3
	v_mov_b32_e32 v0, -1
	v_mov_b32_e32 v162, v219
	buffer_store_dword v0, off, s[28:31], 0 ; 4-byte Folded Spill
	buffer_store_dword v1, off, s[28:31], 0 offset:4 ; 4-byte Folded Spill
	buffer_store_dword v168, off, s[28:31], 0 offset:164 ; 4-byte Folded Spill
	s_branch .LBB166_27
.LBB166_26:                             ;   in Loop: Header=BB166_27 Depth=1
	s_or_b32 exec_lo, exec_lo, s6
	s_waitcnt vmcnt(0)
	buffer_store_dword v0, off, s[28:31], 0 offset:124 ; 4-byte Folded Spill
	buffer_store_dword v1, off, s[28:31], 0 offset:128 ; 4-byte Folded Spill
	v_add_f64 v[252:253], v[100:101], v[160:161]
	v_add_f64 v[254:255], v[98:99], v[158:159]
	;; [unrolled: 1-line block ×4, first 2 shown]
	buffer_store_dword v172, off, s[28:31], 0 offset:20 ; 4-byte Folded Spill
	buffer_store_dword v173, off, s[28:31], 0 offset:24 ; 4-byte Folded Spill
	v_add_f64 v[172:173], v[88:89], v[160:161]
	v_add_f64 v[164:165], v[86:87], v[158:159]
	;; [unrolled: 1-line block ×17, first 2 shown]
	v_cvt_f32_f64_e32 v147, v[252:253]
	v_cvt_f32_f64_e32 v146, v[254:255]
	v_add_f64 v[184:185], v[98:99], v[150:151]
	v_cvt_f32_f64_e32 v0, v[0:1]
	v_cvt_f32_f64_e32 v1, v[174:175]
	v_add_f64 v[186:187], v[96:97], v[152:153]
	v_add_f64 v[190:191], v[88:89], v[152:153]
	;; [unrolled: 1-line block ×10, first 2 shown]
	v_cvt_f32_f64_e32 v175, v[218:219]
	v_add_f64 v[218:219], v[88:89], v[132:133]
	s_add_i32 s17, s17, 8
	v_cvt_f32_f64_e32 v157, v[156:157]
	s_cmp_ge_i32 s17, s16
	v_min3_f32 v146, v146, v147, v198
	v_min3_f32 v147, v0, v1, v196
	v_cvt_f32_f64_e32 v0, v[164:165]
	v_cvt_f32_f64_e32 v1, v[172:173]
	;; [unrolled: 1-line block ×9, first 2 shown]
	v_add_f64 v[184:185], v[86:87], v[138:139]
	v_add_f64 v[208:209], v[86:87], v[134:135]
	v_add_f64 v[212:213], v[98:99], v[130:131]
	v_add_f64 v[214:215], v[96:97], v[132:133]
	v_add_f64 v[194:195], v[88:89], v[136:137]
	v_min3_f32 v152, v0, v1, v245
	v_cvt_f32_f64_e32 v0, v[158:159]
	v_cvt_f32_f64_e32 v1, v[160:161]
	;; [unrolled: 1-line block ×11, first 2 shown]
	v_min3_f32 v157, v164, v157, v240
	v_min3_f32 v149, v173, v174, v234
	v_add_f64 v[180:181], v[94:95], v[138:139]
	v_add_f64 v[190:191], v[96:97], v[136:137]
	;; [unrolled: 1-line block ×7, first 2 shown]
	v_min3_f32 v153, v0, v1, v244
	v_cvt_f32_f64_e32 v0, v[168:169]
	v_cvt_f32_f64_e32 v1, v[166:167]
	;; [unrolled: 1-line block ×6, first 2 shown]
	v_min3_f32 v155, v158, v159, v242
	v_min3_f32 v156, v160, v161, v241
	;; [unrolled: 1-line block ×6, first 2 shown]
	v_add_f64 v[172:173], v[86:87], v[142:143]
	v_add_f64 v[174:175], v[100:101], v[140:141]
	;; [unrolled: 1-line block ×11, first 2 shown]
	v_min3_f32 v154, v0, v1, v243
	v_min3_f32 v158, v165, v166, v239
	v_add_f64 v[0:1], v[100:101], v[144:145]
	v_add_f64 v[164:165], v[98:99], v[142:143]
	v_min3_f32 v159, v167, v168, v238
	v_min3_f32 v160, v169, v170, v237
	v_add_f64 v[166:167], v[96:97], v[144:145]
	v_add_f64 v[168:169], v[94:95], v[142:143]
	v_add_f64 v[170:171], v[88:89], v[144:145]
	v_add_f64 v[144:145], v[84:85], v[144:145]
	v_add_f64 v[142:143], v[82:83], v[142:143]
	v_add_f64 v[136:137], v[84:85], v[136:137]
	v_cvt_f32_f64_e32 v140, v[140:141]
	v_cvt_f32_f64_e32 v141, v[188:189]
	;; [unrolled: 1-line block ×4, first 2 shown]
	v_add_f64 v[130:131], v[100:101], v[128:129]
	v_add_f64 v[132:133], v[94:95], v[126:127]
	v_cvt_f32_f64_e32 v164, v[164:165]
	v_cvt_f32_f64_e32 v165, v[0:1]
	v_add_f64 v[0:1], v[98:99], v[126:127]
	v_cvt_f32_f64_e32 v166, v[166:167]
	v_cvt_f32_f64_e32 v168, v[168:169]
	;; [unrolled: 1-line block ×15, first 2 shown]
	v_add_f64 v[134:135], v[96:97], v[128:129]
	v_add_f64 v[138:139], v[88:89], v[128:129]
	v_cvt_f32_f64_e32 v176, v[192:193]
	v_cvt_f32_f64_e32 v181, v[136:137]
	v_cvt_f32_f64_e32 v191, v[130:131]
	v_cvt_f32_f64_e32 v192, v[132:133]
	v_cvt_f32_f64_e32 v190, v[0:1]
	v_add_f64 v[0:1], v[86:87], v[126:127]
	v_min3_f32 v130, v164, v165, v226
	v_add_f64 v[164:165], v[88:89], v[124:125]
	v_min3_f32 v132, v167, v169, v224
	v_cvt_f32_f64_e32 v172, v[184:185]
	v_min3_f32 v133, v142, v143, v199
	v_add_f64 v[142:143], v[96:97], v[124:125]
	v_cvt_f32_f64_e32 v184, v[216:217]
	v_cvt_f32_f64_e32 v185, v[214:215]
	v_min3_f32 v137, v174, v140, v229
	v_min3_f32 v224, v141, v175, v228
	v_add_f64 v[140:141], v[94:95], v[122:123]
	v_min3_f32 v220, v188, v189, v207
	v_cvt_f32_f64_e32 v171, v[178:179]
	v_min3_f32 v221, v186, v187, v162
	v_cvt_f32_f64_e32 v193, v[134:135]
	;; [unrolled: 2-line block ×3, first 2 shown]
	v_add_f64 v[138:139], v[100:101], v[124:125]
	v_add_f64 v[144:145], v[86:87], v[122:123]
	;; [unrolled: 1-line block ×3, first 2 shown]
	v_min3_f32 v226, v180, v181, v222
	v_cvt_f32_f64_e32 v186, v[0:1]
	v_add_f64 v[0:1], v[82:83], v[126:127]
	v_add_f64 v[126:127], v[84:85], v[128:129]
	;; [unrolled: 1-line block ×4, first 2 shown]
	v_min3_f32 v219, v190, v191, v206
	v_add_f64 v[180:181], v[100:101], v[116:117]
	v_cvt_f32_f64_e32 v173, v[182:183]
	v_min3_f32 v222, v184, v185, v163
	v_add_f64 v[184:185], v[96:97], v[116:117]
	v_cvt_f32_f64_e32 v178, v[208:209]
	v_cvt_f32_f64_e32 v179, v[194:195]
	;; [unrolled: 1-line block ×4, first 2 shown]
	v_min3_f32 v131, v168, v166, v223
	v_min3_f32 v135, v170, v171, v230
	;; [unrolled: 1-line block ×3, first 2 shown]
	v_add_f64 v[166:167], v[98:99], v[118:119]
	v_cvt_f32_f64_e32 v191, v[138:139]
	v_add_f64 v[138:139], v[84:85], v[116:117]
	v_add_f64 v[168:169], v[100:101], v[120:121]
	;; [unrolled: 1-line block ×5, first 2 shown]
	v_cvt_f32_f64_e32 v189, v[126:127]
	v_add_f64 v[126:127], v[88:89], v[116:117]
	v_cvt_f32_f64_e32 v122, v[122:123]
	v_cvt_f32_f64_e32 v123, v[124:125]
	v_add_f64 v[118:119], v[82:83], v[118:119]
	v_min3_f32 v136, v172, v173, v225
	v_add_f64 v[172:173], v[96:97], v[120:121]
	v_add_f64 v[120:121], v[84:85], v[120:121]
	v_cvt_f32_f64_e32 v188, v[0:1]
	v_min3_f32 v227, v178, v179, v251
	v_add_f64 v[178:179], v[98:99], v[114:115]
	v_min3_f32 v223, v182, v183, v197
	v_add_f64 v[182:183], v[94:95], v[114:115]
	v_cvt_f32_f64_e32 v195, v[164:165]
	v_add_f64 v[0:1], v[86:87], v[114:115]
	v_add_f64 v[164:165], v[96:97], v[112:113]
	v_min3_f32 v218, v192, v193, v205
	v_cvt_f32_f64_e32 v190, v[128:129]
	v_cvt_f32_f64_e32 v192, v[140:141]
	;; [unrolled: 1-line block ×7, first 2 shown]
	v_add_f64 v[128:129], v[82:83], v[114:115]
	v_min3_f32 v117, v122, v123, v248
	s_clause 0x1
	buffer_load_dword v122, off, s[28:31], 0 offset:152
	buffer_load_dword v123, off, s[28:31], 0 offset:148
	v_cvt_f32_f64_e32 v171, v[172:173]
	v_cvt_f32_f64_e32 v172, v[174:175]
	;; [unrolled: 1-line block ×9, first 2 shown]
	v_add_f64 v[140:141], v[98:99], v[110:111]
	v_add_f64 v[142:143], v[100:101], v[112:113]
	;; [unrolled: 1-line block ×5, first 2 shown]
	v_cvt_f32_f64_e32 v181, v[164:165]
	v_add_f64 v[164:165], v[100:101], v[104:105]
	v_min3_f32 v124, v186, v187, v203
	v_min3_f32 v125, v188, v189, v201
	;; [unrolled: 1-line block ×7, first 2 shown]
	v_add_f64 v[170:171], v[86:87], v[102:103]
	v_min3_f32 v120, v172, v173, v204
	v_add_f64 v[172:173], v[88:89], v[104:105]
	v_min3_f32 v121, v174, v121, v202
	v_cvt_f32_f64_e32 v174, v[0:1]
	v_add_f64 v[0:1], v[82:83], v[110:111]
	v_add_f64 v[110:111], v[84:85], v[112:113]
	;; [unrolled: 1-line block ×3, first 2 shown]
	buffer_load_dword v162, off, s[28:31], 0 offset:172 ; 4-byte Folded Reload
	v_cvt_f32_f64_e32 v179, v[142:143]
	v_cvt_f32_f64_e32 v180, v[144:145]
	;; [unrolled: 1-line block ×3, first 2 shown]
	v_add_f64 v[144:145], v[98:99], v[102:103]
	v_add_f64 v[166:167], v[94:95], v[102:103]
	v_add_f64 v[102:103], v[82:83], v[102:103]
	v_cvt_f32_f64_e32 v183, v[168:169]
	v_add_f64 v[168:169], v[96:97], v[104:105]
	v_add_f64 v[98:99], v[98:99], v[90:91]
	;; [unrolled: 1-line block ×4, first 2 shown]
	v_cvt_f32_f64_e32 v184, v[0:1]
	v_cvt_f32_f64_e32 v110, v[110:111]
	;; [unrolled: 1-line block ×3, first 2 shown]
	v_add_f64 v[0:1], v[86:87], v[90:91]
	s_waitcnt vmcnt(2)
	v_min3_f32 v122, v175, v176, v122
	s_waitcnt vmcnt(1)
	v_min3_f32 v123, v177, v178, v123
	v_cvt_f32_f64_e32 v175, v[126:127]
	v_cvt_f32_f64_e32 v177, v[138:139]
	v_add_f64 v[126:127], v[100:101], v[108:109]
	v_add_f64 v[138:139], v[96:97], v[108:109]
	v_add_f64 v[100:101], v[100:101], v[92:93]
	v_cvt_f32_f64_e32 v176, v[128:129]
	v_cvt_f32_f64_e32 v178, v[140:141]
	v_add_f64 v[128:129], v[94:95], v[106:107]
	v_add_f64 v[140:141], v[86:87], v[106:107]
	;; [unrolled: 1-line block ×6, first 2 shown]
	v_cvt_f32_f64_e32 v112, v[126:127]
	v_cvt_f32_f64_e32 v126, v[138:139]
	;; [unrolled: 1-line block ×4, first 2 shown]
	v_add_f64 v[100:101], v[82:83], v[90:91]
	buffer_load_dword v82, off, s[28:31], 0 offset:144 ; 4-byte Folded Reload
	v_cvt_f32_f64_e32 v139, v[166:167]
	v_cvt_f32_f64_e32 v113, v[128:129]
	v_cvt_f32_f64_e32 v166, v[96:97]
	v_cvt_f32_f64_e32 v128, v[142:143]
	v_cvt_f32_f64_e32 v108, v[108:109]
	v_cvt_f32_f64_e32 v109, v[144:145]
	v_cvt_f32_f64_e32 v143, v[102:103]
	v_cvt_f32_f64_e32 v145, v[98:99]
	v_add_f64 v[98:99], v[88:89], v[92:93]
	v_add_f64 v[102:103], v[84:85], v[92:93]
	v_cvt_f32_f64_e32 v165, v[94:95]
	v_cvt_f32_f64_e32 v127, v[140:141]
	;; [unrolled: 1-line block ×7, first 2 shown]
	v_add_f64 v[104:105], v[2:3], v[78:79]
	v_add_f64 v[106:107], v[4:5], v[80:81]
	v_cvt_f32_f64_e32 v168, v[100:101]
	v_add_f64 v[100:101], v[10:11], v[78:79]
	v_cvt_f32_f64_e32 v167, v[98:99]
	v_cvt_f32_f64_e32 v169, v[102:103]
	v_add_f64 v[98:99], v[8:9], v[80:81]
	v_add_f64 v[102:103], v[12:13], v[80:81]
	;; [unrolled: 1-line block ×3, first 2 shown]
	v_cvt_f32_f64_e32 v170, v[104:105]
	v_cvt_f32_f64_e32 v171, v[106:107]
	v_add_f64 v[104:105], v[2:3], v[74:75]
	v_add_f64 v[106:107], v[4:5], v[76:77]
	v_cvt_f32_f64_e32 v98, v[98:99]
	v_cvt_f32_f64_e32 v99, v[100:101]
	;; [unrolled: 1-line block ×4, first 2 shown]
	v_add_f64 v[80:81], v[14:15], v[66:67]
	v_cvt_f32_f64_e32 v103, v[104:105]
	v_cvt_f32_f64_e32 v104, v[106:107]
	s_waitcnt vmcnt(0)
	v_min3_f32 v96, v174, v175, v82
	buffer_load_dword v82, off, s[28:31], 0 offset:140 ; 4-byte Folded Reload
	s_waitcnt vmcnt(0)
	v_min3_f32 v97, v176, v177, v82
	buffer_load_dword v82, off, s[28:31], 0 offset:136 ; 4-byte Folded Reload
	;; [unrolled: 3-line block ×7, first 2 shown]
	v_add_f64 v[110:111], v[8:9], v[76:77]
	v_cvt_f32_f64_e32 v106, v[110:111]
	s_waitcnt vmcnt(0)
	v_min3_f32 v89, v113, v126, v82
	buffer_load_dword v82, off, s[28:31], 0 offset:80 ; 4-byte Folded Reload
	v_add_f64 v[112:113], v[10:11], v[74:75]
	v_cvt_f32_f64_e32 v107, v[112:113]
	s_waitcnt vmcnt(0)
	v_min3_f32 v90, v127, v128, v82
	buffer_load_dword v82, off, s[28:31], 0 offset:76 ; 4-byte Folded Reload
	v_add_f64 v[126:127], v[12:13], v[76:77]
	v_add_f64 v[76:77], v[16:17], v[76:77]
	v_cvt_f32_f64_e32 v110, v[76:77]
	v_add_f64 v[76:77], v[10:11], v[66:67]
	s_waitcnt vmcnt(0)
	v_min3_f32 v87, v129, v108, v82
	buffer_load_dword v82, off, s[28:31], 0 offset:72 ; 4-byte Folded Reload
	v_add_f64 v[128:129], v[2:3], v[70:71]
	v_cvt_f32_f64_e32 v111, v[128:129]
	s_waitcnt vmcnt(0)
	v_min3_f32 v88, v109, v138, v82
	buffer_load_dword v82, off, s[28:31], 0 offset:68 ; 4-byte Folded Reload
	v_add_f64 v[108:109], v[6:7], v[74:75]
	v_add_f64 v[74:75], v[14:15], v[74:75]
	v_cvt_f32_f64_e32 v105, v[108:109]
	v_cvt_f32_f64_e32 v108, v[126:127]
	;; [unrolled: 1-line block ×3, first 2 shown]
	v_add_f64 v[74:75], v[8:9], v[68:69]
	s_waitcnt vmcnt(0)
	v_min3_f32 v85, v139, v140, v82
	buffer_load_dword v82, off, s[28:31], 0 offset:64 ; 4-byte Folded Reload
	v_add_f64 v[138:139], v[4:5], v[72:73]
	v_cvt_f32_f64_e32 v112, v[138:139]
	v_min3_f32 v138, v170, v171, v146
	v_min3_f32 v146, v111, v112, v158
	s_waitcnt vmcnt(0)
	v_min3_f32 v86, v141, v142, v82
	buffer_load_dword v82, off, s[28:31], 0 offset:60 ; 4-byte Folded Reload
	v_add_f64 v[140:141], v[6:7], v[70:71]
	v_cvt_f32_f64_e32 v113, v[140:141]
	v_min3_f32 v140, v99, v100, v152
	s_waitcnt vmcnt(0)
	v_min3_f32 v83, v143, v144, v82
	buffer_load_dword v82, off, s[28:31], 0 offset:56 ; 4-byte Folded Reload
	v_add_f64 v[142:143], v[8:9], v[72:73]
	v_cvt_f32_f64_e32 v126, v[142:143]
	v_min3_f32 v142, v103, v104, v154
	v_min3_f32 v143, v105, v106, v155
	v_add_f64 v[104:105], v[12:13], v[60:61]
	v_cvt_f32_f64_e32 v155, v[104:105]
	v_add_f64 v[104:105], v[12:13], v[48:49]
	s_waitcnt vmcnt(0)
	v_min3_f32 v84, v145, v164, v82
	buffer_load_dword v82, off, s[28:31], 0 offset:52 ; 4-byte Folded Reload
	v_add_f64 v[144:145], v[10:11], v[70:71]
	v_add_f64 v[70:71], v[14:15], v[70:71]
	v_cvt_f32_f64_e32 v127, v[144:145]
	v_cvt_f32_f64_e32 v129, v[70:71]
	v_add_f64 v[70:71], v[4:5], v[68:69]
	v_min3_f32 v145, v109, v110, v157
	v_min3_f32 v144, v107, v108, v156
	v_add_f64 v[106:107], v[2:3], v[54:55]
	v_add_f64 v[108:109], v[4:5], v[56:57]
	v_cvt_f32_f64_e32 v111, v[70:71]
	v_add_f64 v[70:71], v[6:7], v[62:63]
	v_cvt_f32_f64_e32 v106, v[106:107]
	v_cvt_f32_f64_e32 v107, v[108:109]
	s_waitcnt vmcnt(0)
	v_min3_f32 v82, v165, v166, v82
	v_cvt_f32_f64_e32 v166, v[0:1]
	v_add_f64 v[0:1], v[6:7], v[78:79]
	v_add_f64 v[78:79], v[14:15], v[78:79]
	v_add_f64 v[164:165], v[12:13], v[72:73]
	v_add_f64 v[72:73], v[16:17], v[72:73]
	v_cvt_f32_f64_e32 v172, v[0:1]
	v_cvt_f32_f64_e32 v101, v[78:79]
	;; [unrolled: 1-line block ×4, first 2 shown]
	v_add_f64 v[0:1], v[2:3], v[66:67]
	v_add_f64 v[72:73], v[6:7], v[66:67]
	;; [unrolled: 1-line block ×4, first 2 shown]
	buffer_load_dword v66, off, s[28:31], 0 offset:48 ; 4-byte Folded Reload
	v_min3_f32 v139, v172, v98, v147
	v_min3_f32 v141, v101, v102, v153
	;; [unrolled: 1-line block ×5, first 2 shown]
	v_cvt_f32_f64_e32 v110, v[0:1]
	v_cvt_f32_f64_e32 v112, v[72:73]
	v_cvt_f32_f64_e32 v113, v[74:75]
	v_cvt_f32_f64_e32 v126, v[76:77]
	v_cvt_f32_f64_e32 v127, v[78:79]
	v_cvt_f32_f64_e32 v128, v[80:81]
	v_cvt_f32_f64_e32 v129, v[68:69]
	v_add_f64 v[0:1], v[2:3], v[62:63]
	v_add_f64 v[68:69], v[4:5], v[64:65]
	;; [unrolled: 1-line block ×14, first 2 shown]
	v_min3_f32 v187, v110, v111, v148
	v_min3_f32 v188, v112, v113, v149
	v_cvt_f32_f64_e32 v112, v[70:71]
	v_min3_f32 v189, v126, v127, v150
	v_add_f64 v[70:71], v[6:7], v[50:51]
	v_min3_f32 v190, v128, v129, v151
	v_cvt_f32_f64_e32 v110, v[0:1]
	v_cvt_f32_f64_e32 v111, v[68:69]
	;; [unrolled: 1-line block ×14, first 2 shown]
	v_add_f64 v[0:1], v[6:7], v[54:55]
	v_add_f64 v[58:59], v[8:9], v[56:57]
	;; [unrolled: 1-line block ×20, first 2 shown]
	v_min3_f32 v150, v150, v151, v134
	v_min3_f32 v151, v152, v153, v135
	v_cvt_f32_f64_e32 v108, v[0:1]
	v_cvt_f32_f64_e32 v58, v[58:59]
	;; [unrolled: 1-line block ×16, first 2 shown]
	v_add_f64 v[0:1], v[2:3], v[42:43]
	v_min3_f32 v153, v156, v157, v137
	v_cvt_f32_f64_e32 v71, v[46:47]
	v_cvt_f32_f64_e32 v48, v[48:49]
	v_add_f64 v[46:47], v[4:5], v[44:45]
	v_cvt_f32_f64_e32 v65, v[98:99]
	v_cvt_f32_f64_e32 v68, v[100:101]
	;; [unrolled: 1-line block ×4, first 2 shown]
	v_min3_f32 v156, v59, v60, v227
	v_min3_f32 v152, v154, v155, v136
	v_min3_f32 v157, v54, v55, v226
	v_add_f64 v[54:55], v[4:5], v[40:41]
	v_min3_f32 v158, v56, v57, v223
	v_add_f64 v[56:57], v[6:7], v[38:39]
	v_min3_f32 v159, v61, v62, v222
	;; [unrolled: 2-line block ×5, first 2 shown]
	v_cvt_f32_f64_e32 v78, v[0:1]
	v_add_f64 v[0:1], v[6:7], v[42:43]
	v_add_f64 v[52:53], v[2:3], v[38:39]
	v_min3_f32 v180, v71, v48, v125
	v_cvt_f32_f64_e32 v79, v[46:47]
	v_add_f64 v[46:47], v[8:9], v[44:45]
	v_add_f64 v[48:49], v[10:11], v[42:43]
	;; [unrolled: 1-line block ×4, first 2 shown]
	v_min3_f32 v155, v108, v58, v208
	v_min3_f32 v178, v65, v68, v218
	;; [unrolled: 1-line block ×3, first 2 shown]
	v_add_f64 v[58:59], v[8:9], v[40:41]
	v_add_f64 v[38:39], v[14:15], v[38:39]
	;; [unrolled: 1-line block ×11, first 2 shown]
	v_cvt_f32_f64_e32 v80, v[0:1]
	v_cvt_f32_f64_e32 v52, v[52:53]
	;; [unrolled: 1-line block ×10, first 2 shown]
	v_add_f64 v[42:43], v[12:13], v[32:33]
	v_add_f64 v[44:45], v[2:3], v[26:27]
	v_cvt_f32_f64_e32 v55, v[58:59]
	v_cvt_f32_f64_e32 v58, v[38:39]
	v_cvt_f32_f64_e32 v59, v[40:41]
	v_cvt_f32_f64_e32 v61, v[68:69]
	v_add_f64 v[0:1], v[2:3], v[30:31]
	v_add_f64 v[38:39], v[8:9], v[32:33]
	;; [unrolled: 1-line block ×3, first 2 shown]
	v_cvt_f32_f64_e32 v81, v[46:47]
	v_cvt_f32_f64_e32 v68, v[34:35]
	;; [unrolled: 1-line block ×3, first 2 shown]
	v_add_f64 v[34:35], v[4:5], v[32:33]
	v_add_f64 v[36:37], v[6:7], v[30:31]
	;; [unrolled: 1-line block ×5, first 2 shown]
	v_cvt_f32_f64_e32 v60, v[64:65]
	v_min3_f32 v185, v48, v49, v116
	v_min3_f32 v116, v52, v53, v118
	;; [unrolled: 1-line block ×4, first 2 shown]
	v_cvt_f32_f64_e32 v53, v[42:43]
	v_cvt_f32_f64_e32 v56, v[44:45]
	v_add_f64 v[42:43], v[8:9], v[24:25]
	v_add_f64 v[44:45], v[10:11], v[22:23]
	v_min3_f32 v117, v54, v55, v119
	v_cvt_f32_f64_e32 v62, v[70:71]
	v_cvt_f32_f64_e32 v48, v[0:1]
	;; [unrolled: 1-line block ×3, first 2 shown]
	v_add_f64 v[0:1], v[6:7], v[26:27]
	v_add_f64 v[38:39], v[4:5], v[24:25]
	v_cvt_f32_f64_e32 v52, v[40:41]
	v_add_f64 v[40:41], v[6:7], v[22:23]
	v_cvt_f32_f64_e32 v49, v[34:35]
	v_cvt_f32_f64_e32 v50, v[36:37]
	;; [unrolled: 1-line block ×4, first 2 shown]
	v_add_f64 v[30:31], v[8:9], v[28:29]
	v_add_f64 v[32:33], v[10:11], v[26:27]
	;; [unrolled: 1-line block ×6, first 2 shown]
	v_cvt_f32_f64_e32 v57, v[46:47]
	v_add_f64 v[46:47], v[12:13], v[24:25]
	v_cvt_f32_f64_e32 v42, v[42:43]
	v_cvt_f32_f64_e32 v43, v[44:45]
	s_clause 0x1
	buffer_load_dword v45, off, s[28:31], 0 offset:156
	buffer_load_dword v67, off, s[28:31], 0 offset:44
	v_add_f64 v[22:23], v[14:15], v[22:23]
	v_add_f64 v[24:25], v[16:17], v[24:25]
	;; [unrolled: 1-line block ×6, first 2 shown]
	v_cvt_f32_f64_e32 v63, v[72:73]
	v_cvt_f32_f64_e32 v64, v[74:75]
	v_cvt_f32_f64_e32 v65, v[76:77]
	v_cvt_f32_f64_e32 v0, v[0:1]
	v_cvt_f32_f64_e32 v1, v[30:31]
	v_cvt_f32_f64_e32 v30, v[32:33]
	v_cvt_f32_f64_e32 v31, v[34:35]
	v_cvt_f32_f64_e32 v26, v[26:27]
	v_cvt_f32_f64_e32 v27, v[28:29]
	v_cvt_f32_f64_e32 v28, v[36:37]
	v_cvt_f32_f64_e32 v29, v[38:39]
	v_add_f64 v[10:11], v[10:11], v[18:19]
	v_add_f64 v[12:13], v[12:13], v[20:21]
	v_add_f64 v[14:15], v[14:15], v[18:19]
	v_add_f64 v[16:17], v[16:17], v[20:21]
	v_min3_f32 v119, v58, v59, v121
	v_cvt_f32_f64_e32 v58, v[40:41]
	v_cvt_f32_f64_e32 v44, v[46:47]
	;; [unrolled: 1-line block ×8, first 2 shown]
	v_min3_f32 v191, v110, v111, v130
	v_min3_f32 v192, v112, v113, v131
	;; [unrolled: 1-line block ×6, first 2 shown]
	ds_read_b128 v[18:21], v162
	ds_read_b128 v[62:65], v162 offset:256
	v_min3_f32 v130, v30, v31, v90
	v_min3_f32 v131, v26, v27, v87
	;; [unrolled: 1-line block ×3, first 2 shown]
	v_cvt_f32_f64_e32 v6, v[10:11]
	v_cvt_f32_f64_e32 v7, v[12:13]
	v_cvt_f32_f64_e32 v8, v[14:15]
	v_cvt_f32_f64_e32 v9, v[16:17]
	v_min3_f32 v149, v128, v129, v133
	v_min3_f32 v154, v106, v107, v224
	;; [unrolled: 1-line block ×16, first 2 shown]
	s_waitcnt vmcnt(2)
	v_min3_f32 v66, v166, v167, v66
	v_min3_f32 v114, v6, v7, v66
	s_waitcnt vmcnt(1)
	ds_read_b128 v[38:41], v45
	ds_read_b128 v[34:37], v45 offset:1024
	ds_read_b128 v[30:33], v45 offset:2048
	;; [unrolled: 1-line block ×3, first 2 shown]
	s_waitcnt vmcnt(0)
	v_min3_f32 v67, v168, v169, v67
	ds_read_b128 v[58:61], v162 offset:512
	ds_read_b128 v[54:57], v162 offset:768
	;; [unrolled: 1-line block ×6, first 2 shown]
	v_min3_f32 v115, v8, v9, v67
	ds_read_b128 v[6:9], v45 offset:2064
	s_waitcnt lgkmcnt(10)
	v_add_f64 v[78:79], v[38:39], v[18:19]
	s_waitcnt lgkmcnt(9)
	v_add_f64 v[82:83], v[34:35], v[18:19]
	;; [unrolled: 2-line block ×3, first 2 shown]
	v_add_f64 v[86:87], v[30:31], v[18:19]
	s_waitcnt lgkmcnt(7)
	v_add_f64 v[84:85], v[28:29], v[20:21]
	v_add_f64 v[88:89], v[26:27], v[18:19]
	;; [unrolled: 1-line block ×10, first 2 shown]
	ds_read_b128 v[18:21], v162 offset:272
	ds_read_b128 v[46:49], v162 offset:1024
	;; [unrolled: 1-line block ×9, first 2 shown]
	v_add_f64 v[0:1], v[28:29], v[64:65]
	s_waitcnt lgkmcnt(14)
	v_add_f64 v[164:165], v[30:31], v[54:55]
	v_add_f64 v[166:167], v[28:29], v[56:57]
	;; [unrolled: 1-line block ×3, first 2 shown]
	v_cvt_f32_f64_e32 v176, v[78:79]
	v_cvt_f32_f64_e32 v197, v[82:83]
	;; [unrolled: 1-line block ×12, first 2 shown]
	v_add_f64 v[78:79], v[26:27], v[62:63]
	v_add_f64 v[80:81], v[40:41], v[60:61]
	;; [unrolled: 1-line block ×14, first 2 shown]
	s_waitcnt lgkmcnt(7)
	v_add_f64 v[170:171], v[38:39], v[46:47]
	v_add_f64 v[172:173], v[40:41], v[48:49]
	;; [unrolled: 1-line block ×4, first 2 shown]
	v_cvt_f32_f64_e32 v195, v[70:71]
	v_cvt_f32_f64_e32 v199, v[72:73]
	;; [unrolled: 1-line block ×24, first 2 shown]
	v_min3_f32 v106, v176, v195, v138
	v_min3_f32 v107, v197, v199, v139
	v_min3_f32 v108, v208, v209, v140
	v_min3_f32 v109, v210, v211, v141
	v_min3_f32 v110, v212, v213, v142
	v_min3_f32 v111, v214, v215, v143
	v_min3_f32 v112, v216, v217, v144
	v_min3_f32 v113, v218, v0, v145
	v_min3_f32 v138, v1, v219, v146
	v_min3_f32 v139, v220, v221, v147
	v_min3_f32 v140, v222, v223, v181
	v_min3_f32 v141, v58, v59, v182
	v_add_f64 v[0:1], v[32:33], v[48:49]
	v_min3_f32 v142, v60, v61, v187
	s_waitcnt lgkmcnt(6)
	v_add_f64 v[172:173], v[34:35], v[42:43]
	v_min3_f32 v143, v224, v225, v188
	v_min3_f32 v144, v164, v165, v189
	;; [unrolled: 1-line block ×3, first 2 shown]
	v_add_f64 v[164:165], v[26:27], v[46:47]
	v_min3_f32 v146, v167, v169, v191
	v_add_f64 v[166:167], v[40:41], v[44:45]
	v_min3_f32 v147, v170, v171, v192
	v_add_f64 v[168:169], v[38:39], v[42:43]
	v_add_f64 v[170:171], v[36:37], v[44:45]
	;; [unrolled: 1-line block ×6, first 2 shown]
	s_waitcnt lgkmcnt(5)
	v_add_f64 v[191:192], v[40:41], v[52:53]
	v_add_f64 v[193:194], v[38:39], v[50:51]
	;; [unrolled: 1-line block ×10, first 2 shown]
	s_waitcnt lgkmcnt(4)
	v_add_f64 v[220:221], v[38:39], v[66:67]
	v_add_f64 v[222:223], v[40:41], v[68:69]
	v_cvt_f32_f64_e32 v195, v[0:1]
	v_cvt_f32_f64_e32 v197, v[164:165]
	;; [unrolled: 1-line block ×18, first 2 shown]
	v_add_f64 v[0:1], v[36:37], v[68:69]
	v_add_f64 v[164:165], v[34:35], v[66:67]
	v_add_f64 v[166:167], v[32:33], v[68:69]
	v_add_f64 v[168:169], v[30:31], v[66:67]
	v_add_f64 v[170:171], v[28:29], v[68:69]
	v_add_f64 v[172:173], v[26:27], v[66:67]
	s_waitcnt lgkmcnt(3)
	v_add_f64 v[174:175], v[40:41], v[104:105]
	v_add_f64 v[181:182], v[38:39], v[102:103]
	;; [unrolled: 1-line block ×8, first 2 shown]
	s_waitcnt lgkmcnt(2)
	v_add_f64 v[208:209], v[38:39], v[74:75]
	v_add_f64 v[210:211], v[40:41], v[76:77]
	;; [unrolled: 1-line block ×8, first 2 shown]
	v_cvt_f32_f64_e32 v176, v[58:59]
	v_cvt_f32_f64_e32 v199, v[60:61]
	v_cvt_f32_f64_e32 v220, v[220:221]
	v_cvt_f32_f64_e32 v221, v[222:223]
	v_cvt_f32_f64_e32 v164, v[164:165]
	v_cvt_f32_f64_e32 v0, v[0:1]
	v_cvt_f32_f64_e32 v1, v[168:169]
	v_cvt_f32_f64_e32 v165, v[166:167]
	v_cvt_f32_f64_e32 v166, v[172:173]
	v_cvt_f32_f64_e32 v167, v[170:171]
	v_cvt_f32_f64_e32 v168, v[181:182]
	v_cvt_f32_f64_e32 v169, v[174:175]
	v_cvt_f32_f64_e32 v170, v[189:190]
	v_cvt_f32_f64_e32 v171, v[187:188]
	v_cvt_f32_f64_e32 v172, v[193:194]
	v_cvt_f32_f64_e32 v173, v[191:192]
	v_cvt_f32_f64_e32 v174, v[102:103]
	v_cvt_f32_f64_e32 v175, v[104:105]
	v_cvt_f32_f64_e32 v187, v[208:209]
	v_cvt_f32_f64_e32 v188, v[210:211]
	v_cvt_f32_f64_e32 v189, v[212:213]
	v_cvt_f32_f64_e32 v190, v[214:215]
	v_cvt_f32_f64_e32 v191, v[216:217]
	v_cvt_f32_f64_e32 v192, v[218:219]
	v_cvt_f32_f64_e32 v74, v[74:75]
	v_cvt_f32_f64_e32 v75, v[76:77]
	ds_read_b128 v[70:73], v162 offset:528
	ds_read_b128 v[62:65], v162 offset:784
	;; [unrolled: 1-line block ×7, first 2 shown]
	v_min3_f32 v181, v176, v195, v148
	v_min3_f32 v182, v197, v199, v149
	;; [unrolled: 1-line block ×22, first 2 shown]
	s_waitcnt lgkmcnt(8)
	v_add_f64 v[0:1], v[40:41], v[100:101]
	v_add_f64 v[164:165], v[38:39], v[98:99]
	;; [unrolled: 1-line block ×8, first 2 shown]
	s_waitcnt lgkmcnt(7)
	v_add_f64 v[183:184], v[40:41], v[96:97]
	v_add_f64 v[185:186], v[38:39], v[94:95]
	;; [unrolled: 1-line block ×8, first 2 shown]
	s_waitcnt lgkmcnt(3)
	v_add_f64 v[212:213], v[38:39], v[90:91]
	v_add_f64 v[214:215], v[40:41], v[92:93]
	;; [unrolled: 1-line block ×6, first 2 shown]
	v_cvt_f32_f64_e32 v195, v[0:1]
	v_cvt_f32_f64_e32 v176, v[164:165]
	;; [unrolled: 1-line block ×18, first 2 shown]
	v_add_f64 v[0:1], v[28:29], v[92:93]
	v_add_f64 v[164:165], v[26:27], v[90:91]
	s_waitcnt lgkmcnt(2)
	v_add_f64 v[166:167], v[40:41], v[88:89]
	v_add_f64 v[168:169], v[38:39], v[86:87]
	;; [unrolled: 1-line block ×8, first 2 shown]
	s_waitcnt lgkmcnt(1)
	v_add_f64 v[187:188], v[40:41], v[84:85]
	v_add_f64 v[189:190], v[38:39], v[82:83]
	;; [unrolled: 1-line block ×8, first 2 shown]
	s_waitcnt lgkmcnt(0)
	v_add_f64 v[38:39], v[38:39], v[78:79]
	v_add_f64 v[40:41], v[40:41], v[80:81]
	;; [unrolled: 1-line block ×4, first 2 shown]
	v_cvt_f32_f64_e32 v216, v[216:217]
	v_cvt_f32_f64_e32 v217, v[218:219]
	;; [unrolled: 1-line block ×26, first 2 shown]
	v_min3_f32 v179, v176, v195, v116
	v_min3_f32 v180, v197, v199, v117
	;; [unrolled: 1-line block ×22, first 2 shown]
	v_add_f64 v[0:1], v[30:31], v[78:79]
	v_add_f64 v[30:31], v[32:33], v[80:81]
	v_add_f64 v[26:27], v[26:27], v[78:79]
	v_add_f64 v[28:29], v[28:29], v[80:81]
	v_add_f64 v[32:33], v[14:15], v[22:23]
	v_add_f64 v[78:79], v[16:17], v[24:25]
	v_add_f64 v[80:81], v[10:11], v[22:23]
	v_add_f64 v[128:129], v[12:13], v[24:25]
	v_add_f64 v[130:131], v[6:7], v[22:23]
	v_add_f64 v[132:133], v[8:9], v[24:25]
	v_add_f64 v[22:23], v[2:3], v[22:23]
	v_add_f64 v[24:25], v[4:5], v[24:25]
	v_add_f64 v[134:135], v[14:15], v[18:19]
	v_add_f64 v[136:137], v[16:17], v[20:21]
	v_add_f64 v[164:165], v[10:11], v[18:19]
	v_add_f64 v[166:167], v[12:13], v[20:21]
	v_add_f64 v[168:169], v[6:7], v[18:19]
	v_add_f64 v[170:171], v[8:9], v[20:21]
	v_add_f64 v[18:19], v[2:3], v[18:19]
	v_add_f64 v[20:21], v[4:5], v[20:21]
	v_add_f64 v[172:173], v[14:15], v[70:71]
	v_add_f64 v[174:175], v[16:17], v[72:73]
	v_cvt_f32_f64_e32 v176, v[0:1]
	v_cvt_f32_f64_e32 v183, v[30:31]
	v_cvt_f32_f64_e32 v184, v[26:27]
	v_cvt_f32_f64_e32 v185, v[28:29]
	v_cvt_f32_f64_e32 v186, v[32:33]
	v_cvt_f32_f64_e32 v187, v[78:79]
	v_cvt_f32_f64_e32 v188, v[80:81]
	v_cvt_f32_f64_e32 v189, v[128:129]
	v_cvt_f32_f64_e32 v190, v[130:131]
	v_cvt_f32_f64_e32 v191, v[132:133]
	v_cvt_f32_f64_e32 v192, v[22:23]
	v_cvt_f32_f64_e32 v193, v[24:25]
	v_cvt_f32_f64_e32 v194, v[134:135]
	v_cvt_f32_f64_e32 v195, v[136:137]
	v_cvt_f32_f64_e32 v164, v[164:165]
	v_cvt_f32_f64_e32 v165, v[166:167]
	v_cvt_f32_f64_e32 v166, v[168:169]
	v_add_f64 v[0:1], v[10:11], v[70:71]
	v_cvt_f32_f64_e32 v168, v[18:19]
	v_cvt_f32_f64_e32 v169, v[20:21]
	v_add_f64 v[18:19], v[12:13], v[72:73]
	v_add_f64 v[20:21], v[6:7], v[70:71]
	;; [unrolled: 1-line block ×21, first 2 shown]
	v_cvt_f32_f64_e32 v0, v[0:1]
	v_cvt_f32_f64_e32 v1, v[18:19]
	;; [unrolled: 1-line block ×22, first 2 shown]
	ds_read_b128 v[46:49], v162 offset:1296
	ds_read_b128 v[42:45], v162 offset:1552
	v_cvt_f32_f64_e32 v167, v[170:171]
	v_min3_f32 v238, v0, v1, v139
	v_min3_f32 v237, v20, v21, v140
	;; [unrolled: 1-line block ×3, first 2 shown]
	ds_read_b128 v[50:53], v162 offset:1808
	ds_read_b128 v[66:69], v162 offset:2064
	v_min3_f32 v235, v24, v25, v142
	v_min3_f32 v234, v26, v27, v143
	ds_read_b128 v[58:61], v162 offset:2320
	ds_read_b128 v[74:77], v162 offset:2576
	v_min3_f32 v233, v28, v29, v144
	v_min3_f32 v232, v30, v31, v145
	;; [unrolled: 1-line block ×8, first 2 shown]
	s_waitcnt lgkmcnt(5)
	v_add_f64 v[0:1], v[14:15], v[46:47]
	v_min3_f32 v199, v54, v55, v182
	v_add_f64 v[20:21], v[16:17], v[48:49]
	v_add_f64 v[22:23], v[10:11], v[46:47]
	;; [unrolled: 1-line block ×7, first 2 shown]
	s_waitcnt lgkmcnt(4)
	v_add_f64 v[46:47], v[14:15], v[42:43]
	v_add_f64 v[48:49], v[16:17], v[44:45]
	;; [unrolled: 1-line block ×8, first 2 shown]
	v_min3_f32 v242, v164, v165, v111
	v_min3_f32 v241, v166, v167, v112
	;; [unrolled: 1-line block ×5, first 2 shown]
	v_cvt_f32_f64_e32 v110, v[0:1]
	s_waitcnt lgkmcnt(3)
	v_add_f64 v[0:1], v[2:3], v[50:51]
	v_cvt_f32_f64_e32 v111, v[20:21]
	v_cvt_f32_f64_e32 v112, v[22:23]
	;; [unrolled: 1-line block ×5, first 2 shown]
	v_add_f64 v[20:21], v[4:5], v[52:53]
	s_waitcnt lgkmcnt(2)
	v_add_f64 v[22:23], v[14:15], v[66:67]
	v_cvt_f32_f64_e32 v130, v[46:47]
	v_cvt_f32_f64_e32 v131, v[48:49]
	v_add_f64 v[24:25], v[16:17], v[68:69]
	v_add_f64 v[26:27], v[10:11], v[66:67]
	;; [unrolled: 1-line block ×3, first 2 shown]
	s_waitcnt lgkmcnt(1)
	v_add_f64 v[46:47], v[14:15], v[58:59]
	v_cvt_f32_f64_e32 v136, v[42:43]
	v_cvt_f32_f64_e32 v137, v[44:45]
	v_add_f64 v[42:43], v[2:3], v[66:67]
	v_add_f64 v[44:45], v[4:5], v[68:69]
	;; [unrolled: 1-line block ×3, first 2 shown]
	v_min3_f32 v245, v190, v191, v108
	v_min3_f32 v244, v192, v193, v109
	v_add_f64 v[70:71], v[14:15], v[50:51]
	v_add_f64 v[72:73], v[16:17], v[52:53]
	;; [unrolled: 1-line block ×6, first 2 shown]
	v_cvt_f32_f64_e32 v128, v[30:31]
	v_cvt_f32_f64_e32 v129, v[32:33]
	v_add_f64 v[30:31], v[6:7], v[66:67]
	v_add_f64 v[32:33], v[8:9], v[68:69]
	;; [unrolled: 1-line block ×4, first 2 shown]
	s_waitcnt lgkmcnt(0)
	v_add_f64 v[66:67], v[10:11], v[74:75]
	v_add_f64 v[68:69], v[12:13], v[76:77]
	v_cvt_f32_f64_e32 v0, v[0:1]
	v_cvt_f32_f64_e32 v1, v[20:21]
	;; [unrolled: 1-line block ×10, first 2 shown]
	ds_read_b128 v[98:101], v162 offset:2832
	ds_read_b128 v[94:97], v162 offset:3088
	v_cvt_f32_f64_e32 v132, v[54:55]
	v_cvt_f32_f64_e32 v134, v[62:63]
	v_cvt_f32_f64_e32 v135, v[64:65]
	v_cvt_f32_f64_e32 v70, v[70:71]
	v_cvt_f32_f64_e32 v71, v[72:73]
	v_add_f64 v[54:55], v[6:7], v[58:59]
	v_add_f64 v[58:59], v[2:3], v[58:59]
	;; [unrolled: 1-line block ×4, first 2 shown]
	v_cvt_f32_f64_e32 v24, v[30:31]
	v_cvt_f32_f64_e32 v25, v[32:33]
	;; [unrolled: 1-line block ×6, first 2 shown]
	v_min3_f32 v207, v0, v1, v155
	v_min3_f32 v206, v20, v21, v156
	;; [unrolled: 1-line block ×3, first 2 shown]
	v_add_f64 v[0:1], v[6:7], v[74:75]
	v_min3_f32 v218, v28, v29, v160
	v_add_f64 v[20:21], v[8:9], v[76:77]
	s_waitcnt lgkmcnt(1)
	v_add_f64 v[26:27], v[14:15], v[98:99]
	v_add_f64 v[28:29], v[16:17], v[100:101]
	s_waitcnt lgkmcnt(0)
	v_add_f64 v[50:51], v[14:15], v[94:95]
	v_add_f64 v[52:53], v[16:17], v[96:97]
	ds_read_b128 v[90:93], v162 offset:3344
	ds_read_b128 v[86:89], v162 offset:3600
	;; [unrolled: 1-line block ×3, first 2 shown]
	v_cvt_f32_f64_e32 v133, v[56:57]
	v_add_f64 v[56:57], v[8:9], v[60:61]
	v_add_f64 v[60:61], v[4:5], v[60:61]
	v_cvt_f32_f64_e32 v32, v[54:55]
	v_cvt_f32_f64_e32 v42, v[58:59]
	;; [unrolled: 1-line block ×4, first 2 shown]
	v_min3_f32 v197, v70, v71, v152
	v_min3_f32 v205, v22, v23, v157
	;; [unrolled: 1-line block ×4, first 2 shown]
	v_add_f64 v[22:23], v[2:3], v[74:75]
	v_add_f64 v[24:25], v[4:5], v[76:77]
	;; [unrolled: 1-line block ×8, first 2 shown]
	v_cvt_f32_f64_e32 v70, v[0:1]
	v_cvt_f32_f64_e32 v71, v[20:21]
	;; [unrolled: 1-line block ×6, first 2 shown]
	s_waitcnt lgkmcnt(2)
	v_add_f64 v[0:1], v[10:11], v[90:91]
	v_add_f64 v[20:21], v[12:13], v[92:93]
	;; [unrolled: 1-line block ×4, first 2 shown]
	s_waitcnt lgkmcnt(1)
	v_add_f64 v[50:51], v[2:3], v[86:87]
	v_add_f64 v[52:53], v[4:5], v[88:89]
	s_waitcnt lgkmcnt(0)
	v_add_f64 v[2:3], v[2:3], v[82:83]
	v_add_f64 v[4:5], v[4:5], v[84:85]
	v_cvt_f32_f64_e32 v170, v[172:173]
	s_clause 0x2
	buffer_load_dword v173, off, s[28:31], 0 offset:24
	buffer_load_dword v172, off, s[28:31], 0 offset:20
	;; [unrolled: 1-line block ×3, first 2 shown]
	v_cvt_f32_f64_e32 v171, v[174:175]
	v_cvt_f32_f64_e32 v33, v[56:57]
	v_cvt_f32_f64_e32 v43, v[60:61]
	v_cvt_f32_f64_e32 v72, v[78:79]
	v_cvt_f32_f64_e32 v73, v[80:81]
	v_cvt_f32_f64_e32 v78, v[106:107]
	v_cvt_f32_f64_e32 v79, v[108:109]
	v_min3_f32 v250, v30, v31, v161
	v_min3_f32 v247, v44, v45, v179
	v_add_f64 v[30:31], v[10:11], v[98:99]
	v_add_f64 v[44:45], v[8:9], v[100:101]
	v_cvt_f32_f64_e32 v0, v[0:1]
	v_cvt_f32_f64_e32 v1, v[20:21]
	v_add_f64 v[56:57], v[12:13], v[96:97]
	v_add_f64 v[60:61], v[8:9], v[96:97]
	;; [unrolled: 1-line block ×4, first 2 shown]
	v_cvt_f32_f64_e32 v2, v[2:3]
	v_cvt_f32_f64_e32 v3, v[4:5]
	;; [unrolled: 1-line block ×4, first 2 shown]
	v_add_f64 v[46:47], v[6:7], v[86:87]
	v_min3_f32 v239, v170, v171, v138
	v_min3_f32 v249, v32, v33, v177
	v_min3_f32 v248, v42, v43, v178
	v_add_f64 v[32:33], v[12:13], v[100:101]
	v_add_f64 v[42:43], v[6:7], v[98:99]
	v_min3_f32 v220, v72, v73, v153
	v_min3_f32 v162, v78, v79, v154
	v_cvt_f32_f64_e32 v72, v[22:23]
	v_cvt_f32_f64_e32 v73, v[24:25]
	;; [unrolled: 1-line block ×4, first 2 shown]
	v_add_f64 v[22:23], v[6:7], v[90:91]
	v_min3_f32 v192, v0, v1, v119
	v_add_f64 v[24:25], v[8:9], v[92:93]
	v_add_f64 v[30:31], v[14:15], v[86:87]
	;; [unrolled: 1-line block ×5, first 2 shown]
	v_min3_f32 v182, v2, v3, v19
	s_clause 0x3
	buffer_load_dword v1, off, s[28:31], 0 offset:92
	buffer_load_dword v2, off, s[28:31], 0 offset:96
	;; [unrolled: 1-line block ×4, first 2 shown]
	v_add_f64 v[12:13], v[12:13], v[84:85]
	v_add_f64 v[6:7], v[6:7], v[82:83]
	;; [unrolled: 1-line block ×3, first 2 shown]
	v_cvt_f32_f64_e32 v54, v[54:55]
	v_cvt_f32_f64_e32 v55, v[56:57]
	;; [unrolled: 1-line block ×4, first 2 shown]
	v_add_f64 v[32:33], v[16:17], v[88:89]
	v_add_f64 v[42:43], v[10:11], v[86:87]
	;; [unrolled: 1-line block ×4, first 2 shown]
	v_cvt_f32_f64_e32 v56, v[58:59]
	v_cvt_f32_f64_e32 v57, v[60:61]
	;; [unrolled: 1-line block ×24, first 2 shown]
	v_min3_f32 v231, v110, v111, v102
	v_min3_f32 v230, v112, v113, v103
	;; [unrolled: 1-line block ×28, first 2 shown]
	s_waitcnt vmcnt(4)
	v_add_nc_u32_e32 v0, 0x1000, v168
	s_waitcnt vmcnt(0)
	ds_write2st64_b64 v0, v[1:2], v[3:4] offset1:4
	s_clause 0x9
	buffer_load_dword v1, off, s[28:31], 0 offset:112
	buffer_load_dword v2, off, s[28:31], 0 offset:116
	;; [unrolled: 1-line block ×10, first 2 shown]
	v_add_nc_u32_e32 v0, 0x3000, v168
	s_waitcnt vmcnt(6)
	ds_write2st64_b64 v0, v[1:2], v[3:4] offset1:4
	s_waitcnt vmcnt(5)
	v_add_co_u32 v170, s3, v170, 64
	s_waitcnt vmcnt(4)
	v_add_co_ci_u32_e64 v171, null, 0, v171, s3
	v_add_co_u32 v172, s3, v172, 64
	v_add_co_ci_u32_e64 v173, null, 0, v173, s3
	s_waitcnt vmcnt(3)
	v_add_co_u32 v169, s3, v169, 64
	s_waitcnt vmcnt(2)
	v_add_co_ci_u32_e64 v174, null, 0, v174, s3
	s_waitcnt vmcnt(1)
	v_add_co_u32 v175, s3, v175, 64
	s_waitcnt vmcnt(0)
	v_add_co_ci_u32_e64 v176, null, 0, v176, s3
	s_waitcnt lgkmcnt(0)
	s_waitcnt_vscnt null, 0x0
	s_barrier
	buffer_gl0_inv
	s_cbranch_scc1 .LBB166_43
.LBB166_27:                             ; =>This Inner Loop Header: Depth=1
	s_clause 0x2
	buffer_load_dword v0, off, s[28:31], 0 offset:160
	buffer_load_dword v2, off, s[28:31], 0
	buffer_load_dword v3, off, s[28:31], 0 offset:4
	s_waitcnt vmcnt(2)
	v_add_nc_u32_e32 v10, s17, v0
	v_add_nc_u32_e32 v0, 8, v10
	v_cmp_le_i32_e64 s3, s14, v0
	s_nor_b32 s6, vcc_lo, s3
	s_and_saveexec_b32 s22, s6
	s_cbranch_execz .LBB166_29
; %bb.28:                               ;   in Loop: Header=BB166_27 Depth=1
	buffer_load_dword v0, off, s[28:31], 0 offset:8 ; 4-byte Folded Reload
	s_waitcnt vmcnt(0)
	v_add_co_u32 v2, s6, v169, v0
	v_add_co_ci_u32_e64 v3, null, 0, v174, s6
	global_load_dwordx2 v[2:3], v[2:3], off offset:64
.LBB166_29:                             ;   in Loop: Header=BB166_27 Depth=1
	s_or_b32 exec_lo, exec_lo, s22
	s_clause 0x1
	buffer_load_dword v4, off, s[28:31], 0
	buffer_load_dword v5, off, s[28:31], 0 offset:4
	s_nor_b32 s6, s0, s3
	s_and_saveexec_b32 s22, s6
	s_cbranch_execz .LBB166_31
; %bb.30:                               ;   in Loop: Header=BB166_27 Depth=1
	buffer_load_dword v0, off, s[28:31], 0 offset:8 ; 4-byte Folded Reload
	s_waitcnt vmcnt(0)
	v_add_co_u32 v4, s6, v175, v0
	v_add_co_ci_u32_e64 v5, null, 0, v176, s6
	global_load_dwordx2 v[4:5], v[4:5], off offset:64
.LBB166_31:                             ;   in Loop: Header=BB166_27 Depth=1
	s_or_b32 exec_lo, exec_lo, s22
	s_clause 0x1
	buffer_load_dword v6, off, s[28:31], 0
	buffer_load_dword v7, off, s[28:31], 0 offset:4
	s_nor_b32 s6, s1, s3
	;; [unrolled: 14-line block ×3, first 2 shown]
	s_and_saveexec_b32 s6, s3
	s_cbranch_execz .LBB166_35
; %bb.34:                               ;   in Loop: Header=BB166_27 Depth=1
	buffer_load_dword v0, off, s[28:31], 0 offset:8 ; 4-byte Folded Reload
	s_waitcnt vmcnt(0)
	v_add_co_u32 v8, s3, v172, v0
	v_add_co_ci_u32_e64 v9, null, 0, v173, s3
	global_load_dwordx2 v[8:9], v[8:9], off offset:64
.LBB166_35:                             ;   in Loop: Header=BB166_27 Depth=1
	s_or_b32 exec_lo, exec_lo, s6
	buffer_load_dword v18, off, s[28:31], 0 offset:176 ; 4-byte Folded Reload
	v_add_nc_u32_e32 v0, 0x2000, v168
	s_waitcnt vmcnt(5)
	ds_write2st64_b64 v168, v[2:3], v[4:5] offset1:4
	v_add_nc_u32_e32 v1, 12, v10
	s_waitcnt vmcnt(0)
	ds_read_b128 v[158:161], v18
	ds_read_b128 v[78:81], v18 offset:16
	ds_write2st64_b64 v0, v[6:7], v[8:9] offset1:4
	buffer_load_dword v0, off, s[28:31], 0 offset:168 ; 4-byte Folded Reload
	v_cmp_le_i32_e64 s3, s14, v1
	s_waitcnt vmcnt(0)
	ds_read_b128 v[98:101], v0
	ds_read_b128 v[2:5], v0 offset:16
	ds_read_b128 v[94:97], v0 offset:1024
	;; [unrolled: 1-line block ×37, first 2 shown]
	s_waitcnt lgkmcnt(0)
	s_waitcnt_vscnt null, 0x0
	s_barrier
	buffer_gl0_inv
	s_clause 0x1
	buffer_load_dword v0, off, s[28:31], 0
	buffer_load_dword v1, off, s[28:31], 0 offset:4
	s_nor_b32 s6, vcc_lo, s3
	s_and_saveexec_b32 s22, s6
	s_cbranch_execz .LBB166_37
; %bb.36:                               ;   in Loop: Header=BB166_27 Depth=1
	buffer_load_dword v0, off, s[28:31], 0 offset:8 ; 4-byte Folded Reload
	s_waitcnt vmcnt(0)
	v_add_co_u32 v164, s6, v169, v0
	v_add_co_ci_u32_e64 v165, null, 0, v174, s6
	global_load_dwordx2 v[0:1], v[164:165], off offset:96
.LBB166_37:                             ;   in Loop: Header=BB166_27 Depth=1
	s_or_b32 exec_lo, exec_lo, s22
	s_waitcnt vmcnt(0)
	buffer_store_dword v0, off, s[28:31], 0 offset:92 ; 4-byte Folded Spill
	buffer_store_dword v1, off, s[28:31], 0 offset:96 ; 4-byte Folded Spill
	s_clause 0x1
	buffer_load_dword v0, off, s[28:31], 0
	buffer_load_dword v1, off, s[28:31], 0 offset:4
	s_nor_b32 s6, s0, s3
	s_and_saveexec_b32 s22, s6
	s_cbranch_execz .LBB166_39
; %bb.38:                               ;   in Loop: Header=BB166_27 Depth=1
	buffer_load_dword v0, off, s[28:31], 0 offset:8 ; 4-byte Folded Reload
	s_waitcnt vmcnt(0)
	v_add_co_u32 v166, s6, v175, v0
	v_add_co_ci_u32_e64 v167, null, 0, v176, s6
	global_load_dwordx2 v[0:1], v[166:167], off offset:96
.LBB166_39:                             ;   in Loop: Header=BB166_27 Depth=1
	s_or_b32 exec_lo, exec_lo, s22
	s_waitcnt vmcnt(0)
	buffer_store_dword v0, off, s[28:31], 0 offset:104 ; 4-byte Folded Spill
	buffer_store_dword v1, off, s[28:31], 0 offset:108 ; 4-byte Folded Spill
	;; [unrolled: 1-line block ×3, first 2 shown]
	s_clause 0x1
	buffer_load_dword v0, off, s[28:31], 0
	buffer_load_dword v1, off, s[28:31], 0 offset:4
	s_nor_b32 s6, s1, s3
	s_and_saveexec_b32 s22, s6
	s_cbranch_execz .LBB166_41
; %bb.40:                               ;   in Loop: Header=BB166_27 Depth=1
	buffer_load_dword v0, off, s[28:31], 0 offset:8 ; 4-byte Folded Reload
	s_waitcnt vmcnt(0)
	v_add_co_u32 v168, s6, v170, v0
	v_add_co_ci_u32_e64 v169, null, 0, v171, s6
	global_load_dwordx2 v[0:1], v[168:169], off offset:96
.LBB166_41:                             ;   in Loop: Header=BB166_27 Depth=1
	s_or_b32 exec_lo, exec_lo, s22
	s_waitcnt vmcnt(0)
	buffer_store_dword v0, off, s[28:31], 0 offset:112 ; 4-byte Folded Spill
	buffer_store_dword v1, off, s[28:31], 0 offset:116 ; 4-byte Folded Spill
	;; [unrolled: 1-line block ×27, first 2 shown]
	s_clause 0x1
	buffer_load_dword v0, off, s[28:31], 0
	buffer_load_dword v1, off, s[28:31], 0 offset:4
	v_mov_b32_e32 v224, v221
	v_mov_b32_e32 v163, v220
	;; [unrolled: 1-line block ×3, first 2 shown]
	s_nor_b32 s3, s2, s3
	s_and_saveexec_b32 s6, s3
	s_cbranch_execz .LBB166_26
; %bb.42:                               ;   in Loop: Header=BB166_27 Depth=1
	buffer_load_dword v0, off, s[28:31], 0 offset:8 ; 4-byte Folded Reload
	s_waitcnt vmcnt(0)
	v_add_co_u32 v170, s3, v172, v0
	v_add_co_ci_u32_e64 v171, null, 0, v173, s3
	global_load_dwordx2 v[0:1], v[170:171], off offset:96
	s_branch .LBB166_26
.LBB166_43:
	v_mov_b32_e32 v219, v162
.LBB166_44:
	s_clause 0x2
	s_load_dwordx2 s[0:1], s[4:5], 0x78
	s_load_dword s6, s[4:5], 0x58
	s_load_dword s5, s[4:5], 0x70
	buffer_load_dword v0, off, s[28:31], 0 offset:156 ; 4-byte Folded Reload
	v_cndmask_b32_e64 v168, 0, 1, s8
	s_waitcnt vmcnt(0)
	ds_read_b128 v[38:41], v0 offset:4096
	ds_read_b128 v[34:37], v0 offset:4112
	buffer_load_dword v1, off, s[28:31], 0 offset:188 ; 4-byte Folded Reload
	s_waitcnt lgkmcnt(0)
	s_mul_i32 s1, s1, s7
	s_mul_hi_u32 s2, s0, s7
	s_mul_i32 s0, s0, s7
	s_add_i32 s1, s2, s1
	s_waitcnt vmcnt(0)
	ds_read_b128 v[158:161], v1 offset:12288
	ds_read_b128 v[154:157], v1 offset:12304
	;; [unrolled: 1-line block ×30, first 2 shown]
	buffer_load_dword v0, off, s[28:31], 0 offset:184 ; 4-byte Folded Reload
	ds_read_b128 v[62:65], v1 offset:15360
	ds_read_b128 v[58:61], v1 offset:15376
	;; [unrolled: 1-line block ×6, first 2 shown]
	s_lshl_b64 s[0:1], s[0:1], 3
	s_add_u32 s7, s18, s0
	s_waitcnt vmcnt(0)
	v_add_nc_u32_e32 v169, s15, v0
	buffer_load_dword v0, off, s[28:31], 0 offset:180 ; 4-byte Folded Reload
	ds_read_b128 v[14:17], v1 offset:16128
	ds_read_b128 v[10:13], v1 offset:16144
	v_mad_i64_i32 v[162:163], null, v169, s6, 0
	v_mad_i64_i32 v[164:165], null, v169, s5, 0
	v_cmp_gt_i32_e64 s4, s13, v169
	v_lshlrev_b64 v[162:163], 3, v[162:163]
	v_lshlrev_b64 v[164:165], 3, v[164:165]
	v_add_co_u32 v172, vcc_lo, s20, v162
	v_add_co_ci_u32_e64 v173, null, s21, v163, vcc_lo
	v_add_co_u32 v170, vcc_lo, s7, v164
	s_waitcnt vmcnt(0)
	v_add_nc_u32_e32 v0, s9, v0
	s_addc_u32 s9, s19, s1
	v_add_co_ci_u32_e64 v171, null, s9, v165, vcc_lo
	v_cmp_gt_i32_e64 s0, s12, v0
	v_ashrrev_i32_e32 v1, 31, v0
	s_and_b32 s2, s0, s4
	s_and_saveexec_b32 s1, s2
	s_cbranch_execz .LBB166_49
; %bb.45:
	s_andn2_b32 vcc_lo, exec_lo, s8
	s_cbranch_vccnz .LBB166_47
; %bb.46:
	v_lshlrev_b64 v[162:163], 3, v[0:1]
	v_add_co_u32 v162, vcc_lo, v172, v162
	v_add_co_ci_u32_e64 v163, null, v173, v163, vcc_lo
	global_load_dwordx2 v[162:163], v[162:163], off
	s_waitcnt vmcnt(0)
	v_mul_f64 v[162:163], s[10:11], v[162:163]
	v_cvt_f32_f64_e32 v162, v[162:163]
	s_branch .LBB166_48
.LBB166_47:
	v_mov_b32_e32 v162, 0
.LBB166_48:
	s_waitcnt lgkmcnt(37)
	v_add_f64 v[163:164], v[38:39], v[158:159]
	v_add_f64 v[165:166], v[40:41], v[160:161]
	s_waitcnt lgkmcnt(36)
	v_add_f64 v[174:175], v[34:35], v[154:155]
	v_add_f64 v[176:177], v[36:37], v[156:157]
	v_cvt_f32_f64_e32 v163, v[163:164]
	v_cvt_f32_f64_e32 v164, v[165:166]
	;; [unrolled: 1-line block ×4, first 2 shown]
	v_min3_f32 v163, v163, v164, v198
	v_min_f32_e32 v164, v165, v166
	v_min3_f32 v162, v162, v164, v163
	v_lshlrev_b64 v[164:165], 3, v[0:1]
	v_cvt_f64_f32_e32 v[162:163], v162
	v_add_co_u32 v164, vcc_lo, v170, v164
	v_add_co_ci_u32_e64 v165, null, v171, v165, vcc_lo
	global_store_dwordx2 v[164:165], v[162:163], off
.LBB166_49:
	s_or_b32 exec_lo, exec_lo, s1
	v_add_nc_u32_e32 v162, 32, v0
	v_cmp_gt_i32_e64 s1, s12, v162
	v_ashrrev_i32_e32 v163, 31, v162
	s_and_b32 s3, s1, s4
	s_and_saveexec_b32 s2, s3
	s_cbranch_execz .LBB166_54
; %bb.50:
	v_cmp_ne_u32_e32 vcc_lo, 1, v168
	s_cbranch_vccnz .LBB166_52
; %bb.51:
	v_lshlrev_b64 v[164:165], 3, v[162:163]
	v_add_co_u32 v164, vcc_lo, v172, v164
	v_add_co_ci_u32_e64 v165, null, v173, v165, vcc_lo
	global_load_dwordx2 v[164:165], v[164:165], off
	s_waitcnt vmcnt(0)
	v_mul_f64 v[164:165], s[10:11], v[164:165]
	v_cvt_f32_f64_e32 v164, v[164:165]
	s_branch .LBB166_53
.LBB166_52:
	v_mov_b32_e32 v164, 0
.LBB166_53:
	s_waitcnt lgkmcnt(35)
	v_add_f64 v[165:166], v[26:27], v[158:159]
	v_add_f64 v[174:175], v[28:29], v[160:161]
	s_waitcnt lgkmcnt(34)
	v_add_f64 v[176:177], v[30:31], v[154:155]
	v_add_f64 v[178:179], v[32:33], v[156:157]
	v_cvt_f32_f64_e32 v165, v[165:166]
	v_cvt_f32_f64_e32 v166, v[174:175]
	v_cvt_f32_f64_e32 v167, v[176:177]
	v_cvt_f32_f64_e32 v174, v[178:179]
	v_min3_f32 v165, v165, v166, v196
	v_min_f32_e32 v166, v167, v174
	v_min3_f32 v164, v164, v166, v165
	v_lshlrev_b64 v[166:167], 3, v[162:163]
	v_cvt_f64_f32_e32 v[164:165], v164
	v_add_co_u32 v166, vcc_lo, v170, v166
	v_add_co_ci_u32_e64 v167, null, v171, v167, vcc_lo
	global_store_dwordx2 v[166:167], v[164:165], off
.LBB166_54:
	s_or_b32 exec_lo, exec_lo, s2
	v_add_nc_u32_e32 v164, 64, v0
	v_cmp_gt_i32_e64 s2, s12, v164
	v_ashrrev_i32_e32 v165, 31, v164
	s_and_b32 s8, s2, s4
	s_and_saveexec_b32 s3, s8
	s_cbranch_execz .LBB166_59
; %bb.55:
	v_cmp_ne_u32_e32 vcc_lo, 1, v168
	s_cbranch_vccnz .LBB166_57
; %bb.56:
	v_lshlrev_b64 v[166:167], 3, v[164:165]
	v_add_co_u32 v166, vcc_lo, v172, v166
	v_add_co_ci_u32_e64 v167, null, v173, v167, vcc_lo
	global_load_dwordx2 v[166:167], v[166:167], off
	s_waitcnt vmcnt(0)
	v_mul_f64 v[166:167], s[10:11], v[166:167]
	v_cvt_f32_f64_e32 v166, v[166:167]
	s_branch .LBB166_58
.LBB166_57:
	v_mov_b32_e32 v166, 0
.LBB166_58:
	s_waitcnt lgkmcnt(33)
	v_add_f64 v[174:175], v[22:23], v[158:159]
	v_add_f64 v[176:177], v[24:25], v[160:161]
	s_waitcnt lgkmcnt(32)
	v_add_f64 v[178:179], v[18:19], v[154:155]
	v_add_f64 v[180:181], v[20:21], v[156:157]
	v_cvt_f32_f64_e32 v167, v[174:175]
	v_cvt_f32_f64_e32 v174, v[176:177]
	v_cvt_f32_f64_e32 v175, v[178:179]
	v_cvt_f32_f64_e32 v176, v[180:181]
	v_min3_f32 v167, v167, v174, v245
	v_min_f32_e32 v174, v175, v176
	v_min3_f32 v166, v166, v174, v167
	v_lshlrev_b64 v[174:175], 3, v[164:165]
	v_cvt_f64_f32_e32 v[166:167], v166
	v_add_co_u32 v174, vcc_lo, v170, v174
	v_add_co_ci_u32_e64 v175, null, v171, v175, vcc_lo
	global_store_dwordx2 v[174:175], v[166:167], off
.LBB166_59:
	;; [unrolled: 41-line block ×3, first 2 shown]
	s_or_b32 exec_lo, exec_lo, s4
	s_waitcnt lgkmcnt(37)
	v_add_nc_u32_e32 v158, 8, v169
	s_waitcnt lgkmcnt(36)
	v_mad_i64_i32 v[154:155], null, v158, s6, 0
	v_mad_i64_i32 v[156:157], null, v158, s5, 0
	v_cmp_gt_i32_e64 s4, s13, v158
	v_lshlrev_b64 v[154:155], 3, v[154:155]
	s_and_b32 s12, s0, s4
	v_lshlrev_b64 v[158:159], 3, v[156:157]
	v_add_co_u32 v156, vcc_lo, s20, v154
	v_add_co_ci_u32_e64 v157, null, s21, v155, vcc_lo
	v_add_co_u32 v154, vcc_lo, s7, v158
	v_add_co_ci_u32_e64 v155, null, s9, v159, vcc_lo
	s_and_saveexec_b32 s8, s12
	s_cbranch_execnz .LBB166_68
; %bb.65:
	s_or_b32 exec_lo, exec_lo, s8
	s_and_b32 s12, s1, s4
	s_and_saveexec_b32 s8, s12
	s_cbranch_execnz .LBB166_72
.LBB166_66:
	s_or_b32 exec_lo, exec_lo, s8
	s_and_b32 s12, s2, s4
	s_and_saveexec_b32 s8, s12
	s_cbranch_execnz .LBB166_76
.LBB166_67:
	s_or_b32 exec_lo, exec_lo, s8
	s_and_b32 s8, s3, s4
	s_and_saveexec_b32 s4, s8
	s_cbranch_execnz .LBB166_80
	s_branch .LBB166_84
.LBB166_68:
	v_cmp_ne_u32_e32 vcc_lo, 1, v168
	s_cbranch_vccnz .LBB166_70
; %bb.69:
	v_lshlrev_b64 v[158:159], 3, v[0:1]
	v_add_co_u32 v158, vcc_lo, v156, v158
	v_add_co_ci_u32_e64 v159, null, v157, v159, vcc_lo
	global_load_dwordx2 v[158:159], v[158:159], off
	s_waitcnt vmcnt(0)
	v_mul_f64 v[158:159], s[10:11], v[158:159]
	v_cvt_f32_f64_e32 v158, v[158:159]
	s_branch .LBB166_71
.LBB166_70:
	v_mov_b32_e32 v158, 0
.LBB166_71:
	s_waitcnt lgkmcnt(29)
	v_add_f64 v[159:160], v[38:39], v[150:151]
	v_add_f64 v[170:171], v[40:41], v[152:153]
	s_waitcnt lgkmcnt(28)
	v_add_f64 v[172:173], v[34:35], v[146:147]
	v_add_f64 v[174:175], v[36:37], v[148:149]
	v_cvt_f32_f64_e32 v159, v[159:160]
	v_cvt_f32_f64_e32 v160, v[170:171]
	;; [unrolled: 1-line block ×4, first 2 shown]
	v_min3_f32 v159, v159, v160, v243
	v_min_f32_e32 v160, v161, v170
	v_min3_f32 v158, v158, v160, v159
	v_lshlrev_b64 v[160:161], 3, v[0:1]
	v_cvt_f64_f32_e32 v[158:159], v158
	v_add_co_u32 v160, vcc_lo, v154, v160
	v_add_co_ci_u32_e64 v161, null, v155, v161, vcc_lo
	global_store_dwordx2 v[160:161], v[158:159], off
	s_or_b32 exec_lo, exec_lo, s8
	s_and_b32 s12, s1, s4
	s_and_saveexec_b32 s8, s12
	s_cbranch_execz .LBB166_66
.LBB166_72:
	v_cmp_ne_u32_e32 vcc_lo, 1, v168
	s_cbranch_vccnz .LBB166_74
; %bb.73:
	v_lshlrev_b64 v[158:159], 3, v[162:163]
	v_add_co_u32 v158, vcc_lo, v156, v158
	v_add_co_ci_u32_e64 v159, null, v157, v159, vcc_lo
	global_load_dwordx2 v[158:159], v[158:159], off
	s_waitcnt vmcnt(0)
	v_mul_f64 v[158:159], s[10:11], v[158:159]
	v_cvt_f32_f64_e32 v158, v[158:159]
	s_branch .LBB166_75
.LBB166_74:
	v_mov_b32_e32 v158, 0
.LBB166_75:
	s_waitcnt lgkmcnt(29)
	v_add_f64 v[159:160], v[26:27], v[150:151]
	v_add_f64 v[170:171], v[28:29], v[152:153]
	s_waitcnt lgkmcnt(28)
	v_add_f64 v[172:173], v[30:31], v[146:147]
	v_add_f64 v[174:175], v[32:33], v[148:149]
	v_cvt_f32_f64_e32 v159, v[159:160]
	v_cvt_f32_f64_e32 v160, v[170:171]
	;; [unrolled: 1-line block ×4, first 2 shown]
	v_min3_f32 v159, v159, v160, v242
	v_min_f32_e32 v160, v161, v170
	v_min3_f32 v158, v158, v160, v159
	v_lshlrev_b64 v[160:161], 3, v[162:163]
	v_cvt_f64_f32_e32 v[158:159], v158
	v_add_co_u32 v160, vcc_lo, v154, v160
	v_add_co_ci_u32_e64 v161, null, v155, v161, vcc_lo
	global_store_dwordx2 v[160:161], v[158:159], off
	s_or_b32 exec_lo, exec_lo, s8
	s_and_b32 s12, s2, s4
	s_and_saveexec_b32 s8, s12
	s_cbranch_execz .LBB166_67
.LBB166_76:
	v_cmp_ne_u32_e32 vcc_lo, 1, v168
	s_cbranch_vccnz .LBB166_78
; %bb.77:
	v_lshlrev_b64 v[158:159], 3, v[164:165]
	v_add_co_u32 v158, vcc_lo, v156, v158
	v_add_co_ci_u32_e64 v159, null, v157, v159, vcc_lo
	global_load_dwordx2 v[158:159], v[158:159], off
	s_waitcnt vmcnt(0)
	v_mul_f64 v[158:159], s[10:11], v[158:159]
	v_cvt_f32_f64_e32 v158, v[158:159]
	s_branch .LBB166_79
.LBB166_78:
	v_mov_b32_e32 v158, 0
.LBB166_79:
	s_waitcnt lgkmcnt(29)
	v_add_f64 v[159:160], v[22:23], v[150:151]
	v_add_f64 v[170:171], v[24:25], v[152:153]
	s_waitcnt lgkmcnt(28)
	v_add_f64 v[172:173], v[18:19], v[146:147]
	v_add_f64 v[174:175], v[20:21], v[148:149]
	v_cvt_f32_f64_e32 v159, v[159:160]
	v_cvt_f32_f64_e32 v160, v[170:171]
	;; [unrolled: 1-line block ×4, first 2 shown]
	v_min3_f32 v159, v159, v160, v241
	v_min_f32_e32 v160, v161, v170
	v_min3_f32 v158, v158, v160, v159
	v_lshlrev_b64 v[160:161], 3, v[164:165]
	v_cvt_f64_f32_e32 v[158:159], v158
	v_add_co_u32 v160, vcc_lo, v154, v160
	v_add_co_ci_u32_e64 v161, null, v155, v161, vcc_lo
	global_store_dwordx2 v[160:161], v[158:159], off
	s_or_b32 exec_lo, exec_lo, s8
	s_and_b32 s8, s3, s4
	s_and_saveexec_b32 s4, s8
	s_cbranch_execz .LBB166_84
.LBB166_80:
	v_cmp_ne_u32_e32 vcc_lo, 1, v168
	s_cbranch_vccnz .LBB166_82
; %bb.81:
	v_lshlrev_b64 v[158:159], 3, v[166:167]
	v_add_co_u32 v156, vcc_lo, v156, v158
	v_add_co_ci_u32_e64 v157, null, v157, v159, vcc_lo
	global_load_dwordx2 v[156:157], v[156:157], off
	s_waitcnt vmcnt(0)
	v_mul_f64 v[156:157], s[10:11], v[156:157]
	v_cvt_f32_f64_e32 v156, v[156:157]
	s_branch .LBB166_83
.LBB166_82:
	v_mov_b32_e32 v156, 0
.LBB166_83:
	s_waitcnt lgkmcnt(29)
	v_add_f64 v[150:151], v[6:7], v[150:151]
	v_add_f64 v[152:153], v[8:9], v[152:153]
	s_waitcnt lgkmcnt(28)
	v_add_f64 v[146:147], v[2:3], v[146:147]
	v_add_f64 v[148:149], v[4:5], v[148:149]
	v_cvt_f32_f64_e32 v150, v[150:151]
	v_cvt_f32_f64_e32 v151, v[152:153]
	;; [unrolled: 1-line block ×4, first 2 shown]
	v_min3_f32 v148, v150, v151, v240
	v_min_f32_e32 v146, v146, v147
	v_min3_f32 v146, v156, v146, v148
	v_lshlrev_b64 v[148:149], 3, v[166:167]
	v_cvt_f64_f32_e32 v[146:147], v146
	v_add_co_u32 v148, vcc_lo, v154, v148
	v_add_co_ci_u32_e64 v149, null, v155, v149, vcc_lo
	global_store_dwordx2 v[148:149], v[146:147], off
.LBB166_84:
	s_or_b32 exec_lo, exec_lo, s4
	s_waitcnt lgkmcnt(29)
	v_add_nc_u32_e32 v150, 16, v169
	s_waitcnt lgkmcnt(28)
	v_mad_i64_i32 v[146:147], null, v150, s6, 0
	v_mad_i64_i32 v[148:149], null, v150, s5, 0
	v_cmp_gt_i32_e64 s4, s13, v150
	v_lshlrev_b64 v[146:147], 3, v[146:147]
	s_and_b32 s12, s0, s4
	v_lshlrev_b64 v[150:151], 3, v[148:149]
	v_add_co_u32 v148, vcc_lo, s20, v146
	v_add_co_ci_u32_e64 v149, null, s21, v147, vcc_lo
	v_add_co_u32 v146, vcc_lo, s7, v150
	v_add_co_ci_u32_e64 v147, null, s9, v151, vcc_lo
	s_and_saveexec_b32 s8, s12
	s_cbranch_execnz .LBB166_88
; %bb.85:
	s_or_b32 exec_lo, exec_lo, s8
	s_and_b32 s12, s1, s4
	s_and_saveexec_b32 s8, s12
	s_cbranch_execnz .LBB166_92
.LBB166_86:
	s_or_b32 exec_lo, exec_lo, s8
	s_and_b32 s12, s2, s4
	s_and_saveexec_b32 s8, s12
	s_cbranch_execnz .LBB166_96
.LBB166_87:
	s_or_b32 exec_lo, exec_lo, s8
	s_and_b32 s8, s3, s4
	s_and_saveexec_b32 s4, s8
	s_cbranch_execnz .LBB166_100
	s_branch .LBB166_104
.LBB166_88:
	v_cmp_ne_u32_e32 vcc_lo, 1, v168
	s_cbranch_vccnz .LBB166_90
; %bb.89:
	v_lshlrev_b64 v[150:151], 3, v[0:1]
	v_add_co_u32 v150, vcc_lo, v148, v150
	v_add_co_ci_u32_e64 v151, null, v149, v151, vcc_lo
	global_load_dwordx2 v[150:151], v[150:151], off
	s_waitcnt vmcnt(0)
	v_mul_f64 v[150:151], s[10:11], v[150:151]
	v_cvt_f32_f64_e32 v150, v[150:151]
	s_branch .LBB166_91
.LBB166_90:
	v_mov_b32_e32 v150, 0
.LBB166_91:
	s_waitcnt lgkmcnt(27)
	v_add_f64 v[151:152], v[38:39], v[142:143]
	v_add_f64 v[153:154], v[40:41], v[144:145]
	s_waitcnt lgkmcnt(26)
	v_add_f64 v[155:156], v[34:35], v[138:139]
	v_add_f64 v[157:158], v[36:37], v[140:141]
	v_cvt_f32_f64_e32 v151, v[151:152]
	v_cvt_f32_f64_e32 v152, v[153:154]
	;; [unrolled: 1-line block ×4, first 2 shown]
	v_min3_f32 v151, v151, v152, v239
	v_min_f32_e32 v152, v153, v154
	v_min3_f32 v150, v150, v152, v151
	v_lshlrev_b64 v[152:153], 3, v[0:1]
	v_cvt_f64_f32_e32 v[150:151], v150
	v_add_co_u32 v152, vcc_lo, v146, v152
	v_add_co_ci_u32_e64 v153, null, v147, v153, vcc_lo
	global_store_dwordx2 v[152:153], v[150:151], off
	s_or_b32 exec_lo, exec_lo, s8
	s_and_b32 s12, s1, s4
	s_and_saveexec_b32 s8, s12
	s_cbranch_execz .LBB166_86
.LBB166_92:
	v_cmp_ne_u32_e32 vcc_lo, 1, v168
	s_cbranch_vccnz .LBB166_94
; %bb.93:
	v_lshlrev_b64 v[150:151], 3, v[162:163]
	v_add_co_u32 v150, vcc_lo, v148, v150
	v_add_co_ci_u32_e64 v151, null, v149, v151, vcc_lo
	global_load_dwordx2 v[150:151], v[150:151], off
	s_waitcnt vmcnt(0)
	v_mul_f64 v[150:151], s[10:11], v[150:151]
	v_cvt_f32_f64_e32 v150, v[150:151]
	s_branch .LBB166_95
.LBB166_94:
	v_mov_b32_e32 v150, 0
.LBB166_95:
	s_waitcnt lgkmcnt(27)
	v_add_f64 v[151:152], v[26:27], v[142:143]
	v_add_f64 v[153:154], v[28:29], v[144:145]
	s_waitcnt lgkmcnt(26)
	v_add_f64 v[155:156], v[30:31], v[138:139]
	v_add_f64 v[157:158], v[32:33], v[140:141]
	v_cvt_f32_f64_e32 v151, v[151:152]
	v_cvt_f32_f64_e32 v152, v[153:154]
	v_cvt_f32_f64_e32 v153, v[155:156]
	v_cvt_f32_f64_e32 v154, v[157:158]
	v_min3_f32 v151, v151, v152, v238
	v_min_f32_e32 v152, v153, v154
	v_min3_f32 v150, v150, v152, v151
	v_lshlrev_b64 v[152:153], 3, v[162:163]
	v_cvt_f64_f32_e32 v[150:151], v150
	v_add_co_u32 v152, vcc_lo, v146, v152
	v_add_co_ci_u32_e64 v153, null, v147, v153, vcc_lo
	global_store_dwordx2 v[152:153], v[150:151], off
	s_or_b32 exec_lo, exec_lo, s8
	s_and_b32 s12, s2, s4
	s_and_saveexec_b32 s8, s12
	s_cbranch_execz .LBB166_87
.LBB166_96:
	v_cmp_ne_u32_e32 vcc_lo, 1, v168
	s_cbranch_vccnz .LBB166_98
; %bb.97:
	v_lshlrev_b64 v[150:151], 3, v[164:165]
	v_add_co_u32 v150, vcc_lo, v148, v150
	v_add_co_ci_u32_e64 v151, null, v149, v151, vcc_lo
	global_load_dwordx2 v[150:151], v[150:151], off
	s_waitcnt vmcnt(0)
	v_mul_f64 v[150:151], s[10:11], v[150:151]
	v_cvt_f32_f64_e32 v150, v[150:151]
	s_branch .LBB166_99
.LBB166_98:
	v_mov_b32_e32 v150, 0
.LBB166_99:
	s_waitcnt lgkmcnt(27)
	v_add_f64 v[151:152], v[22:23], v[142:143]
	v_add_f64 v[153:154], v[24:25], v[144:145]
	s_waitcnt lgkmcnt(26)
	v_add_f64 v[155:156], v[18:19], v[138:139]
	v_add_f64 v[157:158], v[20:21], v[140:141]
	v_cvt_f32_f64_e32 v151, v[151:152]
	v_cvt_f32_f64_e32 v152, v[153:154]
	;; [unrolled: 1-line block ×4, first 2 shown]
	v_min3_f32 v151, v151, v152, v237
	v_min_f32_e32 v152, v153, v154
	v_min3_f32 v150, v150, v152, v151
	v_lshlrev_b64 v[152:153], 3, v[164:165]
	v_cvt_f64_f32_e32 v[150:151], v150
	v_add_co_u32 v152, vcc_lo, v146, v152
	v_add_co_ci_u32_e64 v153, null, v147, v153, vcc_lo
	global_store_dwordx2 v[152:153], v[150:151], off
	s_or_b32 exec_lo, exec_lo, s8
	s_and_b32 s8, s3, s4
	s_and_saveexec_b32 s4, s8
	s_cbranch_execz .LBB166_104
.LBB166_100:
	v_cmp_ne_u32_e32 vcc_lo, 1, v168
	s_cbranch_vccnz .LBB166_102
; %bb.101:
	v_lshlrev_b64 v[150:151], 3, v[166:167]
	v_add_co_u32 v148, vcc_lo, v148, v150
	v_add_co_ci_u32_e64 v149, null, v149, v151, vcc_lo
	global_load_dwordx2 v[148:149], v[148:149], off
	s_waitcnt vmcnt(0)
	v_mul_f64 v[148:149], s[10:11], v[148:149]
	v_cvt_f32_f64_e32 v148, v[148:149]
	s_branch .LBB166_103
.LBB166_102:
	v_mov_b32_e32 v148, 0
.LBB166_103:
	s_waitcnt lgkmcnt(27)
	v_add_f64 v[142:143], v[6:7], v[142:143]
	v_add_f64 v[144:145], v[8:9], v[144:145]
	s_waitcnt lgkmcnt(26)
	v_add_f64 v[138:139], v[2:3], v[138:139]
	v_add_f64 v[140:141], v[4:5], v[140:141]
	v_cvt_f32_f64_e32 v142, v[142:143]
	v_cvt_f32_f64_e32 v143, v[144:145]
	;; [unrolled: 1-line block ×4, first 2 shown]
	v_min3_f32 v140, v142, v143, v236
	v_min_f32_e32 v138, v138, v139
	v_min3_f32 v138, v148, v138, v140
	v_lshlrev_b64 v[140:141], 3, v[166:167]
	v_cvt_f64_f32_e32 v[138:139], v138
	v_add_co_u32 v140, vcc_lo, v146, v140
	v_add_co_ci_u32_e64 v141, null, v147, v141, vcc_lo
	global_store_dwordx2 v[140:141], v[138:139], off
.LBB166_104:
	s_or_b32 exec_lo, exec_lo, s4
	s_waitcnt lgkmcnt(27)
	v_add_nc_u32_e32 v142, 24, v169
	s_waitcnt lgkmcnt(26)
	v_mad_i64_i32 v[138:139], null, v142, s6, 0
	v_mad_i64_i32 v[140:141], null, v142, s5, 0
	v_cmp_gt_i32_e64 s4, s13, v142
	v_lshlrev_b64 v[138:139], 3, v[138:139]
	s_and_b32 s12, s0, s4
	v_lshlrev_b64 v[142:143], 3, v[140:141]
	v_add_co_u32 v140, vcc_lo, s20, v138
	v_add_co_ci_u32_e64 v141, null, s21, v139, vcc_lo
	v_add_co_u32 v138, vcc_lo, s7, v142
	v_add_co_ci_u32_e64 v139, null, s9, v143, vcc_lo
	s_and_saveexec_b32 s8, s12
	s_cbranch_execnz .LBB166_108
; %bb.105:
	s_or_b32 exec_lo, exec_lo, s8
	s_and_b32 s12, s1, s4
	s_and_saveexec_b32 s8, s12
	s_cbranch_execnz .LBB166_112
.LBB166_106:
	s_or_b32 exec_lo, exec_lo, s8
	s_and_b32 s12, s2, s4
	s_and_saveexec_b32 s8, s12
	s_cbranch_execnz .LBB166_116
.LBB166_107:
	s_or_b32 exec_lo, exec_lo, s8
	s_and_b32 s8, s3, s4
	s_and_saveexec_b32 s4, s8
	s_cbranch_execnz .LBB166_120
	s_branch .LBB166_124
.LBB166_108:
	v_cmp_ne_u32_e32 vcc_lo, 1, v168
	s_cbranch_vccnz .LBB166_110
; %bb.109:
	v_lshlrev_b64 v[142:143], 3, v[0:1]
	v_add_co_u32 v142, vcc_lo, v140, v142
	v_add_co_ci_u32_e64 v143, null, v141, v143, vcc_lo
	global_load_dwordx2 v[142:143], v[142:143], off
	s_waitcnt vmcnt(0)
	v_mul_f64 v[142:143], s[10:11], v[142:143]
	v_cvt_f32_f64_e32 v142, v[142:143]
	s_branch .LBB166_111
.LBB166_110:
	v_mov_b32_e32 v142, 0
.LBB166_111:
	s_waitcnt lgkmcnt(25)
	v_add_f64 v[143:144], v[38:39], v[134:135]
	v_add_f64 v[145:146], v[40:41], v[136:137]
	s_waitcnt lgkmcnt(24)
	v_add_f64 v[147:148], v[34:35], v[130:131]
	v_add_f64 v[149:150], v[36:37], v[132:133]
	v_cvt_f32_f64_e32 v143, v[143:144]
	v_cvt_f32_f64_e32 v144, v[145:146]
	;; [unrolled: 1-line block ×4, first 2 shown]
	v_min3_f32 v143, v143, v144, v235
	v_min_f32_e32 v144, v145, v146
	v_min3_f32 v142, v142, v144, v143
	v_lshlrev_b64 v[144:145], 3, v[0:1]
	v_cvt_f64_f32_e32 v[142:143], v142
	v_add_co_u32 v144, vcc_lo, v138, v144
	v_add_co_ci_u32_e64 v145, null, v139, v145, vcc_lo
	global_store_dwordx2 v[144:145], v[142:143], off
	s_or_b32 exec_lo, exec_lo, s8
	s_and_b32 s12, s1, s4
	s_and_saveexec_b32 s8, s12
	s_cbranch_execz .LBB166_106
.LBB166_112:
	v_cmp_ne_u32_e32 vcc_lo, 1, v168
	s_cbranch_vccnz .LBB166_114
; %bb.113:
	v_lshlrev_b64 v[142:143], 3, v[162:163]
	v_add_co_u32 v142, vcc_lo, v140, v142
	v_add_co_ci_u32_e64 v143, null, v141, v143, vcc_lo
	global_load_dwordx2 v[142:143], v[142:143], off
	s_waitcnt vmcnt(0)
	v_mul_f64 v[142:143], s[10:11], v[142:143]
	v_cvt_f32_f64_e32 v142, v[142:143]
	s_branch .LBB166_115
.LBB166_114:
	v_mov_b32_e32 v142, 0
.LBB166_115:
	s_waitcnt lgkmcnt(25)
	v_add_f64 v[143:144], v[26:27], v[134:135]
	v_add_f64 v[145:146], v[28:29], v[136:137]
	s_waitcnt lgkmcnt(24)
	v_add_f64 v[147:148], v[30:31], v[130:131]
	v_add_f64 v[149:150], v[32:33], v[132:133]
	v_cvt_f32_f64_e32 v143, v[143:144]
	v_cvt_f32_f64_e32 v144, v[145:146]
	;; [unrolled: 1-line block ×4, first 2 shown]
	v_min3_f32 v143, v143, v144, v234
	v_min_f32_e32 v144, v145, v146
	v_min3_f32 v142, v142, v144, v143
	v_lshlrev_b64 v[144:145], 3, v[162:163]
	v_cvt_f64_f32_e32 v[142:143], v142
	v_add_co_u32 v144, vcc_lo, v138, v144
	v_add_co_ci_u32_e64 v145, null, v139, v145, vcc_lo
	global_store_dwordx2 v[144:145], v[142:143], off
	s_or_b32 exec_lo, exec_lo, s8
	s_and_b32 s12, s2, s4
	s_and_saveexec_b32 s8, s12
	s_cbranch_execz .LBB166_107
.LBB166_116:
	v_cmp_ne_u32_e32 vcc_lo, 1, v168
	s_cbranch_vccnz .LBB166_118
; %bb.117:
	v_lshlrev_b64 v[142:143], 3, v[164:165]
	v_add_co_u32 v142, vcc_lo, v140, v142
	v_add_co_ci_u32_e64 v143, null, v141, v143, vcc_lo
	global_load_dwordx2 v[142:143], v[142:143], off
	s_waitcnt vmcnt(0)
	v_mul_f64 v[142:143], s[10:11], v[142:143]
	v_cvt_f32_f64_e32 v142, v[142:143]
	s_branch .LBB166_119
.LBB166_118:
	v_mov_b32_e32 v142, 0
.LBB166_119:
	s_waitcnt lgkmcnt(25)
	v_add_f64 v[143:144], v[22:23], v[134:135]
	v_add_f64 v[145:146], v[24:25], v[136:137]
	s_waitcnt lgkmcnt(24)
	v_add_f64 v[147:148], v[18:19], v[130:131]
	v_add_f64 v[149:150], v[20:21], v[132:133]
	v_cvt_f32_f64_e32 v143, v[143:144]
	v_cvt_f32_f64_e32 v144, v[145:146]
	;; [unrolled: 1-line block ×4, first 2 shown]
	v_min3_f32 v143, v143, v144, v233
	v_min_f32_e32 v144, v145, v146
	v_min3_f32 v142, v142, v144, v143
	v_lshlrev_b64 v[144:145], 3, v[164:165]
	v_cvt_f64_f32_e32 v[142:143], v142
	v_add_co_u32 v144, vcc_lo, v138, v144
	v_add_co_ci_u32_e64 v145, null, v139, v145, vcc_lo
	global_store_dwordx2 v[144:145], v[142:143], off
	s_or_b32 exec_lo, exec_lo, s8
	s_and_b32 s8, s3, s4
	s_and_saveexec_b32 s4, s8
	s_cbranch_execz .LBB166_124
.LBB166_120:
	v_cmp_ne_u32_e32 vcc_lo, 1, v168
	s_cbranch_vccnz .LBB166_122
; %bb.121:
	v_lshlrev_b64 v[142:143], 3, v[166:167]
	v_add_co_u32 v140, vcc_lo, v140, v142
	v_add_co_ci_u32_e64 v141, null, v141, v143, vcc_lo
	global_load_dwordx2 v[140:141], v[140:141], off
	s_waitcnt vmcnt(0)
	v_mul_f64 v[140:141], s[10:11], v[140:141]
	v_cvt_f32_f64_e32 v140, v[140:141]
	s_branch .LBB166_123
.LBB166_122:
	v_mov_b32_e32 v140, 0
.LBB166_123:
	s_waitcnt lgkmcnt(25)
	v_add_f64 v[134:135], v[6:7], v[134:135]
	v_add_f64 v[136:137], v[8:9], v[136:137]
	s_waitcnt lgkmcnt(24)
	v_add_f64 v[130:131], v[2:3], v[130:131]
	v_add_f64 v[132:133], v[4:5], v[132:133]
	v_cvt_f32_f64_e32 v134, v[134:135]
	v_cvt_f32_f64_e32 v135, v[136:137]
	;; [unrolled: 1-line block ×4, first 2 shown]
	v_min3_f32 v132, v134, v135, v232
	v_min_f32_e32 v130, v130, v131
	v_min3_f32 v130, v140, v130, v132
	v_lshlrev_b64 v[132:133], 3, v[166:167]
	v_cvt_f64_f32_e32 v[130:131], v130
	v_add_co_u32 v132, vcc_lo, v138, v132
	v_add_co_ci_u32_e64 v133, null, v139, v133, vcc_lo
	global_store_dwordx2 v[132:133], v[130:131], off
.LBB166_124:
	s_or_b32 exec_lo, exec_lo, s4
	s_waitcnt lgkmcnt(25)
	v_add_nc_u32_e32 v134, 32, v169
	s_waitcnt lgkmcnt(24)
	v_mad_i64_i32 v[130:131], null, v134, s6, 0
	v_mad_i64_i32 v[132:133], null, v134, s5, 0
	v_cmp_gt_i32_e64 s4, s13, v134
	v_lshlrev_b64 v[130:131], 3, v[130:131]
	s_and_b32 s12, s0, s4
	v_lshlrev_b64 v[134:135], 3, v[132:133]
	v_add_co_u32 v132, vcc_lo, s20, v130
	v_add_co_ci_u32_e64 v133, null, s21, v131, vcc_lo
	v_add_co_u32 v130, vcc_lo, s7, v134
	v_add_co_ci_u32_e64 v131, null, s9, v135, vcc_lo
	s_and_saveexec_b32 s8, s12
	s_cbranch_execnz .LBB166_128
; %bb.125:
	s_or_b32 exec_lo, exec_lo, s8
	s_and_b32 s12, s1, s4
	s_and_saveexec_b32 s8, s12
	s_cbranch_execnz .LBB166_132
.LBB166_126:
	s_or_b32 exec_lo, exec_lo, s8
	s_and_b32 s12, s2, s4
	s_and_saveexec_b32 s8, s12
	s_cbranch_execnz .LBB166_136
.LBB166_127:
	s_or_b32 exec_lo, exec_lo, s8
	s_and_b32 s8, s3, s4
	s_and_saveexec_b32 s4, s8
	s_cbranch_execnz .LBB166_140
	s_branch .LBB166_144
.LBB166_128:
	v_cmp_ne_u32_e32 vcc_lo, 1, v168
	s_cbranch_vccnz .LBB166_130
; %bb.129:
	v_lshlrev_b64 v[134:135], 3, v[0:1]
	v_add_co_u32 v134, vcc_lo, v132, v134
	v_add_co_ci_u32_e64 v135, null, v133, v135, vcc_lo
	global_load_dwordx2 v[134:135], v[134:135], off
	s_waitcnt vmcnt(0)
	v_mul_f64 v[134:135], s[10:11], v[134:135]
	v_cvt_f32_f64_e32 v134, v[134:135]
	s_branch .LBB166_131
.LBB166_130:
	v_mov_b32_e32 v134, 0
.LBB166_131:
	s_waitcnt lgkmcnt(23)
	v_add_f64 v[135:136], v[38:39], v[126:127]
	v_add_f64 v[137:138], v[40:41], v[128:129]
	s_waitcnt lgkmcnt(22)
	v_add_f64 v[139:140], v[34:35], v[122:123]
	v_add_f64 v[141:142], v[36:37], v[124:125]
	v_cvt_f32_f64_e32 v135, v[135:136]
	v_cvt_f32_f64_e32 v136, v[137:138]
	;; [unrolled: 1-line block ×4, first 2 shown]
	v_min3_f32 v135, v135, v136, v226
	v_min_f32_e32 v136, v137, v138
	v_min3_f32 v134, v134, v136, v135
	v_lshlrev_b64 v[136:137], 3, v[0:1]
	v_cvt_f64_f32_e32 v[134:135], v134
	v_add_co_u32 v136, vcc_lo, v130, v136
	v_add_co_ci_u32_e64 v137, null, v131, v137, vcc_lo
	global_store_dwordx2 v[136:137], v[134:135], off
	s_or_b32 exec_lo, exec_lo, s8
	s_and_b32 s12, s1, s4
	s_and_saveexec_b32 s8, s12
	s_cbranch_execz .LBB166_126
.LBB166_132:
	v_cmp_ne_u32_e32 vcc_lo, 1, v168
	s_cbranch_vccnz .LBB166_134
; %bb.133:
	v_lshlrev_b64 v[134:135], 3, v[162:163]
	v_add_co_u32 v134, vcc_lo, v132, v134
	v_add_co_ci_u32_e64 v135, null, v133, v135, vcc_lo
	global_load_dwordx2 v[134:135], v[134:135], off
	s_waitcnt vmcnt(0)
	v_mul_f64 v[134:135], s[10:11], v[134:135]
	v_cvt_f32_f64_e32 v134, v[134:135]
	s_branch .LBB166_135
.LBB166_134:
	v_mov_b32_e32 v134, 0
.LBB166_135:
	s_waitcnt lgkmcnt(23)
	v_add_f64 v[135:136], v[26:27], v[126:127]
	v_add_f64 v[137:138], v[28:29], v[128:129]
	s_waitcnt lgkmcnt(22)
	v_add_f64 v[139:140], v[30:31], v[122:123]
	v_add_f64 v[141:142], v[32:33], v[124:125]
	v_cvt_f32_f64_e32 v135, v[135:136]
	v_cvt_f32_f64_e32 v136, v[137:138]
	v_cvt_f32_f64_e32 v137, v[139:140]
	v_cvt_f32_f64_e32 v138, v[141:142]
	v_min3_f32 v135, v135, v136, v223
	v_min_f32_e32 v136, v137, v138
	v_min3_f32 v134, v134, v136, v135
	v_lshlrev_b64 v[136:137], 3, v[162:163]
	v_cvt_f64_f32_e32 v[134:135], v134
	v_add_co_u32 v136, vcc_lo, v130, v136
	v_add_co_ci_u32_e64 v137, null, v131, v137, vcc_lo
	global_store_dwordx2 v[136:137], v[134:135], off
	s_or_b32 exec_lo, exec_lo, s8
	s_and_b32 s12, s2, s4
	s_and_saveexec_b32 s8, s12
	s_cbranch_execz .LBB166_127
.LBB166_136:
	v_cmp_ne_u32_e32 vcc_lo, 1, v168
	s_cbranch_vccnz .LBB166_138
; %bb.137:
	v_lshlrev_b64 v[134:135], 3, v[164:165]
	v_add_co_u32 v134, vcc_lo, v132, v134
	v_add_co_ci_u32_e64 v135, null, v133, v135, vcc_lo
	global_load_dwordx2 v[134:135], v[134:135], off
	s_waitcnt vmcnt(0)
	v_mul_f64 v[134:135], s[10:11], v[134:135]
	v_cvt_f32_f64_e32 v134, v[134:135]
	s_branch .LBB166_139
.LBB166_138:
	v_mov_b32_e32 v134, 0
.LBB166_139:
	s_waitcnt lgkmcnt(23)
	v_add_f64 v[135:136], v[22:23], v[126:127]
	v_add_f64 v[137:138], v[24:25], v[128:129]
	s_waitcnt lgkmcnt(22)
	v_add_f64 v[139:140], v[18:19], v[122:123]
	v_add_f64 v[141:142], v[20:21], v[124:125]
	v_cvt_f32_f64_e32 v135, v[135:136]
	v_cvt_f32_f64_e32 v136, v[137:138]
	;; [unrolled: 1-line block ×4, first 2 shown]
	v_min3_f32 v135, v135, v136, v221
	v_min_f32_e32 v136, v137, v138
	v_min3_f32 v134, v134, v136, v135
	v_lshlrev_b64 v[136:137], 3, v[164:165]
	v_cvt_f64_f32_e32 v[134:135], v134
	v_add_co_u32 v136, vcc_lo, v130, v136
	v_add_co_ci_u32_e64 v137, null, v131, v137, vcc_lo
	global_store_dwordx2 v[136:137], v[134:135], off
	s_or_b32 exec_lo, exec_lo, s8
	s_and_b32 s8, s3, s4
	s_and_saveexec_b32 s4, s8
	s_cbranch_execz .LBB166_144
.LBB166_140:
	v_cmp_ne_u32_e32 vcc_lo, 1, v168
	s_cbranch_vccnz .LBB166_142
; %bb.141:
	v_lshlrev_b64 v[134:135], 3, v[166:167]
	v_add_co_u32 v132, vcc_lo, v132, v134
	v_add_co_ci_u32_e64 v133, null, v133, v135, vcc_lo
	global_load_dwordx2 v[132:133], v[132:133], off
	s_waitcnt vmcnt(0)
	v_mul_f64 v[132:133], s[10:11], v[132:133]
	v_cvt_f32_f64_e32 v132, v[132:133]
	s_branch .LBB166_143
.LBB166_142:
	v_mov_b32_e32 v132, 0
.LBB166_143:
	s_waitcnt lgkmcnt(23)
	v_add_f64 v[126:127], v[6:7], v[126:127]
	v_add_f64 v[128:129], v[8:9], v[128:129]
	s_waitcnt lgkmcnt(22)
	v_add_f64 v[122:123], v[2:3], v[122:123]
	v_add_f64 v[124:125], v[4:5], v[124:125]
	v_cvt_f32_f64_e32 v126, v[126:127]
	v_cvt_f32_f64_e32 v127, v[128:129]
	;; [unrolled: 1-line block ×4, first 2 shown]
	v_min3_f32 v124, v126, v127, v199
	v_min_f32_e32 v122, v122, v123
	v_min3_f32 v122, v132, v122, v124
	v_lshlrev_b64 v[124:125], 3, v[166:167]
	v_cvt_f64_f32_e32 v[122:123], v122
	v_add_co_u32 v124, vcc_lo, v130, v124
	v_add_co_ci_u32_e64 v125, null, v131, v125, vcc_lo
	global_store_dwordx2 v[124:125], v[122:123], off
.LBB166_144:
	s_or_b32 exec_lo, exec_lo, s4
	s_waitcnt lgkmcnt(23)
	v_add_nc_u32_e32 v126, 40, v169
	s_waitcnt lgkmcnt(22)
	v_mad_i64_i32 v[122:123], null, v126, s6, 0
	v_mad_i64_i32 v[124:125], null, v126, s5, 0
	v_cmp_gt_i32_e64 s4, s13, v126
	v_lshlrev_b64 v[122:123], 3, v[122:123]
	s_and_b32 s12, s0, s4
	v_lshlrev_b64 v[126:127], 3, v[124:125]
	v_add_co_u32 v124, vcc_lo, s20, v122
	v_add_co_ci_u32_e64 v125, null, s21, v123, vcc_lo
	v_add_co_u32 v122, vcc_lo, s7, v126
	v_add_co_ci_u32_e64 v123, null, s9, v127, vcc_lo
	s_and_saveexec_b32 s8, s12
	s_cbranch_execnz .LBB166_148
; %bb.145:
	s_or_b32 exec_lo, exec_lo, s8
	s_and_b32 s12, s1, s4
	s_and_saveexec_b32 s8, s12
	s_cbranch_execnz .LBB166_152
.LBB166_146:
	s_or_b32 exec_lo, exec_lo, s8
	s_and_b32 s12, s2, s4
	s_and_saveexec_b32 s8, s12
	s_cbranch_execnz .LBB166_156
.LBB166_147:
	s_or_b32 exec_lo, exec_lo, s8
	s_and_b32 s8, s3, s4
	s_and_saveexec_b32 s4, s8
	s_cbranch_execnz .LBB166_160
	s_branch .LBB166_164
.LBB166_148:
	v_cmp_ne_u32_e32 vcc_lo, 1, v168
	s_cbranch_vccnz .LBB166_150
; %bb.149:
	v_lshlrev_b64 v[126:127], 3, v[0:1]
	v_add_co_u32 v126, vcc_lo, v124, v126
	v_add_co_ci_u32_e64 v127, null, v125, v127, vcc_lo
	global_load_dwordx2 v[126:127], v[126:127], off
	s_waitcnt vmcnt(0)
	v_mul_f64 v[126:127], s[10:11], v[126:127]
	v_cvt_f32_f64_e32 v126, v[126:127]
	s_branch .LBB166_151
.LBB166_150:
	v_mov_b32_e32 v126, 0
.LBB166_151:
	s_waitcnt lgkmcnt(21)
	v_add_f64 v[127:128], v[38:39], v[118:119]
	v_add_f64 v[129:130], v[40:41], v[120:121]
	s_waitcnt lgkmcnt(20)
	v_add_f64 v[131:132], v[34:35], v[114:115]
	v_add_f64 v[133:134], v[36:37], v[116:117]
	v_cvt_f32_f64_e32 v127, v[127:128]
	v_cvt_f32_f64_e32 v128, v[129:130]
	;; [unrolled: 1-line block ×4, first 2 shown]
	v_min3_f32 v127, v127, v128, v231
	v_min_f32_e32 v128, v129, v130
	v_min3_f32 v126, v126, v128, v127
	v_lshlrev_b64 v[128:129], 3, v[0:1]
	v_cvt_f64_f32_e32 v[126:127], v126
	v_add_co_u32 v128, vcc_lo, v122, v128
	v_add_co_ci_u32_e64 v129, null, v123, v129, vcc_lo
	global_store_dwordx2 v[128:129], v[126:127], off
	s_or_b32 exec_lo, exec_lo, s8
	s_and_b32 s12, s1, s4
	s_and_saveexec_b32 s8, s12
	s_cbranch_execz .LBB166_146
.LBB166_152:
	v_cmp_ne_u32_e32 vcc_lo, 1, v168
	s_cbranch_vccnz .LBB166_154
; %bb.153:
	v_lshlrev_b64 v[126:127], 3, v[162:163]
	v_add_co_u32 v126, vcc_lo, v124, v126
	v_add_co_ci_u32_e64 v127, null, v125, v127, vcc_lo
	global_load_dwordx2 v[126:127], v[126:127], off
	s_waitcnt vmcnt(0)
	v_mul_f64 v[126:127], s[10:11], v[126:127]
	v_cvt_f32_f64_e32 v126, v[126:127]
	s_branch .LBB166_155
.LBB166_154:
	v_mov_b32_e32 v126, 0
.LBB166_155:
	s_waitcnt lgkmcnt(21)
	v_add_f64 v[127:128], v[26:27], v[118:119]
	v_add_f64 v[129:130], v[28:29], v[120:121]
	s_waitcnt lgkmcnt(20)
	v_add_f64 v[131:132], v[30:31], v[114:115]
	v_add_f64 v[133:134], v[32:33], v[116:117]
	v_cvt_f32_f64_e32 v127, v[127:128]
	v_cvt_f32_f64_e32 v128, v[129:130]
	v_cvt_f32_f64_e32 v129, v[131:132]
	v_cvt_f32_f64_e32 v130, v[133:134]
	v_min3_f32 v127, v127, v128, v230
	v_min_f32_e32 v128, v129, v130
	v_min3_f32 v126, v126, v128, v127
	v_lshlrev_b64 v[128:129], 3, v[162:163]
	v_cvt_f64_f32_e32 v[126:127], v126
	v_add_co_u32 v128, vcc_lo, v122, v128
	v_add_co_ci_u32_e64 v129, null, v123, v129, vcc_lo
	global_store_dwordx2 v[128:129], v[126:127], off
	s_or_b32 exec_lo, exec_lo, s8
	s_and_b32 s12, s2, s4
	s_and_saveexec_b32 s8, s12
	s_cbranch_execz .LBB166_147
.LBB166_156:
	v_cmp_ne_u32_e32 vcc_lo, 1, v168
	s_cbranch_vccnz .LBB166_158
; %bb.157:
	v_lshlrev_b64 v[126:127], 3, v[164:165]
	v_add_co_u32 v126, vcc_lo, v124, v126
	v_add_co_ci_u32_e64 v127, null, v125, v127, vcc_lo
	global_load_dwordx2 v[126:127], v[126:127], off
	s_waitcnt vmcnt(0)
	v_mul_f64 v[126:127], s[10:11], v[126:127]
	v_cvt_f32_f64_e32 v126, v[126:127]
	s_branch .LBB166_159
.LBB166_158:
	v_mov_b32_e32 v126, 0
.LBB166_159:
	s_waitcnt lgkmcnt(21)
	v_add_f64 v[127:128], v[22:23], v[118:119]
	v_add_f64 v[129:130], v[24:25], v[120:121]
	s_waitcnt lgkmcnt(20)
	v_add_f64 v[131:132], v[18:19], v[114:115]
	v_add_f64 v[133:134], v[20:21], v[116:117]
	v_cvt_f32_f64_e32 v127, v[127:128]
	v_cvt_f32_f64_e32 v128, v[129:130]
	;; [unrolled: 1-line block ×4, first 2 shown]
	v_min3_f32 v127, v127, v128, v225
	v_min_f32_e32 v128, v129, v130
	v_min3_f32 v126, v126, v128, v127
	v_lshlrev_b64 v[128:129], 3, v[164:165]
	v_cvt_f64_f32_e32 v[126:127], v126
	v_add_co_u32 v128, vcc_lo, v122, v128
	v_add_co_ci_u32_e64 v129, null, v123, v129, vcc_lo
	global_store_dwordx2 v[128:129], v[126:127], off
	s_or_b32 exec_lo, exec_lo, s8
	s_and_b32 s8, s3, s4
	s_and_saveexec_b32 s4, s8
	s_cbranch_execz .LBB166_164
.LBB166_160:
	v_cmp_ne_u32_e32 vcc_lo, 1, v168
	s_cbranch_vccnz .LBB166_162
; %bb.161:
	v_lshlrev_b64 v[126:127], 3, v[166:167]
	v_add_co_u32 v124, vcc_lo, v124, v126
	v_add_co_ci_u32_e64 v125, null, v125, v127, vcc_lo
	global_load_dwordx2 v[124:125], v[124:125], off
	s_waitcnt vmcnt(0)
	v_mul_f64 v[124:125], s[10:11], v[124:125]
	v_cvt_f32_f64_e32 v124, v[124:125]
	s_branch .LBB166_163
.LBB166_162:
	v_mov_b32_e32 v124, 0
.LBB166_163:
	s_waitcnt lgkmcnt(21)
	v_add_f64 v[118:119], v[6:7], v[118:119]
	v_add_f64 v[120:121], v[8:9], v[120:121]
	s_waitcnt lgkmcnt(20)
	v_add_f64 v[114:115], v[2:3], v[114:115]
	v_add_f64 v[116:117], v[4:5], v[116:117]
	v_cvt_f32_f64_e32 v118, v[118:119]
	v_cvt_f32_f64_e32 v119, v[120:121]
	;; [unrolled: 1-line block ×4, first 2 shown]
	v_min3_f32 v116, v118, v119, v229
	v_min_f32_e32 v114, v114, v115
	v_min3_f32 v114, v124, v114, v116
	v_lshlrev_b64 v[116:117], 3, v[166:167]
	v_cvt_f64_f32_e32 v[114:115], v114
	v_add_co_u32 v116, vcc_lo, v122, v116
	v_add_co_ci_u32_e64 v117, null, v123, v117, vcc_lo
	global_store_dwordx2 v[116:117], v[114:115], off
.LBB166_164:
	s_or_b32 exec_lo, exec_lo, s4
	s_waitcnt lgkmcnt(21)
	v_add_nc_u32_e32 v118, 48, v169
	s_waitcnt lgkmcnt(20)
	v_mad_i64_i32 v[114:115], null, v118, s6, 0
	v_mad_i64_i32 v[116:117], null, v118, s5, 0
	v_cmp_gt_i32_e64 s4, s13, v118
	v_lshlrev_b64 v[114:115], 3, v[114:115]
	s_and_b32 s12, s0, s4
	v_lshlrev_b64 v[118:119], 3, v[116:117]
	v_add_co_u32 v116, vcc_lo, s20, v114
	v_add_co_ci_u32_e64 v117, null, s21, v115, vcc_lo
	v_add_co_u32 v114, vcc_lo, s7, v118
	v_add_co_ci_u32_e64 v115, null, s9, v119, vcc_lo
	s_and_saveexec_b32 s8, s12
	s_cbranch_execnz .LBB166_168
; %bb.165:
	s_or_b32 exec_lo, exec_lo, s8
	s_and_b32 s12, s1, s4
	s_and_saveexec_b32 s8, s12
	s_cbranch_execnz .LBB166_172
.LBB166_166:
	s_or_b32 exec_lo, exec_lo, s8
	s_and_b32 s12, s2, s4
	s_and_saveexec_b32 s8, s12
	s_cbranch_execnz .LBB166_176
.LBB166_167:
	s_or_b32 exec_lo, exec_lo, s8
	s_and_b32 s8, s3, s4
	s_and_saveexec_b32 s4, s8
	s_cbranch_execnz .LBB166_180
	s_branch .LBB166_184
.LBB166_168:
	v_cmp_ne_u32_e32 vcc_lo, 1, v168
	s_cbranch_vccnz .LBB166_170
; %bb.169:
	v_lshlrev_b64 v[118:119], 3, v[0:1]
	v_add_co_u32 v118, vcc_lo, v116, v118
	v_add_co_ci_u32_e64 v119, null, v117, v119, vcc_lo
	global_load_dwordx2 v[118:119], v[118:119], off
	s_waitcnt vmcnt(0)
	v_mul_f64 v[118:119], s[10:11], v[118:119]
	v_cvt_f32_f64_e32 v118, v[118:119]
	s_branch .LBB166_171
.LBB166_170:
	v_mov_b32_e32 v118, 0
.LBB166_171:
	s_waitcnt lgkmcnt(19)
	v_add_f64 v[119:120], v[38:39], v[110:111]
	v_add_f64 v[121:122], v[40:41], v[112:113]
	s_waitcnt lgkmcnt(18)
	v_add_f64 v[123:124], v[34:35], v[106:107]
	v_add_f64 v[125:126], v[36:37], v[108:109]
	v_cvt_f32_f64_e32 v119, v[119:120]
	v_cvt_f32_f64_e32 v120, v[121:122]
	v_cvt_f32_f64_e32 v121, v[123:124]
	v_cvt_f32_f64_e32 v122, v[125:126]
	v_min3_f32 v119, v119, v120, v228
	v_min_f32_e32 v120, v121, v122
	v_min3_f32 v118, v118, v120, v119
	v_lshlrev_b64 v[120:121], 3, v[0:1]
	v_cvt_f64_f32_e32 v[118:119], v118
	v_add_co_u32 v120, vcc_lo, v114, v120
	v_add_co_ci_u32_e64 v121, null, v115, v121, vcc_lo
	global_store_dwordx2 v[120:121], v[118:119], off
	s_or_b32 exec_lo, exec_lo, s8
	s_and_b32 s12, s1, s4
	s_and_saveexec_b32 s8, s12
	s_cbranch_execz .LBB166_166
.LBB166_172:
	v_cmp_ne_u32_e32 vcc_lo, 1, v168
	s_cbranch_vccnz .LBB166_174
; %bb.173:
	v_lshlrev_b64 v[118:119], 3, v[162:163]
	v_add_co_u32 v118, vcc_lo, v116, v118
	v_add_co_ci_u32_e64 v119, null, v117, v119, vcc_lo
	global_load_dwordx2 v[118:119], v[118:119], off
	s_waitcnt vmcnt(0)
	v_mul_f64 v[118:119], s[10:11], v[118:119]
	v_cvt_f32_f64_e32 v118, v[118:119]
	s_branch .LBB166_175
.LBB166_174:
	v_mov_b32_e32 v118, 0
.LBB166_175:
	s_waitcnt lgkmcnt(19)
	v_add_f64 v[119:120], v[26:27], v[110:111]
	v_add_f64 v[121:122], v[28:29], v[112:113]
	s_waitcnt lgkmcnt(18)
	v_add_f64 v[123:124], v[30:31], v[106:107]
	v_add_f64 v[125:126], v[32:33], v[108:109]
	v_cvt_f32_f64_e32 v119, v[119:120]
	v_cvt_f32_f64_e32 v120, v[121:122]
	;; [unrolled: 1-line block ×4, first 2 shown]
	v_min3_f32 v119, v119, v120, v227
	v_min_f32_e32 v120, v121, v122
	v_min3_f32 v118, v118, v120, v119
	v_lshlrev_b64 v[120:121], 3, v[162:163]
	v_cvt_f64_f32_e32 v[118:119], v118
	v_add_co_u32 v120, vcc_lo, v114, v120
	v_add_co_ci_u32_e64 v121, null, v115, v121, vcc_lo
	global_store_dwordx2 v[120:121], v[118:119], off
	s_or_b32 exec_lo, exec_lo, s8
	s_and_b32 s12, s2, s4
	s_and_saveexec_b32 s8, s12
	s_cbranch_execz .LBB166_167
.LBB166_176:
	v_cmp_ne_u32_e32 vcc_lo, 1, v168
	s_cbranch_vccnz .LBB166_178
; %bb.177:
	v_lshlrev_b64 v[118:119], 3, v[164:165]
	v_add_co_u32 v118, vcc_lo, v116, v118
	v_add_co_ci_u32_e64 v119, null, v117, v119, vcc_lo
	global_load_dwordx2 v[118:119], v[118:119], off
	s_waitcnt vmcnt(0)
	v_mul_f64 v[118:119], s[10:11], v[118:119]
	v_cvt_f32_f64_e32 v118, v[118:119]
	s_branch .LBB166_179
.LBB166_178:
	v_mov_b32_e32 v118, 0
.LBB166_179:
	s_waitcnt lgkmcnt(19)
	v_add_f64 v[119:120], v[22:23], v[110:111]
	v_add_f64 v[121:122], v[24:25], v[112:113]
	s_waitcnt lgkmcnt(18)
	v_add_f64 v[123:124], v[18:19], v[106:107]
	v_add_f64 v[125:126], v[20:21], v[108:109]
	v_cvt_f32_f64_e32 v119, v[119:120]
	v_cvt_f32_f64_e32 v120, v[121:122]
	v_cvt_f32_f64_e32 v121, v[123:124]
	v_cvt_f32_f64_e32 v122, v[125:126]
	v_min3_f32 v119, v119, v120, v251
	v_min_f32_e32 v120, v121, v122
	v_min3_f32 v118, v118, v120, v119
	v_lshlrev_b64 v[120:121], 3, v[164:165]
	v_cvt_f64_f32_e32 v[118:119], v118
	v_add_co_u32 v120, vcc_lo, v114, v120
	v_add_co_ci_u32_e64 v121, null, v115, v121, vcc_lo
	global_store_dwordx2 v[120:121], v[118:119], off
	s_or_b32 exec_lo, exec_lo, s8
	s_and_b32 s8, s3, s4
	s_and_saveexec_b32 s4, s8
	s_cbranch_execz .LBB166_184
.LBB166_180:
	v_cmp_ne_u32_e32 vcc_lo, 1, v168
	s_cbranch_vccnz .LBB166_182
; %bb.181:
	v_lshlrev_b64 v[118:119], 3, v[166:167]
	v_add_co_u32 v116, vcc_lo, v116, v118
	v_add_co_ci_u32_e64 v117, null, v117, v119, vcc_lo
	global_load_dwordx2 v[116:117], v[116:117], off
	s_waitcnt vmcnt(0)
	v_mul_f64 v[116:117], s[10:11], v[116:117]
	v_cvt_f32_f64_e32 v116, v[116:117]
	s_branch .LBB166_183
.LBB166_182:
	v_mov_b32_e32 v116, 0
.LBB166_183:
	s_waitcnt lgkmcnt(19)
	v_add_f64 v[110:111], v[6:7], v[110:111]
	v_add_f64 v[112:113], v[8:9], v[112:113]
	s_waitcnt lgkmcnt(18)
	v_add_f64 v[106:107], v[2:3], v[106:107]
	v_add_f64 v[108:109], v[4:5], v[108:109]
	v_cvt_f32_f64_e32 v110, v[110:111]
	v_cvt_f32_f64_e32 v111, v[112:113]
	;; [unrolled: 1-line block ×4, first 2 shown]
	v_min3_f32 v108, v110, v111, v222
	v_min_f32_e32 v106, v106, v107
	v_min3_f32 v106, v116, v106, v108
	v_lshlrev_b64 v[108:109], 3, v[166:167]
	v_cvt_f64_f32_e32 v[106:107], v106
	v_add_co_u32 v108, vcc_lo, v114, v108
	v_add_co_ci_u32_e64 v109, null, v115, v109, vcc_lo
	global_store_dwordx2 v[108:109], v[106:107], off
.LBB166_184:
	s_or_b32 exec_lo, exec_lo, s4
	s_waitcnt lgkmcnt(19)
	v_add_nc_u32_e32 v110, 56, v169
	s_waitcnt lgkmcnt(18)
	v_mad_i64_i32 v[106:107], null, v110, s6, 0
	v_mad_i64_i32 v[108:109], null, v110, s5, 0
	v_cmp_gt_i32_e64 s4, s13, v110
	v_lshlrev_b64 v[106:107], 3, v[106:107]
	s_and_b32 s12, s0, s4
	v_lshlrev_b64 v[110:111], 3, v[108:109]
	v_add_co_u32 v108, vcc_lo, s20, v106
	v_add_co_ci_u32_e64 v109, null, s21, v107, vcc_lo
	v_add_co_u32 v106, vcc_lo, s7, v110
	v_add_co_ci_u32_e64 v107, null, s9, v111, vcc_lo
	s_and_saveexec_b32 s8, s12
	s_cbranch_execnz .LBB166_188
; %bb.185:
	s_or_b32 exec_lo, exec_lo, s8
	s_and_b32 s12, s1, s4
	s_and_saveexec_b32 s8, s12
	s_cbranch_execnz .LBB166_192
.LBB166_186:
	s_or_b32 exec_lo, exec_lo, s8
	s_and_b32 s12, s2, s4
	s_and_saveexec_b32 s8, s12
	s_cbranch_execnz .LBB166_196
.LBB166_187:
	s_or_b32 exec_lo, exec_lo, s8
	s_and_b32 s8, s3, s4
	s_and_saveexec_b32 s4, s8
	s_cbranch_execnz .LBB166_200
	s_branch .LBB166_204
.LBB166_188:
	v_cmp_ne_u32_e32 vcc_lo, 1, v168
	s_cbranch_vccnz .LBB166_190
; %bb.189:
	v_lshlrev_b64 v[110:111], 3, v[0:1]
	v_add_co_u32 v110, vcc_lo, v108, v110
	v_add_co_ci_u32_e64 v111, null, v109, v111, vcc_lo
	global_load_dwordx2 v[110:111], v[110:111], off
	s_waitcnt vmcnt(0)
	v_mul_f64 v[110:111], s[10:11], v[110:111]
	v_cvt_f32_f64_e32 v110, v[110:111]
	s_branch .LBB166_191
.LBB166_190:
	v_mov_b32_e32 v110, 0
.LBB166_191:
	s_waitcnt lgkmcnt(17)
	v_add_f64 v[111:112], v[38:39], v[102:103]
	v_add_f64 v[113:114], v[40:41], v[104:105]
	s_waitcnt lgkmcnt(16)
	v_add_f64 v[115:116], v[34:35], v[98:99]
	v_add_f64 v[117:118], v[36:37], v[100:101]
	v_cvt_f32_f64_e32 v111, v[111:112]
	v_cvt_f32_f64_e32 v112, v[113:114]
	;; [unrolled: 1-line block ×4, first 2 shown]
	v_min3_f32 v111, v111, v112, v197
	v_min_f32_e32 v112, v113, v114
	v_min3_f32 v110, v110, v112, v111
	v_lshlrev_b64 v[112:113], 3, v[0:1]
	v_cvt_f64_f32_e32 v[110:111], v110
	v_add_co_u32 v112, vcc_lo, v106, v112
	v_add_co_ci_u32_e64 v113, null, v107, v113, vcc_lo
	global_store_dwordx2 v[112:113], v[110:111], off
	s_or_b32 exec_lo, exec_lo, s8
	s_and_b32 s12, s1, s4
	s_and_saveexec_b32 s8, s12
	s_cbranch_execz .LBB166_186
.LBB166_192:
	v_cmp_ne_u32_e32 vcc_lo, 1, v168
	s_cbranch_vccnz .LBB166_194
; %bb.193:
	v_lshlrev_b64 v[110:111], 3, v[162:163]
	v_add_co_u32 v110, vcc_lo, v108, v110
	v_add_co_ci_u32_e64 v111, null, v109, v111, vcc_lo
	global_load_dwordx2 v[110:111], v[110:111], off
	s_waitcnt vmcnt(0)
	v_mul_f64 v[110:111], s[10:11], v[110:111]
	v_cvt_f32_f64_e32 v110, v[110:111]
	s_branch .LBB166_195
.LBB166_194:
	v_mov_b32_e32 v110, 0
.LBB166_195:
	s_waitcnt lgkmcnt(17)
	v_add_f64 v[111:112], v[26:27], v[102:103]
	v_add_f64 v[113:114], v[28:29], v[104:105]
	s_waitcnt lgkmcnt(16)
	v_add_f64 v[115:116], v[30:31], v[98:99]
	v_add_f64 v[117:118], v[32:33], v[100:101]
	v_cvt_f32_f64_e32 v111, v[111:112]
	v_cvt_f32_f64_e32 v112, v[113:114]
	;; [unrolled: 1-line block ×4, first 2 shown]
	v_min3_f32 v111, v111, v112, v220
	v_min_f32_e32 v112, v113, v114
	v_min3_f32 v110, v110, v112, v111
	v_lshlrev_b64 v[112:113], 3, v[162:163]
	v_cvt_f64_f32_e32 v[110:111], v110
	v_add_co_u32 v112, vcc_lo, v106, v112
	v_add_co_ci_u32_e64 v113, null, v107, v113, vcc_lo
	global_store_dwordx2 v[112:113], v[110:111], off
	s_or_b32 exec_lo, exec_lo, s8
	s_and_b32 s12, s2, s4
	s_and_saveexec_b32 s8, s12
	s_cbranch_execz .LBB166_187
.LBB166_196:
	v_cmp_ne_u32_e32 vcc_lo, 1, v168
	s_cbranch_vccnz .LBB166_198
; %bb.197:
	v_lshlrev_b64 v[110:111], 3, v[164:165]
	v_add_co_u32 v110, vcc_lo, v108, v110
	v_add_co_ci_u32_e64 v111, null, v109, v111, vcc_lo
	global_load_dwordx2 v[110:111], v[110:111], off
	s_waitcnt vmcnt(0)
	v_mul_f64 v[110:111], s[10:11], v[110:111]
	v_cvt_f32_f64_e32 v110, v[110:111]
	s_branch .LBB166_199
.LBB166_198:
	v_mov_b32_e32 v110, 0
.LBB166_199:
	s_waitcnt lgkmcnt(17)
	v_add_f64 v[111:112], v[22:23], v[102:103]
	v_add_f64 v[113:114], v[24:25], v[104:105]
	s_waitcnt lgkmcnt(16)
	v_add_f64 v[115:116], v[18:19], v[98:99]
	v_add_f64 v[117:118], v[20:21], v[100:101]
	v_cvt_f32_f64_e32 v111, v[111:112]
	v_cvt_f32_f64_e32 v112, v[113:114]
	;; [unrolled: 1-line block ×4, first 2 shown]
	v_min3_f32 v111, v111, v112, v219
	v_min_f32_e32 v112, v113, v114
	v_min3_f32 v110, v110, v112, v111
	v_lshlrev_b64 v[112:113], 3, v[164:165]
	v_cvt_f64_f32_e32 v[110:111], v110
	v_add_co_u32 v112, vcc_lo, v106, v112
	v_add_co_ci_u32_e64 v113, null, v107, v113, vcc_lo
	global_store_dwordx2 v[112:113], v[110:111], off
	s_or_b32 exec_lo, exec_lo, s8
	s_and_b32 s8, s3, s4
	s_and_saveexec_b32 s4, s8
	s_cbranch_execz .LBB166_204
.LBB166_200:
	v_cmp_ne_u32_e32 vcc_lo, 1, v168
	s_cbranch_vccnz .LBB166_202
; %bb.201:
	v_lshlrev_b64 v[110:111], 3, v[166:167]
	v_add_co_u32 v108, vcc_lo, v108, v110
	v_add_co_ci_u32_e64 v109, null, v109, v111, vcc_lo
	global_load_dwordx2 v[108:109], v[108:109], off
	s_waitcnt vmcnt(0)
	v_mul_f64 v[108:109], s[10:11], v[108:109]
	v_cvt_f32_f64_e32 v108, v[108:109]
	s_branch .LBB166_203
.LBB166_202:
	v_mov_b32_e32 v108, 0
.LBB166_203:
	s_waitcnt lgkmcnt(17)
	v_add_f64 v[102:103], v[6:7], v[102:103]
	v_add_f64 v[104:105], v[8:9], v[104:105]
	s_waitcnt lgkmcnt(16)
	v_add_f64 v[98:99], v[2:3], v[98:99]
	v_add_f64 v[100:101], v[4:5], v[100:101]
	v_cvt_f32_f64_e32 v102, v[102:103]
	v_cvt_f32_f64_e32 v103, v[104:105]
	;; [unrolled: 1-line block ×4, first 2 shown]
	v_min3_f32 v100, v102, v103, v207
	v_min_f32_e32 v98, v98, v99
	v_min3_f32 v98, v108, v98, v100
	v_lshlrev_b64 v[100:101], 3, v[166:167]
	v_cvt_f64_f32_e32 v[98:99], v98
	v_add_co_u32 v100, vcc_lo, v106, v100
	v_add_co_ci_u32_e64 v101, null, v107, v101, vcc_lo
	global_store_dwordx2 v[100:101], v[98:99], off
.LBB166_204:
	s_or_b32 exec_lo, exec_lo, s4
	s_waitcnt lgkmcnt(17)
	v_add_nc_u32_e32 v102, 64, v169
	s_waitcnt lgkmcnt(16)
	v_mad_i64_i32 v[98:99], null, v102, s6, 0
	v_mad_i64_i32 v[100:101], null, v102, s5, 0
	v_cmp_gt_i32_e64 s4, s13, v102
	v_lshlrev_b64 v[98:99], 3, v[98:99]
	s_and_b32 s12, s0, s4
	v_lshlrev_b64 v[102:103], 3, v[100:101]
	v_add_co_u32 v100, vcc_lo, s20, v98
	v_add_co_ci_u32_e64 v101, null, s21, v99, vcc_lo
	v_add_co_u32 v98, vcc_lo, s7, v102
	v_add_co_ci_u32_e64 v99, null, s9, v103, vcc_lo
	s_and_saveexec_b32 s8, s12
	s_cbranch_execnz .LBB166_208
; %bb.205:
	s_or_b32 exec_lo, exec_lo, s8
	s_and_b32 s12, s1, s4
	s_and_saveexec_b32 s8, s12
	s_cbranch_execnz .LBB166_212
.LBB166_206:
	s_or_b32 exec_lo, exec_lo, s8
	s_and_b32 s12, s2, s4
	s_and_saveexec_b32 s8, s12
	s_cbranch_execnz .LBB166_216
.LBB166_207:
	s_or_b32 exec_lo, exec_lo, s8
	s_and_b32 s8, s3, s4
	s_and_saveexec_b32 s4, s8
	s_cbranch_execnz .LBB166_220
	s_branch .LBB166_224
.LBB166_208:
	v_cmp_ne_u32_e32 vcc_lo, 1, v168
	s_cbranch_vccnz .LBB166_210
; %bb.209:
	v_lshlrev_b64 v[102:103], 3, v[0:1]
	v_add_co_u32 v102, vcc_lo, v100, v102
	v_add_co_ci_u32_e64 v103, null, v101, v103, vcc_lo
	global_load_dwordx2 v[102:103], v[102:103], off
	s_waitcnt vmcnt(0)
	v_mul_f64 v[102:103], s[10:11], v[102:103]
	v_cvt_f32_f64_e32 v102, v[102:103]
	s_branch .LBB166_211
.LBB166_210:
	v_mov_b32_e32 v102, 0
.LBB166_211:
	s_waitcnt lgkmcnt(15)
	v_add_f64 v[103:104], v[38:39], v[94:95]
	v_add_f64 v[105:106], v[40:41], v[96:97]
	s_waitcnt lgkmcnt(14)
	v_add_f64 v[107:108], v[34:35], v[90:91]
	v_add_f64 v[109:110], v[36:37], v[92:93]
	v_cvt_f32_f64_e32 v103, v[103:104]
	v_cvt_f32_f64_e32 v104, v[105:106]
	;; [unrolled: 1-line block ×4, first 2 shown]
	v_min3_f32 v103, v103, v104, v206
	v_min_f32_e32 v104, v105, v106
	v_min3_f32 v102, v102, v104, v103
	v_lshlrev_b64 v[104:105], 3, v[0:1]
	v_cvt_f64_f32_e32 v[102:103], v102
	v_add_co_u32 v104, vcc_lo, v98, v104
	v_add_co_ci_u32_e64 v105, null, v99, v105, vcc_lo
	global_store_dwordx2 v[104:105], v[102:103], off
	s_or_b32 exec_lo, exec_lo, s8
	s_and_b32 s12, s1, s4
	s_and_saveexec_b32 s8, s12
	s_cbranch_execz .LBB166_206
.LBB166_212:
	v_cmp_ne_u32_e32 vcc_lo, 1, v168
	s_cbranch_vccnz .LBB166_214
; %bb.213:
	v_lshlrev_b64 v[102:103], 3, v[162:163]
	v_add_co_u32 v102, vcc_lo, v100, v102
	v_add_co_ci_u32_e64 v103, null, v101, v103, vcc_lo
	global_load_dwordx2 v[102:103], v[102:103], off
	s_waitcnt vmcnt(0)
	v_mul_f64 v[102:103], s[10:11], v[102:103]
	v_cvt_f32_f64_e32 v102, v[102:103]
	s_branch .LBB166_215
.LBB166_214:
	v_mov_b32_e32 v102, 0
.LBB166_215:
	s_waitcnt lgkmcnt(15)
	v_add_f64 v[103:104], v[26:27], v[94:95]
	v_add_f64 v[105:106], v[28:29], v[96:97]
	s_waitcnt lgkmcnt(14)
	v_add_f64 v[107:108], v[30:31], v[90:91]
	v_add_f64 v[109:110], v[32:33], v[92:93]
	v_cvt_f32_f64_e32 v103, v[103:104]
	v_cvt_f32_f64_e32 v104, v[105:106]
	;; [unrolled: 1-line block ×4, first 2 shown]
	v_min3_f32 v103, v103, v104, v205
	v_min_f32_e32 v104, v105, v106
	v_min3_f32 v102, v102, v104, v103
	v_lshlrev_b64 v[104:105], 3, v[162:163]
	v_cvt_f64_f32_e32 v[102:103], v102
	v_add_co_u32 v104, vcc_lo, v98, v104
	v_add_co_ci_u32_e64 v105, null, v99, v105, vcc_lo
	global_store_dwordx2 v[104:105], v[102:103], off
	s_or_b32 exec_lo, exec_lo, s8
	s_and_b32 s12, s2, s4
	s_and_saveexec_b32 s8, s12
	s_cbranch_execz .LBB166_207
.LBB166_216:
	v_cmp_ne_u32_e32 vcc_lo, 1, v168
	s_cbranch_vccnz .LBB166_218
; %bb.217:
	v_lshlrev_b64 v[102:103], 3, v[164:165]
	v_add_co_u32 v102, vcc_lo, v100, v102
	v_add_co_ci_u32_e64 v103, null, v101, v103, vcc_lo
	global_load_dwordx2 v[102:103], v[102:103], off
	s_waitcnt vmcnt(0)
	v_mul_f64 v[102:103], s[10:11], v[102:103]
	v_cvt_f32_f64_e32 v102, v[102:103]
	s_branch .LBB166_219
.LBB166_218:
	v_mov_b32_e32 v102, 0
.LBB166_219:
	s_waitcnt lgkmcnt(15)
	v_add_f64 v[103:104], v[22:23], v[94:95]
	v_add_f64 v[105:106], v[24:25], v[96:97]
	s_waitcnt lgkmcnt(14)
	v_add_f64 v[107:108], v[18:19], v[90:91]
	v_add_f64 v[109:110], v[20:21], v[92:93]
	v_cvt_f32_f64_e32 v103, v[103:104]
	v_cvt_f32_f64_e32 v104, v[105:106]
	;; [unrolled: 1-line block ×4, first 2 shown]
	v_min3_f32 v103, v103, v104, v203
	v_min_f32_e32 v104, v105, v106
	v_min3_f32 v102, v102, v104, v103
	v_lshlrev_b64 v[104:105], 3, v[164:165]
	v_cvt_f64_f32_e32 v[102:103], v102
	v_add_co_u32 v104, vcc_lo, v98, v104
	v_add_co_ci_u32_e64 v105, null, v99, v105, vcc_lo
	global_store_dwordx2 v[104:105], v[102:103], off
	s_or_b32 exec_lo, exec_lo, s8
	s_and_b32 s8, s3, s4
	s_and_saveexec_b32 s4, s8
	s_cbranch_execz .LBB166_224
.LBB166_220:
	v_cmp_ne_u32_e32 vcc_lo, 1, v168
	s_cbranch_vccnz .LBB166_222
; %bb.221:
	v_lshlrev_b64 v[102:103], 3, v[166:167]
	v_add_co_u32 v100, vcc_lo, v100, v102
	v_add_co_ci_u32_e64 v101, null, v101, v103, vcc_lo
	global_load_dwordx2 v[100:101], v[100:101], off
	s_waitcnt vmcnt(0)
	v_mul_f64 v[100:101], s[10:11], v[100:101]
	v_cvt_f32_f64_e32 v100, v[100:101]
	s_branch .LBB166_223
.LBB166_222:
	v_mov_b32_e32 v100, 0
.LBB166_223:
	s_waitcnt lgkmcnt(15)
	v_add_f64 v[94:95], v[6:7], v[94:95]
	v_add_f64 v[96:97], v[8:9], v[96:97]
	s_waitcnt lgkmcnt(14)
	v_add_f64 v[90:91], v[2:3], v[90:91]
	v_add_f64 v[92:93], v[4:5], v[92:93]
	v_cvt_f32_f64_e32 v94, v[94:95]
	v_cvt_f32_f64_e32 v95, v[96:97]
	;; [unrolled: 1-line block ×4, first 2 shown]
	v_min3_f32 v92, v94, v95, v201
	v_min_f32_e32 v90, v90, v91
	v_min3_f32 v90, v100, v90, v92
	v_lshlrev_b64 v[92:93], 3, v[166:167]
	v_cvt_f64_f32_e32 v[90:91], v90
	v_add_co_u32 v92, vcc_lo, v98, v92
	v_add_co_ci_u32_e64 v93, null, v99, v93, vcc_lo
	global_store_dwordx2 v[92:93], v[90:91], off
.LBB166_224:
	s_or_b32 exec_lo, exec_lo, s4
	s_waitcnt lgkmcnt(15)
	v_add_nc_u32_e32 v94, 0x48, v169
	s_waitcnt lgkmcnt(14)
	v_mad_i64_i32 v[90:91], null, v94, s6, 0
	v_mad_i64_i32 v[92:93], null, v94, s5, 0
	v_cmp_gt_i32_e64 s4, s13, v94
	v_lshlrev_b64 v[90:91], 3, v[90:91]
	s_and_b32 s12, s0, s4
	v_lshlrev_b64 v[94:95], 3, v[92:93]
	v_add_co_u32 v92, vcc_lo, s20, v90
	v_add_co_ci_u32_e64 v93, null, s21, v91, vcc_lo
	v_add_co_u32 v90, vcc_lo, s7, v94
	v_add_co_ci_u32_e64 v91, null, s9, v95, vcc_lo
	s_and_saveexec_b32 s8, s12
	s_cbranch_execnz .LBB166_228
; %bb.225:
	s_or_b32 exec_lo, exec_lo, s8
	s_and_b32 s12, s1, s4
	s_and_saveexec_b32 s8, s12
	s_cbranch_execnz .LBB166_232
.LBB166_226:
	s_or_b32 exec_lo, exec_lo, s8
	s_and_b32 s12, s2, s4
	s_and_saveexec_b32 s8, s12
	s_cbranch_execnz .LBB166_236
.LBB166_227:
	s_or_b32 exec_lo, exec_lo, s8
	s_and_b32 s8, s3, s4
	s_and_saveexec_b32 s4, s8
	s_cbranch_execnz .LBB166_240
	s_branch .LBB166_244
.LBB166_228:
	v_cmp_ne_u32_e32 vcc_lo, 1, v168
	s_cbranch_vccnz .LBB166_230
; %bb.229:
	v_lshlrev_b64 v[94:95], 3, v[0:1]
	v_add_co_u32 v94, vcc_lo, v92, v94
	v_add_co_ci_u32_e64 v95, null, v93, v95, vcc_lo
	global_load_dwordx2 v[94:95], v[94:95], off
	s_waitcnt vmcnt(0)
	v_mul_f64 v[94:95], s[10:11], v[94:95]
	v_cvt_f32_f64_e32 v94, v[94:95]
	s_branch .LBB166_231
.LBB166_230:
	v_mov_b32_e32 v94, 0
.LBB166_231:
	s_waitcnt lgkmcnt(13)
	v_add_f64 v[95:96], v[38:39], v[86:87]
	v_add_f64 v[97:98], v[40:41], v[88:89]
	s_waitcnt lgkmcnt(12)
	v_add_f64 v[99:100], v[34:35], v[82:83]
	v_add_f64 v[101:102], v[36:37], v[84:85]
	v_cvt_f32_f64_e32 v95, v[95:96]
	v_cvt_f32_f64_e32 v96, v[97:98]
	;; [unrolled: 1-line block ×4, first 2 shown]
	v_min3_f32 v95, v95, v96, v218
	v_min_f32_e32 v96, v97, v98
	v_min3_f32 v94, v94, v96, v95
	v_lshlrev_b64 v[96:97], 3, v[0:1]
	v_cvt_f64_f32_e32 v[94:95], v94
	v_add_co_u32 v96, vcc_lo, v90, v96
	v_add_co_ci_u32_e64 v97, null, v91, v97, vcc_lo
	global_store_dwordx2 v[96:97], v[94:95], off
	s_or_b32 exec_lo, exec_lo, s8
	s_and_b32 s12, s1, s4
	s_and_saveexec_b32 s8, s12
	s_cbranch_execz .LBB166_226
.LBB166_232:
	v_cmp_ne_u32_e32 vcc_lo, 1, v168
	s_cbranch_vccnz .LBB166_234
; %bb.233:
	v_lshlrev_b64 v[94:95], 3, v[162:163]
	v_add_co_u32 v94, vcc_lo, v92, v94
	v_add_co_ci_u32_e64 v95, null, v93, v95, vcc_lo
	global_load_dwordx2 v[94:95], v[94:95], off
	s_waitcnt vmcnt(0)
	v_mul_f64 v[94:95], s[10:11], v[94:95]
	v_cvt_f32_f64_e32 v94, v[94:95]
	s_branch .LBB166_235
.LBB166_234:
	v_mov_b32_e32 v94, 0
.LBB166_235:
	s_waitcnt lgkmcnt(13)
	v_add_f64 v[95:96], v[26:27], v[86:87]
	v_add_f64 v[97:98], v[28:29], v[88:89]
	s_waitcnt lgkmcnt(12)
	v_add_f64 v[99:100], v[30:31], v[82:83]
	v_add_f64 v[101:102], v[32:33], v[84:85]
	v_cvt_f32_f64_e32 v95, v[95:96]
	v_cvt_f32_f64_e32 v96, v[97:98]
	;; [unrolled: 1-line block ×4, first 2 shown]
	v_min3_f32 v95, v95, v96, v250
	v_min_f32_e32 v96, v97, v98
	v_min3_f32 v94, v94, v96, v95
	v_lshlrev_b64 v[96:97], 3, v[162:163]
	v_cvt_f64_f32_e32 v[94:95], v94
	v_add_co_u32 v96, vcc_lo, v90, v96
	v_add_co_ci_u32_e64 v97, null, v91, v97, vcc_lo
	global_store_dwordx2 v[96:97], v[94:95], off
	s_or_b32 exec_lo, exec_lo, s8
	s_and_b32 s12, s2, s4
	s_and_saveexec_b32 s8, s12
	s_cbranch_execz .LBB166_227
.LBB166_236:
	v_cmp_ne_u32_e32 vcc_lo, 1, v168
	s_cbranch_vccnz .LBB166_238
; %bb.237:
	v_lshlrev_b64 v[94:95], 3, v[164:165]
	v_add_co_u32 v94, vcc_lo, v92, v94
	v_add_co_ci_u32_e64 v95, null, v93, v95, vcc_lo
	global_load_dwordx2 v[94:95], v[94:95], off
	s_waitcnt vmcnt(0)
	v_mul_f64 v[94:95], s[10:11], v[94:95]
	v_cvt_f32_f64_e32 v94, v[94:95]
	s_branch .LBB166_239
.LBB166_238:
	v_mov_b32_e32 v94, 0
.LBB166_239:
	s_waitcnt lgkmcnt(13)
	v_add_f64 v[95:96], v[22:23], v[86:87]
	v_add_f64 v[97:98], v[24:25], v[88:89]
	s_waitcnt lgkmcnt(12)
	v_add_f64 v[99:100], v[18:19], v[82:83]
	v_add_f64 v[101:102], v[20:21], v[84:85]
	v_cvt_f32_f64_e32 v95, v[95:96]
	v_cvt_f32_f64_e32 v96, v[97:98]
	;; [unrolled: 1-line block ×4, first 2 shown]
	v_min3_f32 v95, v95, v96, v249
	v_min_f32_e32 v96, v97, v98
	v_min3_f32 v94, v94, v96, v95
	v_lshlrev_b64 v[96:97], 3, v[164:165]
	v_cvt_f64_f32_e32 v[94:95], v94
	v_add_co_u32 v96, vcc_lo, v90, v96
	v_add_co_ci_u32_e64 v97, null, v91, v97, vcc_lo
	global_store_dwordx2 v[96:97], v[94:95], off
	s_or_b32 exec_lo, exec_lo, s8
	s_and_b32 s8, s3, s4
	s_and_saveexec_b32 s4, s8
	s_cbranch_execz .LBB166_244
.LBB166_240:
	v_cmp_ne_u32_e32 vcc_lo, 1, v168
	s_cbranch_vccnz .LBB166_242
; %bb.241:
	v_lshlrev_b64 v[94:95], 3, v[166:167]
	v_add_co_u32 v92, vcc_lo, v92, v94
	v_add_co_ci_u32_e64 v93, null, v93, v95, vcc_lo
	global_load_dwordx2 v[92:93], v[92:93], off
	s_waitcnt vmcnt(0)
	v_mul_f64 v[92:93], s[10:11], v[92:93]
	v_cvt_f32_f64_e32 v92, v[92:93]
	s_branch .LBB166_243
.LBB166_242:
	v_mov_b32_e32 v92, 0
.LBB166_243:
	s_waitcnt lgkmcnt(13)
	v_add_f64 v[86:87], v[6:7], v[86:87]
	v_add_f64 v[88:89], v[8:9], v[88:89]
	s_waitcnt lgkmcnt(12)
	v_add_f64 v[82:83], v[2:3], v[82:83]
	v_add_f64 v[84:85], v[4:5], v[84:85]
	v_cvt_f32_f64_e32 v86, v[86:87]
	v_cvt_f32_f64_e32 v87, v[88:89]
	;; [unrolled: 1-line block ×4, first 2 shown]
	v_min3_f32 v84, v86, v87, v248
	v_min_f32_e32 v82, v82, v83
	v_min3_f32 v82, v92, v82, v84
	v_lshlrev_b64 v[84:85], 3, v[166:167]
	v_cvt_f64_f32_e32 v[82:83], v82
	v_add_co_u32 v84, vcc_lo, v90, v84
	v_add_co_ci_u32_e64 v85, null, v91, v85, vcc_lo
	global_store_dwordx2 v[84:85], v[82:83], off
.LBB166_244:
	s_or_b32 exec_lo, exec_lo, s4
	s_waitcnt lgkmcnt(13)
	v_add_nc_u32_e32 v86, 0x50, v169
	s_waitcnt lgkmcnt(12)
	v_mad_i64_i32 v[82:83], null, v86, s6, 0
	v_mad_i64_i32 v[84:85], null, v86, s5, 0
	v_cmp_gt_i32_e64 s4, s13, v86
	v_lshlrev_b64 v[82:83], 3, v[82:83]
	s_and_b32 s12, s0, s4
	v_lshlrev_b64 v[86:87], 3, v[84:85]
	v_add_co_u32 v84, vcc_lo, s20, v82
	v_add_co_ci_u32_e64 v85, null, s21, v83, vcc_lo
	v_add_co_u32 v82, vcc_lo, s7, v86
	v_add_co_ci_u32_e64 v83, null, s9, v87, vcc_lo
	s_and_saveexec_b32 s8, s12
	s_cbranch_execnz .LBB166_248
; %bb.245:
	s_or_b32 exec_lo, exec_lo, s8
	s_and_b32 s12, s1, s4
	s_and_saveexec_b32 s8, s12
	s_cbranch_execnz .LBB166_252
.LBB166_246:
	s_or_b32 exec_lo, exec_lo, s8
	s_and_b32 s12, s2, s4
	s_and_saveexec_b32 s8, s12
	s_cbranch_execnz .LBB166_256
.LBB166_247:
	s_or_b32 exec_lo, exec_lo, s8
	s_and_b32 s8, s3, s4
	s_and_saveexec_b32 s4, s8
	s_cbranch_execnz .LBB166_260
	s_branch .LBB166_264
.LBB166_248:
	v_cmp_ne_u32_e32 vcc_lo, 1, v168
	s_cbranch_vccnz .LBB166_250
; %bb.249:
	v_lshlrev_b64 v[86:87], 3, v[0:1]
	v_add_co_u32 v86, vcc_lo, v84, v86
	v_add_co_ci_u32_e64 v87, null, v85, v87, vcc_lo
	global_load_dwordx2 v[86:87], v[86:87], off
	s_waitcnt vmcnt(0)
	v_mul_f64 v[86:87], s[10:11], v[86:87]
	v_cvt_f32_f64_e32 v86, v[86:87]
	s_branch .LBB166_251
.LBB166_250:
	v_mov_b32_e32 v86, 0
.LBB166_251:
	s_waitcnt lgkmcnt(11)
	v_add_f64 v[87:88], v[38:39], v[78:79]
	v_add_f64 v[89:90], v[40:41], v[80:81]
	s_waitcnt lgkmcnt(10)
	v_add_f64 v[91:92], v[34:35], v[74:75]
	v_add_f64 v[93:94], v[36:37], v[76:77]
	v_cvt_f32_f64_e32 v87, v[87:88]
	v_cvt_f32_f64_e32 v88, v[89:90]
	;; [unrolled: 1-line block ×4, first 2 shown]
	v_min3_f32 v87, v87, v88, v247
	v_min_f32_e32 v88, v89, v90
	v_min3_f32 v86, v86, v88, v87
	v_lshlrev_b64 v[88:89], 3, v[0:1]
	v_cvt_f64_f32_e32 v[86:87], v86
	v_add_co_u32 v88, vcc_lo, v82, v88
	v_add_co_ci_u32_e64 v89, null, v83, v89, vcc_lo
	global_store_dwordx2 v[88:89], v[86:87], off
	s_or_b32 exec_lo, exec_lo, s8
	s_and_b32 s12, s1, s4
	s_and_saveexec_b32 s8, s12
	s_cbranch_execz .LBB166_246
.LBB166_252:
	v_cmp_ne_u32_e32 vcc_lo, 1, v168
	s_cbranch_vccnz .LBB166_254
; %bb.253:
	v_lshlrev_b64 v[86:87], 3, v[162:163]
	v_add_co_u32 v86, vcc_lo, v84, v86
	v_add_co_ci_u32_e64 v87, null, v85, v87, vcc_lo
	global_load_dwordx2 v[86:87], v[86:87], off
	s_waitcnt vmcnt(0)
	v_mul_f64 v[86:87], s[10:11], v[86:87]
	v_cvt_f32_f64_e32 v86, v[86:87]
	s_branch .LBB166_255
.LBB166_254:
	v_mov_b32_e32 v86, 0
.LBB166_255:
	s_waitcnt lgkmcnt(11)
	v_add_f64 v[87:88], v[26:27], v[78:79]
	v_add_f64 v[89:90], v[28:29], v[80:81]
	s_waitcnt lgkmcnt(10)
	v_add_f64 v[91:92], v[30:31], v[74:75]
	v_add_f64 v[93:94], v[32:33], v[76:77]
	v_cvt_f32_f64_e32 v87, v[87:88]
	v_cvt_f32_f64_e32 v88, v[89:90]
	;; [unrolled: 1-line block ×4, first 2 shown]
	v_min3_f32 v87, v87, v88, v246
	v_min_f32_e32 v88, v89, v90
	v_min3_f32 v86, v86, v88, v87
	v_lshlrev_b64 v[88:89], 3, v[162:163]
	v_cvt_f64_f32_e32 v[86:87], v86
	v_add_co_u32 v88, vcc_lo, v82, v88
	v_add_co_ci_u32_e64 v89, null, v83, v89, vcc_lo
	global_store_dwordx2 v[88:89], v[86:87], off
	s_or_b32 exec_lo, exec_lo, s8
	s_and_b32 s12, s2, s4
	s_and_saveexec_b32 s8, s12
	s_cbranch_execz .LBB166_247
.LBB166_256:
	v_cmp_ne_u32_e32 vcc_lo, 1, v168
	s_cbranch_vccnz .LBB166_258
; %bb.257:
	v_lshlrev_b64 v[86:87], 3, v[164:165]
	v_add_co_u32 v86, vcc_lo, v84, v86
	v_add_co_ci_u32_e64 v87, null, v85, v87, vcc_lo
	global_load_dwordx2 v[86:87], v[86:87], off
	s_waitcnt vmcnt(0)
	v_mul_f64 v[86:87], s[10:11], v[86:87]
	v_cvt_f32_f64_e32 v86, v[86:87]
	s_branch .LBB166_259
.LBB166_258:
	v_mov_b32_e32 v86, 0
.LBB166_259:
	s_waitcnt lgkmcnt(11)
	v_add_f64 v[87:88], v[22:23], v[78:79]
	v_add_f64 v[89:90], v[24:25], v[80:81]
	s_waitcnt lgkmcnt(10)
	v_add_f64 v[91:92], v[18:19], v[74:75]
	v_add_f64 v[93:94], v[20:21], v[76:77]
	v_cvt_f32_f64_e32 v87, v[87:88]
	v_cvt_f32_f64_e32 v88, v[89:90]
	;; [unrolled: 1-line block ×4, first 2 shown]
	v_min3_f32 v87, v87, v88, v204
	v_min_f32_e32 v88, v89, v90
	v_min3_f32 v86, v86, v88, v87
	v_lshlrev_b64 v[88:89], 3, v[164:165]
	v_cvt_f64_f32_e32 v[86:87], v86
	v_add_co_u32 v88, vcc_lo, v82, v88
	v_add_co_ci_u32_e64 v89, null, v83, v89, vcc_lo
	global_store_dwordx2 v[88:89], v[86:87], off
	s_or_b32 exec_lo, exec_lo, s8
	s_and_b32 s8, s3, s4
	s_and_saveexec_b32 s4, s8
	s_cbranch_execz .LBB166_264
.LBB166_260:
	v_cmp_ne_u32_e32 vcc_lo, 1, v168
	s_cbranch_vccnz .LBB166_262
; %bb.261:
	v_lshlrev_b64 v[86:87], 3, v[166:167]
	v_add_co_u32 v84, vcc_lo, v84, v86
	v_add_co_ci_u32_e64 v85, null, v85, v87, vcc_lo
	global_load_dwordx2 v[84:85], v[84:85], off
	s_waitcnt vmcnt(0)
	v_mul_f64 v[84:85], s[10:11], v[84:85]
	v_cvt_f32_f64_e32 v84, v[84:85]
	s_branch .LBB166_263
.LBB166_262:
	v_mov_b32_e32 v84, 0
.LBB166_263:
	s_waitcnt lgkmcnt(11)
	v_add_f64 v[78:79], v[6:7], v[78:79]
	v_add_f64 v[80:81], v[8:9], v[80:81]
	s_waitcnt lgkmcnt(10)
	v_add_f64 v[74:75], v[2:3], v[74:75]
	v_add_f64 v[76:77], v[4:5], v[76:77]
	v_cvt_f32_f64_e32 v78, v[78:79]
	v_cvt_f32_f64_e32 v79, v[80:81]
	;; [unrolled: 1-line block ×4, first 2 shown]
	v_min3_f32 v76, v78, v79, v202
	v_min_f32_e32 v74, v74, v75
	v_min3_f32 v74, v84, v74, v76
	v_lshlrev_b64 v[76:77], 3, v[166:167]
	v_cvt_f64_f32_e32 v[74:75], v74
	v_add_co_u32 v76, vcc_lo, v82, v76
	v_add_co_ci_u32_e64 v77, null, v83, v77, vcc_lo
	global_store_dwordx2 v[76:77], v[74:75], off
.LBB166_264:
	s_or_b32 exec_lo, exec_lo, s4
	s_waitcnt lgkmcnt(11)
	v_add_nc_u32_e32 v78, 0x58, v169
	s_waitcnt lgkmcnt(10)
	v_mad_i64_i32 v[74:75], null, v78, s6, 0
	v_mad_i64_i32 v[76:77], null, v78, s5, 0
	v_cmp_gt_i32_e64 s4, s13, v78
	v_lshlrev_b64 v[74:75], 3, v[74:75]
	s_and_b32 s12, s0, s4
	v_lshlrev_b64 v[78:79], 3, v[76:77]
	v_add_co_u32 v76, vcc_lo, s20, v74
	v_add_co_ci_u32_e64 v77, null, s21, v75, vcc_lo
	v_add_co_u32 v74, vcc_lo, s7, v78
	v_add_co_ci_u32_e64 v75, null, s9, v79, vcc_lo
	s_and_saveexec_b32 s8, s12
	s_cbranch_execnz .LBB166_268
; %bb.265:
	s_or_b32 exec_lo, exec_lo, s8
	s_and_b32 s12, s1, s4
	s_and_saveexec_b32 s8, s12
	s_cbranch_execnz .LBB166_272
.LBB166_266:
	s_or_b32 exec_lo, exec_lo, s8
	s_and_b32 s12, s2, s4
	s_and_saveexec_b32 s8, s12
	s_cbranch_execnz .LBB166_276
.LBB166_267:
	s_or_b32 exec_lo, exec_lo, s8
	s_and_b32 s8, s3, s4
	s_and_saveexec_b32 s4, s8
	s_cbranch_execnz .LBB166_280
	s_branch .LBB166_284
.LBB166_268:
	v_cmp_ne_u32_e32 vcc_lo, 1, v168
	s_cbranch_vccnz .LBB166_270
; %bb.269:
	v_lshlrev_b64 v[78:79], 3, v[0:1]
	v_add_co_u32 v78, vcc_lo, v76, v78
	v_add_co_ci_u32_e64 v79, null, v77, v79, vcc_lo
	global_load_dwordx2 v[78:79], v[78:79], off
	s_waitcnt vmcnt(0)
	v_mul_f64 v[78:79], s[10:11], v[78:79]
	v_cvt_f32_f64_e32 v78, v[78:79]
	s_branch .LBB166_271
.LBB166_270:
	v_mov_b32_e32 v78, 0
.LBB166_271:
	s_waitcnt lgkmcnt(9)
	v_add_f64 v[79:80], v[38:39], v[70:71]
	v_add_f64 v[81:82], v[40:41], v[72:73]
	s_waitcnt lgkmcnt(8)
	v_add_f64 v[83:84], v[34:35], v[66:67]
	v_add_f64 v[85:86], v[36:37], v[68:69]
	v_cvt_f32_f64_e32 v79, v[79:80]
	v_cvt_f32_f64_e32 v80, v[81:82]
	v_cvt_f32_f64_e32 v81, v[83:84]
	v_cvt_f32_f64_e32 v82, v[85:86]
	v_min3_f32 v79, v79, v80, v200
	v_min_f32_e32 v80, v81, v82
	v_min3_f32 v78, v78, v80, v79
	v_lshlrev_b64 v[80:81], 3, v[0:1]
	v_cvt_f64_f32_e32 v[78:79], v78
	v_add_co_u32 v80, vcc_lo, v74, v80
	v_add_co_ci_u32_e64 v81, null, v75, v81, vcc_lo
	global_store_dwordx2 v[80:81], v[78:79], off
	s_or_b32 exec_lo, exec_lo, s8
	s_and_b32 s12, s1, s4
	s_and_saveexec_b32 s8, s12
	s_cbranch_execz .LBB166_266
.LBB166_272:
	v_cmp_ne_u32_e32 vcc_lo, 1, v168
	s_cbranch_vccnz .LBB166_274
; %bb.273:
	v_lshlrev_b64 v[78:79], 3, v[162:163]
	v_add_co_u32 v78, vcc_lo, v76, v78
	v_add_co_ci_u32_e64 v79, null, v77, v79, vcc_lo
	global_load_dwordx2 v[78:79], v[78:79], off
	s_waitcnt vmcnt(0)
	v_mul_f64 v[78:79], s[10:11], v[78:79]
	v_cvt_f32_f64_e32 v78, v[78:79]
	s_branch .LBB166_275
.LBB166_274:
	v_mov_b32_e32 v78, 0
.LBB166_275:
	s_waitcnt lgkmcnt(9)
	v_add_f64 v[79:80], v[26:27], v[70:71]
	v_add_f64 v[81:82], v[28:29], v[72:73]
	s_waitcnt lgkmcnt(8)
	v_add_f64 v[83:84], v[30:31], v[66:67]
	v_add_f64 v[85:86], v[32:33], v[68:69]
	v_cvt_f32_f64_e32 v79, v[79:80]
	v_cvt_f32_f64_e32 v80, v[81:82]
	;; [unrolled: 1-line block ×4, first 2 shown]
	v_min3_f32 v79, v79, v80, v217
	v_min_f32_e32 v80, v81, v82
	v_min3_f32 v78, v78, v80, v79
	v_lshlrev_b64 v[80:81], 3, v[162:163]
	v_cvt_f64_f32_e32 v[78:79], v78
	v_add_co_u32 v80, vcc_lo, v74, v80
	v_add_co_ci_u32_e64 v81, null, v75, v81, vcc_lo
	global_store_dwordx2 v[80:81], v[78:79], off
	s_or_b32 exec_lo, exec_lo, s8
	s_and_b32 s12, s2, s4
	s_and_saveexec_b32 s8, s12
	s_cbranch_execz .LBB166_267
.LBB166_276:
	v_cmp_ne_u32_e32 vcc_lo, 1, v168
	s_cbranch_vccnz .LBB166_278
; %bb.277:
	v_lshlrev_b64 v[78:79], 3, v[164:165]
	v_add_co_u32 v78, vcc_lo, v76, v78
	v_add_co_ci_u32_e64 v79, null, v77, v79, vcc_lo
	global_load_dwordx2 v[78:79], v[78:79], off
	s_waitcnt vmcnt(0)
	v_mul_f64 v[78:79], s[10:11], v[78:79]
	v_cvt_f32_f64_e32 v78, v[78:79]
	s_branch .LBB166_279
.LBB166_278:
	v_mov_b32_e32 v78, 0
.LBB166_279:
	s_waitcnt lgkmcnt(9)
	v_add_f64 v[79:80], v[22:23], v[70:71]
	v_add_f64 v[81:82], v[24:25], v[72:73]
	s_waitcnt lgkmcnt(8)
	v_add_f64 v[83:84], v[18:19], v[66:67]
	v_add_f64 v[85:86], v[20:21], v[68:69]
	v_cvt_f32_f64_e32 v79, v[79:80]
	v_cvt_f32_f64_e32 v80, v[81:82]
	v_cvt_f32_f64_e32 v81, v[83:84]
	v_cvt_f32_f64_e32 v82, v[85:86]
	v_min3_f32 v79, v79, v80, v211
	v_min_f32_e32 v80, v81, v82
	v_min3_f32 v78, v78, v80, v79
	v_lshlrev_b64 v[80:81], 3, v[164:165]
	v_cvt_f64_f32_e32 v[78:79], v78
	v_add_co_u32 v80, vcc_lo, v74, v80
	v_add_co_ci_u32_e64 v81, null, v75, v81, vcc_lo
	global_store_dwordx2 v[80:81], v[78:79], off
	s_or_b32 exec_lo, exec_lo, s8
	s_and_b32 s8, s3, s4
	s_and_saveexec_b32 s4, s8
	s_cbranch_execz .LBB166_284
.LBB166_280:
	v_cmp_ne_u32_e32 vcc_lo, 1, v168
	s_cbranch_vccnz .LBB166_282
; %bb.281:
	v_lshlrev_b64 v[78:79], 3, v[166:167]
	v_add_co_u32 v76, vcc_lo, v76, v78
	v_add_co_ci_u32_e64 v77, null, v77, v79, vcc_lo
	global_load_dwordx2 v[76:77], v[76:77], off
	s_waitcnt vmcnt(0)
	v_mul_f64 v[76:77], s[10:11], v[76:77]
	v_cvt_f32_f64_e32 v76, v[76:77]
	s_branch .LBB166_283
.LBB166_282:
	v_mov_b32_e32 v76, 0
.LBB166_283:
	s_waitcnt lgkmcnt(9)
	v_add_f64 v[70:71], v[6:7], v[70:71]
	v_add_f64 v[72:73], v[8:9], v[72:73]
	s_waitcnt lgkmcnt(8)
	v_add_f64 v[66:67], v[2:3], v[66:67]
	v_add_f64 v[68:69], v[4:5], v[68:69]
	v_cvt_f32_f64_e32 v70, v[70:71]
	v_cvt_f32_f64_e32 v71, v[72:73]
	;; [unrolled: 1-line block ×4, first 2 shown]
	v_min3_f32 v68, v70, v71, v210
	v_min_f32_e32 v66, v66, v67
	v_min3_f32 v66, v76, v66, v68
	v_lshlrev_b64 v[68:69], 3, v[166:167]
	v_cvt_f64_f32_e32 v[66:67], v66
	v_add_co_u32 v68, vcc_lo, v74, v68
	v_add_co_ci_u32_e64 v69, null, v75, v69, vcc_lo
	global_store_dwordx2 v[68:69], v[66:67], off
.LBB166_284:
	s_or_b32 exec_lo, exec_lo, s4
	s_waitcnt lgkmcnt(9)
	v_add_nc_u32_e32 v70, 0x60, v169
	s_waitcnt lgkmcnt(8)
	v_mad_i64_i32 v[66:67], null, v70, s6, 0
	v_mad_i64_i32 v[68:69], null, v70, s5, 0
	v_cmp_gt_i32_e64 s4, s13, v70
	v_lshlrev_b64 v[66:67], 3, v[66:67]
	s_and_b32 s12, s0, s4
	v_lshlrev_b64 v[70:71], 3, v[68:69]
	v_add_co_u32 v68, vcc_lo, s20, v66
	v_add_co_ci_u32_e64 v69, null, s21, v67, vcc_lo
	v_add_co_u32 v66, vcc_lo, s7, v70
	v_add_co_ci_u32_e64 v67, null, s9, v71, vcc_lo
	s_and_saveexec_b32 s8, s12
	s_cbranch_execnz .LBB166_288
; %bb.285:
	s_or_b32 exec_lo, exec_lo, s8
	s_and_b32 s12, s1, s4
	s_and_saveexec_b32 s8, s12
	s_cbranch_execnz .LBB166_292
.LBB166_286:
	s_or_b32 exec_lo, exec_lo, s8
	s_and_b32 s12, s2, s4
	s_and_saveexec_b32 s8, s12
	s_cbranch_execnz .LBB166_296
.LBB166_287:
	s_or_b32 exec_lo, exec_lo, s8
	s_and_b32 s8, s3, s4
	s_and_saveexec_b32 s4, s8
	s_cbranch_execnz .LBB166_300
	s_branch .LBB166_304
.LBB166_288:
	v_cmp_ne_u32_e32 vcc_lo, 1, v168
	s_cbranch_vccnz .LBB166_290
; %bb.289:
	v_lshlrev_b64 v[70:71], 3, v[0:1]
	v_add_co_u32 v70, vcc_lo, v68, v70
	v_add_co_ci_u32_e64 v71, null, v69, v71, vcc_lo
	global_load_dwordx2 v[70:71], v[70:71], off
	s_waitcnt vmcnt(0)
	v_mul_f64 v[70:71], s[10:11], v[70:71]
	v_cvt_f32_f64_e32 v70, v[70:71]
	s_branch .LBB166_291
.LBB166_290:
	v_mov_b32_e32 v70, 0
.LBB166_291:
	s_waitcnt lgkmcnt(7)
	v_add_f64 v[71:72], v[38:39], v[62:63]
	v_add_f64 v[73:74], v[40:41], v[64:65]
	s_waitcnt lgkmcnt(6)
	v_add_f64 v[75:76], v[34:35], v[58:59]
	v_add_f64 v[77:78], v[36:37], v[60:61]
	v_cvt_f32_f64_e32 v71, v[71:72]
	v_cvt_f32_f64_e32 v72, v[73:74]
	;; [unrolled: 1-line block ×4, first 2 shown]
	v_min3_f32 v71, v71, v72, v209
	v_min_f32_e32 v72, v73, v74
	v_min3_f32 v70, v70, v72, v71
	v_lshlrev_b64 v[72:73], 3, v[0:1]
	v_cvt_f64_f32_e32 v[70:71], v70
	v_add_co_u32 v72, vcc_lo, v66, v72
	v_add_co_ci_u32_e64 v73, null, v67, v73, vcc_lo
	global_store_dwordx2 v[72:73], v[70:71], off
	s_or_b32 exec_lo, exec_lo, s8
	s_and_b32 s12, s1, s4
	s_and_saveexec_b32 s8, s12
	s_cbranch_execz .LBB166_286
.LBB166_292:
	v_cmp_ne_u32_e32 vcc_lo, 1, v168
	s_cbranch_vccnz .LBB166_294
; %bb.293:
	v_lshlrev_b64 v[70:71], 3, v[162:163]
	v_add_co_u32 v70, vcc_lo, v68, v70
	v_add_co_ci_u32_e64 v71, null, v69, v71, vcc_lo
	global_load_dwordx2 v[70:71], v[70:71], off
	s_waitcnt vmcnt(0)
	v_mul_f64 v[70:71], s[10:11], v[70:71]
	v_cvt_f32_f64_e32 v70, v[70:71]
	s_branch .LBB166_295
.LBB166_294:
	v_mov_b32_e32 v70, 0
.LBB166_295:
	s_waitcnt lgkmcnt(7)
	v_add_f64 v[71:72], v[26:27], v[62:63]
	v_add_f64 v[73:74], v[28:29], v[64:65]
	s_waitcnt lgkmcnt(6)
	v_add_f64 v[75:76], v[30:31], v[58:59]
	v_add_f64 v[77:78], v[32:33], v[60:61]
	v_cvt_f32_f64_e32 v71, v[71:72]
	v_cvt_f32_f64_e32 v72, v[73:74]
	;; [unrolled: 1-line block ×4, first 2 shown]
	v_min3_f32 v71, v71, v72, v208
	v_min_f32_e32 v72, v73, v74
	v_min3_f32 v70, v70, v72, v71
	v_lshlrev_b64 v[72:73], 3, v[162:163]
	v_cvt_f64_f32_e32 v[70:71], v70
	v_add_co_u32 v72, vcc_lo, v66, v72
	v_add_co_ci_u32_e64 v73, null, v67, v73, vcc_lo
	global_store_dwordx2 v[72:73], v[70:71], off
	s_or_b32 exec_lo, exec_lo, s8
	s_and_b32 s12, s2, s4
	s_and_saveexec_b32 s8, s12
	s_cbranch_execz .LBB166_287
.LBB166_296:
	v_cmp_ne_u32_e32 vcc_lo, 1, v168
	s_cbranch_vccnz .LBB166_298
; %bb.297:
	v_lshlrev_b64 v[70:71], 3, v[164:165]
	v_add_co_u32 v70, vcc_lo, v68, v70
	v_add_co_ci_u32_e64 v71, null, v69, v71, vcc_lo
	global_load_dwordx2 v[70:71], v[70:71], off
	s_waitcnt vmcnt(0)
	v_mul_f64 v[70:71], s[10:11], v[70:71]
	v_cvt_f32_f64_e32 v70, v[70:71]
	s_branch .LBB166_299
.LBB166_298:
	v_mov_b32_e32 v70, 0
.LBB166_299:
	s_waitcnt lgkmcnt(7)
	v_add_f64 v[71:72], v[22:23], v[62:63]
	v_add_f64 v[73:74], v[24:25], v[64:65]
	s_waitcnt lgkmcnt(6)
	v_add_f64 v[75:76], v[18:19], v[58:59]
	v_add_f64 v[77:78], v[20:21], v[60:61]
	v_cvt_f32_f64_e32 v71, v[71:72]
	v_cvt_f32_f64_e32 v72, v[73:74]
	;; [unrolled: 1-line block ×4, first 2 shown]
	v_min3_f32 v71, v71, v72, v195
	v_min_f32_e32 v72, v73, v74
	v_min3_f32 v70, v70, v72, v71
	v_lshlrev_b64 v[72:73], 3, v[164:165]
	v_cvt_f64_f32_e32 v[70:71], v70
	v_add_co_u32 v72, vcc_lo, v66, v72
	v_add_co_ci_u32_e64 v73, null, v67, v73, vcc_lo
	global_store_dwordx2 v[72:73], v[70:71], off
	s_or_b32 exec_lo, exec_lo, s8
	s_and_b32 s8, s3, s4
	s_and_saveexec_b32 s4, s8
	s_cbranch_execz .LBB166_304
.LBB166_300:
	v_cmp_ne_u32_e32 vcc_lo, 1, v168
	s_cbranch_vccnz .LBB166_302
; %bb.301:
	v_lshlrev_b64 v[70:71], 3, v[166:167]
	v_add_co_u32 v68, vcc_lo, v68, v70
	v_add_co_ci_u32_e64 v69, null, v69, v71, vcc_lo
	global_load_dwordx2 v[68:69], v[68:69], off
	s_waitcnt vmcnt(0)
	v_mul_f64 v[68:69], s[10:11], v[68:69]
	v_cvt_f32_f64_e32 v68, v[68:69]
	s_branch .LBB166_303
.LBB166_302:
	v_mov_b32_e32 v68, 0
.LBB166_303:
	s_waitcnt lgkmcnt(7)
	v_add_f64 v[62:63], v[6:7], v[62:63]
	v_add_f64 v[64:65], v[8:9], v[64:65]
	s_waitcnt lgkmcnt(6)
	v_add_f64 v[58:59], v[2:3], v[58:59]
	v_add_f64 v[60:61], v[4:5], v[60:61]
	v_cvt_f32_f64_e32 v62, v[62:63]
	v_cvt_f32_f64_e32 v63, v[64:65]
	;; [unrolled: 1-line block ×4, first 2 shown]
	v_min3_f32 v60, v62, v63, v194
	v_min_f32_e32 v58, v58, v59
	v_min3_f32 v58, v68, v58, v60
	v_lshlrev_b64 v[60:61], 3, v[166:167]
	v_cvt_f64_f32_e32 v[58:59], v58
	v_add_co_u32 v60, vcc_lo, v66, v60
	v_add_co_ci_u32_e64 v61, null, v67, v61, vcc_lo
	global_store_dwordx2 v[60:61], v[58:59], off
.LBB166_304:
	s_or_b32 exec_lo, exec_lo, s4
	s_waitcnt lgkmcnt(7)
	v_add_nc_u32_e32 v62, 0x68, v169
	s_waitcnt lgkmcnt(6)
	v_mad_i64_i32 v[58:59], null, v62, s6, 0
	v_mad_i64_i32 v[60:61], null, v62, s5, 0
	v_cmp_gt_i32_e64 s4, s13, v62
	v_lshlrev_b64 v[58:59], 3, v[58:59]
	s_and_b32 s12, s0, s4
	v_lshlrev_b64 v[62:63], 3, v[60:61]
	v_add_co_u32 v60, vcc_lo, s20, v58
	v_add_co_ci_u32_e64 v61, null, s21, v59, vcc_lo
	v_add_co_u32 v58, vcc_lo, s7, v62
	v_add_co_ci_u32_e64 v59, null, s9, v63, vcc_lo
	s_and_saveexec_b32 s8, s12
	s_cbranch_execnz .LBB166_308
; %bb.305:
	s_or_b32 exec_lo, exec_lo, s8
	s_and_b32 s12, s1, s4
	s_and_saveexec_b32 s8, s12
	s_cbranch_execnz .LBB166_312
.LBB166_306:
	s_or_b32 exec_lo, exec_lo, s8
	s_and_b32 s12, s2, s4
	s_and_saveexec_b32 s8, s12
	s_cbranch_execnz .LBB166_316
.LBB166_307:
	s_or_b32 exec_lo, exec_lo, s8
	s_and_b32 s8, s3, s4
	s_and_saveexec_b32 s4, s8
	s_cbranch_execnz .LBB166_320
	s_branch .LBB166_324
.LBB166_308:
	v_cmp_ne_u32_e32 vcc_lo, 1, v168
	s_cbranch_vccnz .LBB166_310
; %bb.309:
	v_lshlrev_b64 v[62:63], 3, v[0:1]
	v_add_co_u32 v62, vcc_lo, v60, v62
	v_add_co_ci_u32_e64 v63, null, v61, v63, vcc_lo
	global_load_dwordx2 v[62:63], v[62:63], off
	s_waitcnt vmcnt(0)
	v_mul_f64 v[62:63], s[10:11], v[62:63]
	v_cvt_f32_f64_e32 v62, v[62:63]
	s_branch .LBB166_311
.LBB166_310:
	v_mov_b32_e32 v62, 0
.LBB166_311:
	s_waitcnt lgkmcnt(5)
	v_add_f64 v[63:64], v[38:39], v[54:55]
	v_add_f64 v[65:66], v[40:41], v[56:57]
	s_waitcnt lgkmcnt(4)
	v_add_f64 v[67:68], v[34:35], v[50:51]
	v_add_f64 v[69:70], v[36:37], v[52:53]
	v_cvt_f32_f64_e32 v63, v[63:64]
	v_cvt_f32_f64_e32 v64, v[65:66]
	;; [unrolled: 1-line block ×4, first 2 shown]
	v_min3_f32 v63, v63, v64, v193
	v_min_f32_e32 v64, v65, v66
	v_min3_f32 v62, v62, v64, v63
	v_lshlrev_b64 v[64:65], 3, v[0:1]
	v_cvt_f64_f32_e32 v[62:63], v62
	v_add_co_u32 v64, vcc_lo, v58, v64
	v_add_co_ci_u32_e64 v65, null, v59, v65, vcc_lo
	global_store_dwordx2 v[64:65], v[62:63], off
	s_or_b32 exec_lo, exec_lo, s8
	s_and_b32 s12, s1, s4
	s_and_saveexec_b32 s8, s12
	s_cbranch_execz .LBB166_306
.LBB166_312:
	v_cmp_ne_u32_e32 vcc_lo, 1, v168
	s_cbranch_vccnz .LBB166_314
; %bb.313:
	v_lshlrev_b64 v[62:63], 3, v[162:163]
	v_add_co_u32 v62, vcc_lo, v60, v62
	v_add_co_ci_u32_e64 v63, null, v61, v63, vcc_lo
	global_load_dwordx2 v[62:63], v[62:63], off
	s_waitcnt vmcnt(0)
	v_mul_f64 v[62:63], s[10:11], v[62:63]
	v_cvt_f32_f64_e32 v62, v[62:63]
	s_branch .LBB166_315
.LBB166_314:
	v_mov_b32_e32 v62, 0
.LBB166_315:
	s_waitcnt lgkmcnt(5)
	v_add_f64 v[63:64], v[26:27], v[54:55]
	v_add_f64 v[65:66], v[28:29], v[56:57]
	s_waitcnt lgkmcnt(4)
	v_add_f64 v[67:68], v[30:31], v[50:51]
	v_add_f64 v[69:70], v[32:33], v[52:53]
	v_cvt_f32_f64_e32 v63, v[63:64]
	v_cvt_f32_f64_e32 v64, v[65:66]
	;; [unrolled: 1-line block ×4, first 2 shown]
	v_min3_f32 v63, v63, v64, v192
	v_min_f32_e32 v64, v65, v66
	v_min3_f32 v62, v62, v64, v63
	v_lshlrev_b64 v[64:65], 3, v[162:163]
	v_cvt_f64_f32_e32 v[62:63], v62
	v_add_co_u32 v64, vcc_lo, v58, v64
	v_add_co_ci_u32_e64 v65, null, v59, v65, vcc_lo
	global_store_dwordx2 v[64:65], v[62:63], off
	s_or_b32 exec_lo, exec_lo, s8
	s_and_b32 s12, s2, s4
	s_and_saveexec_b32 s8, s12
	s_cbranch_execz .LBB166_307
.LBB166_316:
	v_cmp_ne_u32_e32 vcc_lo, 1, v168
	s_cbranch_vccnz .LBB166_318
; %bb.317:
	v_lshlrev_b64 v[62:63], 3, v[164:165]
	v_add_co_u32 v62, vcc_lo, v60, v62
	v_add_co_ci_u32_e64 v63, null, v61, v63, vcc_lo
	global_load_dwordx2 v[62:63], v[62:63], off
	s_waitcnt vmcnt(0)
	v_mul_f64 v[62:63], s[10:11], v[62:63]
	v_cvt_f32_f64_e32 v62, v[62:63]
	s_branch .LBB166_319
.LBB166_318:
	v_mov_b32_e32 v62, 0
.LBB166_319:
	s_waitcnt lgkmcnt(5)
	v_add_f64 v[63:64], v[22:23], v[54:55]
	v_add_f64 v[65:66], v[24:25], v[56:57]
	s_waitcnt lgkmcnt(4)
	v_add_f64 v[67:68], v[18:19], v[50:51]
	v_add_f64 v[69:70], v[20:21], v[52:53]
	v_cvt_f32_f64_e32 v63, v[63:64]
	v_cvt_f32_f64_e32 v64, v[65:66]
	;; [unrolled: 1-line block ×4, first 2 shown]
	v_min3_f32 v63, v63, v64, v191
	v_min_f32_e32 v64, v65, v66
	v_min3_f32 v62, v62, v64, v63
	v_lshlrev_b64 v[64:65], 3, v[164:165]
	v_cvt_f64_f32_e32 v[62:63], v62
	v_add_co_u32 v64, vcc_lo, v58, v64
	v_add_co_ci_u32_e64 v65, null, v59, v65, vcc_lo
	global_store_dwordx2 v[64:65], v[62:63], off
	s_or_b32 exec_lo, exec_lo, s8
	s_and_b32 s8, s3, s4
	s_and_saveexec_b32 s4, s8
	s_cbranch_execz .LBB166_324
.LBB166_320:
	v_cmp_ne_u32_e32 vcc_lo, 1, v168
	s_cbranch_vccnz .LBB166_322
; %bb.321:
	v_lshlrev_b64 v[62:63], 3, v[166:167]
	v_add_co_u32 v60, vcc_lo, v60, v62
	v_add_co_ci_u32_e64 v61, null, v61, v63, vcc_lo
	global_load_dwordx2 v[60:61], v[60:61], off
	s_waitcnt vmcnt(0)
	v_mul_f64 v[60:61], s[10:11], v[60:61]
	v_cvt_f32_f64_e32 v60, v[60:61]
	s_branch .LBB166_323
.LBB166_322:
	v_mov_b32_e32 v60, 0
.LBB166_323:
	s_waitcnt lgkmcnt(5)
	v_add_f64 v[54:55], v[6:7], v[54:55]
	v_add_f64 v[56:57], v[8:9], v[56:57]
	s_waitcnt lgkmcnt(4)
	v_add_f64 v[50:51], v[2:3], v[50:51]
	v_add_f64 v[52:53], v[4:5], v[52:53]
	v_cvt_f32_f64_e32 v54, v[54:55]
	v_cvt_f32_f64_e32 v55, v[56:57]
	;; [unrolled: 1-line block ×4, first 2 shown]
	v_min3_f32 v52, v54, v55, v190
	v_min_f32_e32 v50, v50, v51
	v_min3_f32 v50, v60, v50, v52
	v_lshlrev_b64 v[52:53], 3, v[166:167]
	v_cvt_f64_f32_e32 v[50:51], v50
	v_add_co_u32 v52, vcc_lo, v58, v52
	v_add_co_ci_u32_e64 v53, null, v59, v53, vcc_lo
	global_store_dwordx2 v[52:53], v[50:51], off
.LBB166_324:
	s_or_b32 exec_lo, exec_lo, s4
	s_waitcnt lgkmcnt(5)
	v_add_nc_u32_e32 v54, 0x70, v169
	s_waitcnt lgkmcnt(4)
	v_mad_i64_i32 v[50:51], null, v54, s6, 0
	v_mad_i64_i32 v[52:53], null, v54, s5, 0
	v_cmp_gt_i32_e64 s4, s13, v54
	v_lshlrev_b64 v[50:51], 3, v[50:51]
	s_and_b32 s12, s0, s4
	v_lshlrev_b64 v[54:55], 3, v[52:53]
	v_add_co_u32 v52, vcc_lo, s20, v50
	v_add_co_ci_u32_e64 v53, null, s21, v51, vcc_lo
	v_add_co_u32 v50, vcc_lo, s7, v54
	v_add_co_ci_u32_e64 v51, null, s9, v55, vcc_lo
	s_and_saveexec_b32 s8, s12
	s_cbranch_execnz .LBB166_328
; %bb.325:
	s_or_b32 exec_lo, exec_lo, s8
	s_and_b32 s12, s1, s4
	s_and_saveexec_b32 s8, s12
	s_cbranch_execnz .LBB166_332
.LBB166_326:
	s_or_b32 exec_lo, exec_lo, s8
	s_and_b32 s12, s2, s4
	s_and_saveexec_b32 s8, s12
	s_cbranch_execnz .LBB166_336
.LBB166_327:
	s_or_b32 exec_lo, exec_lo, s8
	s_and_b32 s8, s3, s4
	s_and_saveexec_b32 s4, s8
	s_cbranch_execnz .LBB166_340
	s_branch .LBB166_344
.LBB166_328:
	v_cmp_ne_u32_e32 vcc_lo, 1, v168
	s_cbranch_vccnz .LBB166_330
; %bb.329:
	v_lshlrev_b64 v[54:55], 3, v[0:1]
	v_add_co_u32 v54, vcc_lo, v52, v54
	v_add_co_ci_u32_e64 v55, null, v53, v55, vcc_lo
	global_load_dwordx2 v[54:55], v[54:55], off
	s_waitcnt vmcnt(0)
	v_mul_f64 v[54:55], s[10:11], v[54:55]
	v_cvt_f32_f64_e32 v54, v[54:55]
	s_branch .LBB166_331
.LBB166_330:
	v_mov_b32_e32 v54, 0
.LBB166_331:
	s_waitcnt lgkmcnt(3)
	v_add_f64 v[55:56], v[38:39], v[46:47]
	v_add_f64 v[57:58], v[40:41], v[48:49]
	s_waitcnt lgkmcnt(2)
	v_add_f64 v[59:60], v[34:35], v[42:43]
	v_add_f64 v[61:62], v[36:37], v[44:45]
	v_cvt_f32_f64_e32 v55, v[55:56]
	v_cvt_f32_f64_e32 v56, v[57:58]
	;; [unrolled: 1-line block ×4, first 2 shown]
	v_min3_f32 v55, v55, v56, v189
	v_min_f32_e32 v56, v57, v58
	v_min3_f32 v54, v54, v56, v55
	v_lshlrev_b64 v[56:57], 3, v[0:1]
	v_cvt_f64_f32_e32 v[54:55], v54
	v_add_co_u32 v56, vcc_lo, v50, v56
	v_add_co_ci_u32_e64 v57, null, v51, v57, vcc_lo
	global_store_dwordx2 v[56:57], v[54:55], off
	s_or_b32 exec_lo, exec_lo, s8
	s_and_b32 s12, s1, s4
	s_and_saveexec_b32 s8, s12
	s_cbranch_execz .LBB166_326
.LBB166_332:
	v_cmp_ne_u32_e32 vcc_lo, 1, v168
	s_cbranch_vccnz .LBB166_334
; %bb.333:
	v_lshlrev_b64 v[54:55], 3, v[162:163]
	v_add_co_u32 v54, vcc_lo, v52, v54
	v_add_co_ci_u32_e64 v55, null, v53, v55, vcc_lo
	global_load_dwordx2 v[54:55], v[54:55], off
	s_waitcnt vmcnt(0)
	v_mul_f64 v[54:55], s[10:11], v[54:55]
	v_cvt_f32_f64_e32 v54, v[54:55]
	s_branch .LBB166_335
.LBB166_334:
	v_mov_b32_e32 v54, 0
.LBB166_335:
	s_waitcnt lgkmcnt(3)
	v_add_f64 v[55:56], v[26:27], v[46:47]
	v_add_f64 v[57:58], v[28:29], v[48:49]
	s_waitcnt lgkmcnt(2)
	v_add_f64 v[59:60], v[30:31], v[42:43]
	v_add_f64 v[61:62], v[32:33], v[44:45]
	v_cvt_f32_f64_e32 v55, v[55:56]
	v_cvt_f32_f64_e32 v56, v[57:58]
	v_cvt_f32_f64_e32 v57, v[59:60]
	v_cvt_f32_f64_e32 v58, v[61:62]
	v_min3_f32 v55, v55, v56, v188
	v_min_f32_e32 v56, v57, v58
	v_min3_f32 v54, v54, v56, v55
	v_lshlrev_b64 v[56:57], 3, v[162:163]
	v_cvt_f64_f32_e32 v[54:55], v54
	v_add_co_u32 v56, vcc_lo, v50, v56
	v_add_co_ci_u32_e64 v57, null, v51, v57, vcc_lo
	global_store_dwordx2 v[56:57], v[54:55], off
	s_or_b32 exec_lo, exec_lo, s8
	s_and_b32 s12, s2, s4
	s_and_saveexec_b32 s8, s12
	s_cbranch_execz .LBB166_327
.LBB166_336:
	v_cmp_ne_u32_e32 vcc_lo, 1, v168
	s_cbranch_vccnz .LBB166_338
; %bb.337:
	v_lshlrev_b64 v[54:55], 3, v[164:165]
	v_add_co_u32 v54, vcc_lo, v52, v54
	v_add_co_ci_u32_e64 v55, null, v53, v55, vcc_lo
	global_load_dwordx2 v[54:55], v[54:55], off
	s_waitcnt vmcnt(0)
	v_mul_f64 v[54:55], s[10:11], v[54:55]
	v_cvt_f32_f64_e32 v54, v[54:55]
	s_branch .LBB166_339
.LBB166_338:
	v_mov_b32_e32 v54, 0
.LBB166_339:
	s_waitcnt lgkmcnt(3)
	v_add_f64 v[55:56], v[22:23], v[46:47]
	v_add_f64 v[57:58], v[24:25], v[48:49]
	s_waitcnt lgkmcnt(2)
	v_add_f64 v[59:60], v[18:19], v[42:43]
	v_add_f64 v[61:62], v[20:21], v[44:45]
	v_cvt_f32_f64_e32 v55, v[55:56]
	v_cvt_f32_f64_e32 v56, v[57:58]
	;; [unrolled: 1-line block ×4, first 2 shown]
	v_min3_f32 v55, v55, v56, v187
	v_min_f32_e32 v56, v57, v58
	v_min3_f32 v54, v54, v56, v55
	v_lshlrev_b64 v[56:57], 3, v[164:165]
	v_cvt_f64_f32_e32 v[54:55], v54
	v_add_co_u32 v56, vcc_lo, v50, v56
	v_add_co_ci_u32_e64 v57, null, v51, v57, vcc_lo
	global_store_dwordx2 v[56:57], v[54:55], off
	s_or_b32 exec_lo, exec_lo, s8
	s_and_b32 s8, s3, s4
	s_and_saveexec_b32 s4, s8
	s_cbranch_execz .LBB166_344
.LBB166_340:
	v_cmp_ne_u32_e32 vcc_lo, 1, v168
	s_cbranch_vccnz .LBB166_342
; %bb.341:
	v_lshlrev_b64 v[54:55], 3, v[166:167]
	v_add_co_u32 v52, vcc_lo, v52, v54
	v_add_co_ci_u32_e64 v53, null, v53, v55, vcc_lo
	global_load_dwordx2 v[52:53], v[52:53], off
	s_waitcnt vmcnt(0)
	v_mul_f64 v[52:53], s[10:11], v[52:53]
	v_cvt_f32_f64_e32 v52, v[52:53]
	s_branch .LBB166_343
.LBB166_342:
	v_mov_b32_e32 v52, 0
.LBB166_343:
	s_waitcnt lgkmcnt(3)
	v_add_f64 v[46:47], v[6:7], v[46:47]
	v_add_f64 v[48:49], v[8:9], v[48:49]
	s_waitcnt lgkmcnt(2)
	v_add_f64 v[42:43], v[2:3], v[42:43]
	v_add_f64 v[44:45], v[4:5], v[44:45]
	v_cvt_f32_f64_e32 v46, v[46:47]
	v_cvt_f32_f64_e32 v47, v[48:49]
	;; [unrolled: 1-line block ×4, first 2 shown]
	v_min3_f32 v44, v46, v47, v186
	v_min_f32_e32 v42, v42, v43
	v_min3_f32 v42, v52, v42, v44
	v_lshlrev_b64 v[44:45], 3, v[166:167]
	v_cvt_f64_f32_e32 v[42:43], v42
	v_add_co_u32 v44, vcc_lo, v50, v44
	v_add_co_ci_u32_e64 v45, null, v51, v45, vcc_lo
	global_store_dwordx2 v[44:45], v[42:43], off
.LBB166_344:
	s_or_b32 exec_lo, exec_lo, s4
	s_waitcnt lgkmcnt(3)
	v_add_nc_u32_e32 v46, 0x78, v169
	s_waitcnt lgkmcnt(2)
	v_mad_i64_i32 v[42:43], null, v46, s6, 0
	v_mad_i64_i32 v[44:45], null, v46, s5, 0
	v_cmp_gt_i32_e64 s4, s13, v46
	v_lshlrev_b64 v[42:43], 3, v[42:43]
	s_and_b32 s5, s0, s4
	v_lshlrev_b64 v[46:47], 3, v[44:45]
	v_add_co_u32 v44, vcc_lo, s20, v42
	v_add_co_ci_u32_e64 v45, null, s21, v43, vcc_lo
	v_add_co_u32 v42, vcc_lo, s7, v46
	v_add_co_ci_u32_e64 v43, null, s9, v47, vcc_lo
	s_and_saveexec_b32 s0, s5
	s_cbranch_execnz .LBB166_349
; %bb.345:
	s_or_b32 exec_lo, exec_lo, s0
	s_and_b32 s1, s1, s4
	s_and_saveexec_b32 s0, s1
	s_cbranch_execnz .LBB166_353
.LBB166_346:
	s_or_b32 exec_lo, exec_lo, s0
	s_and_b32 s1, s2, s4
	s_and_saveexec_b32 s0, s1
	s_cbranch_execnz .LBB166_357
.LBB166_347:
	s_or_b32 exec_lo, exec_lo, s0
	s_and_b32 s0, s3, s4
	s_and_saveexec_b32 s1, s0
	s_cbranch_execnz .LBB166_361
.LBB166_348:
	s_endpgm
.LBB166_349:
	v_cmp_ne_u32_e32 vcc_lo, 1, v168
	v_lshlrev_b64 v[0:1], 3, v[0:1]
	s_cbranch_vccnz .LBB166_351
; %bb.350:
	v_add_co_u32 v46, vcc_lo, v44, v0
	v_add_co_ci_u32_e64 v47, null, v45, v1, vcc_lo
	global_load_dwordx2 v[46:47], v[46:47], off
	s_waitcnt vmcnt(0)
	v_mul_f64 v[46:47], s[10:11], v[46:47]
	v_cvt_f32_f64_e32 v46, v[46:47]
	s_branch .LBB166_352
.LBB166_351:
	v_mov_b32_e32 v46, 0
.LBB166_352:
	s_waitcnt lgkmcnt(1)
	v_add_f64 v[38:39], v[38:39], v[14:15]
	v_add_f64 v[40:41], v[40:41], v[16:17]
	s_waitcnt lgkmcnt(0)
	v_add_f64 v[34:35], v[34:35], v[10:11]
	v_add_f64 v[36:37], v[36:37], v[12:13]
	v_add_co_u32 v0, vcc_lo, v42, v0
	v_add_co_ci_u32_e64 v1, null, v43, v1, vcc_lo
	v_cvt_f32_f64_e32 v38, v[38:39]
	v_cvt_f32_f64_e32 v39, v[40:41]
	;; [unrolled: 1-line block ×4, first 2 shown]
	v_min3_f32 v36, v38, v39, v185
	v_min_f32_e32 v34, v34, v35
	v_min3_f32 v34, v46, v34, v36
	v_cvt_f64_f32_e32 v[34:35], v34
	global_store_dwordx2 v[0:1], v[34:35], off
	s_or_b32 exec_lo, exec_lo, s0
	s_and_b32 s1, s1, s4
	s_and_saveexec_b32 s0, s1
	s_cbranch_execz .LBB166_346
.LBB166_353:
	v_cmp_ne_u32_e32 vcc_lo, 1, v168
	v_lshlrev_b64 v[0:1], 3, v[162:163]
	s_cbranch_vccnz .LBB166_355
; %bb.354:
	v_add_co_u32 v34, vcc_lo, v44, v0
	v_add_co_ci_u32_e64 v35, null, v45, v1, vcc_lo
	global_load_dwordx2 v[34:35], v[34:35], off
	s_waitcnt vmcnt(0)
	v_mul_f64 v[34:35], s[10:11], v[34:35]
	v_cvt_f32_f64_e32 v34, v[34:35]
	s_branch .LBB166_356
.LBB166_355:
	v_mov_b32_e32 v34, 0
.LBB166_356:
	s_waitcnt lgkmcnt(1)
	v_add_f64 v[26:27], v[26:27], v[14:15]
	v_add_f64 v[28:29], v[28:29], v[16:17]
	s_waitcnt lgkmcnt(0)
	v_add_f64 v[30:31], v[30:31], v[10:11]
	v_add_f64 v[32:33], v[32:33], v[12:13]
	v_add_co_u32 v0, vcc_lo, v42, v0
	v_add_co_ci_u32_e64 v1, null, v43, v1, vcc_lo
	v_cvt_f32_f64_e32 v26, v[26:27]
	v_cvt_f32_f64_e32 v27, v[28:29]
	;; [unrolled: 1-line block ×4, first 2 shown]
	v_min3_f32 v26, v26, v27, v184
	v_min_f32_e32 v27, v28, v29
	v_min3_f32 v26, v34, v27, v26
	v_cvt_f64_f32_e32 v[26:27], v26
	global_store_dwordx2 v[0:1], v[26:27], off
	s_or_b32 exec_lo, exec_lo, s0
	s_and_b32 s1, s2, s4
	s_and_saveexec_b32 s0, s1
	s_cbranch_execz .LBB166_347
.LBB166_357:
	v_cmp_ne_u32_e32 vcc_lo, 1, v168
	v_lshlrev_b64 v[0:1], 3, v[164:165]
	s_cbranch_vccnz .LBB166_359
; %bb.358:
	v_add_co_u32 v26, vcc_lo, v44, v0
	v_add_co_ci_u32_e64 v27, null, v45, v1, vcc_lo
	global_load_dwordx2 v[26:27], v[26:27], off
	s_waitcnt vmcnt(0)
	v_mul_f64 v[26:27], s[10:11], v[26:27]
	v_cvt_f32_f64_e32 v26, v[26:27]
	s_branch .LBB166_360
.LBB166_359:
	v_mov_b32_e32 v26, 0
.LBB166_360:
	s_waitcnt lgkmcnt(1)
	v_add_f64 v[22:23], v[22:23], v[14:15]
	v_add_f64 v[24:25], v[24:25], v[16:17]
	s_waitcnt lgkmcnt(0)
	v_add_f64 v[18:19], v[18:19], v[10:11]
	v_add_f64 v[20:21], v[20:21], v[12:13]
	v_add_co_u32 v0, vcc_lo, v42, v0
	v_add_co_ci_u32_e64 v1, null, v43, v1, vcc_lo
	v_cvt_f32_f64_e32 v22, v[22:23]
	v_cvt_f32_f64_e32 v23, v[24:25]
	;; [unrolled: 1-line block ×4, first 2 shown]
	v_min3_f32 v20, v22, v23, v183
	v_min_f32_e32 v18, v18, v19
	v_min3_f32 v18, v26, v18, v20
	v_cvt_f64_f32_e32 v[18:19], v18
	global_store_dwordx2 v[0:1], v[18:19], off
	s_or_b32 exec_lo, exec_lo, s0
	s_and_b32 s0, s3, s4
	s_and_saveexec_b32 s1, s0
	s_cbranch_execz .LBB166_348
.LBB166_361:
	v_cmp_ne_u32_e32 vcc_lo, 1, v168
	v_lshlrev_b64 v[0:1], 3, v[166:167]
	s_cbranch_vccnz .LBB166_363
; %bb.362:
	v_add_co_u32 v18, vcc_lo, v44, v0
	v_add_co_ci_u32_e64 v19, null, v45, v1, vcc_lo
	global_load_dwordx2 v[18:19], v[18:19], off
	s_waitcnt vmcnt(0)
	v_mul_f64 v[18:19], s[10:11], v[18:19]
	v_cvt_f32_f64_e32 v18, v[18:19]
	s_branch .LBB166_364
.LBB166_363:
	v_mov_b32_e32 v18, 0
.LBB166_364:
	s_waitcnt lgkmcnt(1)
	v_add_f64 v[6:7], v[6:7], v[14:15]
	v_add_f64 v[8:9], v[8:9], v[16:17]
	s_waitcnt lgkmcnt(0)
	v_add_f64 v[2:3], v[2:3], v[10:11]
	v_add_f64 v[4:5], v[4:5], v[12:13]
	v_add_co_u32 v0, vcc_lo, v42, v0
	v_add_co_ci_u32_e64 v1, null, v43, v1, vcc_lo
	v_cvt_f32_f64_e32 v6, v[6:7]
	v_cvt_f32_f64_e32 v7, v[8:9]
	;; [unrolled: 1-line block ×4, first 2 shown]
	v_min3_f32 v4, v6, v7, v182
	v_min_f32_e32 v2, v2, v3
	v_min3_f32 v2, v18, v2, v4
	v_cvt_f64_f32_e32 v[2:3], v2
	global_store_dwordx2 v[0:1], v[2:3], off
	s_endpgm
	.section	.rodata,"a",@progbits
	.p2align	6, 0x0
	.amdhsa_kernel _ZN12_GLOBAL__N_120geam_min_plus_kernelId15HIP_vector_typeIdLj2EEdLi32ELi8ELi128ELi128ELi4ELi4ELi64ELi4ELi64ELc84ELc78ELb1ELb1ELb1EdKddEEviiiT16_PT17_ilS6_ilS4_S6_ilPT18_ili26rocblas_geam_ex_operation_
		.amdhsa_group_segment_fixed_size 16384
		.amdhsa_private_segment_fixed_size 196
		.amdhsa_kernarg_size 136
		.amdhsa_user_sgpr_count 6
		.amdhsa_user_sgpr_private_segment_buffer 1
		.amdhsa_user_sgpr_dispatch_ptr 0
		.amdhsa_user_sgpr_queue_ptr 0
		.amdhsa_user_sgpr_kernarg_segment_ptr 1
		.amdhsa_user_sgpr_dispatch_id 0
		.amdhsa_user_sgpr_flat_scratch_init 0
		.amdhsa_user_sgpr_private_segment_size 0
		.amdhsa_wavefront_size32 1
		.amdhsa_uses_dynamic_stack 0
		.amdhsa_system_sgpr_private_segment_wavefront_offset 1
		.amdhsa_system_sgpr_workgroup_id_x 1
		.amdhsa_system_sgpr_workgroup_id_y 0
		.amdhsa_system_sgpr_workgroup_id_z 1
		.amdhsa_system_sgpr_workgroup_info 0
		.amdhsa_system_vgpr_workitem_id 1
		.amdhsa_next_free_vgpr 256
		.amdhsa_next_free_sgpr 32
		.amdhsa_reserve_vcc 1
		.amdhsa_reserve_flat_scratch 0
		.amdhsa_float_round_mode_32 0
		.amdhsa_float_round_mode_16_64 0
		.amdhsa_float_denorm_mode_32 3
		.amdhsa_float_denorm_mode_16_64 3
		.amdhsa_dx10_clamp 1
		.amdhsa_ieee_mode 1
		.amdhsa_fp16_overflow 0
		.amdhsa_workgroup_processor_mode 1
		.amdhsa_memory_ordered 1
		.amdhsa_forward_progress 1
		.amdhsa_shared_vgpr_count 0
		.amdhsa_exception_fp_ieee_invalid_op 0
		.amdhsa_exception_fp_denorm_src 0
		.amdhsa_exception_fp_ieee_div_zero 0
		.amdhsa_exception_fp_ieee_overflow 0
		.amdhsa_exception_fp_ieee_underflow 0
		.amdhsa_exception_fp_ieee_inexact 0
		.amdhsa_exception_int_div_zero 0
	.end_amdhsa_kernel
	.section	.text._ZN12_GLOBAL__N_120geam_min_plus_kernelId15HIP_vector_typeIdLj2EEdLi32ELi8ELi128ELi128ELi4ELi4ELi64ELi4ELi64ELc84ELc78ELb1ELb1ELb1EdKddEEviiiT16_PT17_ilS6_ilS4_S6_ilPT18_ili26rocblas_geam_ex_operation_,"axG",@progbits,_ZN12_GLOBAL__N_120geam_min_plus_kernelId15HIP_vector_typeIdLj2EEdLi32ELi8ELi128ELi128ELi4ELi4ELi64ELi4ELi64ELc84ELc78ELb1ELb1ELb1EdKddEEviiiT16_PT17_ilS6_ilS4_S6_ilPT18_ili26rocblas_geam_ex_operation_,comdat
.Lfunc_end166:
	.size	_ZN12_GLOBAL__N_120geam_min_plus_kernelId15HIP_vector_typeIdLj2EEdLi32ELi8ELi128ELi128ELi4ELi4ELi64ELi4ELi64ELc84ELc78ELb1ELb1ELb1EdKddEEviiiT16_PT17_ilS6_ilS4_S6_ilPT18_ili26rocblas_geam_ex_operation_, .Lfunc_end166-_ZN12_GLOBAL__N_120geam_min_plus_kernelId15HIP_vector_typeIdLj2EEdLi32ELi8ELi128ELi128ELi4ELi4ELi64ELi4ELi64ELc84ELc78ELb1ELb1ELb1EdKddEEviiiT16_PT17_ilS6_ilS4_S6_ilPT18_ili26rocblas_geam_ex_operation_
                                        ; -- End function
	.set _ZN12_GLOBAL__N_120geam_min_plus_kernelId15HIP_vector_typeIdLj2EEdLi32ELi8ELi128ELi128ELi4ELi4ELi64ELi4ELi64ELc84ELc78ELb1ELb1ELb1EdKddEEviiiT16_PT17_ilS6_ilS4_S6_ilPT18_ili26rocblas_geam_ex_operation_.num_vgpr, 256
	.set _ZN12_GLOBAL__N_120geam_min_plus_kernelId15HIP_vector_typeIdLj2EEdLi32ELi8ELi128ELi128ELi4ELi4ELi64ELi4ELi64ELc84ELc78ELb1ELb1ELb1EdKddEEviiiT16_PT17_ilS6_ilS4_S6_ilPT18_ili26rocblas_geam_ex_operation_.num_agpr, 0
	.set _ZN12_GLOBAL__N_120geam_min_plus_kernelId15HIP_vector_typeIdLj2EEdLi32ELi8ELi128ELi128ELi4ELi4ELi64ELi4ELi64ELc84ELc78ELb1ELb1ELb1EdKddEEviiiT16_PT17_ilS6_ilS4_S6_ilPT18_ili26rocblas_geam_ex_operation_.numbered_sgpr, 32
	.set _ZN12_GLOBAL__N_120geam_min_plus_kernelId15HIP_vector_typeIdLj2EEdLi32ELi8ELi128ELi128ELi4ELi4ELi64ELi4ELi64ELc84ELc78ELb1ELb1ELb1EdKddEEviiiT16_PT17_ilS6_ilS4_S6_ilPT18_ili26rocblas_geam_ex_operation_.num_named_barrier, 0
	.set _ZN12_GLOBAL__N_120geam_min_plus_kernelId15HIP_vector_typeIdLj2EEdLi32ELi8ELi128ELi128ELi4ELi4ELi64ELi4ELi64ELc84ELc78ELb1ELb1ELb1EdKddEEviiiT16_PT17_ilS6_ilS4_S6_ilPT18_ili26rocblas_geam_ex_operation_.private_seg_size, 196
	.set _ZN12_GLOBAL__N_120geam_min_plus_kernelId15HIP_vector_typeIdLj2EEdLi32ELi8ELi128ELi128ELi4ELi4ELi64ELi4ELi64ELc84ELc78ELb1ELb1ELb1EdKddEEviiiT16_PT17_ilS6_ilS4_S6_ilPT18_ili26rocblas_geam_ex_operation_.uses_vcc, 1
	.set _ZN12_GLOBAL__N_120geam_min_plus_kernelId15HIP_vector_typeIdLj2EEdLi32ELi8ELi128ELi128ELi4ELi4ELi64ELi4ELi64ELc84ELc78ELb1ELb1ELb1EdKddEEviiiT16_PT17_ilS6_ilS4_S6_ilPT18_ili26rocblas_geam_ex_operation_.uses_flat_scratch, 0
	.set _ZN12_GLOBAL__N_120geam_min_plus_kernelId15HIP_vector_typeIdLj2EEdLi32ELi8ELi128ELi128ELi4ELi4ELi64ELi4ELi64ELc84ELc78ELb1ELb1ELb1EdKddEEviiiT16_PT17_ilS6_ilS4_S6_ilPT18_ili26rocblas_geam_ex_operation_.has_dyn_sized_stack, 0
	.set _ZN12_GLOBAL__N_120geam_min_plus_kernelId15HIP_vector_typeIdLj2EEdLi32ELi8ELi128ELi128ELi4ELi4ELi64ELi4ELi64ELc84ELc78ELb1ELb1ELb1EdKddEEviiiT16_PT17_ilS6_ilS4_S6_ilPT18_ili26rocblas_geam_ex_operation_.has_recursion, 0
	.set _ZN12_GLOBAL__N_120geam_min_plus_kernelId15HIP_vector_typeIdLj2EEdLi32ELi8ELi128ELi128ELi4ELi4ELi64ELi4ELi64ELc84ELc78ELb1ELb1ELb1EdKddEEviiiT16_PT17_ilS6_ilS4_S6_ilPT18_ili26rocblas_geam_ex_operation_.has_indirect_call, 0
	.section	.AMDGPU.csdata,"",@progbits
; Kernel info:
; codeLenInByte = 31604
; TotalNumSgprs: 34
; NumVgprs: 256
; ScratchSize: 196
; MemoryBound: 0
; FloatMode: 240
; IeeeMode: 1
; LDSByteSize: 16384 bytes/workgroup (compile time only)
; SGPRBlocks: 0
; VGPRBlocks: 31
; NumSGPRsForWavesPerEU: 34
; NumVGPRsForWavesPerEU: 256
; Occupancy: 4
; WaveLimiterHint : 0
; COMPUTE_PGM_RSRC2:SCRATCH_EN: 1
; COMPUTE_PGM_RSRC2:USER_SGPR: 6
; COMPUTE_PGM_RSRC2:TRAP_HANDLER: 0
; COMPUTE_PGM_RSRC2:TGID_X_EN: 1
; COMPUTE_PGM_RSRC2:TGID_Y_EN: 0
; COMPUTE_PGM_RSRC2:TGID_Z_EN: 1
; COMPUTE_PGM_RSRC2:TIDIG_COMP_CNT: 1
	.section	.text._ZN12_GLOBAL__N_120geam_min_plus_kernelId15HIP_vector_typeIdLj2EEdLi32ELi8ELi128ELi128ELi4ELi4ELi64ELi4ELi64ELc84ELc78ELb0ELb1ELb1EdKddEEviiiT16_PT17_ilS6_ilS4_S6_ilPT18_ili26rocblas_geam_ex_operation_,"axG",@progbits,_ZN12_GLOBAL__N_120geam_min_plus_kernelId15HIP_vector_typeIdLj2EEdLi32ELi8ELi128ELi128ELi4ELi4ELi64ELi4ELi64ELc84ELc78ELb0ELb1ELb1EdKddEEviiiT16_PT17_ilS6_ilS4_S6_ilPT18_ili26rocblas_geam_ex_operation_,comdat
	.globl	_ZN12_GLOBAL__N_120geam_min_plus_kernelId15HIP_vector_typeIdLj2EEdLi32ELi8ELi128ELi128ELi4ELi4ELi64ELi4ELi64ELc84ELc78ELb0ELb1ELb1EdKddEEviiiT16_PT17_ilS6_ilS4_S6_ilPT18_ili26rocblas_geam_ex_operation_ ; -- Begin function _ZN12_GLOBAL__N_120geam_min_plus_kernelId15HIP_vector_typeIdLj2EEdLi32ELi8ELi128ELi128ELi4ELi4ELi64ELi4ELi64ELc84ELc78ELb0ELb1ELb1EdKddEEviiiT16_PT17_ilS6_ilS4_S6_ilPT18_ili26rocblas_geam_ex_operation_
	.p2align	8
	.type	_ZN12_GLOBAL__N_120geam_min_plus_kernelId15HIP_vector_typeIdLj2EEdLi32ELi8ELi128ELi128ELi4ELi4ELi64ELi4ELi64ELc84ELc78ELb0ELb1ELb1EdKddEEviiiT16_PT17_ilS6_ilS4_S6_ilPT18_ili26rocblas_geam_ex_operation_,@function
_ZN12_GLOBAL__N_120geam_min_plus_kernelId15HIP_vector_typeIdLj2EEdLi32ELi8ELi128ELi128ELi4ELi4ELi64ELi4ELi64ELc84ELc78ELb0ELb1ELb1EdKddEEviiiT16_PT17_ilS6_ilS4_S6_ilPT18_ili26rocblas_geam_ex_operation_: ; @_ZN12_GLOBAL__N_120geam_min_plus_kernelId15HIP_vector_typeIdLj2EEdLi32ELi8ELi128ELi128ELi4ELi4ELi64ELi4ELi64ELc84ELc78ELb0ELb1ELb1EdKddEEviiiT16_PT17_ilS6_ilS4_S6_ilPT18_ili26rocblas_geam_ex_operation_
; %bb.0:
	s_mov_b64 s[38:39], s[2:3]
	s_mov_b64 s[36:37], s[0:1]
	s_clause 0x1
	s_load_dwordx4 s[20:23], s[4:5], 0x10
	s_load_dwordx4 s[0:3], s[4:5], 0x28
	v_mov_b32_e32 v163, v1
	v_mov_b32_e32 v162, v0
	s_add_u32 s36, s36, s8
	s_addc_u32 s37, s37, 0
	s_mov_b64 s[24:25], 0
	s_waitcnt lgkmcnt(0)
	v_cmp_eq_f64_e64 s12, s[20:21], 0
	s_and_b32 vcc_lo, exec_lo, s12
	s_cbranch_vccnz .LBB167_2
; %bb.1:
	s_mul_i32 s1, s1, s7
	s_mul_hi_u32 s8, s0, s7
	s_mul_i32 s0, s0, s7
	s_add_i32 s1, s8, s1
	s_lshl_b64 s[0:1], s[0:1], 3
	s_add_u32 s24, s22, s0
	s_addc_u32 s25, s23, s1
.LBB167_2:
	s_clause 0x1
	s_load_dwordx4 s[8:11], s[4:5], 0x40
	s_load_dwordx2 s[0:1], s[4:5], 0x50
	s_andn2_b32 vcc_lo, exec_lo, s12
	s_mov_b32 s12, -1
	s_cbranch_vccnz .LBB167_4
; %bb.3:
	s_mov_b32 s12, 0
.LBB167_4:
	s_mov_b64 s[22:23], 0
	s_andn2_b32 vcc_lo, exec_lo, s12
	s_mov_b64 s[26:27], 0
	s_cbranch_vccnz .LBB167_6
; %bb.5:
	s_waitcnt lgkmcnt(0)
	s_mul_i32 s9, s9, s7
	s_mul_hi_u32 s12, s8, s7
	s_mul_i32 s8, s8, s7
	s_add_i32 s9, s12, s9
	s_lshl_b64 s[8:9], s[8:9], 3
	s_add_u32 s26, s2, s8
	s_addc_u32 s27, s3, s9
.LBB167_6:
	s_waitcnt lgkmcnt(0)
	v_cmp_eq_f64_e64 s2, s[10:11], 0
	v_cmp_neq_f64_e64 s8, s[10:11], 0
	s_load_dwordx4 s[16:19], s[4:5], 0x60
	s_and_b32 vcc_lo, exec_lo, s2
	s_cbranch_vccnz .LBB167_8
; %bb.7:
	s_waitcnt lgkmcnt(0)
	s_mul_i32 s2, s17, s7
	s_mul_hi_u32 s3, s16, s7
	s_add_i32 s3, s3, s2
	s_mul_i32 s2, s16, s7
	s_lshl_b64 s[2:3], s[2:3], 3
	s_add_u32 s22, s0, s2
	s_addc_u32 s23, s1, s3
.LBB167_8:
	s_clause 0x1
	s_load_dwordx4 s[12:15], s[4:5], 0x0
	s_load_dword s28, s[4:5], 0x20
	v_and_b32_e32 v1, 3, v162
	s_waitcnt lgkmcnt(0)
	v_cmp_eq_f64_e64 s17, s[20:21], 0
	buffer_store_dword v1, off, s[36:39], 0 offset:60 ; 4-byte Folded Spill
	s_add_i32 s0, s12, -1
	s_ashr_i32 s1, s0, 31
	s_lshr_b32 s1, s1, 25
	s_add_i32 s0, s0, s1
	s_ashr_i32 s0, s0, 7
	s_add_i32 s1, s0, 1
	s_not_b32 s0, s0
	v_cvt_f32_u32_e32 v0, s1
	v_rcp_iflag_f32_e32 v0, v0
	v_mul_f32_e32 v0, 0x4f7ffffe, v0
	v_cvt_u32_f32_e32 v0, v0
	v_readfirstlane_b32 s2, v0
	v_lshl_add_u32 v0, v163, 5, v162
	s_mul_i32 s0, s0, s2
	v_lshrrev_b32_e32 v12, 2, v0
	s_mul_hi_u32 s0, s2, s0
	s_add_i32 s2, s2, s0
	s_mul_hi_u32 s0, s6, s2
	s_mul_i32 s2, s0, s1
	s_add_i32 s3, s0, 1
	s_sub_i32 s2, s6, s2
	s_sub_i32 s9, s2, s1
	s_cmp_ge_u32 s2, s1
	s_cselect_b32 s0, s3, s0
	s_cselect_b32 s2, s9, s2
	s_add_i32 s3, s0, 1
	s_cmp_ge_u32 s2, s1
	s_cselect_b32 s2, s3, s0
	s_add_i32 s16, s14, -1
	s_mul_i32 s0, s2, s1
	v_min_i32_e32 v2, s16, v1
	s_sub_i32 s0, s6, s0
	v_cmp_le_i32_e64 s3, s14, v1
	s_lshl_b32 s9, s0, 7
	v_ashrrev_i32_e32 v3, 31, v2
	v_add_nc_u32_e32 v90, s9, v12
	v_lshlrev_b64 v[6:7], 3, v[2:3]
	v_cmp_le_i32_e32 vcc_lo, s12, v90
	v_add_co_u32 v8, s0, s24, v6
	v_add_co_ci_u32_e64 v9, null, s25, v7, s0
	s_or_b32 s0, s3, vcc_lo
	v_cndmask_b32_e64 v3, 0, 0x7fefffff, s0
	v_cndmask_b32_e64 v2, 0, -1, s0
	s_nor_b32 s0, s17, s0
	s_and_saveexec_b32 s1, s0
	s_cbranch_execz .LBB167_10
; %bb.9:
	v_mad_i64_i32 v[2:3], null, v90, s28, 0
	v_lshlrev_b64 v[2:3], 3, v[2:3]
	v_add_co_u32 v2, s0, v8, v2
	v_add_co_ci_u32_e64 v3, null, v9, v3, s0
	global_load_dwordx2 v[2:3], v[2:3], off
	s_waitcnt vmcnt(0)
	v_mul_f64 v[2:3], s[20:21], v[2:3]
.LBB167_10:
	s_or_b32 exec_lo, exec_lo, s1
	v_add_nc_u32_e32 v91, 64, v90
	v_cmp_le_i32_e64 s0, s12, v91
	s_or_b32 s1, s3, s0
	v_cndmask_b32_e64 v5, 0, 0x7fefffff, s1
	v_cndmask_b32_e64 v4, 0, -1, s1
	s_nor_b32 s1, s17, s1
	s_and_saveexec_b32 s6, s1
	s_cbranch_execz .LBB167_12
; %bb.11:
	v_mad_i64_i32 v[4:5], null, v91, s28, 0
	v_lshlrev_b64 v[4:5], 3, v[4:5]
	v_add_co_u32 v4, s1, v8, v4
	v_add_co_ci_u32_e64 v5, null, v9, v5, s1
	global_load_dwordx2 v[4:5], v[4:5], off
	s_waitcnt vmcnt(0)
	v_mul_f64 v[4:5], s[20:21], v[4:5]
.LBB167_12:
	s_or_b32 exec_lo, exec_lo, s6
	s_load_dword s29, s[4:5], 0x38
	s_lshl_b32 s15, s2, 7
	v_add_co_u32 v10, s2, s26, v6
	v_add_nc_u32_e32 v92, s15, v12
	v_add_co_ci_u32_e64 v11, null, s27, v7, s2
	v_cmp_le_i32_e64 s1, s13, v92
	s_or_b32 s2, s3, s1
	v_cndmask_b32_e64 v7, 0, 0x7fefffff, s2
	v_cndmask_b32_e64 v6, 0, -1, s2
	s_nor_b32 s2, s17, s2
	s_and_saveexec_b32 s6, s2
	s_cbranch_execz .LBB167_14
; %bb.13:
	s_waitcnt lgkmcnt(0)
	v_mad_i64_i32 v[6:7], null, v92, s29, 0
	v_lshlrev_b64 v[6:7], 3, v[6:7]
	v_add_co_u32 v6, s2, v10, v6
	v_add_co_ci_u32_e64 v7, null, v11, v7, s2
	global_load_dwordx2 v[6:7], v[6:7], off
	s_waitcnt vmcnt(0)
	v_mul_f64 v[6:7], s[20:21], v[6:7]
.LBB167_14:
	s_or_b32 exec_lo, exec_lo, s6
	v_add_nc_u32_e32 v93, 64, v92
	v_cmp_le_i32_e64 s2, s13, v93
	s_or_b32 s3, s3, s2
	v_cndmask_b32_e64 v9, 0, 0x7fefffff, s3
	v_cndmask_b32_e64 v8, 0, -1, s3
	s_nor_b32 s3, s17, s3
	s_and_saveexec_b32 s6, s3
	s_cbranch_execz .LBB167_16
; %bb.15:
	s_waitcnt lgkmcnt(0)
	v_mad_i64_i32 v[8:9], null, v93, s29, 0
	v_lshlrev_b64 v[8:9], 3, v[8:9]
	v_add_co_u32 v8, s3, v10, v8
	v_add_co_ci_u32_e64 v9, null, v11, v9, s3
	global_load_dwordx2 v[8:9], v[8:9], off
	s_waitcnt vmcnt(0)
	v_mul_f64 v[8:9], s[20:21], v[8:9]
.LBB167_16:
	s_or_b32 exec_lo, exec_lo, s6
	v_and_b32_e32 v0, 3, v162
	v_or_b32_e32 v0, 4, v0
	v_min_i32_e32 v10, s16, v0
	v_cmp_le_i32_e64 s3, s14, v0
	v_ashrrev_i32_e32 v11, 31, v10
	s_or_b32 s30, s3, vcc_lo
	v_cndmask_b32_e64 v87, 0, 0x7fefffff, s30
	v_cndmask_b32_e64 v86, 0, -1, s30
	v_lshlrev_b64 v[10:11], 3, v[10:11]
	v_add_co_u32 v13, s6, s24, v10
	v_add_co_ci_u32_e64 v14, null, s25, v11, s6
	s_nor_b32 s6, s17, s30
	s_and_saveexec_b32 s30, s6
	s_cbranch_execz .LBB167_18
; %bb.17:
	v_mad_i64_i32 v[15:16], null, v90, s28, 0
	v_lshlrev_b64 v[15:16], 3, v[15:16]
	v_add_co_u32 v15, s6, v13, v15
	v_add_co_ci_u32_e64 v16, null, v14, v16, s6
	global_load_dwordx2 v[15:16], v[15:16], off
	s_waitcnt vmcnt(0)
	v_mul_f64 v[86:87], s[20:21], v[15:16]
.LBB167_18:
	s_or_b32 exec_lo, exec_lo, s30
	s_or_b32 s6, s3, s0
	v_cndmask_b32_e64 v89, 0, 0x7fefffff, s6
	v_cndmask_b32_e64 v88, 0, -1, s6
	s_nor_b32 s6, s17, s6
	s_and_saveexec_b32 s30, s6
	s_cbranch_execz .LBB167_20
; %bb.19:
	v_mad_i64_i32 v[15:16], null, v91, s28, 0
	v_lshlrev_b64 v[15:16], 3, v[15:16]
	v_add_co_u32 v13, s6, v13, v15
	v_add_co_ci_u32_e64 v14, null, v14, v16, s6
	global_load_dwordx2 v[13:14], v[13:14], off
	s_waitcnt vmcnt(0)
	v_mul_f64 v[88:89], s[20:21], v[13:14]
.LBB167_20:
	s_or_b32 exec_lo, exec_lo, s30
	v_add_co_u32 v10, s6, s26, v10
	v_add_co_ci_u32_e64 v11, null, s27, v11, s6
	s_or_b32 s6, s3, s1
	v_cndmask_b32_e64 v83, 0, 0x7fefffff, s6
	v_cndmask_b32_e64 v82, 0, -1, s6
	s_nor_b32 s6, s17, s6
	s_and_saveexec_b32 s30, s6
	s_cbranch_execz .LBB167_22
; %bb.21:
	s_waitcnt lgkmcnt(0)
	v_mad_i64_i32 v[13:14], null, v92, s29, 0
	v_lshlrev_b64 v[13:14], 3, v[13:14]
	v_add_co_u32 v13, s6, v10, v13
	v_add_co_ci_u32_e64 v14, null, v11, v14, s6
	global_load_dwordx2 v[13:14], v[13:14], off
	s_waitcnt vmcnt(0)
	v_mul_f64 v[82:83], s[20:21], v[13:14]
.LBB167_22:
	s_or_b32 exec_lo, exec_lo, s30
	s_or_b32 s3, s3, s2
	v_cndmask_b32_e64 v85, 0, 0x7fefffff, s3
	v_cndmask_b32_e64 v84, 0, -1, s3
	s_nor_b32 s3, s17, s3
	s_and_saveexec_b32 s6, s3
	s_cbranch_execz .LBB167_24
; %bb.23:
	s_waitcnt lgkmcnt(0)
	v_mad_i64_i32 v[13:14], null, v93, s29, 0
	v_lshlrev_b64 v[13:14], 3, v[13:14]
	v_add_co_u32 v10, s3, v10, v13
	v_add_co_ci_u32_e64 v11, null, v11, v14, s3
	global_load_dwordx2 v[10:11], v[10:11], off
	s_waitcnt vmcnt(0)
	v_mul_f64 v[84:85], s[20:21], v[10:11]
.LBB167_24:
	s_or_b32 exec_lo, exec_lo, s6
	v_lshlrev_b32_e32 v0, 5, v12
	v_and_b32_e32 v1, 3, v162
	v_lshlrev_b32_e32 v158, 5, v162
	v_lshlrev_b32_e32 v164, 5, v163
	s_cmp_lt_i32 s14, 9
	v_lshl_or_b32 v165, v1, 3, v0
	ds_write2st64_b64 v165, v[2:3], v[4:5] offset1:4
	ds_write2st64_b64 v165, v[6:7], v[8:9] offset0:16 offset1:20
	s_waitcnt lgkmcnt(0)
	s_waitcnt_vscnt null, 0x0
	s_barrier
	buffer_gl0_inv
	ds_read_b128 v[6:9], v158 offset:1024
	ds_read_b128 v[10:13], v158 offset:2048
	;; [unrolled: 1-line block ×18, first 2 shown]
	ds_read_b128 v[94:97], v158
	ds_read_b128 v[2:5], v158 offset:16
	ds_read_b128 v[98:101], v164 offset:8192
	;; [unrolled: 1-line block ×3, first 2 shown]
	s_waitcnt lgkmcnt(1)
	v_add_f64 v[102:103], v[96:97], v[100:101]
	v_add_f64 v[104:105], v[94:95], v[98:99]
	s_waitcnt lgkmcnt(0)
	v_add_f64 v[160:161], v[2:3], v[18:19]
	v_cvt_f32_f64_e32 v1, v[102:103]
	v_cvt_f32_f64_e32 v0, v[104:105]
	v_add_f64 v[102:103], v[8:9], v[100:101]
	v_add_f64 v[104:105], v[6:7], v[98:99]
	v_min3_f32 v157, v0, v1, 0x7f800000
	v_cvt_f32_f64_e32 v1, v[102:103]
	v_cvt_f32_f64_e32 v0, v[104:105]
	v_add_f64 v[102:103], v[12:13], v[100:101]
	v_add_f64 v[104:105], v[10:11], v[98:99]
	;; [unrolled: 1-line block ×4, first 2 shown]
	v_min3_f32 v156, v0, v1, 0x7f800000
	v_cvt_f32_f64_e32 v1, v[102:103]
	v_cvt_f32_f64_e32 v0, v[104:105]
	v_min3_f32 v155, v0, v1, 0x7f800000
	v_cvt_f32_f64_e32 v0, v[98:99]
	v_cvt_f32_f64_e32 v1, v[100:101]
	v_add_f64 v[98:99], v[96:97], v[24:25]
	v_add_f64 v[100:101], v[94:95], v[22:23]
	v_min3_f32 v154, v0, v1, 0x7f800000
	v_cvt_f32_f64_e32 v1, v[98:99]
	v_cvt_f32_f64_e32 v0, v[100:101]
	v_add_f64 v[98:99], v[8:9], v[24:25]
	v_add_f64 v[100:101], v[6:7], v[22:23]
	;; [unrolled: 5-line block ×3, first 2 shown]
	v_add_f64 v[24:25], v[16:17], v[24:25]
	v_add_f64 v[22:23], v[14:15], v[22:23]
	v_min3_f32 v152, v0, v1, 0x7f800000
	v_cvt_f32_f64_e32 v1, v[98:99]
	v_cvt_f32_f64_e32 v0, v[100:101]
	v_min3_f32 v151, v0, v1, 0x7f800000
	v_cvt_f32_f64_e32 v0, v[22:23]
	v_cvt_f32_f64_e32 v1, v[24:25]
	v_add_f64 v[22:23], v[96:97], v[28:29]
	v_add_f64 v[24:25], v[94:95], v[26:27]
	v_min3_f32 v150, v0, v1, 0x7f800000
	v_cvt_f32_f64_e32 v1, v[22:23]
	v_cvt_f32_f64_e32 v0, v[24:25]
	v_add_f64 v[22:23], v[8:9], v[28:29]
	v_add_f64 v[24:25], v[6:7], v[26:27]
	;; [unrolled: 5-line block ×50, first 2 shown]
	v_add_f64 v[8:9], v[8:9], v[80:81]
	v_add_f64 v[6:7], v[6:7], v[78:79]
	v_min3_f32 v101, v0, v1, 0x7f800000
	v_cvt_f32_f64_e32 v1, v[22:23]
	v_cvt_f32_f64_e32 v0, v[24:25]
	v_add_f64 v[22:23], v[12:13], v[76:77]
	v_add_f64 v[24:25], v[10:11], v[74:75]
	v_min3_f32 v100, v0, v1, 0x7f800000
	v_cvt_f32_f64_e32 v1, v[22:23]
	v_cvt_f32_f64_e32 v0, v[24:25]
	;; [unrolled: 5-line block ×4, first 2 shown]
	v_min3_f32 v97, v0, v1, 0x7f800000
	v_cvt_f32_f64_e32 v0, v[6:7]
	v_cvt_f32_f64_e32 v1, v[8:9]
	v_add_f64 v[6:7], v[12:13], v[80:81]
	v_add_f64 v[8:9], v[10:11], v[78:79]
	v_min3_f32 v96, v0, v1, 0x7f800000
	v_cvt_f32_f64_e32 v1, v[6:7]
	v_cvt_f32_f64_e32 v0, v[8:9]
	v_add_f64 v[6:7], v[16:17], v[80:81]
	v_add_f64 v[8:9], v[14:15], v[78:79]
	ds_read_b128 v[14:17], v158 offset:1040
	ds_read_b128 v[10:13], v158 offset:2064
	buffer_store_dword v158, off, s[36:39], 0 offset:56 ; 4-byte Folded Spill
	v_min3_f32 v95, v0, v1, 0x7f800000
	v_cvt_f32_f64_e32 v1, v[6:7]
	v_cvt_f32_f64_e32 v0, v[8:9]
	ds_read_b128 v[6:9], v158 offset:3088
	ds_read_b128 v[78:81], v164 offset:8464
	;; [unrolled: 1-line block ×16, first 2 shown]
	v_add_f64 v[158:159], v[4:5], v[20:21]
	v_min3_f32 v94, v0, v1, 0x7f800000
	v_cvt_f32_f64_e32 v0, v[160:161]
	v_cvt_f32_f64_e32 v1, v[158:159]
	s_waitcnt lgkmcnt(17)
	v_add_f64 v[159:160], v[14:15], v[18:19]
	v_min3_f32 v222, v0, v1, v157
	v_add_f64 v[157:158], v[16:17], v[20:21]
	v_cvt_f32_f64_e32 v0, v[159:160]
	v_cvt_f32_f64_e32 v1, v[157:158]
	s_waitcnt lgkmcnt(16)
	v_add_f64 v[158:159], v[10:11], v[18:19]
	s_waitcnt lgkmcnt(15)
	v_add_f64 v[18:19], v[6:7], v[18:19]
	v_min3_f32 v221, v0, v1, v156
	v_add_f64 v[156:157], v[12:13], v[20:21]
	v_cvt_f32_f64_e32 v0, v[158:159]
	v_add_f64 v[20:21], v[8:9], v[20:21]
	v_cvt_f32_f64_e32 v1, v[156:157]
	v_min3_f32 v220, v0, v1, v155
	v_cvt_f32_f64_e32 v0, v[18:19]
	v_cvt_f32_f64_e32 v1, v[20:21]
	s_waitcnt lgkmcnt(14)
	v_add_f64 v[18:19], v[4:5], v[80:81]
	v_add_f64 v[20:21], v[2:3], v[78:79]
	v_min3_f32 v219, v0, v1, v154
	v_cvt_f32_f64_e32 v1, v[18:19]
	v_cvt_f32_f64_e32 v0, v[20:21]
	v_add_f64 v[18:19], v[16:17], v[80:81]
	v_add_f64 v[20:21], v[14:15], v[78:79]
	v_min3_f32 v244, v0, v1, v153
	v_cvt_f32_f64_e32 v1, v[18:19]
	v_cvt_f32_f64_e32 v0, v[20:21]
	v_add_f64 v[18:19], v[12:13], v[80:81]
	v_add_f64 v[20:21], v[10:11], v[78:79]
	v_min3_f32 v243, v0, v1, v152
	v_cvt_f32_f64_e32 v1, v[18:19]
	v_cvt_f32_f64_e32 v0, v[20:21]
	v_add_f64 v[18:19], v[8:9], v[80:81]
	v_add_f64 v[20:21], v[6:7], v[78:79]
	v_min3_f32 v242, v0, v1, v151
	v_cvt_f32_f64_e32 v1, v[18:19]
	v_cvt_f32_f64_e32 v0, v[20:21]
	s_waitcnt lgkmcnt(13)
	v_add_f64 v[18:19], v[4:5], v[76:77]
	v_add_f64 v[20:21], v[2:3], v[74:75]
	v_min3_f32 v241, v0, v1, v150
	v_cvt_f32_f64_e32 v1, v[18:19]
	v_cvt_f32_f64_e32 v0, v[20:21]
	v_add_f64 v[18:19], v[16:17], v[76:77]
	v_add_f64 v[20:21], v[14:15], v[74:75]
	v_min3_f32 v240, v0, v1, v149
	v_cvt_f32_f64_e32 v1, v[18:19]
	v_cvt_f32_f64_e32 v0, v[20:21]
	v_add_f64 v[18:19], v[12:13], v[76:77]
	v_add_f64 v[20:21], v[10:11], v[74:75]
	v_min3_f32 v239, v0, v1, v148
	v_cvt_f32_f64_e32 v1, v[18:19]
	v_cvt_f32_f64_e32 v0, v[20:21]
	v_add_f64 v[18:19], v[8:9], v[76:77]
	v_add_f64 v[20:21], v[6:7], v[74:75]
	;; [unrolled: 21-line block ×10, first 2 shown]
	v_min3_f32 v212, v0, v1, v115
	v_cvt_f32_f64_e32 v1, v[18:19]
	v_cvt_f32_f64_e32 v0, v[20:21]
	s_waitcnt lgkmcnt(4)
	v_add_f64 v[18:19], v[4:5], v[40:41]
	v_add_f64 v[20:21], v[2:3], v[38:39]
	v_min3_f32 v210, v0, v1, v114
	v_cvt_f32_f64_e32 v1, v[18:19]
	v_cvt_f32_f64_e32 v0, v[20:21]
	v_add_f64 v[18:19], v[16:17], v[40:41]
	v_add_f64 v[20:21], v[14:15], v[38:39]
	v_min3_f32 v0, v0, v1, v113
	v_cvt_f32_f64_e32 v1, v[18:19]
	v_add_f64 v[18:19], v[12:13], v[40:41]
	buffer_store_dword v0, off, s[36:39], 0 ; 4-byte Folded Spill
	v_cvt_f32_f64_e32 v0, v[20:21]
	v_add_f64 v[20:21], v[10:11], v[38:39]
	ds_write2st64_b64 v165, v[86:87], v[88:89] offset0:8 offset1:12
	ds_write2st64_b64 v165, v[82:83], v[84:85] offset0:24 offset1:28
	s_waitcnt lgkmcnt(0)
	s_waitcnt_vscnt null, 0x0
	s_barrier
	buffer_gl0_inv
	buffer_store_dword v162, off, s[36:39], 0 offset:104 ; 4-byte Folded Spill
	buffer_store_dword v163, off, s[36:39], 0 offset:108 ; 4-byte Folded Spill
	;; [unrolled: 1-line block ×3, first 2 shown]
	v_min3_f32 v200, v0, v1, v112
	v_cvt_f32_f64_e32 v0, v[20:21]
	v_cvt_f32_f64_e32 v1, v[18:19]
	v_add_f64 v[18:19], v[8:9], v[40:41]
	v_add_f64 v[20:21], v[6:7], v[38:39]
	v_min3_f32 v199, v0, v1, v111
	v_cvt_f32_f64_e32 v1, v[18:19]
	v_cvt_f32_f64_e32 v0, v[20:21]
	v_add_f64 v[18:19], v[4:5], v[36:37]
	v_add_f64 v[20:21], v[2:3], v[34:35]
	;; [unrolled: 5-line block ×10, first 2 shown]
	v_add_f64 v[4:5], v[4:5], v[24:25]
	v_add_f64 v[2:3], v[2:3], v[22:23]
	v_min3_f32 v190, v0, v1, v102
	v_cvt_f32_f64_e32 v1, v[18:19]
	v_cvt_f32_f64_e32 v0, v[20:21]
	v_add_f64 v[18:19], v[16:17], v[28:29]
	v_add_f64 v[20:21], v[14:15], v[26:27]
	v_min3_f32 v189, v0, v1, v101
	v_cvt_f32_f64_e32 v1, v[18:19]
	v_cvt_f32_f64_e32 v0, v[20:21]
	v_add_f64 v[18:19], v[12:13], v[28:29]
	v_add_f64 v[20:21], v[10:11], v[26:27]
	v_min3_f32 v188, v0, v1, v100
	v_cvt_f32_f64_e32 v1, v[18:19]
	v_cvt_f32_f64_e32 v0, v[20:21]
	v_add_f64 v[18:19], v[8:9], v[28:29]
	v_add_f64 v[20:21], v[6:7], v[26:27]
	v_min3_f32 v187, v0, v1, v99
	v_cvt_f32_f64_e32 v1, v[18:19]
	v_cvt_f32_f64_e32 v0, v[20:21]
	v_min3_f32 v186, v0, v1, v98
	v_cvt_f32_f64_e32 v0, v[2:3]
	v_cvt_f32_f64_e32 v1, v[4:5]
	v_add_f64 v[2:3], v[16:17], v[24:25]
	v_add_f64 v[4:5], v[14:15], v[22:23]
	v_min3_f32 v185, v0, v1, v97
	v_cvt_f32_f64_e32 v1, v[2:3]
	v_cvt_f32_f64_e32 v0, v[4:5]
	v_add_f64 v[2:3], v[12:13], v[24:25]
	v_add_f64 v[4:5], v[10:11], v[22:23]
	;; [unrolled: 5-line block ×3, first 2 shown]
	v_min3_f32 v183, v0, v1, v95
	v_cvt_f32_f64_e32 v1, v[2:3]
	v_cvt_f32_f64_e32 v0, v[4:5]
	v_min3_f32 v182, v0, v1, v94
	s_cbranch_scc1 .LBB167_43
; %bb.25:
	v_mad_i64_i32 v[2:3], null, v90, s28, 0
	v_lshl_add_u32 v0, v162, 5, 0x1000
	v_mad_i64_i32 v[4:5], null, v91, s28, 0
	v_mad_i64_i32 v[6:7], null, v92, s29, 0
	buffer_store_dword v0, off, s[36:39], 0 offset:68 ; 4-byte Folded Spill
	v_lshlrev_b64 v[0:1], 3, v[2:3]
	v_mad_i64_i32 v[8:9], null, v93, s29, 0
	v_or_b32_e32 v202, 0x2000, v164
	v_lshl_add_u32 v204, v163, 5, 0x3000
	s_add_i32 s28, s14, -8
	buffer_store_dword v0, off, s[36:39], 0 offset:72 ; 4-byte Folded Spill
	buffer_store_dword v1, off, s[36:39], 0 offset:76 ; 4-byte Folded Spill
	v_lshlrev_b64 v[0:1], 3, v[4:5]
	s_mov_b32 s29, 0
	buffer_store_dword v0, off, s[36:39], 0 offset:80 ; 4-byte Folded Spill
	buffer_store_dword v1, off, s[36:39], 0 offset:84 ; 4-byte Folded Spill
	v_lshlrev_b64 v[0:1], 3, v[6:7]
	buffer_store_dword v0, off, s[36:39], 0 offset:88 ; 4-byte Folded Spill
	buffer_store_dword v1, off, s[36:39], 0 offset:92 ; 4-byte Folded Spill
	v_lshlrev_b64 v[0:1], 3, v[8:9]
	buffer_store_dword v0, off, s[36:39], 0 offset:96 ; 4-byte Folded Spill
	buffer_store_dword v1, off, s[36:39], 0 offset:100 ; 4-byte Folded Spill
	;; [unrolled: 1-line block ×3, first 2 shown]
	s_branch .LBB167_27
.LBB167_26:                             ;   in Loop: Header=BB167_27 Depth=1
	s_or_b32 exec_lo, exec_lo, s6
	v_add_f64 v[249:250], v[100:101], v[160:161]
	v_add_f64 v[251:252], v[98:99], v[158:159]
	;; [unrolled: 1-line block ×24, first 2 shown]
	v_cvt_f32_f64_e32 v251, v[251:252]
	v_cvt_f32_f64_e32 v162, v[162:163]
	;; [unrolled: 1-line block ×10, first 2 shown]
	v_add_f64 v[0:1], v[98:99], v[146:147]
	v_cvt_f32_f64_e32 v249, v[249:250]
	v_cvt_f32_f64_e32 v186, v[150:151]
	v_add_f64 v[150:151], v[100:101], v[148:149]
	v_cvt_f32_f64_e32 v160, v[168:169]
	v_cvt_f32_f64_e32 v167, v[178:179]
	;; [unrolled: 1-line block ×12, first 2 shown]
	v_min3_f32 v152, v162, v163, v221
	v_add_f64 v[162:163], v[96:97], v[148:149]
	v_min3_f32 v154, v158, v159, v219
	v_add_f64 v[190:191], v[100:101], v[140:141]
	v_add_f64 v[192:193], v[98:99], v[138:139]
	;; [unrolled: 1-line block ×3, first 2 shown]
	v_cvt_f32_f64_e32 v0, v[0:1]
	v_min3_f32 v153, v164, v165, v220
	v_add_f64 v[164:165], v[88:89], v[148:149]
	v_cvt_f32_f64_e32 v1, v[150:151]
	v_min3_f32 v151, v251, v249, v222
	v_min3_f32 v155, v160, v161, v244
	v_min3_f32 v156, v166, v167, v243
	v_add_f64 v[166:167], v[86:87], v[146:147]
	v_min3_f32 v157, v168, v169, v242
	v_min3_f32 v158, v178, v179, v241
	;; [unrolled: 1-line block ×3, first 2 shown]
	v_add_f64 v[178:179], v[100:101], v[144:145]
	v_min3_f32 v160, v182, v183, v239
	v_add_f64 v[180:181], v[98:99], v[142:143]
	v_min3_f32 v161, v184, v185, v238
	v_min3_f32 v249, v186, v187, v224
	v_add_f64 v[182:183], v[96:97], v[144:145]
	v_add_f64 v[184:185], v[94:95], v[142:143]
	;; [unrolled: 1-line block ×9, first 2 shown]
	v_min3_f32 v150, v0, v1, v236
	v_add_f64 v[0:1], v[94:95], v[146:147]
	v_add_f64 v[146:147], v[82:83], v[146:147]
	;; [unrolled: 1-line block ×5, first 2 shown]
	v_cvt_f32_f64_e32 v149, v[166:167]
	v_add_f64 v[166:167], v[94:95], v[130:131]
	v_cvt_f32_f64_e32 v178, v[178:179]
	s_add_i32 s29, s29, 8
	v_cvt_f32_f64_e32 v180, v[180:181]
	s_cmp_ge_i32 s29, s28
	v_cvt_f32_f64_e32 v181, v[182:183]
	v_cvt_f32_f64_e32 v179, v[184:185]
	;; [unrolled: 1-line block ×6, first 2 shown]
	v_add_f64 v[140:141], v[94:95], v[134:135]
	v_add_f64 v[144:145], v[86:87], v[134:135]
	v_cvt_f32_f64_e32 v242, v[168:169]
	v_cvt_f32_f64_e32 v182, v[188:189]
	;; [unrolled: 1-line block ×5, first 2 shown]
	v_add_f64 v[146:147], v[88:89], v[136:137]
	v_cvt_f32_f64_e32 v184, v[142:143]
	v_cvt_f32_f64_e32 v189, v[194:195]
	v_add_f64 v[142:143], v[96:97], v[136:137]
	v_add_f64 v[162:163], v[98:99], v[130:131]
	;; [unrolled: 1-line block ×3, first 2 shown]
	v_cvt_f32_f64_e32 v187, v[190:191]
	v_cvt_f32_f64_e32 v188, v[196:197]
	;; [unrolled: 1-line block ×4, first 2 shown]
	v_add_f64 v[138:139], v[100:101], v[136:137]
	v_add_f64 v[136:137], v[84:85], v[136:137]
	v_cvt_f32_f64_e32 v190, v[240:241]
	v_cvt_f32_f64_e32 v196, v[140:141]
	;; [unrolled: 1-line block ×3, first 2 shown]
	v_add_f64 v[140:141], v[94:95], v[126:127]
	v_min3_f32 v148, v0, v1, v235
	v_add_f64 v[0:1], v[98:99], v[134:135]
	v_add_f64 v[134:135], v[82:83], v[134:135]
	v_cvt_f32_f64_e32 v235, v[164:165]
	v_add_f64 v[164:165], v[100:101], v[132:133]
	v_cvt_f32_f64_e32 v145, v[146:147]
	v_cvt_f32_f64_e32 v197, v[142:143]
	;; [unrolled: 1-line block ×3, first 2 shown]
	v_add_f64 v[142:143], v[96:97], v[128:129]
	v_add_f64 v[162:163], v[88:89], v[128:129]
	v_min3_f32 v229, v236, v242, v229
	v_cvt_f32_f64_e32 v195, v[138:139]
	v_cvt_f32_f64_e32 v147, v[136:137]
	v_add_f64 v[136:137], v[98:99], v[126:127]
	v_add_f64 v[138:139], v[100:101], v[128:129]
	v_cvt_f32_f64_e32 v243, v[140:141]
	v_cvt_f32_f64_e32 v194, v[0:1]
	;; [unrolled: 1-line block ×3, first 2 shown]
	v_add_f64 v[0:1], v[86:87], v[130:131]
	v_add_f64 v[134:135], v[88:89], v[132:133]
	;; [unrolled: 1-line block ×4, first 2 shown]
	v_cvt_f32_f64_e32 v164, v[164:165]
	v_cvt_f32_f64_e32 v165, v[166:167]
	;; [unrolled: 1-line block ×4, first 2 shown]
	v_min3_f32 v140, v144, v145, v225
	v_min3_f32 v149, v149, v235, v223
	v_cvt_f32_f64_e32 v240, v[136:137]
	v_cvt_f32_f64_e32 v241, v[138:139]
	v_min3_f32 v136, v190, v191, v216
	v_min3_f32 v137, v192, v193, v215
	v_add_f64 v[215:216], v[96:97], v[116:117]
	v_min3_f32 v139, v196, v197, v227
	v_add_f64 v[190:191], v[88:89], v[120:121]
	v_add_f64 v[192:193], v[98:99], v[114:115]
	;; [unrolled: 1-line block ×3, first 2 shown]
	v_min3_f32 v138, v194, v195, v228
	v_add_f64 v[194:195], v[100:101], v[116:117]
	v_cvt_f32_f64_e32 v167, v[0:1]
	v_cvt_f32_f64_e32 v168, v[134:135]
	;; [unrolled: 1-line block ×4, first 2 shown]
	v_add_f64 v[0:1], v[86:87], v[126:127]
	v_min3_f32 v130, v180, v178, v226
	v_min3_f32 v131, v179, v181, v246
	;; [unrolled: 1-line block ×6, first 2 shown]
	v_cvt_f32_f64_e32 v218, v[162:163]
	v_add_f64 v[162:163], v[100:101], v[124:125]
	v_add_f64 v[164:165], v[94:95], v[122:123]
	v_add_f64 v[178:179], v[88:89], v[124:125]
	v_min3_f32 v132, v182, v183, v237
	v_min3_f32 v133, v184, v185, v234
	v_add_f64 v[180:181], v[98:99], v[118:119]
	v_add_f64 v[182:183], v[100:101], v[120:121]
	;; [unrolled: 1-line block ×6, first 2 shown]
	v_min3_f32 v144, v167, v168, v231
	v_add_f64 v[166:167], v[96:97], v[124:125]
	v_min3_f32 v145, v169, v239, v230
	v_cvt_f32_f64_e32 v217, v[0:1]
	v_add_f64 v[0:1], v[82:83], v[126:127]
	v_add_f64 v[126:127], v[84:85], v[128:129]
	v_add_f64 v[128:129], v[98:99], v[122:123]
	v_add_f64 v[168:169], v[86:87], v[122:123]
	v_add_f64 v[122:123], v[82:83], v[122:123]
	v_add_f64 v[124:125], v[84:85], v[124:125]
	v_add_f64 v[120:121], v[84:85], v[120:121]
	v_cvt_f32_f64_e32 v222, v[162:163]
	v_add_f64 v[162:163], v[84:85], v[116:117]
	v_cvt_f32_f64_e32 v226, v[178:179]
	v_add_f64 v[178:179], v[96:97], v[112:113]
	v_cvt_f32_f64_e32 v223, v[164:165]
	v_cvt_f32_f64_e32 v227, v[180:181]
	;; [unrolled: 1-line block ×13, first 2 shown]
	v_add_f64 v[126:127], v[88:89], v[116:117]
	v_cvt_f32_f64_e32 v192, v[215:216]
	v_cvt_f32_f64_e32 v122, v[122:123]
	;; [unrolled: 1-line block ×4, first 2 shown]
	v_add_f64 v[0:1], v[86:87], v[114:115]
	v_cvt_f32_f64_e32 v221, v[128:129]
	v_cvt_f32_f64_e32 v224, v[166:167]
	;; [unrolled: 1-line block ×3, first 2 shown]
	v_add_f64 v[128:129], v[82:83], v[114:115]
	v_add_f64 v[164:165], v[98:99], v[110:111]
	;; [unrolled: 1-line block ×6, first 2 shown]
	v_cvt_f32_f64_e32 v195, v[178:179]
	v_add_f64 v[178:179], v[100:101], v[104:105]
	v_min3_f32 v119, v184, v185, v201
	v_add_f64 v[184:185], v[86:87], v[102:103]
	v_min3_f32 v120, v186, v187, v212
	;; [unrolled: 2-line block ×3, first 2 shown]
	v_min3_f32 v146, v240, v241, v214
	v_min3_f32 v147, v243, v244, v213
	;; [unrolled: 1-line block ×4, first 2 shown]
	buffer_load_dword v122, off, s[36:39], 0 ; 4-byte Folded Reload
	v_min3_f32 v121, v188, v121, v210
	v_min3_f32 v123, v191, v192, v200
	v_cvt_f32_f64_e32 v188, v[0:1]
	v_cvt_f32_f64_e32 v191, v[162:163]
	v_add_f64 v[0:1], v[82:83], v[110:111]
	v_add_f64 v[110:111], v[84:85], v[112:113]
	;; [unrolled: 1-line block ×4, first 2 shown]
	v_cvt_f32_f64_e32 v192, v[164:165]
	v_cvt_f32_f64_e32 v194, v[168:169]
	;; [unrolled: 1-line block ×3, first 2 shown]
	v_add_f64 v[164:165], v[86:87], v[106:107]
	v_add_f64 v[168:169], v[98:99], v[102:103]
	;; [unrolled: 1-line block ×4, first 2 shown]
	v_cvt_f32_f64_e32 v197, v[182:183]
	v_add_f64 v[182:183], v[96:97], v[104:105]
	v_cvt_f32_f64_e32 v193, v[166:167]
	v_add_f64 v[166:167], v[88:89], v[108:109]
	v_add_f64 v[104:105], v[84:85], v[104:105]
	;; [unrolled: 1-line block ×4, first 2 shown]
	v_min3_f32 v125, v219, v220, v209
	v_min3_f32 v114, v221, v222, v208
	;; [unrolled: 1-line block ×4, first 2 shown]
	v_cvt_f32_f64_e32 v200, v[0:1]
	v_cvt_f32_f64_e32 v110, v[110:111]
	;; [unrolled: 1-line block ×3, first 2 shown]
	v_add_f64 v[0:1], v[86:87], v[90:91]
	v_min3_f32 v116, v225, v226, v171
	s_waitcnt vmcnt(0)
	v_min3_f32 v122, v189, v190, v122
	v_cvt_f32_f64_e32 v189, v[126:127]
	v_add_f64 v[126:127], v[100:101], v[108:109]
	v_add_f64 v[100:101], v[100:101], v[92:93]
	v_cvt_f32_f64_e32 v190, v[128:129]
	v_add_f64 v[128:129], v[94:95], v[106:107]
	v_add_f64 v[106:107], v[82:83], v[106:107]
	;; [unrolled: 1-line block ×4, first 2 shown]
	v_cvt_f32_f64_e32 v112, v[126:127]
	v_cvt_f32_f64_e32 v126, v[162:163]
	;; [unrolled: 1-line block ×4, first 2 shown]
	v_add_f64 v[100:101], v[82:83], v[90:91]
	buffer_load_dword v82, off, s[36:39], 0 offset:36 ; 4-byte Folded Reload
	v_cvt_f32_f64_e32 v127, v[164:165]
	v_cvt_f32_f64_e32 v163, v[180:181]
	;; [unrolled: 1-line block ×6, first 2 shown]
	v_add_f64 v[102:103], v[84:85], v[92:93]
	v_cvt_f32_f64_e32 v165, v[184:185]
	v_cvt_f32_f64_e32 v166, v[186:187]
	;; [unrolled: 1-line block ×9, first 2 shown]
	v_add_f64 v[98:99], v[88:89], v[92:93]
	v_add_f64 v[104:105], v[2:3], v[78:79]
	;; [unrolled: 1-line block ×3, first 2 shown]
	v_min3_f32 v94, v200, v110, v247
	v_min3_f32 v95, v111, v112, v206
	v_cvt_f32_f64_e32 v182, v[100:101]
	v_add_f64 v[100:101], v[10:11], v[78:79]
	v_add_f64 v[110:111], v[8:9], v[76:77]
	v_min3_f32 v96, v188, v189, v199
	v_min3_f32 v89, v113, v126, v170
	;; [unrolled: 1-line block ×3, first 2 shown]
	v_add_f64 v[112:113], v[10:11], v[74:75]
	v_cvt_f32_f64_e32 v183, v[102:103]
	v_add_f64 v[102:103], v[12:13], v[80:81]
	v_add_f64 v[126:127], v[12:13], v[76:77]
	v_min3_f32 v91, v192, v193, v255
	v_min3_f32 v88, v109, v162, v174
	;; [unrolled: 1-line block ×5, first 2 shown]
	v_add_f64 v[108:109], v[6:7], v[74:75]
	v_add_f64 v[128:129], v[2:3], v[70:71]
	v_cvt_f32_f64_e32 v181, v[98:99]
	v_cvt_f32_f64_e32 v184, v[104:105]
	;; [unrolled: 1-line block ×3, first 2 shown]
	v_add_f64 v[98:99], v[8:9], v[80:81]
	v_add_f64 v[80:81], v[16:17], v[80:81]
	;; [unrolled: 1-line block ×6, first 2 shown]
	v_min3_f32 v93, v196, v197, v248
	v_cvt_f32_f64_e32 v98, v[98:99]
	v_cvt_f32_f64_e32 v99, v[100:101]
	;; [unrolled: 1-line block ×12, first 2 shown]
	v_add_f64 v[74:75], v[8:9], v[68:69]
	v_add_f64 v[76:77], v[10:11], v[66:67]
	;; [unrolled: 1-line block ×3, first 2 shown]
	v_cvt_f32_f64_e32 v188, v[104:105]
	v_min3_f32 v102, v184, v185, v151
	v_min3_f32 v104, v99, v100, v153
	;; [unrolled: 1-line block ×5, first 2 shown]
	v_add_f64 v[157:158], v[4:5], v[56:57]
	v_min3_f32 v106, v188, v106, v155
	v_add_f64 v[155:156], v[2:3], v[54:55]
	v_cvt_f32_f64_e32 v155, v[155:156]
	v_cvt_f32_f64_e32 v156, v[157:158]
	v_min3_f32 v213, v155, v156, v138
	s_waitcnt vmcnt(0)
	v_min3_f32 v85, v163, v164, v82
	buffer_load_dword v82, off, s[36:39], 0 offset:24 ; 4-byte Folded Reload
	v_add_f64 v[162:163], v[4:5], v[72:73]
	v_cvt_f32_f64_e32 v126, v[162:163]
	v_min3_f32 v110, v113, v126, v159
	s_waitcnt vmcnt(0)
	v_min3_f32 v86, v165, v166, v82
	buffer_load_dword v82, off, s[36:39], 0 offset:20 ; 4-byte Folded Reload
	v_add_f64 v[164:165], v[6:7], v[70:71]
	v_cvt_f32_f64_e32 v127, v[164:165]
	v_cvt_f32_f64_e32 v165, v[80:81]
	v_add_f64 v[80:81], v[16:17], v[64:65]
	s_waitcnt vmcnt(0)
	v_min3_f32 v83, v167, v168, v82
	buffer_load_dword v82, off, s[36:39], 0 offset:16 ; 4-byte Folded Reload
	v_add_f64 v[166:167], v[8:9], v[72:73]
	v_cvt_f32_f64_e32 v128, v[166:167]
	v_min3_f32 v111, v127, v128, v160
	v_add_f64 v[126:127], v[6:7], v[58:59]
	s_waitcnt vmcnt(0)
	v_min3_f32 v84, v169, v178, v82
	buffer_load_dword v82, off, s[36:39], 0 offset:12 ; 4-byte Folded Reload
	v_add_f64 v[168:169], v[10:11], v[70:71]
	v_add_f64 v[70:71], v[14:15], v[70:71]
	v_cvt_f32_f64_e32 v129, v[168:169]
	v_cvt_f32_f64_e32 v163, v[70:71]
	v_add_f64 v[70:71], v[4:5], v[68:69]
	v_cvt_f32_f64_e32 v169, v[126:127]
	v_add_f64 v[126:127], v[6:7], v[46:47]
	;; [unrolled: 2-line block ×3, first 2 shown]
	s_waitcnt vmcnt(0)
	v_min3_f32 v82, v179, v180, v82
	v_cvt_f32_f64_e32 v180, v[0:1]
	v_add_f64 v[0:1], v[6:7], v[78:79]
	v_add_f64 v[78:79], v[14:15], v[78:79]
	;; [unrolled: 1-line block ×4, first 2 shown]
	v_cvt_f32_f64_e32 v186, v[0:1]
	v_cvt_f32_f64_e32 v101, v[78:79]
	;; [unrolled: 1-line block ×4, first 2 shown]
	v_add_f64 v[0:1], v[2:3], v[66:67]
	v_add_f64 v[72:73], v[6:7], v[66:67]
	;; [unrolled: 1-line block ×4, first 2 shown]
	buffer_load_dword v66, off, s[36:39], 0 offset:8 ; 4-byte Folded Reload
	v_min3_f32 v103, v186, v98, v152
	v_min3_f32 v105, v101, v187, v154
	v_min3_f32 v112, v129, v162, v161
	v_min3_f32 v113, v163, v164, v249
	v_cvt_f32_f64_e32 v159, v[0:1]
	v_cvt_f32_f64_e32 v161, v[72:73]
	;; [unrolled: 1-line block ×6, first 2 shown]
	v_add_f64 v[0:1], v[2:3], v[62:63]
	v_add_f64 v[68:69], v[4:5], v[64:65]
	v_add_f64 v[72:73], v[8:9], v[64:65]
	v_add_f64 v[74:75], v[10:11], v[62:63]
	v_add_f64 v[76:77], v[12:13], v[64:65]
	v_add_f64 v[78:79], v[14:15], v[62:63]
	v_add_f64 v[98:99], v[2:3], v[58:59]
	v_add_f64 v[100:101], v[4:5], v[60:61]
	v_add_f64 v[128:129], v[8:9], v[60:61]
	v_add_f64 v[151:152], v[10:11], v[58:59]
	v_add_f64 v[153:154], v[12:13], v[60:61]
	v_add_f64 v[58:59], v[14:15], v[58:59]
	v_add_f64 v[60:61], v[16:17], v[60:61]
	v_min3_f32 v62, v159, v160, v150
	v_min3_f32 v63, v161, v162, v148
	v_cvt_f32_f64_e32 v161, v[70:71]
	v_min3_f32 v64, v163, v164, v149
	v_min3_f32 v65, v165, v166, v229
	v_cvt_f32_f64_e32 v159, v[0:1]
	v_cvt_f32_f64_e32 v160, v[68:69]
	v_cvt_f32_f64_e32 v162, v[72:73]
	v_cvt_f32_f64_e32 v163, v[74:75]
	v_cvt_f32_f64_e32 v164, v[76:77]
	v_cvt_f32_f64_e32 v165, v[78:79]
	v_cvt_f32_f64_e32 v166, v[80:81]
	v_cvt_f32_f64_e32 v167, v[98:99]
	v_cvt_f32_f64_e32 v168, v[100:101]
	v_cvt_f32_f64_e32 v178, v[128:129]
	v_cvt_f32_f64_e32 v153, v[153:154]
	v_cvt_f32_f64_e32 v154, v[58:59]
	v_cvt_f32_f64_e32 v179, v[60:61]
	v_add_f64 v[0:1], v[6:7], v[54:55]
	v_add_f64 v[58:59], v[8:9], v[56:57]
	;; [unrolled: 1-line block ×17, first 2 shown]
	v_cvt_f32_f64_e32 v152, v[151:152]
	v_add_f64 v[148:149], v[10:11], v[46:47]
	v_add_f64 v[150:151], v[12:13], v[48:49]
	;; [unrolled: 1-line block ×4, first 2 shown]
	v_cvt_f32_f64_e32 v157, v[0:1]
	v_cvt_f32_f64_e32 v58, v[58:59]
	;; [unrolled: 1-line block ×18, first 2 shown]
	v_add_f64 v[78:79], v[10:11], v[34:35]
	v_add_f64 v[80:81], v[12:13], v[36:37]
	v_cvt_f32_f64_e32 v73, v[148:149]
	v_cvt_f32_f64_e32 v74, v[150:151]
	;; [unrolled: 1-line block ×4, first 2 shown]
	v_add_f64 v[0:1], v[2:3], v[42:43]
	v_min3_f32 v215, v59, v60, v140
	v_add_f64 v[46:47], v[4:5], v[44:45]
	v_min3_f32 v216, v54, v55, v141
	;; [unrolled: 2-line block ×5, first 2 shown]
	v_min3_f32 v214, v157, v58, v139
	v_min3_f32 v220, v50, v51, v145
	v_add_f64 v[50:51], v[12:13], v[44:45]
	v_min3_f32 v221, v52, v53, v146
	v_add_f64 v[52:53], v[2:3], v[38:39]
	v_min3_f32 v222, v71, v72, v147
	v_add_f64 v[70:71], v[2:3], v[34:35]
	v_add_f64 v[58:59], v[8:9], v[40:41]
	v_add_f64 v[68:69], v[12:13], v[40:41]
	v_min3_f32 v223, v73, v74, v124
	v_add_f64 v[38:39], v[14:15], v[38:39]
	v_min3_f32 v224, v75, v48, v125
	v_cvt_f32_f64_e32 v98, v[0:1]
	v_add_f64 v[0:1], v[6:7], v[42:43]
	v_cvt_f32_f64_e32 v99, v[46:47]
	v_add_f64 v[46:47], v[8:9], v[44:45]
	v_add_f64 v[48:49], v[10:11], v[42:43]
	;; [unrolled: 1-line block ×10, first 2 shown]
	v_min3_f32 v126, v159, v160, v130
	v_cvt_f32_f64_e32 v52, v[52:53]
	v_cvt_f32_f64_e32 v53, v[54:55]
	;; [unrolled: 1-line block ×10, first 2 shown]
	v_add_f64 v[38:39], v[8:9], v[32:33]
	v_cvt_f32_f64_e32 v101, v[46:47]
	v_cvt_f32_f64_e32 v48, v[48:49]
	;; [unrolled: 1-line block ×8, first 2 shown]
	v_add_f64 v[36:37], v[6:7], v[30:31]
	v_add_f64 v[40:41], v[10:11], v[30:31]
	;; [unrolled: 1-line block ×5, first 2 shown]
	v_cvt_f32_f64_e32 v100, v[0:1]
	v_cvt_f32_f64_e32 v72, v[34:35]
	v_add_f64 v[0:1], v[2:3], v[30:31]
	v_add_f64 v[34:35], v[4:5], v[32:33]
	v_min3_f32 v188, v70, v71, v96
	s_clause 0x1
	buffer_load_dword v70, off, s[36:39], 0 offset:56
	buffer_load_dword v67, off, s[36:39], 0 offset:4
	v_add_f64 v[30:31], v[14:15], v[30:31]
	v_add_f64 v[32:33], v[16:17], v[32:33]
	v_min3_f32 v184, v56, v57, v120
	v_cvt_f32_f64_e32 v68, v[74:75]
	v_min3_f32 v227, v48, v49, v116
	v_cvt_f32_f64_e32 v69, v[76:77]
	;; [unrolled: 2-line block ×3, first 2 shown]
	v_add_f64 v[38:39], v[4:5], v[24:25]
	v_add_f64 v[4:5], v[4:5], v[20:21]
	v_cvt_f32_f64_e32 v50, v[36:37]
	v_add_f64 v[36:37], v[2:3], v[22:23]
	v_add_f64 v[2:3], v[2:3], v[18:19]
	v_cvt_f32_f64_e32 v56, v[44:45]
	v_cvt_f32_f64_e32 v57, v[46:47]
	v_add_f64 v[44:45], v[10:11], v[22:23]
	v_add_f64 v[46:47], v[12:13], v[24:25]
	v_cvt_f32_f64_e32 v48, v[0:1]
	v_cvt_f32_f64_e32 v49, v[34:35]
	v_add_f64 v[0:1], v[6:7], v[26:27]
	v_add_f64 v[34:35], v[12:13], v[28:29]
	;; [unrolled: 1-line block ×3, first 2 shown]
	v_min3_f32 v185, v58, v59, v121
	v_min3_f32 v186, v60, v61, v122
	v_min3_f32 v225, v98, v99, v114
	v_min3_f32 v226, v100, v101, v115
	v_min3_f32 v189, v72, v73, v97
	v_min3_f32 v187, v68, v69, v123
	v_min3_f32 v127, v161, v162, v131
	v_min3_f32 v207, v163, v164, v132
	v_min3_f32 v208, v165, v166, v133
	v_min3_f32 v209, v167, v168, v134
	v_min3_f32 v191, v50, v51, v92
	v_min3_f32 v210, v169, v178, v135
	v_cvt_f32_f64_e32 v2, v[2:3]
	v_cvt_f32_f64_e32 v3, v[4:5]
	v_min3_f32 v194, v56, v57, v95
	v_min3_f32 v211, v152, v153, v136
	;; [unrolled: 1-line block ×4, first 2 shown]
	v_cvt_f32_f64_e32 v0, v[0:1]
	v_min3_f32 v205, v2, v3, v84
	s_waitcnt vmcnt(2)
	v_min3_f32 v66, v180, v181, v66
	s_waitcnt vmcnt(1)
	ds_read_b128 v[58:61], v70
	s_waitcnt vmcnt(0)
	v_min3_f32 v67, v182, v183, v67
	v_min3_f32 v182, v52, v53, v118
	v_cvt_f32_f64_e32 v52, v[40:41]
	v_cvt_f32_f64_e32 v53, v[42:43]
	v_add_f64 v[40:41], v[6:7], v[22:23]
	v_add_f64 v[42:43], v[8:9], v[24:25]
	;; [unrolled: 1-line block ×4, first 2 shown]
	v_min3_f32 v183, v54, v55, v119
	v_cvt_f32_f64_e32 v54, v[30:31]
	v_cvt_f32_f64_e32 v55, v[32:33]
	v_add_f64 v[30:31], v[8:9], v[28:29]
	v_add_f64 v[32:33], v[10:11], v[26:27]
	v_add_f64 v[26:27], v[14:15], v[26:27]
	v_add_f64 v[28:29], v[16:17], v[28:29]
	v_add_f64 v[6:7], v[6:7], v[18:19]
	v_add_f64 v[8:9], v[8:9], v[20:21]
	v_add_f64 v[10:11], v[10:11], v[18:19]
	v_add_f64 v[14:15], v[14:15], v[18:19]
	v_add_f64 v[16:17], v[16:17], v[20:21]
	ds_read_b128 v[18:21], v202
	v_min3_f32 v192, v52, v53, v93
	v_cvt_f32_f64_e32 v22, v[22:23]
	v_cvt_f32_f64_e32 v23, v[24:25]
	v_min3_f32 v193, v54, v55, v94
	v_cvt_f32_f64_e32 v1, v[30:31]
	v_cvt_f32_f64_e32 v30, v[32:33]
	v_cvt_f32_f64_e32 v31, v[34:35]
	v_cvt_f32_f64_e32 v26, v[26:27]
	v_cvt_f32_f64_e32 v27, v[28:29]
	v_cvt_f32_f64_e32 v28, v[36:37]
	v_cvt_f32_f64_e32 v29, v[38:39]
	v_cvt_f32_f64_e32 v32, v[40:41]
	v_cvt_f32_f64_e32 v33, v[42:43]
	v_cvt_f32_f64_e32 v34, v[44:45]
	v_cvt_f32_f64_e32 v35, v[46:47]
	v_cvt_f32_f64_e32 v4, v[6:7]
	v_cvt_f32_f64_e32 v5, v[8:9]
	ds_read_b128 v[54:57], v70 offset:1024
	ds_read_b128 v[42:45], v70 offset:2048
	;; [unrolled: 1-line block ×3, first 2 shown]
	v_cvt_f32_f64_e32 v6, v[10:11]
	v_cvt_f32_f64_e32 v7, v[12:13]
	v_min3_f32 v201, v22, v23, v83
	ds_read_b128 v[22:25], v202 offset:256
	v_cvt_f32_f64_e32 v8, v[14:15]
	v_cvt_f32_f64_e32 v9, v[16:17]
	v_min3_f32 v195, v0, v1, v89
	s_waitcnt lgkmcnt(4)
	v_add_f64 v[0:1], v[60:61], v[20:21]
	v_min3_f32 v196, v30, v31, v90
	v_add_f64 v[46:47], v[58:59], v[18:19]
	v_min3_f32 v197, v26, v27, v87
	v_min3_f32 v198, v28, v29, v88
	;; [unrolled: 1-line block ×4, first 2 shown]
	s_waitcnt lgkmcnt(3)
	v_add_f64 v[48:49], v[56:57], v[20:21]
	v_min3_f32 v206, v4, v5, v82
	s_waitcnt lgkmcnt(2)
	v_add_f64 v[78:79], v[42:43], v[18:19]
	s_waitcnt lgkmcnt(1)
	v_add_f64 v[80:81], v[40:41], v[20:21]
	v_add_f64 v[82:83], v[38:39], v[18:19]
	;; [unrolled: 1-line block ×3, first 2 shown]
	s_waitcnt lgkmcnt(0)
	v_add_f64 v[84:85], v[58:59], v[22:23]
	v_add_f64 v[86:87], v[60:61], v[24:25]
	;; [unrolled: 1-line block ×6, first 2 shown]
	v_min3_f32 v142, v6, v7, v66
	v_min3_f32 v143, v8, v9, v67
	ds_read_b128 v[34:37], v202 offset:512
	ds_read_b128 v[66:69], v202 offset:768
	;; [unrolled: 1-line block ×6, first 2 shown]
	v_add_f64 v[52:53], v[44:45], v[20:21]
	ds_read_b128 v[2:5], v70 offset:3088
	ds_read_b128 v[26:29], v202 offset:272
	;; [unrolled: 1-line block ×10, first 2 shown]
	v_cvt_f32_f64_e32 v145, v[0:1]
	v_add_f64 v[0:1], v[40:41], v[24:25]
	v_add_f64 v[22:23], v[38:39], v[22:23]
	v_cvt_f32_f64_e32 v148, v[78:79]
	v_cvt_f32_f64_e32 v151, v[80:81]
	;; [unrolled: 1-line block ×10, first 2 shown]
	s_waitcnt lgkmcnt(15)
	v_add_f64 v[24:25], v[60:61], v[36:37]
	v_add_f64 v[78:79], v[58:59], v[34:35]
	v_add_f64 v[80:81], v[56:57], v[36:37]
	v_add_f64 v[82:83], v[54:55], v[34:35]
	v_add_f64 v[84:85], v[44:45], v[36:37]
	v_add_f64 v[86:87], v[42:43], v[34:35]
	v_add_f64 v[88:89], v[40:41], v[36:37]
	v_add_f64 v[114:115], v[38:39], v[34:35]
	s_waitcnt lgkmcnt(14)
	v_add_f64 v[116:117], v[60:61], v[68:69]
	v_add_f64 v[122:123], v[58:59], v[66:67]
	;; [unrolled: 1-line block ×8, first 2 shown]
	s_waitcnt lgkmcnt(7)
	v_add_f64 v[134:135], v[58:59], v[18:19]
	v_add_f64 v[136:137], v[60:61], v[20:21]
	;; [unrolled: 1-line block ×4, first 2 shown]
	v_cvt_f32_f64_e32 v146, v[50:51]
	v_cvt_f32_f64_e32 v147, v[48:49]
	;; [unrolled: 1-line block ×25, first 2 shown]
	v_min3_f32 v144, v144, v145, v102
	v_min3_f32 v145, v146, v147, v103
	;; [unrolled: 1-line block ×14, first 2 shown]
	v_add_f64 v[102:103], v[44:45], v[20:21]
	v_min3_f32 v158, v124, v125, v64
	v_add_f64 v[114:115], v[42:43], v[18:19]
	v_min3_f32 v159, v128, v129, v65
	;; [unrolled: 2-line block ×4, first 2 shown]
	s_waitcnt lgkmcnt(6)
	v_add_f64 v[106:107], v[60:61], v[120:121]
	v_add_f64 v[126:127], v[58:59], v[118:119]
	;; [unrolled: 1-line block ×8, first 2 shown]
	s_waitcnt lgkmcnt(5)
	v_add_f64 v[118:119], v[60:61], v[231:232]
	v_add_f64 v[134:135], v[58:59], v[229:230]
	;; [unrolled: 1-line block ×8, first 2 shown]
	s_waitcnt lgkmcnt(4)
	v_add_f64 v[0:1], v[58:59], v[74:75]
	v_add_f64 v[162:163], v[60:61], v[76:77]
	v_cvt_f32_f64_e32 v164, v[114:115]
	v_cvt_f32_f64_e32 v165, v[102:103]
	;; [unrolled: 1-line block ×6, first 2 shown]
	v_add_f64 v[102:103], v[54:55], v[74:75]
	v_cvt_f32_f64_e32 v178, v[128:129]
	v_add_f64 v[104:105], v[44:45], v[76:77]
	v_cvt_f32_f64_e32 v180, v[130:131]
	v_cvt_f32_f64_e32 v230, v[112:113]
	;; [unrolled: 1-line block ×9, first 2 shown]
	v_add_f64 v[106:107], v[42:43], v[74:75]
	v_cvt_f32_f64_e32 v140, v[140:141]
	v_cvt_f32_f64_e32 v141, v[124:125]
	;; [unrolled: 1-line block ×3, first 2 shown]
	v_add_f64 v[0:1], v[56:57], v[76:77]
	s_waitcnt lgkmcnt(3)
	v_add_f64 v[112:113], v[60:61], v[72:73]
	v_add_f64 v[114:115], v[58:59], v[70:71]
	;; [unrolled: 1-line block ×8, first 2 shown]
	s_waitcnt lgkmcnt(2)
	v_add_f64 v[128:129], v[58:59], v[90:91]
	v_add_f64 v[130:131], v[60:61], v[92:93]
	;; [unrolled: 1-line block ×6, first 2 shown]
	v_cvt_f32_f64_e32 v179, v[108:109]
	v_cvt_f32_f64_e32 v181, v[110:111]
	;; [unrolled: 1-line block ×3, first 2 shown]
	v_add_f64 v[108:109], v[40:41], v[76:77]
	v_add_f64 v[110:111], v[38:39], v[74:75]
	;; [unrolled: 1-line block ×4, first 2 shown]
	v_cvt_f32_f64_e32 v163, v[102:103]
	v_cvt_f32_f64_e32 v0, v[0:1]
	;; [unrolled: 1-line block ×18, first 2 shown]
	ds_read_b128 v[50:53], v202 offset:528
	ds_read_b128 v[46:49], v202 offset:784
	;; [unrolled: 1-line block ×7, first 2 shown]
	v_cvt_f32_f64_e32 v239, v[110:111]
	v_cvt_f32_f64_e32 v240, v[108:109]
	v_cvt_f32_f64_e32 v90, v[90:91]
	v_cvt_f32_f64_e32 v91, v[92:93]
	v_min3_f32 v134, v164, v165, v207
	v_min3_f32 v135, v166, v167, v208
	;; [unrolled: 1-line block ×16, first 2 shown]
	s_waitcnt lgkmcnt(8)
	v_add_f64 v[0:1], v[60:61], v[100:101]
	v_add_f64 v[122:123], v[58:59], v[98:99]
	v_add_f64 v[124:125], v[56:57], v[100:101]
	v_add_f64 v[126:127], v[54:55], v[98:99]
	v_add_f64 v[128:129], v[44:45], v[100:101]
	v_add_f64 v[130:131], v[42:43], v[98:99]
	v_add_f64 v[132:133], v[40:41], v[100:101]
	v_add_f64 v[136:137], v[38:39], v[98:99]
	s_waitcnt lgkmcnt(7)
	v_add_f64 v[138:139], v[60:61], v[96:97]
	v_add_f64 v[140:141], v[58:59], v[94:95]
	;; [unrolled: 1-line block ×8, first 2 shown]
	s_waitcnt lgkmcnt(3)
	v_add_f64 v[207:208], v[58:59], v[86:87]
	v_add_f64 v[209:210], v[60:61], v[88:89]
	v_min3_f32 v105, v229, v230, v212
	v_min3_f32 v106, v231, v232, v213
	;; [unrolled: 1-line block ×6, first 2 shown]
	v_add_f64 v[211:212], v[54:55], v[86:87]
	v_add_f64 v[213:214], v[56:57], v[88:89]
	v_cvt_f32_f64_e32 v219, v[122:123]
	v_cvt_f32_f64_e32 v220, v[0:1]
	;; [unrolled: 1-line block ×18, first 2 shown]
	v_add_f64 v[0:1], v[40:41], v[88:89]
	v_add_f64 v[122:123], v[38:39], v[86:87]
	s_waitcnt lgkmcnt(2)
	v_add_f64 v[124:125], v[60:61], v[84:85]
	v_add_f64 v[126:127], v[58:59], v[82:83]
	v_add_f64 v[128:129], v[56:57], v[84:85]
	v_add_f64 v[130:131], v[54:55], v[82:83]
	v_add_f64 v[132:133], v[44:45], v[84:85]
	v_add_f64 v[136:137], v[42:43], v[82:83]
	v_add_f64 v[138:139], v[40:41], v[84:85]
	v_add_f64 v[140:141], v[38:39], v[82:83]
	s_waitcnt lgkmcnt(1)
	v_add_f64 v[162:163], v[60:61], v[80:81]
	v_add_f64 v[164:165], v[58:59], v[78:79]
	v_add_f64 v[166:167], v[56:57], v[80:81]
	v_add_f64 v[168:169], v[54:55], v[78:79]
	v_add_f64 v[178:179], v[44:45], v[80:81]
	v_add_f64 v[180:181], v[42:43], v[78:79]
	;; [unrolled: 9-line block ×3, first 2 shown]
	v_cvt_f32_f64_e32 v123, v[122:123]
	v_cvt_f32_f64_e32 v0, v[0:1]
	;; [unrolled: 1-line block ×26, first 2 shown]
	v_min3_f32 v136, v219, v220, v182
	v_min3_f32 v137, v221, v222, v183
	;; [unrolled: 1-line block ×8, first 2 shown]
	v_add_f64 v[0:1], v[42:43], v[66:67]
	v_min3_f32 v129, v133, v138, v199
	v_add_f64 v[42:43], v[44:45], v[68:69]
	v_min3_f32 v130, v139, v140, v200
	;; [unrolled: 2-line block ×5, first 2 shown]
	v_add_f64 v[66:67], v[16:17], v[32:33]
	v_add_f64 v[68:69], v[10:11], v[30:31]
	;; [unrolled: 1-line block ×15, first 2 shown]
	v_min3_f32 v54, v223, v224, v184
	v_min3_f32 v55, v225, v226, v185
	;; [unrolled: 1-line block ×9, first 2 shown]
	v_add_f64 v[184:185], v[14:15], v[50:51]
	v_add_f64 v[186:187], v[16:17], v[52:53]
	v_cvt_f32_f64_e32 v188, v[0:1]
	v_cvt_f32_f64_e32 v189, v[42:43]
	;; [unrolled: 1-line block ×19, first 2 shown]
	v_add_f64 v[0:1], v[10:11], v[50:51]
	v_add_f64 v[26:27], v[12:13], v[52:53]
	;; [unrolled: 1-line block ×22, first 2 shown]
	v_cvt_f32_f64_e32 v0, v[0:1]
	v_cvt_f32_f64_e32 v1, v[26:27]
	;; [unrolled: 1-line block ×22, first 2 shown]
	ds_read_b128 v[22:25], v202 offset:1296
	ds_read_b128 v[18:21], v202 offset:1552
	v_min3_f32 v239, v0, v1, v153
	v_min3_f32 v238, v28, v29, v154
	ds_read_b128 v[62:65], v202 offset:1808
	ds_read_b128 v[74:77], v202 offset:2064
	v_min3_f32 v224, v30, v31, v155
	v_min3_f32 v236, v32, v33, v156
	;; [unrolled: 4-line block ×3, first 2 shown]
	v_cvt_f32_f64_e32 v179, v[182:183]
	v_min3_f32 v229, v42, v43, v159
	v_min3_f32 v222, v192, v193, v144
	v_min3_f32 v226, v44, v45, v160
	v_min3_f32 v221, v194, v195, v145
	v_min3_f32 v246, v46, v47, v161
	v_min3_f32 v220, v196, v197, v146
	v_min3_f32 v237, v48, v49, v134
	s_waitcnt lgkmcnt(5)
	v_add_f64 v[0:1], v[14:15], v[22:23]
	v_min3_f32 v234, v34, v35, v135
	v_add_f64 v[28:29], v[16:17], v[24:25]
	v_add_f64 v[30:31], v[10:11], v[22:23]
	;; [unrolled: 1-line block ×7, first 2 shown]
	s_waitcnt lgkmcnt(4)
	v_add_f64 v[38:39], v[14:15], v[18:19]
	v_add_f64 v[40:41], v[16:17], v[20:21]
	;; [unrolled: 1-line block ×8, first 2 shown]
	v_min3_f32 v219, v198, v199, v147
	v_min3_f32 v244, v200, v201, v148
	;; [unrolled: 1-line block ×3, first 2 shown]
	s_waitcnt lgkmcnt(3)
	v_add_f64 v[66:67], v[10:11], v[62:63]
	v_add_f64 v[68:69], v[12:13], v[64:65]
	v_cvt_f32_f64_e32 v140, v[0:1]
	v_add_f64 v[0:1], v[2:3], v[62:63]
	v_cvt_f32_f64_e32 v141, v[28:29]
	s_waitcnt lgkmcnt(2)
	v_add_f64 v[28:29], v[12:13], v[76:77]
	v_cvt_f32_f64_e32 v182, v[184:185]
	v_cvt_f32_f64_e32 v144, v[34:35]
	;; [unrolled: 1-line block ×7, first 2 shown]
	v_add_f64 v[22:23], v[16:17], v[76:77]
	v_add_f64 v[24:25], v[10:11], v[74:75]
	v_add_f64 v[34:35], v[2:3], v[74:75]
	v_add_f64 v[36:37], v[4:5], v[76:77]
	v_cvt_f32_f64_e32 v154, v[18:19]
	v_cvt_f32_f64_e32 v155, v[20:21]
	v_add_f64 v[18:19], v[4:5], v[64:65]
	v_add_f64 v[20:21], v[14:15], v[74:75]
	s_waitcnt lgkmcnt(1)
	v_add_f64 v[38:39], v[14:15], v[70:71]
	v_add_f64 v[40:41], v[16:17], v[72:73]
	v_cvt_f32_f64_e32 v183, v[186:187]
	v_min3_f32 v26, v188, v189, v142
	v_min3_f32 v27, v190, v191, v143
	;; [unrolled: 1-line block ×4, first 2 shown]
	v_add_f64 v[50:51], v[14:15], v[62:63]
	v_cvt_f32_f64_e32 v142, v[30:31]
	v_cvt_f32_f64_e32 v143, v[32:33]
	;; [unrolled: 1-line block ×6, first 2 shown]
	v_add_f64 v[30:31], v[6:7], v[74:75]
	v_add_f64 v[32:33], v[8:9], v[76:77]
	;; [unrolled: 1-line block ×4, first 2 shown]
	s_waitcnt lgkmcnt(0)
	v_add_f64 v[66:67], v[10:11], v[90:91]
	v_add_f64 v[68:69], v[12:13], v[92:93]
	v_cvt_f32_f64_e32 v0, v[0:1]
	v_cvt_f32_f64_e32 v1, v[18:19]
	;; [unrolled: 1-line block ×10, first 2 shown]
	ds_read_b128 v[98:101], v202 offset:2832
	ds_read_b128 v[94:97], v202 offset:3088
	v_min3_f32 v240, v182, v183, v152
	v_add_f64 v[52:53], v[16:17], v[64:65]
	v_add_f64 v[134:135], v[6:7], v[62:63]
	;; [unrolled: 1-line block ×3, first 2 shown]
	v_cvt_f32_f64_e32 v152, v[46:47]
	v_cvt_f32_f64_e32 v156, v[50:51]
	v_add_f64 v[46:47], v[6:7], v[70:71]
	v_add_f64 v[50:51], v[2:3], v[70:71]
	;; [unrolled: 1-line block ×4, first 2 shown]
	v_cvt_f32_f64_e32 v22, v[30:31]
	v_cvt_f32_f64_e32 v23, v[32:33]
	;; [unrolled: 1-line block ×6, first 2 shown]
	v_min3_f32 v230, v0, v1, v113
	v_min3_f32 v214, v18, v19, v114
	;; [unrolled: 1-line block ×4, first 2 shown]
	v_add_f64 v[0:1], v[6:7], v[90:91]
	v_add_f64 v[18:19], v[8:9], v[92:93]
	s_waitcnt lgkmcnt(1)
	v_add_f64 v[24:25], v[14:15], v[98:99]
	v_add_f64 v[28:29], v[16:17], v[100:101]
	s_waitcnt lgkmcnt(0)
	v_add_f64 v[42:43], v[14:15], v[94:95]
	v_add_f64 v[44:45], v[16:17], v[96:97]
	ds_read_b128 v[86:89], v202 offset:3344
	ds_read_b128 v[82:85], v202 offset:3600
	;; [unrolled: 1-line block ×3, first 2 shown]
	v_cvt_f32_f64_e32 v157, v[52:53]
	v_add_f64 v[52:53], v[4:5], v[72:73]
	v_cvt_f32_f64_e32 v32, v[46:47]
	v_cvt_f32_f64_e32 v34, v[50:51]
	v_cvt_f32_f64_e32 v36, v[62:63]
	v_cvt_f32_f64_e32 v37, v[64:65]
	v_min3_f32 v213, v20, v21, v115
	v_min3_f32 v211, v22, v23, v116
	;; [unrolled: 1-line block ×3, first 2 shown]
	v_add_f64 v[20:21], v[2:3], v[90:91]
	v_add_f64 v[22:23], v[4:5], v[92:93]
	;; [unrolled: 1-line block ×8, first 2 shown]
	v_cvt_f32_f64_e32 v70, v[0:1]
	v_cvt_f32_f64_e32 v71, v[18:19]
	;; [unrolled: 1-line block ×6, first 2 shown]
	s_waitcnt lgkmcnt(2)
	v_add_f64 v[0:1], v[10:11], v[86:87]
	v_add_f64 v[18:19], v[12:13], v[88:89]
	v_add_f64 v[24:25], v[2:3], v[86:87]
	v_add_f64 v[28:29], v[4:5], v[88:89]
	s_waitcnt lgkmcnt(1)
	v_add_f64 v[42:43], v[2:3], v[82:83]
	v_add_f64 v[44:45], v[4:5], v[84:85]
	s_waitcnt lgkmcnt(0)
	v_add_f64 v[2:3], v[2:3], v[78:79]
	v_add_f64 v[4:5], v[4:5], v[80:81]
	buffer_load_dword v165, off, s[36:39], 0 offset:64 ; 4-byte Folded Reload
	v_cvt_f32_f64_e32 v153, v[48:49]
	v_add_f64 v[48:49], v[8:9], v[72:73]
	v_cvt_f32_f64_e32 v35, v[52:53]
	v_min3_f32 v207, v30, v31, v119
	v_min3_f32 v203, v36, v37, v136
	v_add_f64 v[30:31], v[10:11], v[98:99]
	v_add_f64 v[36:37], v[8:9], v[100:101]
	;; [unrolled: 1-line block ×5, first 2 shown]
	v_cvt_f32_f64_e32 v72, v[20:21]
	v_cvt_f32_f64_e32 v73, v[22:23]
	;; [unrolled: 1-line block ×6, first 2 shown]
	v_add_f64 v[20:21], v[6:7], v[86:87]
	v_add_f64 v[22:23], v[8:9], v[88:89]
	v_add_f64 v[38:39], v[6:7], v[82:83]
	v_cvt_f32_f64_e32 v2, v[2:3]
	v_cvt_f32_f64_e32 v3, v[4:5]
	v_min3_f32 v4, v74, v75, v56
	v_add_f64 v[40:41], v[8:9], v[84:85]
	v_cvt_f32_f64_e32 v33, v[48:49]
	v_min3_f32 v205, v34, v35, v121
	v_add_f64 v[34:35], v[6:7], v[98:99]
	buffer_store_dword v4, off, s[36:39], 0 ; 4-byte Folded Spill
	v_add_f64 v[48:49], v[12:13], v[96:97]
	v_cvt_f32_f64_e32 v76, v[30:31]
	v_cvt_f32_f64_e32 v91, v[36:37]
	v_add_f64 v[30:31], v[14:15], v[82:83]
	v_add_f64 v[36:37], v[12:13], v[84:85]
	;; [unrolled: 1-line block ×5, first 2 shown]
	v_cvt_f32_f64_e32 v134, v[134:135]
	v_min3_f32 v192, v0, v1, v125
	v_cvt_f32_f64_e32 v135, v[138:139]
	v_cvt_f32_f64_e32 v46, v[46:47]
	;; [unrolled: 1-line block ×5, first 2 shown]
	v_min3_f32 v182, v2, v3, v27
	s_clause 0x3
	buffer_load_dword v1, off, s[36:39], 0 offset:40
	buffer_load_dword v2, off, s[36:39], 0 offset:44
	;; [unrolled: 1-line block ×4, first 2 shown]
	v_cvt_f32_f64_e32 v21, v[28:29]
	v_min3_f32 v206, v32, v33, v120
	v_add_f64 v[32:33], v[12:13], v[100:101]
	v_cvt_f32_f64_e32 v90, v[34:35]
	v_add_f64 v[34:35], v[10:11], v[82:83]
	v_add_f64 v[10:11], v[10:11], v[78:79]
	;; [unrolled: 1-line block ×3, first 2 shown]
	v_cvt_f32_f64_e32 v47, v[48:49]
	v_cvt_f32_f64_e32 v48, v[50:51]
	v_cvt_f32_f64_e32 v49, v[52:53]
	v_cvt_f32_f64_e32 v50, v[62:63]
	v_cvt_f32_f64_e32 v51, v[64:65]
	v_cvt_f32_f64_e32 v52, v[66:67]
	v_cvt_f32_f64_e32 v53, v[68:69]
	v_cvt_f32_f64_e32 v22, v[30:31]
	v_cvt_f32_f64_e32 v25, v[36:37]
	v_cvt_f32_f64_e32 v28, v[38:39]
	v_cvt_f32_f64_e32 v29, v[40:41]
	v_cvt_f32_f64_e32 v30, v[42:43]
	v_cvt_f32_f64_e32 v31, v[44:45]
	v_cvt_f32_f64_e32 v14, v[14:15]
	v_cvt_f32_f64_e32 v6, v[6:7]
	v_cvt_f32_f64_e32 v7, v[8:9]
	v_min3_f32 v218, v140, v141, v102
	v_cvt_f32_f64_e32 v77, v[32:33]
	v_add_f64 v[32:33], v[16:17], v[84:85]
	v_add_f64 v[16:17], v[16:17], v[80:81]
	v_cvt_f32_f64_e32 v24, v[34:35]
	v_cvt_f32_f64_e32 v10, v[10:11]
	;; [unrolled: 1-line block ×3, first 2 shown]
	v_min3_f32 v217, v142, v143, v103
	v_min3_f32 v216, v144, v145, v104
	;; [unrolled: 1-line block ×17, first 2 shown]
	v_cvt_f32_f64_e32 v23, v[32:33]
	v_cvt_f32_f64_e32 v15, v[16:17]
	v_min3_f32 v248, v48, v49, v122
	v_min3_f32 v247, v50, v51, v123
	;; [unrolled: 1-line block ×12, first 2 shown]
	s_waitcnt vmcnt(4)
	v_add_nc_u32_e32 v0, 0x1000, v165
	s_waitcnt vmcnt(0)
	ds_write2st64_b64 v0, v[1:2], v[3:4] offset1:4
	s_clause 0x1
	buffer_load_dword v1, off, s[36:39], 0 offset:28
	buffer_load_dword v2, off, s[36:39], 0 offset:32
	v_add_nc_u32_e32 v0, 0x3000, v165
	s_waitcnt vmcnt(0)
	ds_write2st64_b64 v0, v[1:2], v[172:173] offset1:4
	s_waitcnt lgkmcnt(0)
	s_waitcnt_vscnt null, 0x0
	s_barrier
	buffer_gl0_inv
	s_cbranch_scc1 .LBB167_43
.LBB167_27:                             ; =>This Inner Loop Header: Depth=1
	buffer_load_dword v0, off, s[36:39], 0 offset:60 ; 4-byte Folded Reload
	s_waitcnt vmcnt(0)
	v_add_nc_u32_e32 v10, s29, v0
	v_add_nc_u32_e32 v0, 8, v10
	v_min_i32_e32 v2, s16, v0
	v_cmp_le_i32_e64 s3, s14, v0
	v_ashrrev_i32_e32 v3, 31, v2
	s_or_b32 s30, vcc_lo, s3
	v_lshlrev_b64 v[6:7], 3, v[2:3]
	v_cndmask_b32_e64 v3, 0, 0x7fefffff, s30
	v_cndmask_b32_e64 v2, 0, -1, s30
	v_add_co_u32 v8, s6, s24, v6
	v_add_co_ci_u32_e64 v9, null, s25, v7, s6
	s_nor_b32 s6, s17, s30
	s_and_saveexec_b32 s30, s6
	s_cbranch_execz .LBB167_29
; %bb.28:                               ;   in Loop: Header=BB167_27 Depth=1
	s_clause 0x1
	buffer_load_dword v0, off, s[36:39], 0 offset:72
	buffer_load_dword v1, off, s[36:39], 0 offset:76
	s_waitcnt vmcnt(1)
	v_add_co_u32 v2, s6, v8, v0
	s_waitcnt vmcnt(0)
	v_add_co_ci_u32_e64 v3, null, v9, v1, s6
	global_load_dwordx2 v[2:3], v[2:3], off
	s_waitcnt vmcnt(0)
	v_mul_f64 v[2:3], s[20:21], v[2:3]
.LBB167_29:                             ;   in Loop: Header=BB167_27 Depth=1
	s_or_b32 exec_lo, exec_lo, s30
	s_or_b32 s6, s0, s3
	v_cndmask_b32_e64 v5, 0, 0x7fefffff, s6
	v_cndmask_b32_e64 v4, 0, -1, s6
	s_nor_b32 s6, s17, s6
	s_and_saveexec_b32 s30, s6
	s_cbranch_execz .LBB167_31
; %bb.30:                               ;   in Loop: Header=BB167_27 Depth=1
	s_clause 0x1
	buffer_load_dword v0, off, s[36:39], 0 offset:80
	buffer_load_dword v1, off, s[36:39], 0 offset:84
	s_waitcnt vmcnt(1)
	v_add_co_u32 v4, s6, v8, v0
	s_waitcnt vmcnt(0)
	v_add_co_ci_u32_e64 v5, null, v9, v1, s6
	global_load_dwordx2 v[4:5], v[4:5], off
	s_waitcnt vmcnt(0)
	v_mul_f64 v[4:5], s[20:21], v[4:5]
.LBB167_31:                             ;   in Loop: Header=BB167_27 Depth=1
	s_or_b32 exec_lo, exec_lo, s30
	v_add_co_u32 v11, s6, s26, v6
	v_add_co_ci_u32_e64 v12, null, s27, v7, s6
	s_or_b32 s6, s1, s3
	v_cndmask_b32_e64 v7, 0, 0x7fefffff, s6
	v_cndmask_b32_e64 v6, 0, -1, s6
	s_nor_b32 s6, s17, s6
	s_and_saveexec_b32 s30, s6
	s_cbranch_execz .LBB167_33
; %bb.32:                               ;   in Loop: Header=BB167_27 Depth=1
	s_clause 0x1
	buffer_load_dword v0, off, s[36:39], 0 offset:88
	buffer_load_dword v1, off, s[36:39], 0 offset:92
	s_waitcnt vmcnt(1)
	v_add_co_u32 v6, s6, v11, v0
	s_waitcnt vmcnt(0)
	v_add_co_ci_u32_e64 v7, null, v12, v1, s6
	global_load_dwordx2 v[6:7], v[6:7], off
	s_waitcnt vmcnt(0)
	v_mul_f64 v[6:7], s[20:21], v[6:7]
.LBB167_33:                             ;   in Loop: Header=BB167_27 Depth=1
	s_or_b32 exec_lo, exec_lo, s30
	s_or_b32 s3, s2, s3
	v_cndmask_b32_e64 v9, 0, 0x7fefffff, s3
	v_cndmask_b32_e64 v8, 0, -1, s3
	s_nor_b32 s3, s17, s3
	s_and_saveexec_b32 s6, s3
	s_cbranch_execz .LBB167_35
; %bb.34:                               ;   in Loop: Header=BB167_27 Depth=1
	s_clause 0x1
	buffer_load_dword v0, off, s[36:39], 0 offset:96
	buffer_load_dword v1, off, s[36:39], 0 offset:100
	s_waitcnt vmcnt(1)
	v_add_co_u32 v8, s3, v11, v0
	s_waitcnt vmcnt(0)
	v_add_co_ci_u32_e64 v9, null, v12, v1, s3
	global_load_dwordx2 v[8:9], v[8:9], off
	s_waitcnt vmcnt(0)
	v_mul_f64 v[8:9], s[20:21], v[8:9]
.LBB167_35:                             ;   in Loop: Header=BB167_27 Depth=1
	s_or_b32 exec_lo, exec_lo, s6
	ds_write2st64_b64 v165, v[2:3], v[4:5] offset1:4
	ds_read_b128 v[158:161], v204
	ds_read_b128 v[78:81], v204 offset:16
	buffer_load_dword v14, off, s[36:39], 0 offset:68 ; 4-byte Folded Reload
	v_add_nc_u32_e32 v1, 0x2000, v165
	v_add_nc_u32_e32 v0, 12, v10
	s_waitcnt vmcnt(0)
	ds_read_b128 v[98:101], v14
	ds_read_b128 v[2:5], v14 offset:16
	ds_write2st64_b64 v1, v[6:7], v[8:9] offset1:4
	ds_read_b128 v[94:97], v14 offset:1024
	ds_read_b128 v[6:9], v14 offset:1040
	;; [unrolled: 1-line block ×36, first 2 shown]
	v_min_i32_e32 v170, s16, v0
	v_cmp_le_i32_e64 s3, s14, v0
	s_waitcnt lgkmcnt(0)
	s_waitcnt_vscnt null, 0x0
	s_barrier
	buffer_gl0_inv
	v_ashrrev_i32_e32 v171, 31, v170
	s_or_b32 s6, vcc_lo, s3
	v_cndmask_b32_e64 v163, 0, 0x7fefffff, s6
	s_nor_b32 s31, s17, s6
	v_lshlrev_b64 v[170:171], 3, v[170:171]
	v_cndmask_b32_e64 v162, 0, -1, s6
	v_add_co_u32 v172, s6, s24, v170
	v_add_co_ci_u32_e64 v173, null, s25, v171, s6
	s_and_saveexec_b32 s30, s31
	s_cbranch_execz .LBB167_37
; %bb.36:                               ;   in Loop: Header=BB167_27 Depth=1
	s_clause 0x1
	buffer_load_dword v0, off, s[36:39], 0 offset:72
	buffer_load_dword v1, off, s[36:39], 0 offset:76
	s_waitcnt vmcnt(1)
	v_add_co_u32 v174, s6, v172, v0
	s_waitcnt vmcnt(0)
	v_add_co_ci_u32_e64 v175, null, v173, v1, s6
	global_load_dwordx2 v[174:175], v[174:175], off
	s_waitcnt vmcnt(0)
	v_mul_f64 v[162:163], s[20:21], v[174:175]
.LBB167_37:                             ;   in Loop: Header=BB167_27 Depth=1
	s_or_b32 exec_lo, exec_lo, s30
	s_or_b32 s6, s0, s3
	v_cndmask_b32_e64 v167, 0, 0x7fefffff, s6
	v_cndmask_b32_e64 v166, 0, -1, s6
	s_nor_b32 s6, s17, s6
	s_and_saveexec_b32 s30, s6
	s_cbranch_execz .LBB167_39
; %bb.38:                               ;   in Loop: Header=BB167_27 Depth=1
	s_clause 0x1
	buffer_load_dword v0, off, s[36:39], 0 offset:80
	buffer_load_dword v1, off, s[36:39], 0 offset:84
	s_waitcnt vmcnt(1)
	v_add_co_u32 v172, s6, v172, v0
	s_waitcnt vmcnt(0)
	v_add_co_ci_u32_e64 v173, null, v173, v1, s6
	global_load_dwordx2 v[172:173], v[172:173], off
	s_waitcnt vmcnt(0)
	v_mul_f64 v[166:167], s[20:21], v[172:173]
.LBB167_39:                             ;   in Loop: Header=BB167_27 Depth=1
	s_or_b32 exec_lo, exec_lo, s30
	v_add_co_u32 v249, s6, s26, v170
	v_add_co_ci_u32_e64 v250, null, s27, v171, s6
	s_or_b32 s6, s1, s3
	v_cndmask_b32_e64 v1, 0, 0x7fefffff, s6
	v_cndmask_b32_e64 v0, 0, -1, s6
	s_nor_b32 s6, s17, s6
	s_and_saveexec_b32 s30, s6
	s_cbranch_execz .LBB167_41
; %bb.40:                               ;   in Loop: Header=BB167_27 Depth=1
	s_clause 0x1
	buffer_load_dword v0, off, s[36:39], 0 offset:88
	buffer_load_dword v1, off, s[36:39], 0 offset:92
	s_waitcnt vmcnt(1)
	v_add_co_u32 v170, s6, v249, v0
	s_waitcnt vmcnt(0)
	v_add_co_ci_u32_e64 v171, null, v250, v1, s6
	global_load_dwordx2 v[170:171], v[170:171], off
	s_waitcnt vmcnt(0)
	v_mul_f64 v[0:1], s[20:21], v[170:171]
.LBB167_41:                             ;   in Loop: Header=BB167_27 Depth=1
	s_or_b32 exec_lo, exec_lo, s30
	s_or_b32 s3, s2, s3
	v_mov_b32_e32 v171, v206
	v_mov_b32_e32 v175, v196
	;; [unrolled: 1-line block ×7, first 2 shown]
	v_cndmask_b32_e64 v173, 0, 0x7fefffff, s3
	v_cndmask_b32_e64 v172, 0, -1, s3
	s_nor_b32 s3, s17, s3
	buffer_store_dword v166, off, s[36:39], 0 offset:48 ; 4-byte Folded Spill
	buffer_store_dword v167, off, s[36:39], 0 offset:52 ; 4-byte Folded Spill
	;; [unrolled: 1-line block ×13, first 2 shown]
	s_and_saveexec_b32 s6, s3
	s_cbranch_execz .LBB167_26
; %bb.42:                               ;   in Loop: Header=BB167_27 Depth=1
	s_clause 0x1
	buffer_load_dword v0, off, s[36:39], 0 offset:96
	buffer_load_dword v1, off, s[36:39], 0 offset:100
	s_waitcnt vmcnt(1)
	v_add_co_u32 v172, s3, v249, v0
	s_waitcnt vmcnt(0)
	v_add_co_ci_u32_e64 v173, null, v250, v1, s3
	global_load_dwordx2 v[172:173], v[172:173], off
	s_waitcnt vmcnt(0)
	v_mul_f64 v[172:173], s[20:21], v[172:173]
	s_branch .LBB167_26
.LBB167_43:
	s_clause 0x2
	s_load_dwordx2 s[0:1], s[4:5], 0x78
	s_load_dword s6, s[4:5], 0x58
	s_load_dword s5, s[4:5], 0x70
	buffer_load_dword v0, off, s[36:39], 0 offset:56 ; 4-byte Folded Reload
	v_cndmask_b32_e64 v168, 0, 1, s8
	s_waitcnt vmcnt(0)
	ds_read_b128 v[38:41], v0 offset:4096
	ds_read_b128 v[34:37], v0 offset:4112
	buffer_load_dword v1, off, s[36:39], 0 offset:112 ; 4-byte Folded Reload
	s_waitcnt lgkmcnt(0)
	s_mul_i32 s1, s1, s7
	s_mul_hi_u32 s2, s0, s7
	s_mul_i32 s0, s0, s7
	s_add_i32 s1, s2, s1
	s_waitcnt vmcnt(0)
	ds_read_b128 v[158:161], v1 offset:12288
	ds_read_b128 v[154:157], v1 offset:12304
	;; [unrolled: 1-line block ×30, first 2 shown]
	buffer_load_dword v0, off, s[36:39], 0 offset:108 ; 4-byte Folded Reload
	ds_read_b128 v[62:65], v1 offset:15360
	ds_read_b128 v[58:61], v1 offset:15376
	;; [unrolled: 1-line block ×6, first 2 shown]
	s_lshl_b64 s[0:1], s[0:1], 3
	s_add_u32 s7, s18, s0
	s_waitcnt vmcnt(0)
	v_add_nc_u32_e32 v169, s15, v0
	buffer_load_dword v0, off, s[36:39], 0 offset:104 ; 4-byte Folded Reload
	ds_read_b128 v[14:17], v1 offset:16128
	ds_read_b128 v[10:13], v1 offset:16144
	v_mad_i64_i32 v[162:163], null, v169, s6, 0
	v_mad_i64_i32 v[164:165], null, v169, s5, 0
	v_cmp_gt_i32_e64 s4, s13, v169
	v_lshlrev_b64 v[162:163], 3, v[162:163]
	v_lshlrev_b64 v[164:165], 3, v[164:165]
	v_add_co_u32 v172, vcc_lo, s22, v162
	v_add_co_ci_u32_e64 v173, null, s23, v163, vcc_lo
	v_add_co_u32 v170, vcc_lo, s7, v164
	s_waitcnt vmcnt(0)
	v_add_nc_u32_e32 v0, s9, v0
	s_addc_u32 s9, s19, s1
	v_add_co_ci_u32_e64 v171, null, s9, v165, vcc_lo
	v_cmp_gt_i32_e64 s0, s12, v0
	v_ashrrev_i32_e32 v1, 31, v0
	s_and_b32 s2, s0, s4
	s_and_saveexec_b32 s1, s2
	s_cbranch_execz .LBB167_48
; %bb.44:
	s_andn2_b32 vcc_lo, exec_lo, s8
	s_cbranch_vccnz .LBB167_46
; %bb.45:
	v_lshlrev_b64 v[162:163], 3, v[0:1]
	buffer_load_dword v164, off, s[36:39], 0 ; 4-byte Folded Reload
	v_add_co_u32 v162, vcc_lo, v172, v162
	v_add_co_ci_u32_e64 v163, null, v173, v163, vcc_lo
	global_load_dwordx2 v[162:163], v[162:163], off
	s_waitcnt vmcnt(0)
	v_mul_f64 v[162:163], s[10:11], v[162:163]
	v_cvt_f32_f64_e32 v162, v[162:163]
	s_branch .LBB167_47
.LBB167_46:
	buffer_load_dword v164, off, s[36:39], 0 ; 4-byte Folded Reload
	v_mov_b32_e32 v162, 0
.LBB167_47:
	s_waitcnt vmcnt(0)
	buffer_store_dword v164, off, s[36:39], 0 ; 4-byte Folded Spill
	s_waitcnt lgkmcnt(37)
	v_add_f64 v[163:164], v[38:39], v[158:159]
	v_add_f64 v[165:166], v[40:41], v[160:161]
	s_waitcnt lgkmcnt(36)
	v_add_f64 v[174:175], v[34:35], v[154:155]
	v_add_f64 v[176:177], v[36:37], v[156:157]
	v_cvt_f32_f64_e32 v163, v[163:164]
	v_cvt_f32_f64_e32 v164, v[165:166]
	;; [unrolled: 1-line block ×4, first 2 shown]
	v_min3_f32 v163, v163, v164, v222
	v_min_f32_e32 v164, v165, v166
	v_min3_f32 v162, v162, v164, v163
	v_lshlrev_b64 v[164:165], 3, v[0:1]
	v_cvt_f64_f32_e32 v[162:163], v162
	v_add_co_u32 v164, vcc_lo, v170, v164
	v_add_co_ci_u32_e64 v165, null, v171, v165, vcc_lo
	global_store_dwordx2 v[164:165], v[162:163], off
.LBB167_48:
	s_or_b32 exec_lo, exec_lo, s1
	v_add_nc_u32_e32 v162, 32, v0
	v_cmp_gt_i32_e64 s1, s12, v162
	v_ashrrev_i32_e32 v163, 31, v162
	s_and_b32 s3, s1, s4
	s_and_saveexec_b32 s2, s3
	s_cbranch_execz .LBB167_53
; %bb.49:
	v_cmp_ne_u32_e32 vcc_lo, 1, v168
	s_cbranch_vccnz .LBB167_51
; %bb.50:
	v_lshlrev_b64 v[164:165], 3, v[162:163]
	buffer_load_dword v166, off, s[36:39], 0 ; 4-byte Folded Reload
	v_add_co_u32 v164, vcc_lo, v172, v164
	v_add_co_ci_u32_e64 v165, null, v173, v165, vcc_lo
	global_load_dwordx2 v[164:165], v[164:165], off
	s_waitcnt vmcnt(0)
	v_mul_f64 v[164:165], s[10:11], v[164:165]
	v_cvt_f32_f64_e32 v164, v[164:165]
	s_branch .LBB167_52
.LBB167_51:
	buffer_load_dword v166, off, s[36:39], 0 ; 4-byte Folded Reload
	v_mov_b32_e32 v164, 0
.LBB167_52:
	s_waitcnt vmcnt(0)
	buffer_store_dword v166, off, s[36:39], 0 ; 4-byte Folded Spill
	s_waitcnt lgkmcnt(35)
	v_add_f64 v[165:166], v[26:27], v[158:159]
	v_add_f64 v[174:175], v[28:29], v[160:161]
	s_waitcnt lgkmcnt(34)
	v_add_f64 v[176:177], v[30:31], v[154:155]
	v_add_f64 v[178:179], v[32:33], v[156:157]
	v_cvt_f32_f64_e32 v165, v[165:166]
	v_cvt_f32_f64_e32 v166, v[174:175]
	;; [unrolled: 1-line block ×4, first 2 shown]
	v_min3_f32 v165, v165, v166, v221
	v_min_f32_e32 v166, v167, v174
	v_min3_f32 v164, v164, v166, v165
	v_lshlrev_b64 v[166:167], 3, v[162:163]
	v_cvt_f64_f32_e32 v[164:165], v164
	v_add_co_u32 v166, vcc_lo, v170, v166
	v_add_co_ci_u32_e64 v167, null, v171, v167, vcc_lo
	global_store_dwordx2 v[166:167], v[164:165], off
.LBB167_53:
	s_or_b32 exec_lo, exec_lo, s2
	v_add_nc_u32_e32 v164, 64, v0
	v_cmp_gt_i32_e64 s2, s12, v164
	v_ashrrev_i32_e32 v165, 31, v164
	s_and_b32 s8, s2, s4
	s_and_saveexec_b32 s3, s8
	s_cbranch_execz .LBB167_58
; %bb.54:
	v_cmp_ne_u32_e32 vcc_lo, 1, v168
	s_cbranch_vccnz .LBB167_56
; %bb.55:
	v_lshlrev_b64 v[166:167], 3, v[164:165]
	buffer_load_dword v174, off, s[36:39], 0 ; 4-byte Folded Reload
	v_add_co_u32 v166, vcc_lo, v172, v166
	v_add_co_ci_u32_e64 v167, null, v173, v167, vcc_lo
	global_load_dwordx2 v[166:167], v[166:167], off
	s_waitcnt vmcnt(0)
	v_mul_f64 v[166:167], s[10:11], v[166:167]
	v_cvt_f32_f64_e32 v166, v[166:167]
	s_branch .LBB167_57
.LBB167_56:
	buffer_load_dword v174, off, s[36:39], 0 ; 4-byte Folded Reload
	v_mov_b32_e32 v166, 0
.LBB167_57:
	s_waitcnt vmcnt(0)
	buffer_store_dword v174, off, s[36:39], 0 ; 4-byte Folded Spill
	s_waitcnt lgkmcnt(33)
	v_add_f64 v[174:175], v[22:23], v[158:159]
	v_add_f64 v[176:177], v[24:25], v[160:161]
	s_waitcnt lgkmcnt(32)
	v_add_f64 v[178:179], v[18:19], v[154:155]
	v_add_f64 v[180:181], v[20:21], v[156:157]
	v_cvt_f32_f64_e32 v167, v[174:175]
	v_cvt_f32_f64_e32 v174, v[176:177]
	;; [unrolled: 1-line block ×4, first 2 shown]
	v_min3_f32 v167, v167, v174, v220
	v_min_f32_e32 v174, v175, v176
	v_min3_f32 v166, v166, v174, v167
	v_lshlrev_b64 v[174:175], 3, v[164:165]
	v_cvt_f64_f32_e32 v[166:167], v166
	v_add_co_u32 v174, vcc_lo, v170, v174
	v_add_co_ci_u32_e64 v175, null, v171, v175, vcc_lo
	global_store_dwordx2 v[174:175], v[166:167], off
.LBB167_58:
	s_or_b32 exec_lo, exec_lo, s3
	v_add_nc_u32_e32 v166, 0x60, v0
	v_cmp_gt_i32_e64 s3, s12, v166
	v_ashrrev_i32_e32 v167, 31, v166
	s_and_b32 s8, s3, s4
	s_and_saveexec_b32 s4, s8
	s_cbranch_execz .LBB167_63
; %bb.59:
	v_cmp_ne_u32_e32 vcc_lo, 1, v168
	s_cbranch_vccnz .LBB167_61
; %bb.60:
	v_lshlrev_b64 v[174:175], 3, v[166:167]
	v_add_co_u32 v172, vcc_lo, v172, v174
	v_add_co_ci_u32_e64 v173, null, v173, v175, vcc_lo
	global_load_dwordx2 v[172:173], v[172:173], off
	s_waitcnt vmcnt(0)
	v_mul_f64 v[172:173], s[10:11], v[172:173]
	v_cvt_f32_f64_e32 v172, v[172:173]
	s_branch .LBB167_62
.LBB167_61:
	v_mov_b32_e32 v172, 0
.LBB167_62:
	s_waitcnt lgkmcnt(31)
	v_add_f64 v[158:159], v[6:7], v[158:159]
	v_add_f64 v[160:161], v[8:9], v[160:161]
	s_waitcnt lgkmcnt(30)
	v_add_f64 v[154:155], v[2:3], v[154:155]
	v_add_f64 v[156:157], v[4:5], v[156:157]
	v_cvt_f32_f64_e32 v158, v[158:159]
	v_cvt_f32_f64_e32 v159, v[160:161]
	;; [unrolled: 1-line block ×4, first 2 shown]
	v_min3_f32 v156, v158, v159, v219
	v_min_f32_e32 v154, v154, v155
	v_min3_f32 v154, v172, v154, v156
	v_lshlrev_b64 v[156:157], 3, v[166:167]
	v_cvt_f64_f32_e32 v[154:155], v154
	v_add_co_u32 v156, vcc_lo, v170, v156
	v_add_co_ci_u32_e64 v157, null, v171, v157, vcc_lo
	global_store_dwordx2 v[156:157], v[154:155], off
.LBB167_63:
	s_or_b32 exec_lo, exec_lo, s4
	s_waitcnt lgkmcnt(37)
	v_add_nc_u32_e32 v158, 8, v169
	s_waitcnt lgkmcnt(36)
	v_mad_i64_i32 v[154:155], null, v158, s6, 0
	v_mad_i64_i32 v[156:157], null, v158, s5, 0
	v_cmp_gt_i32_e64 s4, s13, v158
	v_lshlrev_b64 v[154:155], 3, v[154:155]
	s_and_b32 s12, s0, s4
	v_lshlrev_b64 v[158:159], 3, v[156:157]
	v_add_co_u32 v156, vcc_lo, s22, v154
	v_add_co_ci_u32_e64 v157, null, s23, v155, vcc_lo
	v_add_co_u32 v154, vcc_lo, s7, v158
	v_add_co_ci_u32_e64 v155, null, s9, v159, vcc_lo
	s_and_saveexec_b32 s8, s12
	s_cbranch_execnz .LBB167_67
; %bb.64:
	s_or_b32 exec_lo, exec_lo, s8
	s_and_b32 s12, s1, s4
	s_and_saveexec_b32 s8, s12
	s_cbranch_execnz .LBB167_71
.LBB167_65:
	s_or_b32 exec_lo, exec_lo, s8
	s_and_b32 s12, s2, s4
	s_and_saveexec_b32 s8, s12
	s_cbranch_execnz .LBB167_75
.LBB167_66:
	s_or_b32 exec_lo, exec_lo, s8
	s_and_b32 s8, s3, s4
	s_and_saveexec_b32 s4, s8
	s_cbranch_execnz .LBB167_79
	s_branch .LBB167_83
.LBB167_67:
	v_cmp_ne_u32_e32 vcc_lo, 1, v168
	s_cbranch_vccnz .LBB167_69
; %bb.68:
	v_lshlrev_b64 v[158:159], 3, v[0:1]
	v_add_co_u32 v158, vcc_lo, v156, v158
	v_add_co_ci_u32_e64 v159, null, v157, v159, vcc_lo
	global_load_dwordx2 v[158:159], v[158:159], off
	s_waitcnt vmcnt(0)
	v_mul_f64 v[158:159], s[10:11], v[158:159]
	v_cvt_f32_f64_e32 v158, v[158:159]
	s_branch .LBB167_70
.LBB167_69:
	v_mov_b32_e32 v158, 0
.LBB167_70:
	s_waitcnt lgkmcnt(29)
	v_add_f64 v[159:160], v[38:39], v[150:151]
	v_add_f64 v[170:171], v[40:41], v[152:153]
	s_waitcnt lgkmcnt(28)
	v_add_f64 v[172:173], v[34:35], v[146:147]
	v_add_f64 v[174:175], v[36:37], v[148:149]
	v_cvt_f32_f64_e32 v159, v[159:160]
	v_cvt_f32_f64_e32 v160, v[170:171]
	;; [unrolled: 1-line block ×4, first 2 shown]
	v_min3_f32 v159, v159, v160, v244
	v_min_f32_e32 v160, v161, v170
	v_min3_f32 v158, v158, v160, v159
	v_lshlrev_b64 v[160:161], 3, v[0:1]
	v_cvt_f64_f32_e32 v[158:159], v158
	v_add_co_u32 v160, vcc_lo, v154, v160
	v_add_co_ci_u32_e64 v161, null, v155, v161, vcc_lo
	global_store_dwordx2 v[160:161], v[158:159], off
	s_or_b32 exec_lo, exec_lo, s8
	s_and_b32 s12, s1, s4
	s_and_saveexec_b32 s8, s12
	s_cbranch_execz .LBB167_65
.LBB167_71:
	v_cmp_ne_u32_e32 vcc_lo, 1, v168
	s_cbranch_vccnz .LBB167_73
; %bb.72:
	v_lshlrev_b64 v[158:159], 3, v[162:163]
	v_add_co_u32 v158, vcc_lo, v156, v158
	v_add_co_ci_u32_e64 v159, null, v157, v159, vcc_lo
	global_load_dwordx2 v[158:159], v[158:159], off
	s_waitcnt vmcnt(0)
	v_mul_f64 v[158:159], s[10:11], v[158:159]
	v_cvt_f32_f64_e32 v158, v[158:159]
	s_branch .LBB167_74
.LBB167_73:
	v_mov_b32_e32 v158, 0
.LBB167_74:
	s_waitcnt lgkmcnt(29)
	v_add_f64 v[159:160], v[26:27], v[150:151]
	v_add_f64 v[170:171], v[28:29], v[152:153]
	s_waitcnt lgkmcnt(28)
	v_add_f64 v[172:173], v[30:31], v[146:147]
	v_add_f64 v[174:175], v[32:33], v[148:149]
	v_cvt_f32_f64_e32 v159, v[159:160]
	v_cvt_f32_f64_e32 v160, v[170:171]
	;; [unrolled: 1-line block ×4, first 2 shown]
	v_min3_f32 v159, v159, v160, v243
	v_min_f32_e32 v160, v161, v170
	v_min3_f32 v158, v158, v160, v159
	v_lshlrev_b64 v[160:161], 3, v[162:163]
	v_cvt_f64_f32_e32 v[158:159], v158
	v_add_co_u32 v160, vcc_lo, v154, v160
	v_add_co_ci_u32_e64 v161, null, v155, v161, vcc_lo
	global_store_dwordx2 v[160:161], v[158:159], off
	s_or_b32 exec_lo, exec_lo, s8
	s_and_b32 s12, s2, s4
	s_and_saveexec_b32 s8, s12
	s_cbranch_execz .LBB167_66
.LBB167_75:
	v_cmp_ne_u32_e32 vcc_lo, 1, v168
	s_cbranch_vccnz .LBB167_77
; %bb.76:
	v_lshlrev_b64 v[158:159], 3, v[164:165]
	v_add_co_u32 v158, vcc_lo, v156, v158
	v_add_co_ci_u32_e64 v159, null, v157, v159, vcc_lo
	global_load_dwordx2 v[158:159], v[158:159], off
	s_waitcnt vmcnt(0)
	v_mul_f64 v[158:159], s[10:11], v[158:159]
	v_cvt_f32_f64_e32 v158, v[158:159]
	s_branch .LBB167_78
.LBB167_77:
	v_mov_b32_e32 v158, 0
.LBB167_78:
	s_waitcnt lgkmcnt(29)
	v_add_f64 v[159:160], v[22:23], v[150:151]
	v_add_f64 v[170:171], v[24:25], v[152:153]
	s_waitcnt lgkmcnt(28)
	v_add_f64 v[172:173], v[18:19], v[146:147]
	v_add_f64 v[174:175], v[20:21], v[148:149]
	v_cvt_f32_f64_e32 v159, v[159:160]
	v_cvt_f32_f64_e32 v160, v[170:171]
	;; [unrolled: 1-line block ×4, first 2 shown]
	v_min3_f32 v159, v159, v160, v242
	v_min_f32_e32 v160, v161, v170
	v_min3_f32 v158, v158, v160, v159
	v_lshlrev_b64 v[160:161], 3, v[164:165]
	v_cvt_f64_f32_e32 v[158:159], v158
	v_add_co_u32 v160, vcc_lo, v154, v160
	v_add_co_ci_u32_e64 v161, null, v155, v161, vcc_lo
	global_store_dwordx2 v[160:161], v[158:159], off
	s_or_b32 exec_lo, exec_lo, s8
	s_and_b32 s8, s3, s4
	s_and_saveexec_b32 s4, s8
	s_cbranch_execz .LBB167_83
.LBB167_79:
	v_cmp_ne_u32_e32 vcc_lo, 1, v168
	s_cbranch_vccnz .LBB167_81
; %bb.80:
	v_lshlrev_b64 v[158:159], 3, v[166:167]
	v_add_co_u32 v156, vcc_lo, v156, v158
	v_add_co_ci_u32_e64 v157, null, v157, v159, vcc_lo
	global_load_dwordx2 v[156:157], v[156:157], off
	s_waitcnt vmcnt(0)
	v_mul_f64 v[156:157], s[10:11], v[156:157]
	v_cvt_f32_f64_e32 v156, v[156:157]
	s_branch .LBB167_82
.LBB167_81:
	v_mov_b32_e32 v156, 0
.LBB167_82:
	s_waitcnt lgkmcnt(29)
	v_add_f64 v[150:151], v[6:7], v[150:151]
	v_add_f64 v[152:153], v[8:9], v[152:153]
	s_waitcnt lgkmcnt(28)
	v_add_f64 v[146:147], v[2:3], v[146:147]
	v_add_f64 v[148:149], v[4:5], v[148:149]
	v_cvt_f32_f64_e32 v150, v[150:151]
	v_cvt_f32_f64_e32 v151, v[152:153]
	;; [unrolled: 1-line block ×4, first 2 shown]
	v_min3_f32 v148, v150, v151, v241
	v_min_f32_e32 v146, v146, v147
	v_min3_f32 v146, v156, v146, v148
	v_lshlrev_b64 v[148:149], 3, v[166:167]
	v_cvt_f64_f32_e32 v[146:147], v146
	v_add_co_u32 v148, vcc_lo, v154, v148
	v_add_co_ci_u32_e64 v149, null, v155, v149, vcc_lo
	global_store_dwordx2 v[148:149], v[146:147], off
.LBB167_83:
	s_or_b32 exec_lo, exec_lo, s4
	s_waitcnt lgkmcnt(29)
	v_add_nc_u32_e32 v150, 16, v169
	s_waitcnt lgkmcnt(28)
	v_mad_i64_i32 v[146:147], null, v150, s6, 0
	v_mad_i64_i32 v[148:149], null, v150, s5, 0
	v_cmp_gt_i32_e64 s4, s13, v150
	v_lshlrev_b64 v[146:147], 3, v[146:147]
	s_and_b32 s12, s0, s4
	v_lshlrev_b64 v[150:151], 3, v[148:149]
	v_add_co_u32 v148, vcc_lo, s22, v146
	v_add_co_ci_u32_e64 v149, null, s23, v147, vcc_lo
	v_add_co_u32 v146, vcc_lo, s7, v150
	v_add_co_ci_u32_e64 v147, null, s9, v151, vcc_lo
	s_and_saveexec_b32 s8, s12
	s_cbranch_execnz .LBB167_87
; %bb.84:
	s_or_b32 exec_lo, exec_lo, s8
	s_and_b32 s12, s1, s4
	s_and_saveexec_b32 s8, s12
	s_cbranch_execnz .LBB167_91
.LBB167_85:
	s_or_b32 exec_lo, exec_lo, s8
	s_and_b32 s12, s2, s4
	s_and_saveexec_b32 s8, s12
	s_cbranch_execnz .LBB167_95
.LBB167_86:
	s_or_b32 exec_lo, exec_lo, s8
	s_and_b32 s8, s3, s4
	s_and_saveexec_b32 s4, s8
	s_cbranch_execnz .LBB167_99
	s_branch .LBB167_103
.LBB167_87:
	v_cmp_ne_u32_e32 vcc_lo, 1, v168
	s_cbranch_vccnz .LBB167_89
; %bb.88:
	v_lshlrev_b64 v[150:151], 3, v[0:1]
	v_add_co_u32 v150, vcc_lo, v148, v150
	v_add_co_ci_u32_e64 v151, null, v149, v151, vcc_lo
	global_load_dwordx2 v[150:151], v[150:151], off
	s_waitcnt vmcnt(0)
	v_mul_f64 v[150:151], s[10:11], v[150:151]
	v_cvt_f32_f64_e32 v150, v[150:151]
	s_branch .LBB167_90
.LBB167_89:
	v_mov_b32_e32 v150, 0
.LBB167_90:
	s_waitcnt lgkmcnt(27)
	v_add_f64 v[151:152], v[38:39], v[142:143]
	v_add_f64 v[153:154], v[40:41], v[144:145]
	s_waitcnt lgkmcnt(26)
	v_add_f64 v[155:156], v[34:35], v[138:139]
	v_add_f64 v[157:158], v[36:37], v[140:141]
	v_cvt_f32_f64_e32 v151, v[151:152]
	v_cvt_f32_f64_e32 v152, v[153:154]
	;; [unrolled: 1-line block ×4, first 2 shown]
	v_min3_f32 v151, v151, v152, v240
	v_min_f32_e32 v152, v153, v154
	v_min3_f32 v150, v150, v152, v151
	v_lshlrev_b64 v[152:153], 3, v[0:1]
	v_cvt_f64_f32_e32 v[150:151], v150
	v_add_co_u32 v152, vcc_lo, v146, v152
	v_add_co_ci_u32_e64 v153, null, v147, v153, vcc_lo
	global_store_dwordx2 v[152:153], v[150:151], off
	s_or_b32 exec_lo, exec_lo, s8
	s_and_b32 s12, s1, s4
	s_and_saveexec_b32 s8, s12
	s_cbranch_execz .LBB167_85
.LBB167_91:
	v_cmp_ne_u32_e32 vcc_lo, 1, v168
	s_cbranch_vccnz .LBB167_93
; %bb.92:
	v_lshlrev_b64 v[150:151], 3, v[162:163]
	v_add_co_u32 v150, vcc_lo, v148, v150
	v_add_co_ci_u32_e64 v151, null, v149, v151, vcc_lo
	global_load_dwordx2 v[150:151], v[150:151], off
	s_waitcnt vmcnt(0)
	v_mul_f64 v[150:151], s[10:11], v[150:151]
	v_cvt_f32_f64_e32 v150, v[150:151]
	s_branch .LBB167_94
.LBB167_93:
	v_mov_b32_e32 v150, 0
.LBB167_94:
	s_waitcnt lgkmcnt(27)
	v_add_f64 v[151:152], v[26:27], v[142:143]
	v_add_f64 v[153:154], v[28:29], v[144:145]
	s_waitcnt lgkmcnt(26)
	v_add_f64 v[155:156], v[30:31], v[138:139]
	v_add_f64 v[157:158], v[32:33], v[140:141]
	v_cvt_f32_f64_e32 v151, v[151:152]
	v_cvt_f32_f64_e32 v152, v[153:154]
	;; [unrolled: 1-line block ×4, first 2 shown]
	v_min3_f32 v151, v151, v152, v239
	v_min_f32_e32 v152, v153, v154
	v_min3_f32 v150, v150, v152, v151
	v_lshlrev_b64 v[152:153], 3, v[162:163]
	v_cvt_f64_f32_e32 v[150:151], v150
	v_add_co_u32 v152, vcc_lo, v146, v152
	v_add_co_ci_u32_e64 v153, null, v147, v153, vcc_lo
	global_store_dwordx2 v[152:153], v[150:151], off
	s_or_b32 exec_lo, exec_lo, s8
	s_and_b32 s12, s2, s4
	s_and_saveexec_b32 s8, s12
	s_cbranch_execz .LBB167_86
.LBB167_95:
	v_cmp_ne_u32_e32 vcc_lo, 1, v168
	s_cbranch_vccnz .LBB167_97
; %bb.96:
	v_lshlrev_b64 v[150:151], 3, v[164:165]
	v_add_co_u32 v150, vcc_lo, v148, v150
	v_add_co_ci_u32_e64 v151, null, v149, v151, vcc_lo
	global_load_dwordx2 v[150:151], v[150:151], off
	s_waitcnt vmcnt(0)
	v_mul_f64 v[150:151], s[10:11], v[150:151]
	v_cvt_f32_f64_e32 v150, v[150:151]
	s_branch .LBB167_98
.LBB167_97:
	v_mov_b32_e32 v150, 0
.LBB167_98:
	s_waitcnt lgkmcnt(27)
	v_add_f64 v[151:152], v[22:23], v[142:143]
	v_add_f64 v[153:154], v[24:25], v[144:145]
	s_waitcnt lgkmcnt(26)
	v_add_f64 v[155:156], v[18:19], v[138:139]
	v_add_f64 v[157:158], v[20:21], v[140:141]
	v_cvt_f32_f64_e32 v151, v[151:152]
	v_cvt_f32_f64_e32 v152, v[153:154]
	;; [unrolled: 1-line block ×4, first 2 shown]
	v_min3_f32 v151, v151, v152, v238
	v_min_f32_e32 v152, v153, v154
	v_min3_f32 v150, v150, v152, v151
	v_lshlrev_b64 v[152:153], 3, v[164:165]
	v_cvt_f64_f32_e32 v[150:151], v150
	v_add_co_u32 v152, vcc_lo, v146, v152
	v_add_co_ci_u32_e64 v153, null, v147, v153, vcc_lo
	global_store_dwordx2 v[152:153], v[150:151], off
	s_or_b32 exec_lo, exec_lo, s8
	s_and_b32 s8, s3, s4
	s_and_saveexec_b32 s4, s8
	s_cbranch_execz .LBB167_103
.LBB167_99:
	v_cmp_ne_u32_e32 vcc_lo, 1, v168
	s_cbranch_vccnz .LBB167_101
; %bb.100:
	v_lshlrev_b64 v[150:151], 3, v[166:167]
	v_add_co_u32 v148, vcc_lo, v148, v150
	v_add_co_ci_u32_e64 v149, null, v149, v151, vcc_lo
	global_load_dwordx2 v[148:149], v[148:149], off
	s_waitcnt vmcnt(0)
	v_mul_f64 v[148:149], s[10:11], v[148:149]
	v_cvt_f32_f64_e32 v148, v[148:149]
	s_branch .LBB167_102
.LBB167_101:
	v_mov_b32_e32 v148, 0
.LBB167_102:
	s_waitcnt lgkmcnt(27)
	v_add_f64 v[142:143], v[6:7], v[142:143]
	v_add_f64 v[144:145], v[8:9], v[144:145]
	s_waitcnt lgkmcnt(26)
	v_add_f64 v[138:139], v[2:3], v[138:139]
	v_add_f64 v[140:141], v[4:5], v[140:141]
	v_cvt_f32_f64_e32 v142, v[142:143]
	v_cvt_f32_f64_e32 v143, v[144:145]
	;; [unrolled: 1-line block ×4, first 2 shown]
	v_min3_f32 v140, v142, v143, v224
	v_min_f32_e32 v138, v138, v139
	v_min3_f32 v138, v148, v138, v140
	v_lshlrev_b64 v[140:141], 3, v[166:167]
	v_cvt_f64_f32_e32 v[138:139], v138
	v_add_co_u32 v140, vcc_lo, v146, v140
	v_add_co_ci_u32_e64 v141, null, v147, v141, vcc_lo
	global_store_dwordx2 v[140:141], v[138:139], off
.LBB167_103:
	s_or_b32 exec_lo, exec_lo, s4
	s_waitcnt lgkmcnt(27)
	v_add_nc_u32_e32 v142, 24, v169
	s_waitcnt lgkmcnt(26)
	v_mad_i64_i32 v[138:139], null, v142, s6, 0
	v_mad_i64_i32 v[140:141], null, v142, s5, 0
	v_cmp_gt_i32_e64 s4, s13, v142
	v_lshlrev_b64 v[138:139], 3, v[138:139]
	s_and_b32 s12, s0, s4
	v_lshlrev_b64 v[142:143], 3, v[140:141]
	v_add_co_u32 v140, vcc_lo, s22, v138
	v_add_co_ci_u32_e64 v141, null, s23, v139, vcc_lo
	v_add_co_u32 v138, vcc_lo, s7, v142
	v_add_co_ci_u32_e64 v139, null, s9, v143, vcc_lo
	s_and_saveexec_b32 s8, s12
	s_cbranch_execnz .LBB167_107
; %bb.104:
	s_or_b32 exec_lo, exec_lo, s8
	s_and_b32 s12, s1, s4
	s_and_saveexec_b32 s8, s12
	s_cbranch_execnz .LBB167_111
.LBB167_105:
	s_or_b32 exec_lo, exec_lo, s8
	s_and_b32 s12, s2, s4
	s_and_saveexec_b32 s8, s12
	s_cbranch_execnz .LBB167_115
.LBB167_106:
	s_or_b32 exec_lo, exec_lo, s8
	s_and_b32 s8, s3, s4
	s_and_saveexec_b32 s4, s8
	s_cbranch_execnz .LBB167_119
	s_branch .LBB167_123
.LBB167_107:
	v_cmp_ne_u32_e32 vcc_lo, 1, v168
	s_cbranch_vccnz .LBB167_109
; %bb.108:
	v_lshlrev_b64 v[142:143], 3, v[0:1]
	v_add_co_u32 v142, vcc_lo, v140, v142
	v_add_co_ci_u32_e64 v143, null, v141, v143, vcc_lo
	global_load_dwordx2 v[142:143], v[142:143], off
	s_waitcnt vmcnt(0)
	v_mul_f64 v[142:143], s[10:11], v[142:143]
	v_cvt_f32_f64_e32 v142, v[142:143]
	s_branch .LBB167_110
.LBB167_109:
	v_mov_b32_e32 v142, 0
.LBB167_110:
	s_waitcnt lgkmcnt(25)
	v_add_f64 v[143:144], v[38:39], v[134:135]
	v_add_f64 v[145:146], v[40:41], v[136:137]
	s_waitcnt lgkmcnt(24)
	v_add_f64 v[147:148], v[34:35], v[130:131]
	v_add_f64 v[149:150], v[36:37], v[132:133]
	v_cvt_f32_f64_e32 v143, v[143:144]
	v_cvt_f32_f64_e32 v144, v[145:146]
	;; [unrolled: 1-line block ×4, first 2 shown]
	v_min3_f32 v143, v143, v144, v236
	v_min_f32_e32 v144, v145, v146
	v_min3_f32 v142, v142, v144, v143
	v_lshlrev_b64 v[144:145], 3, v[0:1]
	v_cvt_f64_f32_e32 v[142:143], v142
	v_add_co_u32 v144, vcc_lo, v138, v144
	v_add_co_ci_u32_e64 v145, null, v139, v145, vcc_lo
	global_store_dwordx2 v[144:145], v[142:143], off
	s_or_b32 exec_lo, exec_lo, s8
	s_and_b32 s12, s1, s4
	s_and_saveexec_b32 s8, s12
	s_cbranch_execz .LBB167_105
.LBB167_111:
	v_cmp_ne_u32_e32 vcc_lo, 1, v168
	s_cbranch_vccnz .LBB167_113
; %bb.112:
	v_lshlrev_b64 v[142:143], 3, v[162:163]
	v_add_co_u32 v142, vcc_lo, v140, v142
	v_add_co_ci_u32_e64 v143, null, v141, v143, vcc_lo
	global_load_dwordx2 v[142:143], v[142:143], off
	s_waitcnt vmcnt(0)
	v_mul_f64 v[142:143], s[10:11], v[142:143]
	v_cvt_f32_f64_e32 v142, v[142:143]
	s_branch .LBB167_114
.LBB167_113:
	v_mov_b32_e32 v142, 0
.LBB167_114:
	s_waitcnt lgkmcnt(25)
	v_add_f64 v[143:144], v[26:27], v[134:135]
	v_add_f64 v[145:146], v[28:29], v[136:137]
	s_waitcnt lgkmcnt(24)
	v_add_f64 v[147:148], v[30:31], v[130:131]
	v_add_f64 v[149:150], v[32:33], v[132:133]
	v_cvt_f32_f64_e32 v143, v[143:144]
	v_cvt_f32_f64_e32 v144, v[145:146]
	;; [unrolled: 1-line block ×4, first 2 shown]
	v_min3_f32 v143, v143, v144, v235
	v_min_f32_e32 v144, v145, v146
	v_min3_f32 v142, v142, v144, v143
	v_lshlrev_b64 v[144:145], 3, v[162:163]
	v_cvt_f64_f32_e32 v[142:143], v142
	v_add_co_u32 v144, vcc_lo, v138, v144
	v_add_co_ci_u32_e64 v145, null, v139, v145, vcc_lo
	global_store_dwordx2 v[144:145], v[142:143], off
	s_or_b32 exec_lo, exec_lo, s8
	s_and_b32 s12, s2, s4
	s_and_saveexec_b32 s8, s12
	s_cbranch_execz .LBB167_106
.LBB167_115:
	v_cmp_ne_u32_e32 vcc_lo, 1, v168
	s_cbranch_vccnz .LBB167_117
; %bb.116:
	v_lshlrev_b64 v[142:143], 3, v[164:165]
	v_add_co_u32 v142, vcc_lo, v140, v142
	v_add_co_ci_u32_e64 v143, null, v141, v143, vcc_lo
	global_load_dwordx2 v[142:143], v[142:143], off
	s_waitcnt vmcnt(0)
	v_mul_f64 v[142:143], s[10:11], v[142:143]
	v_cvt_f32_f64_e32 v142, v[142:143]
	s_branch .LBB167_118
.LBB167_117:
	v_mov_b32_e32 v142, 0
.LBB167_118:
	s_waitcnt lgkmcnt(25)
	v_add_f64 v[143:144], v[22:23], v[134:135]
	v_add_f64 v[145:146], v[24:25], v[136:137]
	s_waitcnt lgkmcnt(24)
	v_add_f64 v[147:148], v[18:19], v[130:131]
	v_add_f64 v[149:150], v[20:21], v[132:133]
	v_cvt_f32_f64_e32 v143, v[143:144]
	v_cvt_f32_f64_e32 v144, v[145:146]
	;; [unrolled: 1-line block ×4, first 2 shown]
	v_min3_f32 v143, v143, v144, v223
	v_min_f32_e32 v144, v145, v146
	v_min3_f32 v142, v142, v144, v143
	v_lshlrev_b64 v[144:145], 3, v[164:165]
	v_cvt_f64_f32_e32 v[142:143], v142
	v_add_co_u32 v144, vcc_lo, v138, v144
	v_add_co_ci_u32_e64 v145, null, v139, v145, vcc_lo
	global_store_dwordx2 v[144:145], v[142:143], off
	s_or_b32 exec_lo, exec_lo, s8
	s_and_b32 s8, s3, s4
	s_and_saveexec_b32 s4, s8
	s_cbranch_execz .LBB167_123
.LBB167_119:
	v_cmp_ne_u32_e32 vcc_lo, 1, v168
	s_cbranch_vccnz .LBB167_121
; %bb.120:
	v_lshlrev_b64 v[142:143], 3, v[166:167]
	v_add_co_u32 v140, vcc_lo, v140, v142
	v_add_co_ci_u32_e64 v141, null, v141, v143, vcc_lo
	global_load_dwordx2 v[140:141], v[140:141], off
	s_waitcnt vmcnt(0)
	v_mul_f64 v[140:141], s[10:11], v[140:141]
	v_cvt_f32_f64_e32 v140, v[140:141]
	s_branch .LBB167_122
.LBB167_121:
	v_mov_b32_e32 v140, 0
.LBB167_122:
	s_waitcnt lgkmcnt(25)
	v_add_f64 v[134:135], v[6:7], v[134:135]
	v_add_f64 v[136:137], v[8:9], v[136:137]
	s_waitcnt lgkmcnt(24)
	v_add_f64 v[130:131], v[2:3], v[130:131]
	v_add_f64 v[132:133], v[4:5], v[132:133]
	v_cvt_f32_f64_e32 v134, v[134:135]
	v_cvt_f32_f64_e32 v135, v[136:137]
	;; [unrolled: 1-line block ×4, first 2 shown]
	v_min3_f32 v132, v134, v135, v229
	v_min_f32_e32 v130, v130, v131
	v_min3_f32 v130, v140, v130, v132
	v_lshlrev_b64 v[132:133], 3, v[166:167]
	v_cvt_f64_f32_e32 v[130:131], v130
	v_add_co_u32 v132, vcc_lo, v138, v132
	v_add_co_ci_u32_e64 v133, null, v139, v133, vcc_lo
	global_store_dwordx2 v[132:133], v[130:131], off
.LBB167_123:
	s_or_b32 exec_lo, exec_lo, s4
	s_waitcnt lgkmcnt(25)
	v_add_nc_u32_e32 v134, 32, v169
	s_waitcnt lgkmcnt(24)
	v_mad_i64_i32 v[130:131], null, v134, s6, 0
	v_mad_i64_i32 v[132:133], null, v134, s5, 0
	v_cmp_gt_i32_e64 s4, s13, v134
	v_lshlrev_b64 v[130:131], 3, v[130:131]
	s_and_b32 s12, s0, s4
	v_lshlrev_b64 v[134:135], 3, v[132:133]
	v_add_co_u32 v132, vcc_lo, s22, v130
	v_add_co_ci_u32_e64 v133, null, s23, v131, vcc_lo
	v_add_co_u32 v130, vcc_lo, s7, v134
	v_add_co_ci_u32_e64 v131, null, s9, v135, vcc_lo
	s_and_saveexec_b32 s8, s12
	s_cbranch_execnz .LBB167_127
; %bb.124:
	s_or_b32 exec_lo, exec_lo, s8
	s_and_b32 s12, s1, s4
	s_and_saveexec_b32 s8, s12
	s_cbranch_execnz .LBB167_131
.LBB167_125:
	s_or_b32 exec_lo, exec_lo, s8
	s_and_b32 s12, s2, s4
	s_and_saveexec_b32 s8, s12
	s_cbranch_execnz .LBB167_135
.LBB167_126:
	s_or_b32 exec_lo, exec_lo, s8
	s_and_b32 s8, s3, s4
	s_and_saveexec_b32 s4, s8
	s_cbranch_execnz .LBB167_139
	s_branch .LBB167_143
.LBB167_127:
	v_cmp_ne_u32_e32 vcc_lo, 1, v168
	s_cbranch_vccnz .LBB167_129
; %bb.128:
	v_lshlrev_b64 v[134:135], 3, v[0:1]
	v_add_co_u32 v134, vcc_lo, v132, v134
	v_add_co_ci_u32_e64 v135, null, v133, v135, vcc_lo
	global_load_dwordx2 v[134:135], v[134:135], off
	s_waitcnt vmcnt(0)
	v_mul_f64 v[134:135], s[10:11], v[134:135]
	v_cvt_f32_f64_e32 v134, v[134:135]
	s_branch .LBB167_130
.LBB167_129:
	v_mov_b32_e32 v134, 0
.LBB167_130:
	s_waitcnt lgkmcnt(23)
	v_add_f64 v[135:136], v[38:39], v[126:127]
	v_add_f64 v[137:138], v[40:41], v[128:129]
	s_waitcnt lgkmcnt(22)
	v_add_f64 v[139:140], v[34:35], v[122:123]
	v_add_f64 v[141:142], v[36:37], v[124:125]
	v_cvt_f32_f64_e32 v135, v[135:136]
	v_cvt_f32_f64_e32 v136, v[137:138]
	;; [unrolled: 1-line block ×4, first 2 shown]
	v_min3_f32 v135, v135, v136, v226
	v_min_f32_e32 v136, v137, v138
	v_min3_f32 v134, v134, v136, v135
	v_lshlrev_b64 v[136:137], 3, v[0:1]
	v_cvt_f64_f32_e32 v[134:135], v134
	v_add_co_u32 v136, vcc_lo, v130, v136
	v_add_co_ci_u32_e64 v137, null, v131, v137, vcc_lo
	global_store_dwordx2 v[136:137], v[134:135], off
	s_or_b32 exec_lo, exec_lo, s8
	s_and_b32 s12, s1, s4
	s_and_saveexec_b32 s8, s12
	s_cbranch_execz .LBB167_125
.LBB167_131:
	v_cmp_ne_u32_e32 vcc_lo, 1, v168
	s_cbranch_vccnz .LBB167_133
; %bb.132:
	v_lshlrev_b64 v[134:135], 3, v[162:163]
	v_add_co_u32 v134, vcc_lo, v132, v134
	v_add_co_ci_u32_e64 v135, null, v133, v135, vcc_lo
	global_load_dwordx2 v[134:135], v[134:135], off
	s_waitcnt vmcnt(0)
	v_mul_f64 v[134:135], s[10:11], v[134:135]
	v_cvt_f32_f64_e32 v134, v[134:135]
	s_branch .LBB167_134
.LBB167_133:
	v_mov_b32_e32 v134, 0
.LBB167_134:
	s_waitcnt lgkmcnt(23)
	v_add_f64 v[135:136], v[26:27], v[126:127]
	v_add_f64 v[137:138], v[28:29], v[128:129]
	s_waitcnt lgkmcnt(22)
	v_add_f64 v[139:140], v[30:31], v[122:123]
	v_add_f64 v[141:142], v[32:33], v[124:125]
	v_cvt_f32_f64_e32 v135, v[135:136]
	v_cvt_f32_f64_e32 v136, v[137:138]
	;; [unrolled: 1-line block ×4, first 2 shown]
	v_min3_f32 v135, v135, v136, v246
	v_min_f32_e32 v136, v137, v138
	v_min3_f32 v134, v134, v136, v135
	v_lshlrev_b64 v[136:137], 3, v[162:163]
	v_cvt_f64_f32_e32 v[134:135], v134
	v_add_co_u32 v136, vcc_lo, v130, v136
	v_add_co_ci_u32_e64 v137, null, v131, v137, vcc_lo
	global_store_dwordx2 v[136:137], v[134:135], off
	s_or_b32 exec_lo, exec_lo, s8
	s_and_b32 s12, s2, s4
	s_and_saveexec_b32 s8, s12
	s_cbranch_execz .LBB167_126
.LBB167_135:
	v_cmp_ne_u32_e32 vcc_lo, 1, v168
	s_cbranch_vccnz .LBB167_137
; %bb.136:
	v_lshlrev_b64 v[134:135], 3, v[164:165]
	v_add_co_u32 v134, vcc_lo, v132, v134
	v_add_co_ci_u32_e64 v135, null, v133, v135, vcc_lo
	global_load_dwordx2 v[134:135], v[134:135], off
	s_waitcnt vmcnt(0)
	v_mul_f64 v[134:135], s[10:11], v[134:135]
	v_cvt_f32_f64_e32 v134, v[134:135]
	s_branch .LBB167_138
.LBB167_137:
	v_mov_b32_e32 v134, 0
.LBB167_138:
	s_waitcnt lgkmcnt(23)
	v_add_f64 v[135:136], v[22:23], v[126:127]
	v_add_f64 v[137:138], v[24:25], v[128:129]
	s_waitcnt lgkmcnt(22)
	v_add_f64 v[139:140], v[18:19], v[122:123]
	v_add_f64 v[141:142], v[20:21], v[124:125]
	v_cvt_f32_f64_e32 v135, v[135:136]
	v_cvt_f32_f64_e32 v136, v[137:138]
	;; [unrolled: 1-line block ×4, first 2 shown]
	v_min3_f32 v135, v135, v136, v237
	v_min_f32_e32 v136, v137, v138
	v_min3_f32 v134, v134, v136, v135
	v_lshlrev_b64 v[136:137], 3, v[164:165]
	v_cvt_f64_f32_e32 v[134:135], v134
	v_add_co_u32 v136, vcc_lo, v130, v136
	v_add_co_ci_u32_e64 v137, null, v131, v137, vcc_lo
	global_store_dwordx2 v[136:137], v[134:135], off
	s_or_b32 exec_lo, exec_lo, s8
	s_and_b32 s8, s3, s4
	s_and_saveexec_b32 s4, s8
	s_cbranch_execz .LBB167_143
.LBB167_139:
	v_cmp_ne_u32_e32 vcc_lo, 1, v168
	s_cbranch_vccnz .LBB167_141
; %bb.140:
	v_lshlrev_b64 v[134:135], 3, v[166:167]
	v_add_co_u32 v132, vcc_lo, v132, v134
	v_add_co_ci_u32_e64 v133, null, v133, v135, vcc_lo
	global_load_dwordx2 v[132:133], v[132:133], off
	s_waitcnt vmcnt(0)
	v_mul_f64 v[132:133], s[10:11], v[132:133]
	v_cvt_f32_f64_e32 v132, v[132:133]
	s_branch .LBB167_142
.LBB167_141:
	v_mov_b32_e32 v132, 0
.LBB167_142:
	s_waitcnt lgkmcnt(23)
	v_add_f64 v[126:127], v[6:7], v[126:127]
	v_add_f64 v[128:129], v[8:9], v[128:129]
	s_waitcnt lgkmcnt(22)
	v_add_f64 v[122:123], v[2:3], v[122:123]
	v_add_f64 v[124:125], v[4:5], v[124:125]
	v_cvt_f32_f64_e32 v126, v[126:127]
	v_cvt_f32_f64_e32 v127, v[128:129]
	;; [unrolled: 1-line block ×4, first 2 shown]
	v_min3_f32 v124, v126, v127, v234
	v_min_f32_e32 v122, v122, v123
	v_min3_f32 v122, v132, v122, v124
	v_lshlrev_b64 v[124:125], 3, v[166:167]
	v_cvt_f64_f32_e32 v[122:123], v122
	v_add_co_u32 v124, vcc_lo, v130, v124
	v_add_co_ci_u32_e64 v125, null, v131, v125, vcc_lo
	global_store_dwordx2 v[124:125], v[122:123], off
.LBB167_143:
	s_or_b32 exec_lo, exec_lo, s4
	s_waitcnt lgkmcnt(23)
	v_add_nc_u32_e32 v126, 40, v169
	s_waitcnt lgkmcnt(22)
	v_mad_i64_i32 v[122:123], null, v126, s6, 0
	v_mad_i64_i32 v[124:125], null, v126, s5, 0
	v_cmp_gt_i32_e64 s4, s13, v126
	v_lshlrev_b64 v[122:123], 3, v[122:123]
	s_and_b32 s12, s0, s4
	v_lshlrev_b64 v[126:127], 3, v[124:125]
	v_add_co_u32 v124, vcc_lo, s22, v122
	v_add_co_ci_u32_e64 v125, null, s23, v123, vcc_lo
	v_add_co_u32 v122, vcc_lo, s7, v126
	v_add_co_ci_u32_e64 v123, null, s9, v127, vcc_lo
	s_and_saveexec_b32 s8, s12
	s_cbranch_execnz .LBB167_147
; %bb.144:
	s_or_b32 exec_lo, exec_lo, s8
	s_and_b32 s12, s1, s4
	s_and_saveexec_b32 s8, s12
	s_cbranch_execnz .LBB167_151
.LBB167_145:
	s_or_b32 exec_lo, exec_lo, s8
	s_and_b32 s12, s2, s4
	s_and_saveexec_b32 s8, s12
	s_cbranch_execnz .LBB167_155
.LBB167_146:
	s_or_b32 exec_lo, exec_lo, s8
	s_and_b32 s8, s3, s4
	s_and_saveexec_b32 s4, s8
	s_cbranch_execnz .LBB167_159
	s_branch .LBB167_163
.LBB167_147:
	v_cmp_ne_u32_e32 vcc_lo, 1, v168
	s_cbranch_vccnz .LBB167_149
; %bb.148:
	v_lshlrev_b64 v[126:127], 3, v[0:1]
	v_add_co_u32 v126, vcc_lo, v124, v126
	v_add_co_ci_u32_e64 v127, null, v125, v127, vcc_lo
	global_load_dwordx2 v[126:127], v[126:127], off
	s_waitcnt vmcnt(0)
	v_mul_f64 v[126:127], s[10:11], v[126:127]
	v_cvt_f32_f64_e32 v126, v[126:127]
	s_branch .LBB167_150
.LBB167_149:
	v_mov_b32_e32 v126, 0
.LBB167_150:
	s_waitcnt lgkmcnt(21)
	v_add_f64 v[127:128], v[38:39], v[118:119]
	v_add_f64 v[129:130], v[40:41], v[120:121]
	s_waitcnt lgkmcnt(20)
	v_add_f64 v[131:132], v[34:35], v[114:115]
	v_add_f64 v[133:134], v[36:37], v[116:117]
	v_cvt_f32_f64_e32 v127, v[127:128]
	v_cvt_f32_f64_e32 v128, v[129:130]
	v_cvt_f32_f64_e32 v129, v[131:132]
	v_cvt_f32_f64_e32 v130, v[133:134]
	v_min3_f32 v127, v127, v128, v218
	v_min_f32_e32 v128, v129, v130
	v_min3_f32 v126, v126, v128, v127
	v_lshlrev_b64 v[128:129], 3, v[0:1]
	v_cvt_f64_f32_e32 v[126:127], v126
	v_add_co_u32 v128, vcc_lo, v122, v128
	v_add_co_ci_u32_e64 v129, null, v123, v129, vcc_lo
	global_store_dwordx2 v[128:129], v[126:127], off
	s_or_b32 exec_lo, exec_lo, s8
	s_and_b32 s12, s1, s4
	s_and_saveexec_b32 s8, s12
	s_cbranch_execz .LBB167_145
.LBB167_151:
	v_cmp_ne_u32_e32 vcc_lo, 1, v168
	s_cbranch_vccnz .LBB167_153
; %bb.152:
	v_lshlrev_b64 v[126:127], 3, v[162:163]
	v_add_co_u32 v126, vcc_lo, v124, v126
	v_add_co_ci_u32_e64 v127, null, v125, v127, vcc_lo
	global_load_dwordx2 v[126:127], v[126:127], off
	s_waitcnt vmcnt(0)
	v_mul_f64 v[126:127], s[10:11], v[126:127]
	v_cvt_f32_f64_e32 v126, v[126:127]
	s_branch .LBB167_154
.LBB167_153:
	v_mov_b32_e32 v126, 0
.LBB167_154:
	s_waitcnt lgkmcnt(21)
	v_add_f64 v[127:128], v[26:27], v[118:119]
	v_add_f64 v[129:130], v[28:29], v[120:121]
	s_waitcnt lgkmcnt(20)
	v_add_f64 v[131:132], v[30:31], v[114:115]
	v_add_f64 v[133:134], v[32:33], v[116:117]
	v_cvt_f32_f64_e32 v127, v[127:128]
	v_cvt_f32_f64_e32 v128, v[129:130]
	;; [unrolled: 1-line block ×4, first 2 shown]
	v_min3_f32 v127, v127, v128, v217
	v_min_f32_e32 v128, v129, v130
	v_min3_f32 v126, v126, v128, v127
	v_lshlrev_b64 v[128:129], 3, v[162:163]
	v_cvt_f64_f32_e32 v[126:127], v126
	v_add_co_u32 v128, vcc_lo, v122, v128
	v_add_co_ci_u32_e64 v129, null, v123, v129, vcc_lo
	global_store_dwordx2 v[128:129], v[126:127], off
	s_or_b32 exec_lo, exec_lo, s8
	s_and_b32 s12, s2, s4
	s_and_saveexec_b32 s8, s12
	s_cbranch_execz .LBB167_146
.LBB167_155:
	v_cmp_ne_u32_e32 vcc_lo, 1, v168
	s_cbranch_vccnz .LBB167_157
; %bb.156:
	v_lshlrev_b64 v[126:127], 3, v[164:165]
	v_add_co_u32 v126, vcc_lo, v124, v126
	v_add_co_ci_u32_e64 v127, null, v125, v127, vcc_lo
	global_load_dwordx2 v[126:127], v[126:127], off
	s_waitcnt vmcnt(0)
	v_mul_f64 v[126:127], s[10:11], v[126:127]
	v_cvt_f32_f64_e32 v126, v[126:127]
	s_branch .LBB167_158
.LBB167_157:
	v_mov_b32_e32 v126, 0
.LBB167_158:
	s_waitcnt lgkmcnt(21)
	v_add_f64 v[127:128], v[22:23], v[118:119]
	v_add_f64 v[129:130], v[24:25], v[120:121]
	s_waitcnt lgkmcnt(20)
	v_add_f64 v[131:132], v[18:19], v[114:115]
	v_add_f64 v[133:134], v[20:21], v[116:117]
	v_cvt_f32_f64_e32 v127, v[127:128]
	v_cvt_f32_f64_e32 v128, v[129:130]
	;; [unrolled: 1-line block ×4, first 2 shown]
	v_min3_f32 v127, v127, v128, v216
	v_min_f32_e32 v128, v129, v130
	v_min3_f32 v126, v126, v128, v127
	v_lshlrev_b64 v[128:129], 3, v[164:165]
	v_cvt_f64_f32_e32 v[126:127], v126
	v_add_co_u32 v128, vcc_lo, v122, v128
	v_add_co_ci_u32_e64 v129, null, v123, v129, vcc_lo
	global_store_dwordx2 v[128:129], v[126:127], off
	s_or_b32 exec_lo, exec_lo, s8
	s_and_b32 s8, s3, s4
	s_and_saveexec_b32 s4, s8
	s_cbranch_execz .LBB167_163
.LBB167_159:
	v_cmp_ne_u32_e32 vcc_lo, 1, v168
	s_cbranch_vccnz .LBB167_161
; %bb.160:
	v_lshlrev_b64 v[126:127], 3, v[166:167]
	v_add_co_u32 v124, vcc_lo, v124, v126
	v_add_co_ci_u32_e64 v125, null, v125, v127, vcc_lo
	global_load_dwordx2 v[124:125], v[124:125], off
	s_waitcnt vmcnt(0)
	v_mul_f64 v[124:125], s[10:11], v[124:125]
	v_cvt_f32_f64_e32 v124, v[124:125]
	s_branch .LBB167_162
.LBB167_161:
	v_mov_b32_e32 v124, 0
.LBB167_162:
	s_waitcnt lgkmcnt(21)
	v_add_f64 v[118:119], v[6:7], v[118:119]
	v_add_f64 v[120:121], v[8:9], v[120:121]
	s_waitcnt lgkmcnt(20)
	v_add_f64 v[114:115], v[2:3], v[114:115]
	v_add_f64 v[116:117], v[4:5], v[116:117]
	v_cvt_f32_f64_e32 v118, v[118:119]
	v_cvt_f32_f64_e32 v119, v[120:121]
	v_cvt_f32_f64_e32 v114, v[114:115]
	v_cvt_f32_f64_e32 v115, v[116:117]
	v_min3_f32 v116, v118, v119, v215
	v_min_f32_e32 v114, v114, v115
	v_min3_f32 v114, v124, v114, v116
	v_lshlrev_b64 v[116:117], 3, v[166:167]
	v_cvt_f64_f32_e32 v[114:115], v114
	v_add_co_u32 v116, vcc_lo, v122, v116
	v_add_co_ci_u32_e64 v117, null, v123, v117, vcc_lo
	global_store_dwordx2 v[116:117], v[114:115], off
.LBB167_163:
	s_or_b32 exec_lo, exec_lo, s4
	s_waitcnt lgkmcnt(21)
	v_add_nc_u32_e32 v118, 48, v169
	s_waitcnt lgkmcnt(20)
	v_mad_i64_i32 v[114:115], null, v118, s6, 0
	v_mad_i64_i32 v[116:117], null, v118, s5, 0
	v_cmp_gt_i32_e64 s4, s13, v118
	v_lshlrev_b64 v[114:115], 3, v[114:115]
	s_and_b32 s12, s0, s4
	v_lshlrev_b64 v[118:119], 3, v[116:117]
	v_add_co_u32 v116, vcc_lo, s22, v114
	v_add_co_ci_u32_e64 v117, null, s23, v115, vcc_lo
	v_add_co_u32 v114, vcc_lo, s7, v118
	v_add_co_ci_u32_e64 v115, null, s9, v119, vcc_lo
	s_and_saveexec_b32 s8, s12
	s_cbranch_execnz .LBB167_167
; %bb.164:
	s_or_b32 exec_lo, exec_lo, s8
	s_and_b32 s12, s1, s4
	s_and_saveexec_b32 s8, s12
	s_cbranch_execnz .LBB167_171
.LBB167_165:
	s_or_b32 exec_lo, exec_lo, s8
	s_and_b32 s12, s2, s4
	s_and_saveexec_b32 s8, s12
	s_cbranch_execnz .LBB167_175
.LBB167_166:
	s_or_b32 exec_lo, exec_lo, s8
	s_and_b32 s8, s3, s4
	s_and_saveexec_b32 s4, s8
	s_cbranch_execnz .LBB167_179
	s_branch .LBB167_183
.LBB167_167:
	v_cmp_ne_u32_e32 vcc_lo, 1, v168
	s_cbranch_vccnz .LBB167_169
; %bb.168:
	v_lshlrev_b64 v[118:119], 3, v[0:1]
	v_add_co_u32 v118, vcc_lo, v116, v118
	v_add_co_ci_u32_e64 v119, null, v117, v119, vcc_lo
	global_load_dwordx2 v[118:119], v[118:119], off
	s_waitcnt vmcnt(0)
	v_mul_f64 v[118:119], s[10:11], v[118:119]
	v_cvt_f32_f64_e32 v118, v[118:119]
	s_branch .LBB167_170
.LBB167_169:
	v_mov_b32_e32 v118, 0
.LBB167_170:
	s_waitcnt lgkmcnt(19)
	v_add_f64 v[119:120], v[38:39], v[110:111]
	v_add_f64 v[121:122], v[40:41], v[112:113]
	s_waitcnt lgkmcnt(18)
	v_add_f64 v[123:124], v[34:35], v[106:107]
	v_add_f64 v[125:126], v[36:37], v[108:109]
	v_cvt_f32_f64_e32 v119, v[119:120]
	v_cvt_f32_f64_e32 v120, v[121:122]
	;; [unrolled: 1-line block ×4, first 2 shown]
	v_min3_f32 v119, v119, v120, v228
	v_min_f32_e32 v120, v121, v122
	v_min3_f32 v118, v118, v120, v119
	v_lshlrev_b64 v[120:121], 3, v[0:1]
	v_cvt_f64_f32_e32 v[118:119], v118
	v_add_co_u32 v120, vcc_lo, v114, v120
	v_add_co_ci_u32_e64 v121, null, v115, v121, vcc_lo
	global_store_dwordx2 v[120:121], v[118:119], off
	s_or_b32 exec_lo, exec_lo, s8
	s_and_b32 s12, s1, s4
	s_and_saveexec_b32 s8, s12
	s_cbranch_execz .LBB167_165
.LBB167_171:
	v_cmp_ne_u32_e32 vcc_lo, 1, v168
	s_cbranch_vccnz .LBB167_173
; %bb.172:
	v_lshlrev_b64 v[118:119], 3, v[162:163]
	v_add_co_u32 v118, vcc_lo, v116, v118
	v_add_co_ci_u32_e64 v119, null, v117, v119, vcc_lo
	global_load_dwordx2 v[118:119], v[118:119], off
	s_waitcnt vmcnt(0)
	v_mul_f64 v[118:119], s[10:11], v[118:119]
	v_cvt_f32_f64_e32 v118, v[118:119]
	s_branch .LBB167_174
.LBB167_173:
	v_mov_b32_e32 v118, 0
.LBB167_174:
	s_waitcnt lgkmcnt(19)
	v_add_f64 v[119:120], v[26:27], v[110:111]
	v_add_f64 v[121:122], v[28:29], v[112:113]
	s_waitcnt lgkmcnt(18)
	v_add_f64 v[123:124], v[30:31], v[106:107]
	v_add_f64 v[125:126], v[32:33], v[108:109]
	v_cvt_f32_f64_e32 v119, v[119:120]
	v_cvt_f32_f64_e32 v120, v[121:122]
	;; [unrolled: 1-line block ×4, first 2 shown]
	v_min3_f32 v119, v119, v120, v227
	v_min_f32_e32 v120, v121, v122
	v_min3_f32 v118, v118, v120, v119
	v_lshlrev_b64 v[120:121], 3, v[162:163]
	v_cvt_f64_f32_e32 v[118:119], v118
	v_add_co_u32 v120, vcc_lo, v114, v120
	v_add_co_ci_u32_e64 v121, null, v115, v121, vcc_lo
	global_store_dwordx2 v[120:121], v[118:119], off
	s_or_b32 exec_lo, exec_lo, s8
	s_and_b32 s12, s2, s4
	s_and_saveexec_b32 s8, s12
	s_cbranch_execz .LBB167_166
.LBB167_175:
	v_cmp_ne_u32_e32 vcc_lo, 1, v168
	s_cbranch_vccnz .LBB167_177
; %bb.176:
	v_lshlrev_b64 v[118:119], 3, v[164:165]
	v_add_co_u32 v118, vcc_lo, v116, v118
	v_add_co_ci_u32_e64 v119, null, v117, v119, vcc_lo
	global_load_dwordx2 v[118:119], v[118:119], off
	s_waitcnt vmcnt(0)
	v_mul_f64 v[118:119], s[10:11], v[118:119]
	v_cvt_f32_f64_e32 v118, v[118:119]
	s_branch .LBB167_178
.LBB167_177:
	v_mov_b32_e32 v118, 0
.LBB167_178:
	s_waitcnt lgkmcnt(19)
	v_add_f64 v[119:120], v[22:23], v[110:111]
	v_add_f64 v[121:122], v[24:25], v[112:113]
	s_waitcnt lgkmcnt(18)
	v_add_f64 v[123:124], v[18:19], v[106:107]
	v_add_f64 v[125:126], v[20:21], v[108:109]
	v_cvt_f32_f64_e32 v119, v[119:120]
	v_cvt_f32_f64_e32 v120, v[121:122]
	;; [unrolled: 1-line block ×4, first 2 shown]
	v_min3_f32 v119, v119, v120, v225
	v_min_f32_e32 v120, v121, v122
	v_min3_f32 v118, v118, v120, v119
	v_lshlrev_b64 v[120:121], 3, v[164:165]
	v_cvt_f64_f32_e32 v[118:119], v118
	v_add_co_u32 v120, vcc_lo, v114, v120
	v_add_co_ci_u32_e64 v121, null, v115, v121, vcc_lo
	global_store_dwordx2 v[120:121], v[118:119], off
	s_or_b32 exec_lo, exec_lo, s8
	s_and_b32 s8, s3, s4
	s_and_saveexec_b32 s4, s8
	s_cbranch_execz .LBB167_183
.LBB167_179:
	v_cmp_ne_u32_e32 vcc_lo, 1, v168
	s_cbranch_vccnz .LBB167_181
; %bb.180:
	v_lshlrev_b64 v[118:119], 3, v[166:167]
	v_add_co_u32 v116, vcc_lo, v116, v118
	v_add_co_ci_u32_e64 v117, null, v117, v119, vcc_lo
	global_load_dwordx2 v[116:117], v[116:117], off
	s_waitcnt vmcnt(0)
	v_mul_f64 v[116:117], s[10:11], v[116:117]
	v_cvt_f32_f64_e32 v116, v[116:117]
	s_branch .LBB167_182
.LBB167_181:
	v_mov_b32_e32 v116, 0
.LBB167_182:
	s_waitcnt lgkmcnt(19)
	v_add_f64 v[110:111], v[6:7], v[110:111]
	v_add_f64 v[112:113], v[8:9], v[112:113]
	s_waitcnt lgkmcnt(18)
	v_add_f64 v[106:107], v[2:3], v[106:107]
	v_add_f64 v[108:109], v[4:5], v[108:109]
	v_cvt_f32_f64_e32 v110, v[110:111]
	v_cvt_f32_f64_e32 v111, v[112:113]
	;; [unrolled: 1-line block ×4, first 2 shown]
	v_min3_f32 v108, v110, v111, v245
	v_min_f32_e32 v106, v106, v107
	v_min3_f32 v106, v116, v106, v108
	v_lshlrev_b64 v[108:109], 3, v[166:167]
	v_cvt_f64_f32_e32 v[106:107], v106
	v_add_co_u32 v108, vcc_lo, v114, v108
	v_add_co_ci_u32_e64 v109, null, v115, v109, vcc_lo
	global_store_dwordx2 v[108:109], v[106:107], off
.LBB167_183:
	s_or_b32 exec_lo, exec_lo, s4
	s_waitcnt lgkmcnt(19)
	v_add_nc_u32_e32 v110, 56, v169
	s_waitcnt lgkmcnt(18)
	v_mad_i64_i32 v[106:107], null, v110, s6, 0
	v_mad_i64_i32 v[108:109], null, v110, s5, 0
	v_cmp_gt_i32_e64 s4, s13, v110
	v_lshlrev_b64 v[106:107], 3, v[106:107]
	s_and_b32 s12, s0, s4
	v_lshlrev_b64 v[110:111], 3, v[108:109]
	v_add_co_u32 v108, vcc_lo, s22, v106
	v_add_co_ci_u32_e64 v109, null, s23, v107, vcc_lo
	v_add_co_u32 v106, vcc_lo, s7, v110
	v_add_co_ci_u32_e64 v107, null, s9, v111, vcc_lo
	s_and_saveexec_b32 s8, s12
	s_cbranch_execnz .LBB167_187
; %bb.184:
	s_or_b32 exec_lo, exec_lo, s8
	s_and_b32 s12, s1, s4
	s_and_saveexec_b32 s8, s12
	s_cbranch_execnz .LBB167_191
.LBB167_185:
	s_or_b32 exec_lo, exec_lo, s8
	s_and_b32 s12, s2, s4
	s_and_saveexec_b32 s8, s12
	s_cbranch_execnz .LBB167_195
.LBB167_186:
	s_or_b32 exec_lo, exec_lo, s8
	s_and_b32 s8, s3, s4
	s_and_saveexec_b32 s4, s8
	s_cbranch_execnz .LBB167_199
	s_branch .LBB167_203
.LBB167_187:
	v_cmp_ne_u32_e32 vcc_lo, 1, v168
	s_cbranch_vccnz .LBB167_189
; %bb.188:
	v_lshlrev_b64 v[110:111], 3, v[0:1]
	v_add_co_u32 v110, vcc_lo, v108, v110
	v_add_co_ci_u32_e64 v111, null, v109, v111, vcc_lo
	global_load_dwordx2 v[110:111], v[110:111], off
	s_waitcnt vmcnt(0)
	v_mul_f64 v[110:111], s[10:11], v[110:111]
	v_cvt_f32_f64_e32 v110, v[110:111]
	s_branch .LBB167_190
.LBB167_189:
	v_mov_b32_e32 v110, 0
.LBB167_190:
	s_waitcnt lgkmcnt(17)
	v_add_f64 v[111:112], v[38:39], v[102:103]
	v_add_f64 v[113:114], v[40:41], v[104:105]
	s_waitcnt lgkmcnt(16)
	v_add_f64 v[115:116], v[34:35], v[98:99]
	v_add_f64 v[117:118], v[36:37], v[100:101]
	v_cvt_f32_f64_e32 v111, v[111:112]
	v_cvt_f32_f64_e32 v112, v[113:114]
	;; [unrolled: 1-line block ×4, first 2 shown]
	v_min3_f32 v111, v111, v112, v233
	v_min_f32_e32 v112, v113, v114
	v_min3_f32 v110, v110, v112, v111
	v_lshlrev_b64 v[112:113], 3, v[0:1]
	v_cvt_f64_f32_e32 v[110:111], v110
	v_add_co_u32 v112, vcc_lo, v106, v112
	v_add_co_ci_u32_e64 v113, null, v107, v113, vcc_lo
	global_store_dwordx2 v[112:113], v[110:111], off
	s_or_b32 exec_lo, exec_lo, s8
	s_and_b32 s12, s1, s4
	s_and_saveexec_b32 s8, s12
	s_cbranch_execz .LBB167_185
.LBB167_191:
	v_cmp_ne_u32_e32 vcc_lo, 1, v168
	s_cbranch_vccnz .LBB167_193
; %bb.192:
	v_lshlrev_b64 v[110:111], 3, v[162:163]
	v_add_co_u32 v110, vcc_lo, v108, v110
	v_add_co_ci_u32_e64 v111, null, v109, v111, vcc_lo
	global_load_dwordx2 v[110:111], v[110:111], off
	s_waitcnt vmcnt(0)
	v_mul_f64 v[110:111], s[10:11], v[110:111]
	v_cvt_f32_f64_e32 v110, v[110:111]
	s_branch .LBB167_194
.LBB167_193:
	v_mov_b32_e32 v110, 0
.LBB167_194:
	s_waitcnt lgkmcnt(17)
	v_add_f64 v[111:112], v[26:27], v[102:103]
	v_add_f64 v[113:114], v[28:29], v[104:105]
	s_waitcnt lgkmcnt(16)
	v_add_f64 v[115:116], v[30:31], v[98:99]
	v_add_f64 v[117:118], v[32:33], v[100:101]
	v_cvt_f32_f64_e32 v111, v[111:112]
	v_cvt_f32_f64_e32 v112, v[113:114]
	;; [unrolled: 1-line block ×4, first 2 shown]
	v_min3_f32 v111, v111, v112, v232
	v_min_f32_e32 v112, v113, v114
	v_min3_f32 v110, v110, v112, v111
	v_lshlrev_b64 v[112:113], 3, v[162:163]
	v_cvt_f64_f32_e32 v[110:111], v110
	v_add_co_u32 v112, vcc_lo, v106, v112
	v_add_co_ci_u32_e64 v113, null, v107, v113, vcc_lo
	global_store_dwordx2 v[112:113], v[110:111], off
	s_or_b32 exec_lo, exec_lo, s8
	s_and_b32 s12, s2, s4
	s_and_saveexec_b32 s8, s12
	s_cbranch_execz .LBB167_186
.LBB167_195:
	v_cmp_ne_u32_e32 vcc_lo, 1, v168
	s_cbranch_vccnz .LBB167_197
; %bb.196:
	v_lshlrev_b64 v[110:111], 3, v[164:165]
	v_add_co_u32 v110, vcc_lo, v108, v110
	v_add_co_ci_u32_e64 v111, null, v109, v111, vcc_lo
	global_load_dwordx2 v[110:111], v[110:111], off
	s_waitcnt vmcnt(0)
	v_mul_f64 v[110:111], s[10:11], v[110:111]
	v_cvt_f32_f64_e32 v110, v[110:111]
	s_branch .LBB167_198
.LBB167_197:
	v_mov_b32_e32 v110, 0
.LBB167_198:
	s_waitcnt lgkmcnt(17)
	v_add_f64 v[111:112], v[22:23], v[102:103]
	v_add_f64 v[113:114], v[24:25], v[104:105]
	s_waitcnt lgkmcnt(16)
	v_add_f64 v[115:116], v[18:19], v[98:99]
	v_add_f64 v[117:118], v[20:21], v[100:101]
	v_cvt_f32_f64_e32 v111, v[111:112]
	v_cvt_f32_f64_e32 v112, v[113:114]
	;; [unrolled: 1-line block ×4, first 2 shown]
	v_min3_f32 v111, v111, v112, v231
	v_min_f32_e32 v112, v113, v114
	v_min3_f32 v110, v110, v112, v111
	v_lshlrev_b64 v[112:113], 3, v[164:165]
	v_cvt_f64_f32_e32 v[110:111], v110
	v_add_co_u32 v112, vcc_lo, v106, v112
	v_add_co_ci_u32_e64 v113, null, v107, v113, vcc_lo
	global_store_dwordx2 v[112:113], v[110:111], off
	s_or_b32 exec_lo, exec_lo, s8
	s_and_b32 s8, s3, s4
	s_and_saveexec_b32 s4, s8
	s_cbranch_execz .LBB167_203
.LBB167_199:
	v_cmp_ne_u32_e32 vcc_lo, 1, v168
	s_cbranch_vccnz .LBB167_201
; %bb.200:
	v_lshlrev_b64 v[110:111], 3, v[166:167]
	v_add_co_u32 v108, vcc_lo, v108, v110
	v_add_co_ci_u32_e64 v109, null, v109, v111, vcc_lo
	global_load_dwordx2 v[108:109], v[108:109], off
	s_waitcnt vmcnt(0)
	v_mul_f64 v[108:109], s[10:11], v[108:109]
	v_cvt_f32_f64_e32 v108, v[108:109]
	s_branch .LBB167_202
.LBB167_201:
	v_mov_b32_e32 v108, 0
.LBB167_202:
	s_waitcnt lgkmcnt(17)
	v_add_f64 v[102:103], v[6:7], v[102:103]
	v_add_f64 v[104:105], v[8:9], v[104:105]
	s_waitcnt lgkmcnt(16)
	v_add_f64 v[98:99], v[2:3], v[98:99]
	v_add_f64 v[100:101], v[4:5], v[100:101]
	v_cvt_f32_f64_e32 v102, v[102:103]
	v_cvt_f32_f64_e32 v103, v[104:105]
	;; [unrolled: 1-line block ×4, first 2 shown]
	v_min3_f32 v100, v102, v103, v230
	v_min_f32_e32 v98, v98, v99
	v_min3_f32 v98, v108, v98, v100
	v_lshlrev_b64 v[100:101], 3, v[166:167]
	v_cvt_f64_f32_e32 v[98:99], v98
	v_add_co_u32 v100, vcc_lo, v106, v100
	v_add_co_ci_u32_e64 v101, null, v107, v101, vcc_lo
	global_store_dwordx2 v[100:101], v[98:99], off
.LBB167_203:
	s_or_b32 exec_lo, exec_lo, s4
	s_waitcnt lgkmcnt(17)
	v_add_nc_u32_e32 v102, 64, v169
	s_waitcnt lgkmcnt(16)
	v_mad_i64_i32 v[98:99], null, v102, s6, 0
	v_mad_i64_i32 v[100:101], null, v102, s5, 0
	v_cmp_gt_i32_e64 s4, s13, v102
	v_lshlrev_b64 v[98:99], 3, v[98:99]
	s_and_b32 s12, s0, s4
	v_lshlrev_b64 v[102:103], 3, v[100:101]
	v_add_co_u32 v100, vcc_lo, s22, v98
	v_add_co_ci_u32_e64 v101, null, s23, v99, vcc_lo
	v_add_co_u32 v98, vcc_lo, s7, v102
	v_add_co_ci_u32_e64 v99, null, s9, v103, vcc_lo
	s_and_saveexec_b32 s8, s12
	s_cbranch_execnz .LBB167_207
; %bb.204:
	s_or_b32 exec_lo, exec_lo, s8
	s_and_b32 s12, s1, s4
	s_and_saveexec_b32 s8, s12
	s_cbranch_execnz .LBB167_211
.LBB167_205:
	s_or_b32 exec_lo, exec_lo, s8
	s_and_b32 s12, s2, s4
	s_and_saveexec_b32 s8, s12
	s_cbranch_execnz .LBB167_215
.LBB167_206:
	s_or_b32 exec_lo, exec_lo, s8
	s_and_b32 s8, s3, s4
	s_and_saveexec_b32 s4, s8
	s_cbranch_execnz .LBB167_219
	s_branch .LBB167_223
.LBB167_207:
	v_cmp_ne_u32_e32 vcc_lo, 1, v168
	s_cbranch_vccnz .LBB167_209
; %bb.208:
	v_lshlrev_b64 v[102:103], 3, v[0:1]
	v_add_co_u32 v102, vcc_lo, v100, v102
	v_add_co_ci_u32_e64 v103, null, v101, v103, vcc_lo
	global_load_dwordx2 v[102:103], v[102:103], off
	s_waitcnt vmcnt(0)
	v_mul_f64 v[102:103], s[10:11], v[102:103]
	v_cvt_f32_f64_e32 v102, v[102:103]
	s_branch .LBB167_210
.LBB167_209:
	v_mov_b32_e32 v102, 0
.LBB167_210:
	s_waitcnt lgkmcnt(15)
	v_add_f64 v[103:104], v[38:39], v[94:95]
	v_add_f64 v[105:106], v[40:41], v[96:97]
	s_waitcnt lgkmcnt(14)
	v_add_f64 v[107:108], v[34:35], v[90:91]
	v_add_f64 v[109:110], v[36:37], v[92:93]
	v_cvt_f32_f64_e32 v103, v[103:104]
	v_cvt_f32_f64_e32 v104, v[105:106]
	;; [unrolled: 1-line block ×4, first 2 shown]
	v_min3_f32 v103, v103, v104, v214
	v_min_f32_e32 v104, v105, v106
	v_min3_f32 v102, v102, v104, v103
	v_lshlrev_b64 v[104:105], 3, v[0:1]
	v_cvt_f64_f32_e32 v[102:103], v102
	v_add_co_u32 v104, vcc_lo, v98, v104
	v_add_co_ci_u32_e64 v105, null, v99, v105, vcc_lo
	global_store_dwordx2 v[104:105], v[102:103], off
	s_or_b32 exec_lo, exec_lo, s8
	s_and_b32 s12, s1, s4
	s_and_saveexec_b32 s8, s12
	s_cbranch_execz .LBB167_205
.LBB167_211:
	v_cmp_ne_u32_e32 vcc_lo, 1, v168
	s_cbranch_vccnz .LBB167_213
; %bb.212:
	v_lshlrev_b64 v[102:103], 3, v[162:163]
	v_add_co_u32 v102, vcc_lo, v100, v102
	v_add_co_ci_u32_e64 v103, null, v101, v103, vcc_lo
	global_load_dwordx2 v[102:103], v[102:103], off
	s_waitcnt vmcnt(0)
	v_mul_f64 v[102:103], s[10:11], v[102:103]
	v_cvt_f32_f64_e32 v102, v[102:103]
	s_branch .LBB167_214
.LBB167_213:
	v_mov_b32_e32 v102, 0
.LBB167_214:
	s_waitcnt lgkmcnt(15)
	v_add_f64 v[103:104], v[26:27], v[94:95]
	v_add_f64 v[105:106], v[28:29], v[96:97]
	s_waitcnt lgkmcnt(14)
	v_add_f64 v[107:108], v[30:31], v[90:91]
	v_add_f64 v[109:110], v[32:33], v[92:93]
	v_cvt_f32_f64_e32 v103, v[103:104]
	v_cvt_f32_f64_e32 v104, v[105:106]
	;; [unrolled: 1-line block ×4, first 2 shown]
	v_min3_f32 v103, v103, v104, v213
	v_min_f32_e32 v104, v105, v106
	v_min3_f32 v102, v102, v104, v103
	v_lshlrev_b64 v[104:105], 3, v[162:163]
	v_cvt_f64_f32_e32 v[102:103], v102
	v_add_co_u32 v104, vcc_lo, v98, v104
	v_add_co_ci_u32_e64 v105, null, v99, v105, vcc_lo
	global_store_dwordx2 v[104:105], v[102:103], off
	s_or_b32 exec_lo, exec_lo, s8
	s_and_b32 s12, s2, s4
	s_and_saveexec_b32 s8, s12
	s_cbranch_execz .LBB167_206
.LBB167_215:
	v_cmp_ne_u32_e32 vcc_lo, 1, v168
	s_cbranch_vccnz .LBB167_217
; %bb.216:
	v_lshlrev_b64 v[102:103], 3, v[164:165]
	v_add_co_u32 v102, vcc_lo, v100, v102
	v_add_co_ci_u32_e64 v103, null, v101, v103, vcc_lo
	global_load_dwordx2 v[102:103], v[102:103], off
	s_waitcnt vmcnt(0)
	v_mul_f64 v[102:103], s[10:11], v[102:103]
	v_cvt_f32_f64_e32 v102, v[102:103]
	s_branch .LBB167_218
.LBB167_217:
	v_mov_b32_e32 v102, 0
.LBB167_218:
	s_waitcnt lgkmcnt(15)
	v_add_f64 v[103:104], v[22:23], v[94:95]
	v_add_f64 v[105:106], v[24:25], v[96:97]
	s_waitcnt lgkmcnt(14)
	v_add_f64 v[107:108], v[18:19], v[90:91]
	v_add_f64 v[109:110], v[20:21], v[92:93]
	v_cvt_f32_f64_e32 v103, v[103:104]
	v_cvt_f32_f64_e32 v104, v[105:106]
	;; [unrolled: 1-line block ×4, first 2 shown]
	v_min3_f32 v103, v103, v104, v211
	v_min_f32_e32 v104, v105, v106
	v_min3_f32 v102, v102, v104, v103
	v_lshlrev_b64 v[104:105], 3, v[164:165]
	v_cvt_f64_f32_e32 v[102:103], v102
	v_add_co_u32 v104, vcc_lo, v98, v104
	v_add_co_ci_u32_e64 v105, null, v99, v105, vcc_lo
	global_store_dwordx2 v[104:105], v[102:103], off
	s_or_b32 exec_lo, exec_lo, s8
	s_and_b32 s8, s3, s4
	s_and_saveexec_b32 s4, s8
	s_cbranch_execz .LBB167_223
.LBB167_219:
	v_cmp_ne_u32_e32 vcc_lo, 1, v168
	s_cbranch_vccnz .LBB167_221
; %bb.220:
	v_lshlrev_b64 v[102:103], 3, v[166:167]
	v_add_co_u32 v100, vcc_lo, v100, v102
	v_add_co_ci_u32_e64 v101, null, v101, v103, vcc_lo
	global_load_dwordx2 v[100:101], v[100:101], off
	s_waitcnt vmcnt(0)
	v_mul_f64 v[100:101], s[10:11], v[100:101]
	v_cvt_f32_f64_e32 v100, v[100:101]
	s_branch .LBB167_222
.LBB167_221:
	v_mov_b32_e32 v100, 0
.LBB167_222:
	s_waitcnt lgkmcnt(15)
	v_add_f64 v[94:95], v[6:7], v[94:95]
	v_add_f64 v[96:97], v[8:9], v[96:97]
	s_waitcnt lgkmcnt(14)
	v_add_f64 v[90:91], v[2:3], v[90:91]
	v_add_f64 v[92:93], v[4:5], v[92:93]
	v_cvt_f32_f64_e32 v94, v[94:95]
	v_cvt_f32_f64_e32 v95, v[96:97]
	;; [unrolled: 1-line block ×4, first 2 shown]
	v_min3_f32 v92, v94, v95, v209
	v_min_f32_e32 v90, v90, v91
	v_min3_f32 v90, v100, v90, v92
	v_lshlrev_b64 v[92:93], 3, v[166:167]
	v_cvt_f64_f32_e32 v[90:91], v90
	v_add_co_u32 v92, vcc_lo, v98, v92
	v_add_co_ci_u32_e64 v93, null, v99, v93, vcc_lo
	global_store_dwordx2 v[92:93], v[90:91], off
.LBB167_223:
	s_or_b32 exec_lo, exec_lo, s4
	s_waitcnt lgkmcnt(15)
	v_add_nc_u32_e32 v94, 0x48, v169
	s_waitcnt lgkmcnt(14)
	v_mad_i64_i32 v[90:91], null, v94, s6, 0
	v_mad_i64_i32 v[92:93], null, v94, s5, 0
	v_cmp_gt_i32_e64 s4, s13, v94
	v_lshlrev_b64 v[90:91], 3, v[90:91]
	s_and_b32 s12, s0, s4
	v_lshlrev_b64 v[94:95], 3, v[92:93]
	v_add_co_u32 v92, vcc_lo, s22, v90
	v_add_co_ci_u32_e64 v93, null, s23, v91, vcc_lo
	v_add_co_u32 v90, vcc_lo, s7, v94
	v_add_co_ci_u32_e64 v91, null, s9, v95, vcc_lo
	s_and_saveexec_b32 s8, s12
	s_cbranch_execnz .LBB167_227
; %bb.224:
	s_or_b32 exec_lo, exec_lo, s8
	s_and_b32 s12, s1, s4
	s_and_saveexec_b32 s8, s12
	s_cbranch_execnz .LBB167_231
.LBB167_225:
	s_or_b32 exec_lo, exec_lo, s8
	s_and_b32 s12, s2, s4
	s_and_saveexec_b32 s8, s12
	s_cbranch_execnz .LBB167_235
.LBB167_226:
	s_or_b32 exec_lo, exec_lo, s8
	s_and_b32 s8, s3, s4
	s_and_saveexec_b32 s4, s8
	s_cbranch_execnz .LBB167_239
	s_branch .LBB167_243
.LBB167_227:
	v_cmp_ne_u32_e32 vcc_lo, 1, v168
	s_cbranch_vccnz .LBB167_229
; %bb.228:
	v_lshlrev_b64 v[94:95], 3, v[0:1]
	v_add_co_u32 v94, vcc_lo, v92, v94
	v_add_co_ci_u32_e64 v95, null, v93, v95, vcc_lo
	global_load_dwordx2 v[94:95], v[94:95], off
	s_waitcnt vmcnt(0)
	v_mul_f64 v[94:95], s[10:11], v[94:95]
	v_cvt_f32_f64_e32 v94, v[94:95]
	s_branch .LBB167_230
.LBB167_229:
	v_mov_b32_e32 v94, 0
.LBB167_230:
	s_waitcnt lgkmcnt(13)
	v_add_f64 v[95:96], v[38:39], v[86:87]
	v_add_f64 v[97:98], v[40:41], v[88:89]
	s_waitcnt lgkmcnt(12)
	v_add_f64 v[99:100], v[34:35], v[82:83]
	v_add_f64 v[101:102], v[36:37], v[84:85]
	v_cvt_f32_f64_e32 v95, v[95:96]
	v_cvt_f32_f64_e32 v96, v[97:98]
	;; [unrolled: 1-line block ×4, first 2 shown]
	v_min3_f32 v95, v95, v96, v208
	v_min_f32_e32 v96, v97, v98
	v_min3_f32 v94, v94, v96, v95
	v_lshlrev_b64 v[96:97], 3, v[0:1]
	v_cvt_f64_f32_e32 v[94:95], v94
	v_add_co_u32 v96, vcc_lo, v90, v96
	v_add_co_ci_u32_e64 v97, null, v91, v97, vcc_lo
	global_store_dwordx2 v[96:97], v[94:95], off
	s_or_b32 exec_lo, exec_lo, s8
	s_and_b32 s12, s1, s4
	s_and_saveexec_b32 s8, s12
	s_cbranch_execz .LBB167_225
.LBB167_231:
	v_cmp_ne_u32_e32 vcc_lo, 1, v168
	s_cbranch_vccnz .LBB167_233
; %bb.232:
	v_lshlrev_b64 v[94:95], 3, v[162:163]
	v_add_co_u32 v94, vcc_lo, v92, v94
	v_add_co_ci_u32_e64 v95, null, v93, v95, vcc_lo
	global_load_dwordx2 v[94:95], v[94:95], off
	s_waitcnt vmcnt(0)
	v_mul_f64 v[94:95], s[10:11], v[94:95]
	v_cvt_f32_f64_e32 v94, v[94:95]
	s_branch .LBB167_234
.LBB167_233:
	v_mov_b32_e32 v94, 0
.LBB167_234:
	s_waitcnt lgkmcnt(13)
	v_add_f64 v[95:96], v[26:27], v[86:87]
	v_add_f64 v[97:98], v[28:29], v[88:89]
	s_waitcnt lgkmcnt(12)
	v_add_f64 v[99:100], v[30:31], v[82:83]
	v_add_f64 v[101:102], v[32:33], v[84:85]
	v_cvt_f32_f64_e32 v95, v[95:96]
	v_cvt_f32_f64_e32 v96, v[97:98]
	;; [unrolled: 1-line block ×4, first 2 shown]
	v_min3_f32 v95, v95, v96, v207
	v_min_f32_e32 v96, v97, v98
	v_min3_f32 v94, v94, v96, v95
	v_lshlrev_b64 v[96:97], 3, v[162:163]
	v_cvt_f64_f32_e32 v[94:95], v94
	v_add_co_u32 v96, vcc_lo, v90, v96
	v_add_co_ci_u32_e64 v97, null, v91, v97, vcc_lo
	global_store_dwordx2 v[96:97], v[94:95], off
	s_or_b32 exec_lo, exec_lo, s8
	s_and_b32 s12, s2, s4
	s_and_saveexec_b32 s8, s12
	s_cbranch_execz .LBB167_226
.LBB167_235:
	v_cmp_ne_u32_e32 vcc_lo, 1, v168
	s_cbranch_vccnz .LBB167_237
; %bb.236:
	v_lshlrev_b64 v[94:95], 3, v[164:165]
	v_add_co_u32 v94, vcc_lo, v92, v94
	v_add_co_ci_u32_e64 v95, null, v93, v95, vcc_lo
	global_load_dwordx2 v[94:95], v[94:95], off
	s_waitcnt vmcnt(0)
	v_mul_f64 v[94:95], s[10:11], v[94:95]
	v_cvt_f32_f64_e32 v94, v[94:95]
	s_branch .LBB167_238
.LBB167_237:
	v_mov_b32_e32 v94, 0
.LBB167_238:
	s_waitcnt lgkmcnt(13)
	v_add_f64 v[95:96], v[22:23], v[86:87]
	v_add_f64 v[97:98], v[24:25], v[88:89]
	s_waitcnt lgkmcnt(12)
	v_add_f64 v[99:100], v[18:19], v[82:83]
	v_add_f64 v[101:102], v[20:21], v[84:85]
	v_cvt_f32_f64_e32 v95, v[95:96]
	v_cvt_f32_f64_e32 v96, v[97:98]
	;; [unrolled: 1-line block ×4, first 2 shown]
	v_min3_f32 v95, v95, v96, v206
	v_min_f32_e32 v96, v97, v98
	v_min3_f32 v94, v94, v96, v95
	v_lshlrev_b64 v[96:97], 3, v[164:165]
	v_cvt_f64_f32_e32 v[94:95], v94
	v_add_co_u32 v96, vcc_lo, v90, v96
	v_add_co_ci_u32_e64 v97, null, v91, v97, vcc_lo
	global_store_dwordx2 v[96:97], v[94:95], off
	s_or_b32 exec_lo, exec_lo, s8
	s_and_b32 s8, s3, s4
	s_and_saveexec_b32 s4, s8
	s_cbranch_execz .LBB167_243
.LBB167_239:
	v_cmp_ne_u32_e32 vcc_lo, 1, v168
	s_cbranch_vccnz .LBB167_241
; %bb.240:
	v_lshlrev_b64 v[94:95], 3, v[166:167]
	v_add_co_u32 v92, vcc_lo, v92, v94
	v_add_co_ci_u32_e64 v93, null, v93, v95, vcc_lo
	global_load_dwordx2 v[92:93], v[92:93], off
	s_waitcnt vmcnt(0)
	v_mul_f64 v[92:93], s[10:11], v[92:93]
	v_cvt_f32_f64_e32 v92, v[92:93]
	s_branch .LBB167_242
.LBB167_241:
	v_mov_b32_e32 v92, 0
.LBB167_242:
	s_waitcnt lgkmcnt(13)
	v_add_f64 v[86:87], v[6:7], v[86:87]
	v_add_f64 v[88:89], v[8:9], v[88:89]
	s_waitcnt lgkmcnt(12)
	v_add_f64 v[82:83], v[2:3], v[82:83]
	v_add_f64 v[84:85], v[4:5], v[84:85]
	v_cvt_f32_f64_e32 v86, v[86:87]
	v_cvt_f32_f64_e32 v87, v[88:89]
	;; [unrolled: 1-line block ×4, first 2 shown]
	v_min3_f32 v84, v86, v87, v205
	v_min_f32_e32 v82, v82, v83
	v_min3_f32 v82, v92, v82, v84
	v_lshlrev_b64 v[84:85], 3, v[166:167]
	v_cvt_f64_f32_e32 v[82:83], v82
	v_add_co_u32 v84, vcc_lo, v90, v84
	v_add_co_ci_u32_e64 v85, null, v91, v85, vcc_lo
	global_store_dwordx2 v[84:85], v[82:83], off
.LBB167_243:
	s_or_b32 exec_lo, exec_lo, s4
	s_waitcnt lgkmcnt(13)
	v_add_nc_u32_e32 v86, 0x50, v169
	s_waitcnt lgkmcnt(12)
	v_mad_i64_i32 v[82:83], null, v86, s6, 0
	v_mad_i64_i32 v[84:85], null, v86, s5, 0
	v_cmp_gt_i32_e64 s4, s13, v86
	v_lshlrev_b64 v[82:83], 3, v[82:83]
	s_and_b32 s12, s0, s4
	v_lshlrev_b64 v[86:87], 3, v[84:85]
	v_add_co_u32 v84, vcc_lo, s22, v82
	v_add_co_ci_u32_e64 v85, null, s23, v83, vcc_lo
	v_add_co_u32 v82, vcc_lo, s7, v86
	v_add_co_ci_u32_e64 v83, null, s9, v87, vcc_lo
	s_and_saveexec_b32 s8, s12
	s_cbranch_execnz .LBB167_247
; %bb.244:
	s_or_b32 exec_lo, exec_lo, s8
	s_and_b32 s12, s1, s4
	s_and_saveexec_b32 s8, s12
	s_cbranch_execnz .LBB167_251
.LBB167_245:
	s_or_b32 exec_lo, exec_lo, s8
	s_and_b32 s12, s2, s4
	s_and_saveexec_b32 s8, s12
	s_cbranch_execnz .LBB167_255
.LBB167_246:
	s_or_b32 exec_lo, exec_lo, s8
	s_and_b32 s8, s3, s4
	s_and_saveexec_b32 s4, s8
	s_cbranch_execnz .LBB167_259
	s_branch .LBB167_263
.LBB167_247:
	v_cmp_ne_u32_e32 vcc_lo, 1, v168
	s_cbranch_vccnz .LBB167_249
; %bb.248:
	v_lshlrev_b64 v[86:87], 3, v[0:1]
	v_add_co_u32 v86, vcc_lo, v84, v86
	v_add_co_ci_u32_e64 v87, null, v85, v87, vcc_lo
	global_load_dwordx2 v[86:87], v[86:87], off
	s_waitcnt vmcnt(0)
	v_mul_f64 v[86:87], s[10:11], v[86:87]
	v_cvt_f32_f64_e32 v86, v[86:87]
	s_branch .LBB167_250
.LBB167_249:
	v_mov_b32_e32 v86, 0
.LBB167_250:
	s_waitcnt lgkmcnt(11)
	v_add_f64 v[87:88], v[38:39], v[78:79]
	v_add_f64 v[89:90], v[40:41], v[80:81]
	s_waitcnt lgkmcnt(10)
	v_add_f64 v[91:92], v[34:35], v[74:75]
	v_add_f64 v[93:94], v[36:37], v[76:77]
	v_cvt_f32_f64_e32 v87, v[87:88]
	v_cvt_f32_f64_e32 v88, v[89:90]
	;; [unrolled: 1-line block ×4, first 2 shown]
	v_min3_f32 v87, v87, v88, v203
	v_min_f32_e32 v88, v89, v90
	v_min3_f32 v86, v86, v88, v87
	v_lshlrev_b64 v[88:89], 3, v[0:1]
	v_cvt_f64_f32_e32 v[86:87], v86
	v_add_co_u32 v88, vcc_lo, v82, v88
	v_add_co_ci_u32_e64 v89, null, v83, v89, vcc_lo
	global_store_dwordx2 v[88:89], v[86:87], off
	s_or_b32 exec_lo, exec_lo, s8
	s_and_b32 s12, s1, s4
	s_and_saveexec_b32 s8, s12
	s_cbranch_execz .LBB167_245
.LBB167_251:
	v_cmp_ne_u32_e32 vcc_lo, 1, v168
	s_cbranch_vccnz .LBB167_253
; %bb.252:
	v_lshlrev_b64 v[86:87], 3, v[162:163]
	v_add_co_u32 v86, vcc_lo, v84, v86
	v_add_co_ci_u32_e64 v87, null, v85, v87, vcc_lo
	global_load_dwordx2 v[86:87], v[86:87], off
	s_waitcnt vmcnt(0)
	v_mul_f64 v[86:87], s[10:11], v[86:87]
	v_cvt_f32_f64_e32 v86, v[86:87]
	s_branch .LBB167_254
.LBB167_253:
	v_mov_b32_e32 v86, 0
.LBB167_254:
	s_waitcnt lgkmcnt(11)
	v_add_f64 v[87:88], v[26:27], v[78:79]
	v_add_f64 v[89:90], v[28:29], v[80:81]
	s_waitcnt lgkmcnt(10)
	v_add_f64 v[91:92], v[30:31], v[74:75]
	v_add_f64 v[93:94], v[32:33], v[76:77]
	v_cvt_f32_f64_e32 v87, v[87:88]
	v_cvt_f32_f64_e32 v88, v[89:90]
	;; [unrolled: 1-line block ×4, first 2 shown]
	v_min3_f32 v87, v87, v88, v201
	v_min_f32_e32 v88, v89, v90
	v_min3_f32 v86, v86, v88, v87
	v_lshlrev_b64 v[88:89], 3, v[162:163]
	v_cvt_f64_f32_e32 v[86:87], v86
	v_add_co_u32 v88, vcc_lo, v82, v88
	v_add_co_ci_u32_e64 v89, null, v83, v89, vcc_lo
	global_store_dwordx2 v[88:89], v[86:87], off
	s_or_b32 exec_lo, exec_lo, s8
	s_and_b32 s12, s2, s4
	s_and_saveexec_b32 s8, s12
	s_cbranch_execz .LBB167_246
.LBB167_255:
	v_cmp_ne_u32_e32 vcc_lo, 1, v168
	s_cbranch_vccnz .LBB167_257
; %bb.256:
	v_lshlrev_b64 v[86:87], 3, v[164:165]
	v_add_co_u32 v86, vcc_lo, v84, v86
	v_add_co_ci_u32_e64 v87, null, v85, v87, vcc_lo
	global_load_dwordx2 v[86:87], v[86:87], off
	s_waitcnt vmcnt(0)
	v_mul_f64 v[86:87], s[10:11], v[86:87]
	v_cvt_f32_f64_e32 v86, v[86:87]
	s_branch .LBB167_258
.LBB167_257:
	v_mov_b32_e32 v86, 0
.LBB167_258:
	s_waitcnt lgkmcnt(11)
	v_add_f64 v[87:88], v[22:23], v[78:79]
	v_add_f64 v[89:90], v[24:25], v[80:81]
	s_waitcnt lgkmcnt(10)
	v_add_f64 v[91:92], v[18:19], v[74:75]
	v_add_f64 v[93:94], v[20:21], v[76:77]
	v_cvt_f32_f64_e32 v87, v[87:88]
	v_cvt_f32_f64_e32 v88, v[89:90]
	;; [unrolled: 1-line block ×4, first 2 shown]
	v_min3_f32 v87, v87, v88, v212
	v_min_f32_e32 v88, v89, v90
	v_min3_f32 v86, v86, v88, v87
	v_lshlrev_b64 v[88:89], 3, v[164:165]
	v_cvt_f64_f32_e32 v[86:87], v86
	v_add_co_u32 v88, vcc_lo, v82, v88
	v_add_co_ci_u32_e64 v89, null, v83, v89, vcc_lo
	global_store_dwordx2 v[88:89], v[86:87], off
	s_or_b32 exec_lo, exec_lo, s8
	s_and_b32 s8, s3, s4
	s_and_saveexec_b32 s4, s8
	s_cbranch_execz .LBB167_263
.LBB167_259:
	v_cmp_ne_u32_e32 vcc_lo, 1, v168
	s_cbranch_vccnz .LBB167_261
; %bb.260:
	v_lshlrev_b64 v[86:87], 3, v[166:167]
	v_add_co_u32 v84, vcc_lo, v84, v86
	v_add_co_ci_u32_e64 v85, null, v85, v87, vcc_lo
	global_load_dwordx2 v[84:85], v[84:85], off
	s_waitcnt vmcnt(0)
	v_mul_f64 v[84:85], s[10:11], v[84:85]
	v_cvt_f32_f64_e32 v84, v[84:85]
	s_branch .LBB167_262
.LBB167_261:
	v_mov_b32_e32 v84, 0
.LBB167_262:
	s_waitcnt lgkmcnt(11)
	v_add_f64 v[78:79], v[6:7], v[78:79]
	v_add_f64 v[80:81], v[8:9], v[80:81]
	s_waitcnt lgkmcnt(10)
	v_add_f64 v[74:75], v[2:3], v[74:75]
	v_add_f64 v[76:77], v[4:5], v[76:77]
	v_cvt_f32_f64_e32 v78, v[78:79]
	v_cvt_f32_f64_e32 v79, v[80:81]
	;; [unrolled: 1-line block ×4, first 2 shown]
	v_min3_f32 v76, v78, v79, v210
	v_min_f32_e32 v74, v74, v75
	v_min3_f32 v74, v84, v74, v76
	v_lshlrev_b64 v[76:77], 3, v[166:167]
	v_cvt_f64_f32_e32 v[74:75], v74
	v_add_co_u32 v76, vcc_lo, v82, v76
	v_add_co_ci_u32_e64 v77, null, v83, v77, vcc_lo
	global_store_dwordx2 v[76:77], v[74:75], off
.LBB167_263:
	s_or_b32 exec_lo, exec_lo, s4
	s_waitcnt lgkmcnt(11)
	v_add_nc_u32_e32 v78, 0x58, v169
	s_waitcnt lgkmcnt(10)
	v_mad_i64_i32 v[74:75], null, v78, s6, 0
	v_mad_i64_i32 v[76:77], null, v78, s5, 0
	v_cmp_gt_i32_e64 s4, s13, v78
	v_lshlrev_b64 v[74:75], 3, v[74:75]
	s_and_b32 s12, s0, s4
	v_lshlrev_b64 v[78:79], 3, v[76:77]
	v_add_co_u32 v76, vcc_lo, s22, v74
	v_add_co_ci_u32_e64 v77, null, s23, v75, vcc_lo
	v_add_co_u32 v74, vcc_lo, s7, v78
	v_add_co_ci_u32_e64 v75, null, s9, v79, vcc_lo
	s_and_saveexec_b32 s8, s12
	s_cbranch_execnz .LBB167_267
; %bb.264:
	s_or_b32 exec_lo, exec_lo, s8
	s_and_b32 s12, s1, s4
	s_and_saveexec_b32 s8, s12
	s_cbranch_execnz .LBB167_271
.LBB167_265:
	s_or_b32 exec_lo, exec_lo, s8
	s_and_b32 s12, s2, s4
	s_and_saveexec_b32 s8, s12
	s_cbranch_execnz .LBB167_275
.LBB167_266:
	s_or_b32 exec_lo, exec_lo, s8
	s_and_b32 s8, s3, s4
	s_and_saveexec_b32 s4, s8
	s_cbranch_execnz .LBB167_279
	s_branch .LBB167_283
.LBB167_267:
	v_cmp_ne_u32_e32 vcc_lo, 1, v168
	s_cbranch_vccnz .LBB167_269
; %bb.268:
	v_lshlrev_b64 v[78:79], 3, v[0:1]
	v_add_co_u32 v78, vcc_lo, v76, v78
	v_add_co_ci_u32_e64 v79, null, v77, v79, vcc_lo
	global_load_dwordx2 v[78:79], v[78:79], off
	s_waitcnt vmcnt(0)
	v_mul_f64 v[78:79], s[10:11], v[78:79]
	v_cvt_f32_f64_e32 v78, v[78:79]
	s_branch .LBB167_270
.LBB167_269:
	v_mov_b32_e32 v78, 0
.LBB167_270:
	s_waitcnt lgkmcnt(9)
	v_add_f64 v[79:80], v[38:39], v[70:71]
	v_add_f64 v[81:82], v[40:41], v[72:73]
	s_waitcnt lgkmcnt(8)
	v_add_f64 v[83:84], v[34:35], v[66:67]
	v_add_f64 v[85:86], v[36:37], v[68:69]
	v_cvt_f32_f64_e32 v79, v[79:80]
	v_cvt_f32_f64_e32 v80, v[81:82]
	;; [unrolled: 1-line block ×3, first 2 shown]
	buffer_load_dword v83, off, s[36:39], 0 ; 4-byte Folded Reload
	v_cvt_f32_f64_e32 v82, v[85:86]
	s_waitcnt vmcnt(0)
	v_min3_f32 v79, v79, v80, v83
	v_min_f32_e32 v80, v81, v82
	v_min3_f32 v78, v78, v80, v79
	v_lshlrev_b64 v[80:81], 3, v[0:1]
	v_cvt_f64_f32_e32 v[78:79], v78
	v_add_co_u32 v80, vcc_lo, v74, v80
	v_add_co_ci_u32_e64 v81, null, v75, v81, vcc_lo
	global_store_dwordx2 v[80:81], v[78:79], off
	s_or_b32 exec_lo, exec_lo, s8
	s_and_b32 s12, s1, s4
	s_and_saveexec_b32 s8, s12
	s_cbranch_execz .LBB167_265
.LBB167_271:
	v_cmp_ne_u32_e32 vcc_lo, 1, v168
	s_cbranch_vccnz .LBB167_273
; %bb.272:
	v_lshlrev_b64 v[78:79], 3, v[162:163]
	v_add_co_u32 v78, vcc_lo, v76, v78
	v_add_co_ci_u32_e64 v79, null, v77, v79, vcc_lo
	global_load_dwordx2 v[78:79], v[78:79], off
	s_waitcnt vmcnt(0)
	v_mul_f64 v[78:79], s[10:11], v[78:79]
	v_cvt_f32_f64_e32 v78, v[78:79]
	s_branch .LBB167_274
.LBB167_273:
	v_mov_b32_e32 v78, 0
.LBB167_274:
	s_waitcnt lgkmcnt(9)
	v_add_f64 v[79:80], v[26:27], v[70:71]
	v_add_f64 v[81:82], v[28:29], v[72:73]
	s_waitcnt lgkmcnt(8)
	v_add_f64 v[83:84], v[30:31], v[66:67]
	v_add_f64 v[85:86], v[32:33], v[68:69]
	v_cvt_f32_f64_e32 v79, v[79:80]
	v_cvt_f32_f64_e32 v80, v[81:82]
	;; [unrolled: 1-line block ×4, first 2 shown]
	v_min3_f32 v79, v79, v80, v200
	v_min_f32_e32 v80, v81, v82
	v_min3_f32 v78, v78, v80, v79
	v_lshlrev_b64 v[80:81], 3, v[162:163]
	v_cvt_f64_f32_e32 v[78:79], v78
	v_add_co_u32 v80, vcc_lo, v74, v80
	v_add_co_ci_u32_e64 v81, null, v75, v81, vcc_lo
	global_store_dwordx2 v[80:81], v[78:79], off
	s_or_b32 exec_lo, exec_lo, s8
	s_and_b32 s12, s2, s4
	s_and_saveexec_b32 s8, s12
	s_cbranch_execz .LBB167_266
.LBB167_275:
	v_cmp_ne_u32_e32 vcc_lo, 1, v168
	s_cbranch_vccnz .LBB167_277
; %bb.276:
	v_lshlrev_b64 v[78:79], 3, v[164:165]
	v_add_co_u32 v78, vcc_lo, v76, v78
	v_add_co_ci_u32_e64 v79, null, v77, v79, vcc_lo
	global_load_dwordx2 v[78:79], v[78:79], off
	s_waitcnt vmcnt(0)
	v_mul_f64 v[78:79], s[10:11], v[78:79]
	v_cvt_f32_f64_e32 v78, v[78:79]
	s_branch .LBB167_278
.LBB167_277:
	v_mov_b32_e32 v78, 0
.LBB167_278:
	s_waitcnt lgkmcnt(9)
	v_add_f64 v[79:80], v[22:23], v[70:71]
	v_add_f64 v[81:82], v[24:25], v[72:73]
	s_waitcnt lgkmcnt(8)
	v_add_f64 v[83:84], v[18:19], v[66:67]
	v_add_f64 v[85:86], v[20:21], v[68:69]
	v_cvt_f32_f64_e32 v79, v[79:80]
	v_cvt_f32_f64_e32 v80, v[81:82]
	;; [unrolled: 1-line block ×4, first 2 shown]
	v_min3_f32 v79, v79, v80, v199
	v_min_f32_e32 v80, v81, v82
	v_min3_f32 v78, v78, v80, v79
	v_lshlrev_b64 v[80:81], 3, v[164:165]
	v_cvt_f64_f32_e32 v[78:79], v78
	v_add_co_u32 v80, vcc_lo, v74, v80
	v_add_co_ci_u32_e64 v81, null, v75, v81, vcc_lo
	global_store_dwordx2 v[80:81], v[78:79], off
	s_or_b32 exec_lo, exec_lo, s8
	s_and_b32 s8, s3, s4
	s_and_saveexec_b32 s4, s8
	s_cbranch_execz .LBB167_283
.LBB167_279:
	v_cmp_ne_u32_e32 vcc_lo, 1, v168
	s_cbranch_vccnz .LBB167_281
; %bb.280:
	v_lshlrev_b64 v[78:79], 3, v[166:167]
	v_add_co_u32 v76, vcc_lo, v76, v78
	v_add_co_ci_u32_e64 v77, null, v77, v79, vcc_lo
	global_load_dwordx2 v[76:77], v[76:77], off
	s_waitcnt vmcnt(0)
	v_mul_f64 v[76:77], s[10:11], v[76:77]
	v_cvt_f32_f64_e32 v76, v[76:77]
	s_branch .LBB167_282
.LBB167_281:
	v_mov_b32_e32 v76, 0
.LBB167_282:
	s_waitcnt lgkmcnt(9)
	v_add_f64 v[70:71], v[6:7], v[70:71]
	v_add_f64 v[72:73], v[8:9], v[72:73]
	s_waitcnt lgkmcnt(8)
	v_add_f64 v[66:67], v[2:3], v[66:67]
	v_add_f64 v[68:69], v[4:5], v[68:69]
	v_cvt_f32_f64_e32 v70, v[70:71]
	v_cvt_f32_f64_e32 v71, v[72:73]
	;; [unrolled: 1-line block ×4, first 2 shown]
	v_min3_f32 v68, v70, v71, v198
	v_min_f32_e32 v66, v66, v67
	v_min3_f32 v66, v76, v66, v68
	v_lshlrev_b64 v[68:69], 3, v[166:167]
	v_cvt_f64_f32_e32 v[66:67], v66
	v_add_co_u32 v68, vcc_lo, v74, v68
	v_add_co_ci_u32_e64 v69, null, v75, v69, vcc_lo
	global_store_dwordx2 v[68:69], v[66:67], off
.LBB167_283:
	s_or_b32 exec_lo, exec_lo, s4
	s_waitcnt lgkmcnt(9)
	v_add_nc_u32_e32 v70, 0x60, v169
	s_waitcnt lgkmcnt(8)
	v_mad_i64_i32 v[66:67], null, v70, s6, 0
	v_mad_i64_i32 v[68:69], null, v70, s5, 0
	v_cmp_gt_i32_e64 s4, s13, v70
	v_lshlrev_b64 v[66:67], 3, v[66:67]
	s_and_b32 s12, s0, s4
	v_lshlrev_b64 v[70:71], 3, v[68:69]
	v_add_co_u32 v68, vcc_lo, s22, v66
	v_add_co_ci_u32_e64 v69, null, s23, v67, vcc_lo
	v_add_co_u32 v66, vcc_lo, s7, v70
	v_add_co_ci_u32_e64 v67, null, s9, v71, vcc_lo
	s_and_saveexec_b32 s8, s12
	s_cbranch_execnz .LBB167_287
; %bb.284:
	s_or_b32 exec_lo, exec_lo, s8
	s_and_b32 s12, s1, s4
	s_and_saveexec_b32 s8, s12
	s_cbranch_execnz .LBB167_291
.LBB167_285:
	s_or_b32 exec_lo, exec_lo, s8
	s_and_b32 s12, s2, s4
	s_and_saveexec_b32 s8, s12
	s_cbranch_execnz .LBB167_295
.LBB167_286:
	s_or_b32 exec_lo, exec_lo, s8
	s_and_b32 s8, s3, s4
	s_and_saveexec_b32 s4, s8
	s_cbranch_execnz .LBB167_299
	s_branch .LBB167_303
.LBB167_287:
	v_cmp_ne_u32_e32 vcc_lo, 1, v168
	s_cbranch_vccnz .LBB167_289
; %bb.288:
	v_lshlrev_b64 v[70:71], 3, v[0:1]
	v_add_co_u32 v70, vcc_lo, v68, v70
	v_add_co_ci_u32_e64 v71, null, v69, v71, vcc_lo
	global_load_dwordx2 v[70:71], v[70:71], off
	s_waitcnt vmcnt(0)
	v_mul_f64 v[70:71], s[10:11], v[70:71]
	v_cvt_f32_f64_e32 v70, v[70:71]
	s_branch .LBB167_290
.LBB167_289:
	v_mov_b32_e32 v70, 0
.LBB167_290:
	s_waitcnt lgkmcnt(7)
	v_add_f64 v[71:72], v[38:39], v[62:63]
	v_add_f64 v[73:74], v[40:41], v[64:65]
	s_waitcnt lgkmcnt(6)
	v_add_f64 v[75:76], v[34:35], v[58:59]
	v_add_f64 v[77:78], v[36:37], v[60:61]
	v_cvt_f32_f64_e32 v71, v[71:72]
	v_cvt_f32_f64_e32 v72, v[73:74]
	;; [unrolled: 1-line block ×4, first 2 shown]
	v_min3_f32 v71, v71, v72, v255
	v_min_f32_e32 v72, v73, v74
	v_min3_f32 v70, v70, v72, v71
	v_lshlrev_b64 v[72:73], 3, v[0:1]
	v_cvt_f64_f32_e32 v[70:71], v70
	v_add_co_u32 v72, vcc_lo, v66, v72
	v_add_co_ci_u32_e64 v73, null, v67, v73, vcc_lo
	global_store_dwordx2 v[72:73], v[70:71], off
	s_or_b32 exec_lo, exec_lo, s8
	s_and_b32 s12, s1, s4
	s_and_saveexec_b32 s8, s12
	s_cbranch_execz .LBB167_285
.LBB167_291:
	v_cmp_ne_u32_e32 vcc_lo, 1, v168
	s_cbranch_vccnz .LBB167_293
; %bb.292:
	v_lshlrev_b64 v[70:71], 3, v[162:163]
	v_add_co_u32 v70, vcc_lo, v68, v70
	v_add_co_ci_u32_e64 v71, null, v69, v71, vcc_lo
	global_load_dwordx2 v[70:71], v[70:71], off
	s_waitcnt vmcnt(0)
	v_mul_f64 v[70:71], s[10:11], v[70:71]
	v_cvt_f32_f64_e32 v70, v[70:71]
	s_branch .LBB167_294
.LBB167_293:
	v_mov_b32_e32 v70, 0
.LBB167_294:
	s_waitcnt lgkmcnt(7)
	v_add_f64 v[71:72], v[26:27], v[62:63]
	v_add_f64 v[73:74], v[28:29], v[64:65]
	s_waitcnt lgkmcnt(6)
	v_add_f64 v[75:76], v[30:31], v[58:59]
	v_add_f64 v[77:78], v[32:33], v[60:61]
	v_cvt_f32_f64_e32 v71, v[71:72]
	v_cvt_f32_f64_e32 v72, v[73:74]
	;; [unrolled: 1-line block ×4, first 2 shown]
	v_min3_f32 v71, v71, v72, v196
	v_min_f32_e32 v72, v73, v74
	v_min3_f32 v70, v70, v72, v71
	v_lshlrev_b64 v[72:73], 3, v[162:163]
	v_cvt_f64_f32_e32 v[70:71], v70
	v_add_co_u32 v72, vcc_lo, v66, v72
	v_add_co_ci_u32_e64 v73, null, v67, v73, vcc_lo
	global_store_dwordx2 v[72:73], v[70:71], off
	s_or_b32 exec_lo, exec_lo, s8
	s_and_b32 s12, s2, s4
	s_and_saveexec_b32 s8, s12
	s_cbranch_execz .LBB167_286
.LBB167_295:
	v_cmp_ne_u32_e32 vcc_lo, 1, v168
	s_cbranch_vccnz .LBB167_297
; %bb.296:
	v_lshlrev_b64 v[70:71], 3, v[164:165]
	v_add_co_u32 v70, vcc_lo, v68, v70
	v_add_co_ci_u32_e64 v71, null, v69, v71, vcc_lo
	global_load_dwordx2 v[70:71], v[70:71], off
	s_waitcnt vmcnt(0)
	v_mul_f64 v[70:71], s[10:11], v[70:71]
	v_cvt_f32_f64_e32 v70, v[70:71]
	s_branch .LBB167_298
.LBB167_297:
	v_mov_b32_e32 v70, 0
.LBB167_298:
	s_waitcnt lgkmcnt(7)
	v_add_f64 v[71:72], v[22:23], v[62:63]
	v_add_f64 v[73:74], v[24:25], v[64:65]
	s_waitcnt lgkmcnt(6)
	v_add_f64 v[75:76], v[18:19], v[58:59]
	v_add_f64 v[77:78], v[20:21], v[60:61]
	v_cvt_f32_f64_e32 v71, v[71:72]
	v_cvt_f32_f64_e32 v72, v[73:74]
	v_cvt_f32_f64_e32 v73, v[75:76]
	v_cvt_f32_f64_e32 v74, v[77:78]
	v_min3_f32 v71, v71, v72, v248
	v_min_f32_e32 v72, v73, v74
	v_min3_f32 v70, v70, v72, v71
	v_lshlrev_b64 v[72:73], 3, v[164:165]
	v_cvt_f64_f32_e32 v[70:71], v70
	v_add_co_u32 v72, vcc_lo, v66, v72
	v_add_co_ci_u32_e64 v73, null, v67, v73, vcc_lo
	global_store_dwordx2 v[72:73], v[70:71], off
	s_or_b32 exec_lo, exec_lo, s8
	s_and_b32 s8, s3, s4
	s_and_saveexec_b32 s4, s8
	s_cbranch_execz .LBB167_303
.LBB167_299:
	v_cmp_ne_u32_e32 vcc_lo, 1, v168
	s_cbranch_vccnz .LBB167_301
; %bb.300:
	v_lshlrev_b64 v[70:71], 3, v[166:167]
	v_add_co_u32 v68, vcc_lo, v68, v70
	v_add_co_ci_u32_e64 v69, null, v69, v71, vcc_lo
	global_load_dwordx2 v[68:69], v[68:69], off
	s_waitcnt vmcnt(0)
	v_mul_f64 v[68:69], s[10:11], v[68:69]
	v_cvt_f32_f64_e32 v68, v[68:69]
	s_branch .LBB167_302
.LBB167_301:
	v_mov_b32_e32 v68, 0
.LBB167_302:
	s_waitcnt lgkmcnt(7)
	v_add_f64 v[62:63], v[6:7], v[62:63]
	v_add_f64 v[64:65], v[8:9], v[64:65]
	s_waitcnt lgkmcnt(6)
	v_add_f64 v[58:59], v[2:3], v[58:59]
	v_add_f64 v[60:61], v[4:5], v[60:61]
	v_cvt_f32_f64_e32 v62, v[62:63]
	v_cvt_f32_f64_e32 v63, v[64:65]
	;; [unrolled: 1-line block ×4, first 2 shown]
	v_min3_f32 v60, v62, v63, v247
	v_min_f32_e32 v58, v58, v59
	v_min3_f32 v58, v68, v58, v60
	v_lshlrev_b64 v[60:61], 3, v[166:167]
	v_cvt_f64_f32_e32 v[58:59], v58
	v_add_co_u32 v60, vcc_lo, v66, v60
	v_add_co_ci_u32_e64 v61, null, v67, v61, vcc_lo
	global_store_dwordx2 v[60:61], v[58:59], off
.LBB167_303:
	s_or_b32 exec_lo, exec_lo, s4
	s_waitcnt lgkmcnt(7)
	v_add_nc_u32_e32 v62, 0x68, v169
	s_waitcnt lgkmcnt(6)
	v_mad_i64_i32 v[58:59], null, v62, s6, 0
	v_mad_i64_i32 v[60:61], null, v62, s5, 0
	v_cmp_gt_i32_e64 s4, s13, v62
	v_lshlrev_b64 v[58:59], 3, v[58:59]
	s_and_b32 s12, s0, s4
	v_lshlrev_b64 v[62:63], 3, v[60:61]
	v_add_co_u32 v60, vcc_lo, s22, v58
	v_add_co_ci_u32_e64 v61, null, s23, v59, vcc_lo
	v_add_co_u32 v58, vcc_lo, s7, v62
	v_add_co_ci_u32_e64 v59, null, s9, v63, vcc_lo
	s_and_saveexec_b32 s8, s12
	s_cbranch_execnz .LBB167_307
; %bb.304:
	s_or_b32 exec_lo, exec_lo, s8
	s_and_b32 s12, s1, s4
	s_and_saveexec_b32 s8, s12
	s_cbranch_execnz .LBB167_311
.LBB167_305:
	s_or_b32 exec_lo, exec_lo, s8
	s_and_b32 s12, s2, s4
	s_and_saveexec_b32 s8, s12
	s_cbranch_execnz .LBB167_315
.LBB167_306:
	s_or_b32 exec_lo, exec_lo, s8
	s_and_b32 s8, s3, s4
	s_and_saveexec_b32 s4, s8
	s_cbranch_execnz .LBB167_319
	s_branch .LBB167_323
.LBB167_307:
	v_cmp_ne_u32_e32 vcc_lo, 1, v168
	s_cbranch_vccnz .LBB167_309
; %bb.308:
	v_lshlrev_b64 v[62:63], 3, v[0:1]
	v_add_co_u32 v62, vcc_lo, v60, v62
	v_add_co_ci_u32_e64 v63, null, v61, v63, vcc_lo
	global_load_dwordx2 v[62:63], v[62:63], off
	s_waitcnt vmcnt(0)
	v_mul_f64 v[62:63], s[10:11], v[62:63]
	v_cvt_f32_f64_e32 v62, v[62:63]
	s_branch .LBB167_310
.LBB167_309:
	v_mov_b32_e32 v62, 0
.LBB167_310:
	s_waitcnt lgkmcnt(5)
	v_add_f64 v[63:64], v[38:39], v[54:55]
	v_add_f64 v[65:66], v[40:41], v[56:57]
	s_waitcnt lgkmcnt(4)
	v_add_f64 v[67:68], v[34:35], v[50:51]
	v_add_f64 v[69:70], v[36:37], v[52:53]
	v_cvt_f32_f64_e32 v63, v[63:64]
	v_cvt_f32_f64_e32 v64, v[65:66]
	;; [unrolled: 1-line block ×4, first 2 shown]
	v_min3_f32 v63, v63, v64, v193
	v_min_f32_e32 v64, v65, v66
	v_min3_f32 v62, v62, v64, v63
	v_lshlrev_b64 v[64:65], 3, v[0:1]
	v_cvt_f64_f32_e32 v[62:63], v62
	v_add_co_u32 v64, vcc_lo, v58, v64
	v_add_co_ci_u32_e64 v65, null, v59, v65, vcc_lo
	global_store_dwordx2 v[64:65], v[62:63], off
	s_or_b32 exec_lo, exec_lo, s8
	s_and_b32 s12, s1, s4
	s_and_saveexec_b32 s8, s12
	s_cbranch_execz .LBB167_305
.LBB167_311:
	v_cmp_ne_u32_e32 vcc_lo, 1, v168
	s_cbranch_vccnz .LBB167_313
; %bb.312:
	v_lshlrev_b64 v[62:63], 3, v[162:163]
	v_add_co_u32 v62, vcc_lo, v60, v62
	v_add_co_ci_u32_e64 v63, null, v61, v63, vcc_lo
	global_load_dwordx2 v[62:63], v[62:63], off
	s_waitcnt vmcnt(0)
	v_mul_f64 v[62:63], s[10:11], v[62:63]
	v_cvt_f32_f64_e32 v62, v[62:63]
	s_branch .LBB167_314
.LBB167_313:
	v_mov_b32_e32 v62, 0
.LBB167_314:
	s_waitcnt lgkmcnt(5)
	v_add_f64 v[63:64], v[26:27], v[54:55]
	v_add_f64 v[65:66], v[28:29], v[56:57]
	s_waitcnt lgkmcnt(4)
	v_add_f64 v[67:68], v[30:31], v[50:51]
	v_add_f64 v[69:70], v[32:33], v[52:53]
	v_cvt_f32_f64_e32 v63, v[63:64]
	v_cvt_f32_f64_e32 v64, v[65:66]
	;; [unrolled: 1-line block ×4, first 2 shown]
	v_min3_f32 v63, v63, v64, v192
	v_min_f32_e32 v64, v65, v66
	v_min3_f32 v62, v62, v64, v63
	v_lshlrev_b64 v[64:65], 3, v[162:163]
	v_cvt_f64_f32_e32 v[62:63], v62
	v_add_co_u32 v64, vcc_lo, v58, v64
	v_add_co_ci_u32_e64 v65, null, v59, v65, vcc_lo
	global_store_dwordx2 v[64:65], v[62:63], off
	s_or_b32 exec_lo, exec_lo, s8
	s_and_b32 s12, s2, s4
	s_and_saveexec_b32 s8, s12
	s_cbranch_execz .LBB167_306
.LBB167_315:
	v_cmp_ne_u32_e32 vcc_lo, 1, v168
	s_cbranch_vccnz .LBB167_317
; %bb.316:
	v_lshlrev_b64 v[62:63], 3, v[164:165]
	v_add_co_u32 v62, vcc_lo, v60, v62
	v_add_co_ci_u32_e64 v63, null, v61, v63, vcc_lo
	global_load_dwordx2 v[62:63], v[62:63], off
	s_waitcnt vmcnt(0)
	v_mul_f64 v[62:63], s[10:11], v[62:63]
	v_cvt_f32_f64_e32 v62, v[62:63]
	s_branch .LBB167_318
.LBB167_317:
	v_mov_b32_e32 v62, 0
.LBB167_318:
	s_waitcnt lgkmcnt(5)
	v_add_f64 v[63:64], v[22:23], v[54:55]
	v_add_f64 v[65:66], v[24:25], v[56:57]
	s_waitcnt lgkmcnt(4)
	v_add_f64 v[67:68], v[18:19], v[50:51]
	v_add_f64 v[69:70], v[20:21], v[52:53]
	v_cvt_f32_f64_e32 v63, v[63:64]
	v_cvt_f32_f64_e32 v64, v[65:66]
	;; [unrolled: 1-line block ×4, first 2 shown]
	v_min3_f32 v63, v63, v64, v191
	v_min_f32_e32 v64, v65, v66
	v_min3_f32 v62, v62, v64, v63
	v_lshlrev_b64 v[64:65], 3, v[164:165]
	v_cvt_f64_f32_e32 v[62:63], v62
	v_add_co_u32 v64, vcc_lo, v58, v64
	v_add_co_ci_u32_e64 v65, null, v59, v65, vcc_lo
	global_store_dwordx2 v[64:65], v[62:63], off
	s_or_b32 exec_lo, exec_lo, s8
	s_and_b32 s8, s3, s4
	s_and_saveexec_b32 s4, s8
	s_cbranch_execz .LBB167_323
.LBB167_319:
	v_cmp_ne_u32_e32 vcc_lo, 1, v168
	s_cbranch_vccnz .LBB167_321
; %bb.320:
	v_lshlrev_b64 v[62:63], 3, v[166:167]
	v_add_co_u32 v60, vcc_lo, v60, v62
	v_add_co_ci_u32_e64 v61, null, v61, v63, vcc_lo
	global_load_dwordx2 v[60:61], v[60:61], off
	s_waitcnt vmcnt(0)
	v_mul_f64 v[60:61], s[10:11], v[60:61]
	v_cvt_f32_f64_e32 v60, v[60:61]
	s_branch .LBB167_322
.LBB167_321:
	v_mov_b32_e32 v60, 0
.LBB167_322:
	s_waitcnt lgkmcnt(5)
	v_add_f64 v[54:55], v[6:7], v[54:55]
	v_add_f64 v[56:57], v[8:9], v[56:57]
	s_waitcnt lgkmcnt(4)
	v_add_f64 v[50:51], v[2:3], v[50:51]
	v_add_f64 v[52:53], v[4:5], v[52:53]
	v_cvt_f32_f64_e32 v54, v[54:55]
	v_cvt_f32_f64_e32 v55, v[56:57]
	v_cvt_f32_f64_e32 v50, v[50:51]
	v_cvt_f32_f64_e32 v51, v[52:53]
	v_min3_f32 v52, v54, v55, v190
	v_min_f32_e32 v50, v50, v51
	v_min3_f32 v50, v60, v50, v52
	v_lshlrev_b64 v[52:53], 3, v[166:167]
	v_cvt_f64_f32_e32 v[50:51], v50
	v_add_co_u32 v52, vcc_lo, v58, v52
	v_add_co_ci_u32_e64 v53, null, v59, v53, vcc_lo
	global_store_dwordx2 v[52:53], v[50:51], off
.LBB167_323:
	s_or_b32 exec_lo, exec_lo, s4
	s_waitcnt lgkmcnt(5)
	v_add_nc_u32_e32 v54, 0x70, v169
	s_waitcnt lgkmcnt(4)
	v_mad_i64_i32 v[50:51], null, v54, s6, 0
	v_mad_i64_i32 v[52:53], null, v54, s5, 0
	v_cmp_gt_i32_e64 s4, s13, v54
	v_lshlrev_b64 v[50:51], 3, v[50:51]
	s_and_b32 s12, s0, s4
	v_lshlrev_b64 v[54:55], 3, v[52:53]
	v_add_co_u32 v52, vcc_lo, s22, v50
	v_add_co_ci_u32_e64 v53, null, s23, v51, vcc_lo
	v_add_co_u32 v50, vcc_lo, s7, v54
	v_add_co_ci_u32_e64 v51, null, s9, v55, vcc_lo
	s_and_saveexec_b32 s8, s12
	s_cbranch_execnz .LBB167_327
; %bb.324:
	s_or_b32 exec_lo, exec_lo, s8
	s_and_b32 s12, s1, s4
	s_and_saveexec_b32 s8, s12
	s_cbranch_execnz .LBB167_331
.LBB167_325:
	s_or_b32 exec_lo, exec_lo, s8
	s_and_b32 s12, s2, s4
	s_and_saveexec_b32 s8, s12
	s_cbranch_execnz .LBB167_335
.LBB167_326:
	s_or_b32 exec_lo, exec_lo, s8
	s_and_b32 s8, s3, s4
	s_and_saveexec_b32 s4, s8
	s_cbranch_execnz .LBB167_339
	s_branch .LBB167_343
.LBB167_327:
	v_cmp_ne_u32_e32 vcc_lo, 1, v168
	s_cbranch_vccnz .LBB167_329
; %bb.328:
	v_lshlrev_b64 v[54:55], 3, v[0:1]
	v_add_co_u32 v54, vcc_lo, v52, v54
	v_add_co_ci_u32_e64 v55, null, v53, v55, vcc_lo
	global_load_dwordx2 v[54:55], v[54:55], off
	s_waitcnt vmcnt(0)
	v_mul_f64 v[54:55], s[10:11], v[54:55]
	v_cvt_f32_f64_e32 v54, v[54:55]
	s_branch .LBB167_330
.LBB167_329:
	v_mov_b32_e32 v54, 0
.LBB167_330:
	s_waitcnt lgkmcnt(3)
	v_add_f64 v[55:56], v[38:39], v[46:47]
	v_add_f64 v[57:58], v[40:41], v[48:49]
	s_waitcnt lgkmcnt(2)
	v_add_f64 v[59:60], v[34:35], v[42:43]
	v_add_f64 v[61:62], v[36:37], v[44:45]
	v_cvt_f32_f64_e32 v55, v[55:56]
	v_cvt_f32_f64_e32 v56, v[57:58]
	;; [unrolled: 1-line block ×4, first 2 shown]
	v_min3_f32 v55, v55, v56, v189
	v_min_f32_e32 v56, v57, v58
	v_min3_f32 v54, v54, v56, v55
	v_lshlrev_b64 v[56:57], 3, v[0:1]
	v_cvt_f64_f32_e32 v[54:55], v54
	v_add_co_u32 v56, vcc_lo, v50, v56
	v_add_co_ci_u32_e64 v57, null, v51, v57, vcc_lo
	global_store_dwordx2 v[56:57], v[54:55], off
	s_or_b32 exec_lo, exec_lo, s8
	s_and_b32 s12, s1, s4
	s_and_saveexec_b32 s8, s12
	s_cbranch_execz .LBB167_325
.LBB167_331:
	v_cmp_ne_u32_e32 vcc_lo, 1, v168
	s_cbranch_vccnz .LBB167_333
; %bb.332:
	v_lshlrev_b64 v[54:55], 3, v[162:163]
	v_add_co_u32 v54, vcc_lo, v52, v54
	v_add_co_ci_u32_e64 v55, null, v53, v55, vcc_lo
	global_load_dwordx2 v[54:55], v[54:55], off
	s_waitcnt vmcnt(0)
	v_mul_f64 v[54:55], s[10:11], v[54:55]
	v_cvt_f32_f64_e32 v54, v[54:55]
	s_branch .LBB167_334
.LBB167_333:
	v_mov_b32_e32 v54, 0
.LBB167_334:
	s_waitcnt lgkmcnt(3)
	v_add_f64 v[55:56], v[26:27], v[46:47]
	v_add_f64 v[57:58], v[28:29], v[48:49]
	s_waitcnt lgkmcnt(2)
	v_add_f64 v[59:60], v[30:31], v[42:43]
	v_add_f64 v[61:62], v[32:33], v[44:45]
	v_cvt_f32_f64_e32 v55, v[55:56]
	v_cvt_f32_f64_e32 v56, v[57:58]
	;; [unrolled: 1-line block ×4, first 2 shown]
	v_min3_f32 v55, v55, v56, v188
	v_min_f32_e32 v56, v57, v58
	v_min3_f32 v54, v54, v56, v55
	v_lshlrev_b64 v[56:57], 3, v[162:163]
	v_cvt_f64_f32_e32 v[54:55], v54
	v_add_co_u32 v56, vcc_lo, v50, v56
	v_add_co_ci_u32_e64 v57, null, v51, v57, vcc_lo
	global_store_dwordx2 v[56:57], v[54:55], off
	s_or_b32 exec_lo, exec_lo, s8
	s_and_b32 s12, s2, s4
	s_and_saveexec_b32 s8, s12
	s_cbranch_execz .LBB167_326
.LBB167_335:
	v_cmp_ne_u32_e32 vcc_lo, 1, v168
	s_cbranch_vccnz .LBB167_337
; %bb.336:
	v_lshlrev_b64 v[54:55], 3, v[164:165]
	v_add_co_u32 v54, vcc_lo, v52, v54
	v_add_co_ci_u32_e64 v55, null, v53, v55, vcc_lo
	global_load_dwordx2 v[54:55], v[54:55], off
	s_waitcnt vmcnt(0)
	v_mul_f64 v[54:55], s[10:11], v[54:55]
	v_cvt_f32_f64_e32 v54, v[54:55]
	s_branch .LBB167_338
.LBB167_337:
	v_mov_b32_e32 v54, 0
.LBB167_338:
	s_waitcnt lgkmcnt(3)
	v_add_f64 v[55:56], v[22:23], v[46:47]
	v_add_f64 v[57:58], v[24:25], v[48:49]
	s_waitcnt lgkmcnt(2)
	v_add_f64 v[59:60], v[18:19], v[42:43]
	v_add_f64 v[61:62], v[20:21], v[44:45]
	v_cvt_f32_f64_e32 v55, v[55:56]
	v_cvt_f32_f64_e32 v56, v[57:58]
	;; [unrolled: 1-line block ×4, first 2 shown]
	v_min3_f32 v55, v55, v56, v187
	v_min_f32_e32 v56, v57, v58
	v_min3_f32 v54, v54, v56, v55
	v_lshlrev_b64 v[56:57], 3, v[164:165]
	v_cvt_f64_f32_e32 v[54:55], v54
	v_add_co_u32 v56, vcc_lo, v50, v56
	v_add_co_ci_u32_e64 v57, null, v51, v57, vcc_lo
	global_store_dwordx2 v[56:57], v[54:55], off
	s_or_b32 exec_lo, exec_lo, s8
	s_and_b32 s8, s3, s4
	s_and_saveexec_b32 s4, s8
	s_cbranch_execz .LBB167_343
.LBB167_339:
	v_cmp_ne_u32_e32 vcc_lo, 1, v168
	s_cbranch_vccnz .LBB167_341
; %bb.340:
	v_lshlrev_b64 v[54:55], 3, v[166:167]
	v_add_co_u32 v52, vcc_lo, v52, v54
	v_add_co_ci_u32_e64 v53, null, v53, v55, vcc_lo
	global_load_dwordx2 v[52:53], v[52:53], off
	s_waitcnt vmcnt(0)
	v_mul_f64 v[52:53], s[10:11], v[52:53]
	v_cvt_f32_f64_e32 v52, v[52:53]
	s_branch .LBB167_342
.LBB167_341:
	v_mov_b32_e32 v52, 0
.LBB167_342:
	s_waitcnt lgkmcnt(3)
	v_add_f64 v[46:47], v[6:7], v[46:47]
	v_add_f64 v[48:49], v[8:9], v[48:49]
	s_waitcnt lgkmcnt(2)
	v_add_f64 v[42:43], v[2:3], v[42:43]
	v_add_f64 v[44:45], v[4:5], v[44:45]
	v_cvt_f32_f64_e32 v46, v[46:47]
	v_cvt_f32_f64_e32 v47, v[48:49]
	v_cvt_f32_f64_e32 v42, v[42:43]
	v_cvt_f32_f64_e32 v43, v[44:45]
	v_min3_f32 v44, v46, v47, v186
	v_min_f32_e32 v42, v42, v43
	v_min3_f32 v42, v52, v42, v44
	v_lshlrev_b64 v[44:45], 3, v[166:167]
	v_cvt_f64_f32_e32 v[42:43], v42
	v_add_co_u32 v44, vcc_lo, v50, v44
	v_add_co_ci_u32_e64 v45, null, v51, v45, vcc_lo
	global_store_dwordx2 v[44:45], v[42:43], off
.LBB167_343:
	s_or_b32 exec_lo, exec_lo, s4
	s_waitcnt lgkmcnt(3)
	v_add_nc_u32_e32 v46, 0x78, v169
	s_waitcnt lgkmcnt(2)
	v_mad_i64_i32 v[42:43], null, v46, s6, 0
	v_mad_i64_i32 v[44:45], null, v46, s5, 0
	v_cmp_gt_i32_e64 s4, s13, v46
	v_lshlrev_b64 v[42:43], 3, v[42:43]
	s_and_b32 s5, s0, s4
	v_lshlrev_b64 v[46:47], 3, v[44:45]
	v_add_co_u32 v44, vcc_lo, s22, v42
	v_add_co_ci_u32_e64 v45, null, s23, v43, vcc_lo
	v_add_co_u32 v42, vcc_lo, s7, v46
	v_add_co_ci_u32_e64 v43, null, s9, v47, vcc_lo
	s_and_saveexec_b32 s0, s5
	s_cbranch_execnz .LBB167_348
; %bb.344:
	s_or_b32 exec_lo, exec_lo, s0
	s_and_b32 s1, s1, s4
	s_and_saveexec_b32 s0, s1
	s_cbranch_execnz .LBB167_352
.LBB167_345:
	s_or_b32 exec_lo, exec_lo, s0
	s_and_b32 s1, s2, s4
	s_and_saveexec_b32 s0, s1
	s_cbranch_execnz .LBB167_356
.LBB167_346:
	s_or_b32 exec_lo, exec_lo, s0
	s_and_b32 s0, s3, s4
	s_and_saveexec_b32 s1, s0
	s_cbranch_execnz .LBB167_360
.LBB167_347:
	s_endpgm
.LBB167_348:
	v_cmp_ne_u32_e32 vcc_lo, 1, v168
	v_lshlrev_b64 v[0:1], 3, v[0:1]
	s_cbranch_vccnz .LBB167_350
; %bb.349:
	v_add_co_u32 v46, vcc_lo, v44, v0
	v_add_co_ci_u32_e64 v47, null, v45, v1, vcc_lo
	global_load_dwordx2 v[46:47], v[46:47], off
	s_waitcnt vmcnt(0)
	v_mul_f64 v[46:47], s[10:11], v[46:47]
	v_cvt_f32_f64_e32 v46, v[46:47]
	s_branch .LBB167_351
.LBB167_350:
	v_mov_b32_e32 v46, 0
.LBB167_351:
	s_waitcnt lgkmcnt(1)
	v_add_f64 v[38:39], v[38:39], v[14:15]
	v_add_f64 v[40:41], v[40:41], v[16:17]
	s_waitcnt lgkmcnt(0)
	v_add_f64 v[34:35], v[34:35], v[10:11]
	v_add_f64 v[36:37], v[36:37], v[12:13]
	v_add_co_u32 v0, vcc_lo, v42, v0
	v_add_co_ci_u32_e64 v1, null, v43, v1, vcc_lo
	v_cvt_f32_f64_e32 v38, v[38:39]
	v_cvt_f32_f64_e32 v39, v[40:41]
	;; [unrolled: 1-line block ×4, first 2 shown]
	v_min3_f32 v36, v38, v39, v185
	v_min_f32_e32 v34, v34, v35
	v_min3_f32 v34, v46, v34, v36
	v_cvt_f64_f32_e32 v[34:35], v34
	global_store_dwordx2 v[0:1], v[34:35], off
	s_or_b32 exec_lo, exec_lo, s0
	s_and_b32 s1, s1, s4
	s_and_saveexec_b32 s0, s1
	s_cbranch_execz .LBB167_345
.LBB167_352:
	v_cmp_ne_u32_e32 vcc_lo, 1, v168
	v_lshlrev_b64 v[0:1], 3, v[162:163]
	s_cbranch_vccnz .LBB167_354
; %bb.353:
	v_add_co_u32 v34, vcc_lo, v44, v0
	v_add_co_ci_u32_e64 v35, null, v45, v1, vcc_lo
	global_load_dwordx2 v[34:35], v[34:35], off
	s_waitcnt vmcnt(0)
	v_mul_f64 v[34:35], s[10:11], v[34:35]
	v_cvt_f32_f64_e32 v34, v[34:35]
	s_branch .LBB167_355
.LBB167_354:
	v_mov_b32_e32 v34, 0
.LBB167_355:
	s_waitcnt lgkmcnt(1)
	v_add_f64 v[26:27], v[26:27], v[14:15]
	v_add_f64 v[28:29], v[28:29], v[16:17]
	s_waitcnt lgkmcnt(0)
	v_add_f64 v[30:31], v[30:31], v[10:11]
	v_add_f64 v[32:33], v[32:33], v[12:13]
	v_add_co_u32 v0, vcc_lo, v42, v0
	v_add_co_ci_u32_e64 v1, null, v43, v1, vcc_lo
	v_cvt_f32_f64_e32 v26, v[26:27]
	v_cvt_f32_f64_e32 v27, v[28:29]
	;; [unrolled: 1-line block ×4, first 2 shown]
	v_min3_f32 v26, v26, v27, v184
	v_min_f32_e32 v27, v28, v29
	v_min3_f32 v26, v34, v27, v26
	v_cvt_f64_f32_e32 v[26:27], v26
	global_store_dwordx2 v[0:1], v[26:27], off
	s_or_b32 exec_lo, exec_lo, s0
	s_and_b32 s1, s2, s4
	s_and_saveexec_b32 s0, s1
	s_cbranch_execz .LBB167_346
.LBB167_356:
	v_cmp_ne_u32_e32 vcc_lo, 1, v168
	v_lshlrev_b64 v[0:1], 3, v[164:165]
	s_cbranch_vccnz .LBB167_358
; %bb.357:
	v_add_co_u32 v26, vcc_lo, v44, v0
	v_add_co_ci_u32_e64 v27, null, v45, v1, vcc_lo
	global_load_dwordx2 v[26:27], v[26:27], off
	s_waitcnt vmcnt(0)
	v_mul_f64 v[26:27], s[10:11], v[26:27]
	v_cvt_f32_f64_e32 v26, v[26:27]
	s_branch .LBB167_359
.LBB167_358:
	v_mov_b32_e32 v26, 0
.LBB167_359:
	s_waitcnt lgkmcnt(1)
	v_add_f64 v[22:23], v[22:23], v[14:15]
	v_add_f64 v[24:25], v[24:25], v[16:17]
	s_waitcnt lgkmcnt(0)
	v_add_f64 v[18:19], v[18:19], v[10:11]
	v_add_f64 v[20:21], v[20:21], v[12:13]
	v_add_co_u32 v0, vcc_lo, v42, v0
	v_add_co_ci_u32_e64 v1, null, v43, v1, vcc_lo
	v_cvt_f32_f64_e32 v22, v[22:23]
	v_cvt_f32_f64_e32 v23, v[24:25]
	;; [unrolled: 1-line block ×4, first 2 shown]
	v_min3_f32 v20, v22, v23, v183
	v_min_f32_e32 v18, v18, v19
	v_min3_f32 v18, v26, v18, v20
	v_cvt_f64_f32_e32 v[18:19], v18
	global_store_dwordx2 v[0:1], v[18:19], off
	s_or_b32 exec_lo, exec_lo, s0
	s_and_b32 s0, s3, s4
	s_and_saveexec_b32 s1, s0
	s_cbranch_execz .LBB167_347
.LBB167_360:
	v_cmp_ne_u32_e32 vcc_lo, 1, v168
	v_lshlrev_b64 v[0:1], 3, v[166:167]
	s_cbranch_vccnz .LBB167_362
; %bb.361:
	v_add_co_u32 v18, vcc_lo, v44, v0
	v_add_co_ci_u32_e64 v19, null, v45, v1, vcc_lo
	global_load_dwordx2 v[18:19], v[18:19], off
	s_waitcnt vmcnt(0)
	v_mul_f64 v[18:19], s[10:11], v[18:19]
	v_cvt_f32_f64_e32 v18, v[18:19]
	s_branch .LBB167_363
.LBB167_362:
	v_mov_b32_e32 v18, 0
.LBB167_363:
	s_waitcnt lgkmcnt(1)
	v_add_f64 v[6:7], v[6:7], v[14:15]
	v_add_f64 v[8:9], v[8:9], v[16:17]
	s_waitcnt lgkmcnt(0)
	v_add_f64 v[2:3], v[2:3], v[10:11]
	v_add_f64 v[4:5], v[4:5], v[12:13]
	v_add_co_u32 v0, vcc_lo, v42, v0
	v_add_co_ci_u32_e64 v1, null, v43, v1, vcc_lo
	v_cvt_f32_f64_e32 v6, v[6:7]
	v_cvt_f32_f64_e32 v7, v[8:9]
	;; [unrolled: 1-line block ×4, first 2 shown]
	v_min3_f32 v4, v6, v7, v182
	v_min_f32_e32 v2, v2, v3
	v_min3_f32 v2, v18, v2, v4
	v_cvt_f64_f32_e32 v[2:3], v2
	global_store_dwordx2 v[0:1], v[2:3], off
	s_endpgm
	.section	.rodata,"a",@progbits
	.p2align	6, 0x0
	.amdhsa_kernel _ZN12_GLOBAL__N_120geam_min_plus_kernelId15HIP_vector_typeIdLj2EEdLi32ELi8ELi128ELi128ELi4ELi4ELi64ELi4ELi64ELc84ELc78ELb0ELb1ELb1EdKddEEviiiT16_PT17_ilS6_ilS4_S6_ilPT18_ili26rocblas_geam_ex_operation_
		.amdhsa_group_segment_fixed_size 16384
		.amdhsa_private_segment_fixed_size 120
		.amdhsa_kernarg_size 136
		.amdhsa_user_sgpr_count 6
		.amdhsa_user_sgpr_private_segment_buffer 1
		.amdhsa_user_sgpr_dispatch_ptr 0
		.amdhsa_user_sgpr_queue_ptr 0
		.amdhsa_user_sgpr_kernarg_segment_ptr 1
		.amdhsa_user_sgpr_dispatch_id 0
		.amdhsa_user_sgpr_flat_scratch_init 0
		.amdhsa_user_sgpr_private_segment_size 0
		.amdhsa_wavefront_size32 1
		.amdhsa_uses_dynamic_stack 0
		.amdhsa_system_sgpr_private_segment_wavefront_offset 1
		.amdhsa_system_sgpr_workgroup_id_x 1
		.amdhsa_system_sgpr_workgroup_id_y 0
		.amdhsa_system_sgpr_workgroup_id_z 1
		.amdhsa_system_sgpr_workgroup_info 0
		.amdhsa_system_vgpr_workitem_id 1
		.amdhsa_next_free_vgpr 256
		.amdhsa_next_free_sgpr 40
		.amdhsa_reserve_vcc 1
		.amdhsa_reserve_flat_scratch 0
		.amdhsa_float_round_mode_32 0
		.amdhsa_float_round_mode_16_64 0
		.amdhsa_float_denorm_mode_32 3
		.amdhsa_float_denorm_mode_16_64 3
		.amdhsa_dx10_clamp 1
		.amdhsa_ieee_mode 1
		.amdhsa_fp16_overflow 0
		.amdhsa_workgroup_processor_mode 1
		.amdhsa_memory_ordered 1
		.amdhsa_forward_progress 1
		.amdhsa_shared_vgpr_count 0
		.amdhsa_exception_fp_ieee_invalid_op 0
		.amdhsa_exception_fp_denorm_src 0
		.amdhsa_exception_fp_ieee_div_zero 0
		.amdhsa_exception_fp_ieee_overflow 0
		.amdhsa_exception_fp_ieee_underflow 0
		.amdhsa_exception_fp_ieee_inexact 0
		.amdhsa_exception_int_div_zero 0
	.end_amdhsa_kernel
	.section	.text._ZN12_GLOBAL__N_120geam_min_plus_kernelId15HIP_vector_typeIdLj2EEdLi32ELi8ELi128ELi128ELi4ELi4ELi64ELi4ELi64ELc84ELc78ELb0ELb1ELb1EdKddEEviiiT16_PT17_ilS6_ilS4_S6_ilPT18_ili26rocblas_geam_ex_operation_,"axG",@progbits,_ZN12_GLOBAL__N_120geam_min_plus_kernelId15HIP_vector_typeIdLj2EEdLi32ELi8ELi128ELi128ELi4ELi4ELi64ELi4ELi64ELc84ELc78ELb0ELb1ELb1EdKddEEviiiT16_PT17_ilS6_ilS4_S6_ilPT18_ili26rocblas_geam_ex_operation_,comdat
.Lfunc_end167:
	.size	_ZN12_GLOBAL__N_120geam_min_plus_kernelId15HIP_vector_typeIdLj2EEdLi32ELi8ELi128ELi128ELi4ELi4ELi64ELi4ELi64ELc84ELc78ELb0ELb1ELb1EdKddEEviiiT16_PT17_ilS6_ilS4_S6_ilPT18_ili26rocblas_geam_ex_operation_, .Lfunc_end167-_ZN12_GLOBAL__N_120geam_min_plus_kernelId15HIP_vector_typeIdLj2EEdLi32ELi8ELi128ELi128ELi4ELi4ELi64ELi4ELi64ELc84ELc78ELb0ELb1ELb1EdKddEEviiiT16_PT17_ilS6_ilS4_S6_ilPT18_ili26rocblas_geam_ex_operation_
                                        ; -- End function
	.set _ZN12_GLOBAL__N_120geam_min_plus_kernelId15HIP_vector_typeIdLj2EEdLi32ELi8ELi128ELi128ELi4ELi4ELi64ELi4ELi64ELc84ELc78ELb0ELb1ELb1EdKddEEviiiT16_PT17_ilS6_ilS4_S6_ilPT18_ili26rocblas_geam_ex_operation_.num_vgpr, 256
	.set _ZN12_GLOBAL__N_120geam_min_plus_kernelId15HIP_vector_typeIdLj2EEdLi32ELi8ELi128ELi128ELi4ELi4ELi64ELi4ELi64ELc84ELc78ELb0ELb1ELb1EdKddEEviiiT16_PT17_ilS6_ilS4_S6_ilPT18_ili26rocblas_geam_ex_operation_.num_agpr, 0
	.set _ZN12_GLOBAL__N_120geam_min_plus_kernelId15HIP_vector_typeIdLj2EEdLi32ELi8ELi128ELi128ELi4ELi4ELi64ELi4ELi64ELc84ELc78ELb0ELb1ELb1EdKddEEviiiT16_PT17_ilS6_ilS4_S6_ilPT18_ili26rocblas_geam_ex_operation_.numbered_sgpr, 40
	.set _ZN12_GLOBAL__N_120geam_min_plus_kernelId15HIP_vector_typeIdLj2EEdLi32ELi8ELi128ELi128ELi4ELi4ELi64ELi4ELi64ELc84ELc78ELb0ELb1ELb1EdKddEEviiiT16_PT17_ilS6_ilS4_S6_ilPT18_ili26rocblas_geam_ex_operation_.num_named_barrier, 0
	.set _ZN12_GLOBAL__N_120geam_min_plus_kernelId15HIP_vector_typeIdLj2EEdLi32ELi8ELi128ELi128ELi4ELi4ELi64ELi4ELi64ELc84ELc78ELb0ELb1ELb1EdKddEEviiiT16_PT17_ilS6_ilS4_S6_ilPT18_ili26rocblas_geam_ex_operation_.private_seg_size, 120
	.set _ZN12_GLOBAL__N_120geam_min_plus_kernelId15HIP_vector_typeIdLj2EEdLi32ELi8ELi128ELi128ELi4ELi4ELi64ELi4ELi64ELc84ELc78ELb0ELb1ELb1EdKddEEviiiT16_PT17_ilS6_ilS4_S6_ilPT18_ili26rocblas_geam_ex_operation_.uses_vcc, 1
	.set _ZN12_GLOBAL__N_120geam_min_plus_kernelId15HIP_vector_typeIdLj2EEdLi32ELi8ELi128ELi128ELi4ELi4ELi64ELi4ELi64ELc84ELc78ELb0ELb1ELb1EdKddEEviiiT16_PT17_ilS6_ilS4_S6_ilPT18_ili26rocblas_geam_ex_operation_.uses_flat_scratch, 0
	.set _ZN12_GLOBAL__N_120geam_min_plus_kernelId15HIP_vector_typeIdLj2EEdLi32ELi8ELi128ELi128ELi4ELi4ELi64ELi4ELi64ELc84ELc78ELb0ELb1ELb1EdKddEEviiiT16_PT17_ilS6_ilS4_S6_ilPT18_ili26rocblas_geam_ex_operation_.has_dyn_sized_stack, 0
	.set _ZN12_GLOBAL__N_120geam_min_plus_kernelId15HIP_vector_typeIdLj2EEdLi32ELi8ELi128ELi128ELi4ELi4ELi64ELi4ELi64ELc84ELc78ELb0ELb1ELb1EdKddEEviiiT16_PT17_ilS6_ilS4_S6_ilPT18_ili26rocblas_geam_ex_operation_.has_recursion, 0
	.set _ZN12_GLOBAL__N_120geam_min_plus_kernelId15HIP_vector_typeIdLj2EEdLi32ELi8ELi128ELi128ELi4ELi4ELi64ELi4ELi64ELc84ELc78ELb0ELb1ELb1EdKddEEviiiT16_PT17_ilS6_ilS4_S6_ilPT18_ili26rocblas_geam_ex_operation_.has_indirect_call, 0
	.section	.AMDGPU.csdata,"",@progbits
; Kernel info:
; codeLenInByte = 31796
; TotalNumSgprs: 42
; NumVgprs: 256
; ScratchSize: 120
; MemoryBound: 0
; FloatMode: 240
; IeeeMode: 1
; LDSByteSize: 16384 bytes/workgroup (compile time only)
; SGPRBlocks: 0
; VGPRBlocks: 31
; NumSGPRsForWavesPerEU: 42
; NumVGPRsForWavesPerEU: 256
; Occupancy: 4
; WaveLimiterHint : 0
; COMPUTE_PGM_RSRC2:SCRATCH_EN: 1
; COMPUTE_PGM_RSRC2:USER_SGPR: 6
; COMPUTE_PGM_RSRC2:TRAP_HANDLER: 0
; COMPUTE_PGM_RSRC2:TGID_X_EN: 1
; COMPUTE_PGM_RSRC2:TGID_Y_EN: 0
; COMPUTE_PGM_RSRC2:TGID_Z_EN: 1
; COMPUTE_PGM_RSRC2:TIDIG_COMP_CNT: 1
	.section	.text._ZN12_GLOBAL__N_120geam_min_plus_kernelId15HIP_vector_typeIdLj2EEdLi8ELi32ELi64ELi256ELi4ELi64ELi4ELi64ELi4ELc78ELc84ELb0ELb0ELb1EPKdS3_dEEviiiT16_PT17_ilS7_ilS5_S7_ilPT18_ili26rocblas_geam_ex_operation_,"axG",@progbits,_ZN12_GLOBAL__N_120geam_min_plus_kernelId15HIP_vector_typeIdLj2EEdLi8ELi32ELi64ELi256ELi4ELi64ELi4ELi64ELi4ELc78ELc84ELb0ELb0ELb1EPKdS3_dEEviiiT16_PT17_ilS7_ilS5_S7_ilPT18_ili26rocblas_geam_ex_operation_,comdat
	.globl	_ZN12_GLOBAL__N_120geam_min_plus_kernelId15HIP_vector_typeIdLj2EEdLi8ELi32ELi64ELi256ELi4ELi64ELi4ELi64ELi4ELc78ELc84ELb0ELb0ELb1EPKdS3_dEEviiiT16_PT17_ilS7_ilS5_S7_ilPT18_ili26rocblas_geam_ex_operation_ ; -- Begin function _ZN12_GLOBAL__N_120geam_min_plus_kernelId15HIP_vector_typeIdLj2EEdLi8ELi32ELi64ELi256ELi4ELi64ELi4ELi64ELi4ELc78ELc84ELb0ELb0ELb1EPKdS3_dEEviiiT16_PT17_ilS7_ilS5_S7_ilPT18_ili26rocblas_geam_ex_operation_
	.p2align	8
	.type	_ZN12_GLOBAL__N_120geam_min_plus_kernelId15HIP_vector_typeIdLj2EEdLi8ELi32ELi64ELi256ELi4ELi64ELi4ELi64ELi4ELc78ELc84ELb0ELb0ELb1EPKdS3_dEEviiiT16_PT17_ilS7_ilS5_S7_ilPT18_ili26rocblas_geam_ex_operation_,@function
_ZN12_GLOBAL__N_120geam_min_plus_kernelId15HIP_vector_typeIdLj2EEdLi8ELi32ELi64ELi256ELi4ELi64ELi4ELi64ELi4ELc78ELc84ELb0ELb0ELb1EPKdS3_dEEviiiT16_PT17_ilS7_ilS5_S7_ilPT18_ili26rocblas_geam_ex_operation_: ; @_ZN12_GLOBAL__N_120geam_min_plus_kernelId15HIP_vector_typeIdLj2EEdLi8ELi32ELi64ELi256ELi4ELi64ELi4ELi64ELi4ELc78ELc84ELb0ELb0ELb1EPKdS3_dEEviiiT16_PT17_ilS7_ilS5_S7_ilPT18_ili26rocblas_geam_ex_operation_
; %bb.0:
	s_clause 0x1
	s_load_dwordx4 s[12:15], s[4:5], 0x10
	s_load_dwordx4 s[0:3], s[4:5], 0x28
	s_mov_b32 s16, s7
	s_mov_b32 s17, 0
	s_load_dwordx2 s[24:25], s[4:5], 0x50
	s_lshl_b64 s[20:21], s[16:17], 3
	s_mov_b64 s[22:23], 0
	s_waitcnt lgkmcnt(0)
	s_add_u32 s8, s12, s20
	s_addc_u32 s9, s13, s21
	s_load_dwordx2 s[18:19], s[8:9], 0x0
	s_load_dwordx4 s[8:11], s[4:5], 0x40
	s_waitcnt lgkmcnt(0)
	v_cmp_eq_f64_e64 s12, s[18:19], 0
	v_cmp_neq_f64_e64 s7, s[18:19], 0
	s_add_u32 s10, s10, s20
	s_addc_u32 s11, s11, s21
	s_mov_b64 s[20:21], 0
	s_and_b32 vcc_lo, exec_lo, s12
	s_cbranch_vccnz .LBB168_2
; %bb.1:
	s_mul_i32 s1, s1, s16
	s_mul_hi_u32 s12, s0, s16
	s_mul_i32 s0, s0, s16
	s_add_i32 s1, s12, s1
	s_lshl_b64 s[0:1], s[0:1], 3
	s_add_u32 s22, s14, s0
	s_addc_u32 s23, s15, s1
.LBB168_2:
	s_load_dwordx2 s[12:13], s[10:11], 0x0
	v_cndmask_b32_e64 v2, 0, 1, s7
	s_andn2_b32 vcc_lo, exec_lo, s7
	v_cmp_ne_u32_e64 s1, 1, v2
	s_cbranch_vccnz .LBB168_4
; %bb.3:
	s_mul_i32 s0, s9, s16
	s_mul_hi_u32 s7, s8, s16
	s_mul_i32 s8, s8, s16
	s_add_i32 s9, s7, s0
	s_lshl_b64 s[8:9], s[8:9], 3
	s_add_u32 s20, s2, s8
	s_addc_u32 s21, s3, s9
.LBB168_4:
	s_waitcnt lgkmcnt(0)
	v_cmp_eq_f64_e64 s0, s[12:13], 0
	s_load_dwordx4 s[8:11], s[4:5], 0x60
	s_mov_b64 s[2:3], 0
	s_and_b32 s0, exec_lo, s0
	s_mov_b32 vcc_lo, s0
	s_cbranch_vccnz .LBB168_6
; %bb.5:
	s_waitcnt lgkmcnt(0)
	s_mul_i32 s2, s9, s16
	s_mul_hi_u32 s3, s8, s16
	s_add_i32 s3, s3, s2
	s_mul_i32 s2, s8, s16
	s_lshl_b64 s[2:3], s[2:3], 3
	s_add_u32 s2, s24, s2
	s_addc_u32 s3, s25, s3
.LBB168_6:
	s_load_dword s7, s[4:5], 0x0
	s_waitcnt lgkmcnt(0)
	s_load_dword s8, s[4:5], 0x20
	v_mov_b32_e32 v4, 0
	v_mov_b32_e32 v5, 0
	s_add_i32 s7, s7, -1
	s_ashr_i32 s9, s7, 31
	s_lshr_b32 s9, s9, 26
	s_add_i32 s7, s7, s9
	s_ashr_i32 s7, s7, 6
	s_add_i32 s14, s7, 1
	s_not_b32 s7, s7
	v_cvt_f32_u32_e32 v2, s14
	v_rcp_iflag_f32_e32 v2, v2
	v_mul_f32_e32 v2, 0x4f7ffffe, v2
	v_cvt_u32_f32_e32 v2, v2
	v_readfirstlane_b32 s9, v2
	v_lshl_add_u32 v2, v1, 3, v0
	s_mul_i32 s7, s7, s9
	v_and_b32_e32 v77, 63, v2
	s_mul_hi_u32 s7, s9, s7
	v_lshrrev_b32_e32 v76, 6, v2
	s_add_i32 s9, s9, s7
	v_mov_b32_e32 v2, 0
	s_mul_hi_u32 s7, s6, s9
	s_waitcnt lgkmcnt(0)
	s_ashr_i32 s9, s8, 31
	s_mul_i32 s15, s7, s14
	s_add_i32 s17, s7, 1
	s_sub_i32 s15, s6, s15
	v_mov_b32_e32 v3, 0
	s_sub_i32 s24, s15, s14
	s_cmp_ge_u32 s15, s14
	s_cselect_b32 s7, s17, s7
	s_cselect_b32 s15, s24, s15
	s_add_i32 s17, s7, 1
	s_cmp_ge_u32 s15, s14
	s_cselect_b32 s15, s17, s7
	s_and_b32 vcc_lo, exec_lo, s1
	s_mul_i32 s7, s15, s14
	s_sub_i32 s14, s6, s7
	s_lshl_b32 s17, s14, 6
	v_or_b32_e32 v10, s17, v77
	v_ashrrev_i32_e32 v11, 31, v10
	s_cbranch_vccnz .LBB168_8
; %bb.7:
	v_mad_i64_i32 v[4:5], null, s8, v76, 0
	v_lshlrev_b64 v[6:7], 3, v[10:11]
	v_lshlrev_b64 v[4:5], 3, v[4:5]
	v_add_co_u32 v4, vcc_lo, s22, v4
	v_add_co_ci_u32_e64 v5, null, s23, v5, vcc_lo
	v_add_co_u32 v4, vcc_lo, v4, v6
	v_add_co_ci_u32_e64 v5, null, v5, v7, vcc_lo
	global_load_dwordx2 v[4:5], v[4:5], off
	s_waitcnt vmcnt(0)
	v_mul_f64 v[4:5], s[18:19], v[4:5]
.LBB168_8:
	s_load_dword s14, s[4:5], 0x38
	s_lshl_b32 s24, s15, 8
	v_or_b32_e32 v8, s24, v77
	v_ashrrev_i32_e32 v9, 31, v8
	s_waitcnt lgkmcnt(0)
	v_mad_i64_i32 v[6:7], null, v76, s14, 0
	s_ashr_i32 s15, s14, 31
	v_lshlrev_b64 v[12:13], 3, v[6:7]
	v_mov_b32_e32 v6, 0
	v_mov_b32_e32 v7, 0
	v_add_co_u32 v16, vcc_lo, s20, v12
	v_add_co_ci_u32_e64 v17, null, s21, v13, vcc_lo
	s_and_b32 vcc_lo, exec_lo, s1
	s_cbranch_vccnz .LBB168_10
; %bb.9:
	v_lshlrev_b64 v[2:3], 3, v[8:9]
	v_add_co_u32 v2, vcc_lo, v16, v2
	v_add_co_ci_u32_e64 v3, null, v17, v3, vcc_lo
	s_clause 0x1
	global_load_dwordx2 v[6:7], v[2:3], off
	global_load_dwordx2 v[12:13], v[2:3], off offset:512
	s_waitcnt vmcnt(1)
	v_mul_f64 v[2:3], s[18:19], v[6:7]
	s_waitcnt vmcnt(0)
	v_mul_f64 v[6:7], s[18:19], v[12:13]
.LBB168_10:
	v_mov_b32_e32 v70, 0
	v_mov_b32_e32 v12, 0
	;; [unrolled: 1-line block ×6, first 2 shown]
	s_and_b32 vcc_lo, exec_lo, s1
	s_cbranch_vccnz .LBB168_12
; %bb.11:
	v_lshlrev_b64 v[12:13], 3, v[8:9]
	v_add_co_u32 v12, vcc_lo, v16, v12
	v_add_co_ci_u32_e64 v13, null, v17, v13, vcc_lo
	s_clause 0x1
	global_load_dwordx2 v[14:15], v[12:13], off offset:1024
	global_load_dwordx2 v[16:17], v[12:13], off offset:1536
	s_waitcnt vmcnt(1)
	v_mul_f64 v[12:13], s[18:19], v[14:15]
	s_waitcnt vmcnt(0)
	v_mul_f64 v[14:15], s[18:19], v[16:17]
.LBB168_12:
	v_add_nc_u32_e32 v16, 4, v76
	s_and_b32 vcc_lo, exec_lo, s1
	s_cbranch_vccnz .LBB168_14
; %bb.13:
	v_mad_i64_i32 v[17:18], null, s8, v16, 0
	v_lshlrev_b64 v[10:11], 3, v[10:11]
	v_lshlrev_b64 v[17:18], 3, v[17:18]
	v_add_co_u32 v17, vcc_lo, s22, v17
	v_add_co_ci_u32_e64 v18, null, s23, v18, vcc_lo
	v_add_co_u32 v10, vcc_lo, v17, v10
	v_add_co_ci_u32_e64 v11, null, v18, v11, vcc_lo
	global_load_dwordx2 v[10:11], v[10:11], off
	s_waitcnt vmcnt(0)
	v_mul_f64 v[70:71], s[18:19], v[10:11]
.LBB168_14:
	v_mad_i64_i32 v[10:11], null, v16, s14, 0
	v_mov_b32_e32 v66, 0
	v_mov_b32_e32 v72, 0
	;; [unrolled: 1-line block ×6, first 2 shown]
	v_lshlrev_b64 v[10:11], 3, v[10:11]
	v_add_co_u32 v10, vcc_lo, s20, v10
	v_add_co_ci_u32_e64 v11, null, s21, v11, vcc_lo
	s_and_b32 vcc_lo, exec_lo, s1
	s_cbranch_vccnz .LBB168_16
; %bb.15:
	v_lshlrev_b64 v[16:17], 3, v[8:9]
	v_add_co_u32 v16, vcc_lo, v10, v16
	v_add_co_ci_u32_e64 v17, null, v11, v17, vcc_lo
	s_clause 0x1
	global_load_dwordx2 v[18:19], v[16:17], off
	global_load_dwordx2 v[16:17], v[16:17], off offset:512
	s_waitcnt vmcnt(1)
	v_mul_f64 v[72:73], s[18:19], v[18:19]
	s_waitcnt vmcnt(0)
	v_mul_f64 v[74:75], s[18:19], v[16:17]
.LBB168_16:
	v_mov_b32_e32 v68, 0
	v_mov_b32_e32 v69, 0
	s_and_b32 vcc_lo, exec_lo, s1
	s_cbranch_vccnz .LBB168_18
; %bb.17:
	v_lshlrev_b64 v[8:9], 3, v[8:9]
	v_add_co_u32 v8, vcc_lo, v10, v8
	v_add_co_ci_u32_e64 v9, null, v11, v9, vcc_lo
	s_clause 0x1
	global_load_dwordx2 v[10:11], v[8:9], off offset:1024
	global_load_dwordx2 v[8:9], v[8:9], off offset:1536
	s_waitcnt vmcnt(1)
	v_mul_f64 v[66:67], s[18:19], v[10:11]
	s_waitcnt vmcnt(0)
	v_mul_f64 v[68:69], s[18:19], v[8:9]
.LBB168_18:
	v_lshlrev_b32_e32 v8, 5, v77
	v_lshlrev_b32_e32 v149, 5, v0
	;; [unrolled: 1-line block ×3, first 2 shown]
	s_load_dword s25, s[4:5], 0x8
	v_lshl_add_u32 v150, v76, 3, v8
	ds_write_b64 v150, v[4:5] offset:16384
	ds_write2st64_b64 v150, v[2:3], v[6:7] offset1:4
	ds_write2st64_b64 v150, v[12:13], v[14:15] offset0:8 offset1:12
	s_waitcnt lgkmcnt(0)
	s_barrier
	buffer_gl0_inv
	ds_read_b128 v[10:13], v149 offset:16640
	ds_read_b128 v[14:17], v149 offset:16896
	;; [unrolled: 1-line block ×16, first 2 shown]
	ds_read_b128 v[82:85], v148
	ds_read_b128 v[6:9], v148 offset:16
	s_cmp_lt_i32 s25, 9
	s_waitcnt lgkmcnt(1)
	v_add_f64 v[86:87], v[80:81], v[84:85]
	v_add_f64 v[88:89], v[78:79], v[82:83]
	s_waitcnt lgkmcnt(0)
	v_add_f64 v[142:143], v[4:5], v[8:9]
	v_add_f64 v[144:145], v[2:3], v[6:7]
	v_cvt_f32_f64_e32 v86, v[86:87]
	v_cvt_f32_f64_e32 v88, v[88:89]
	;; [unrolled: 1-line block ×4, first 2 shown]
	v_min3_f32 v141, v88, v86, 0x7f800000
	v_add_f64 v[86:87], v[12:13], v[84:85]
	v_add_f64 v[88:89], v[10:11], v[82:83]
	v_min3_f32 v226, v144, v142, v141
	v_cvt_f32_f64_e32 v86, v[86:87]
	v_cvt_f32_f64_e32 v88, v[88:89]
	v_min3_f32 v140, v88, v86, 0x7f800000
	v_add_f64 v[86:87], v[16:17], v[84:85]
	v_add_f64 v[88:89], v[14:15], v[82:83]
	v_cvt_f32_f64_e32 v86, v[86:87]
	v_cvt_f32_f64_e32 v88, v[88:89]
	v_min3_f32 v139, v88, v86, 0x7f800000
	v_add_f64 v[86:87], v[20:21], v[84:85]
	v_add_f64 v[88:89], v[18:19], v[82:83]
	;; [unrolled: 5-line block ×5, first 2 shown]
	v_add_f64 v[84:85], v[36:37], v[84:85]
	v_add_f64 v[82:83], v[34:35], v[82:83]
	v_cvt_f32_f64_e32 v86, v[86:87]
	v_cvt_f32_f64_e32 v88, v[88:89]
	;; [unrolled: 1-line block ×4, first 2 shown]
	v_add_f64 v[84:85], v[78:79], v[38:39]
	v_min3_f32 v135, v88, v86, 0x7f800000
	v_min3_f32 v134, v82, v83, 0x7f800000
	v_add_f64 v[82:83], v[80:81], v[40:41]
	v_cvt_f32_f64_e32 v84, v[84:85]
	v_cvt_f32_f64_e32 v82, v[82:83]
	v_min3_f32 v133, v84, v82, 0x7f800000
	v_add_f64 v[82:83], v[12:13], v[40:41]
	v_add_f64 v[84:85], v[10:11], v[38:39]
	v_cvt_f32_f64_e32 v82, v[82:83]
	v_cvt_f32_f64_e32 v84, v[84:85]
	v_min3_f32 v132, v84, v82, 0x7f800000
	v_add_f64 v[82:83], v[16:17], v[40:41]
	;; [unrolled: 5-line block ×6, first 2 shown]
	v_add_f64 v[84:85], v[30:31], v[38:39]
	v_add_f64 v[40:41], v[36:37], v[40:41]
	;; [unrolled: 1-line block ×3, first 2 shown]
	v_cvt_f32_f64_e32 v82, v[82:83]
	v_cvt_f32_f64_e32 v84, v[84:85]
	;; [unrolled: 1-line block ×4, first 2 shown]
	v_add_f64 v[40:41], v[78:79], v[42:43]
	v_min3_f32 v127, v84, v82, 0x7f800000
	v_min3_f32 v126, v38, v39, 0x7f800000
	v_add_f64 v[38:39], v[80:81], v[44:45]
	v_cvt_f32_f64_e32 v40, v[40:41]
	v_cvt_f32_f64_e32 v38, v[38:39]
	v_min3_f32 v125, v40, v38, 0x7f800000
	v_add_f64 v[38:39], v[12:13], v[44:45]
	v_add_f64 v[40:41], v[10:11], v[42:43]
	v_cvt_f32_f64_e32 v38, v[38:39]
	v_cvt_f32_f64_e32 v40, v[40:41]
	v_min3_f32 v124, v40, v38, 0x7f800000
	v_add_f64 v[38:39], v[16:17], v[44:45]
	;; [unrolled: 5-line block ×33, first 2 shown]
	v_add_f64 v[40:41], v[10:11], v[58:59]
	v_add_f64 v[12:13], v[12:13], v[64:65]
	;; [unrolled: 1-line block ×3, first 2 shown]
	v_cvt_f32_f64_e32 v38, v[38:39]
	v_cvt_f32_f64_e32 v40, v[40:41]
	;; [unrolled: 1-line block ×4, first 2 shown]
	v_add_f64 v[12:13], v[14:15], v[62:63]
	v_min3_f32 v92, v40, v38, 0x7f800000
	v_add_f64 v[38:39], v[16:17], v[60:61]
	v_add_f64 v[40:41], v[14:15], v[58:59]
	v_min3_f32 v84, v10, v11, 0x7f800000
	v_add_f64 v[10:11], v[16:17], v[64:65]
	v_cvt_f32_f64_e32 v12, v[12:13]
	v_cvt_f32_f64_e32 v38, v[38:39]
	;; [unrolled: 1-line block ×4, first 2 shown]
	v_min3_f32 v91, v40, v38, 0x7f800000
	v_add_f64 v[38:39], v[20:21], v[60:61]
	v_add_f64 v[40:41], v[18:19], v[58:59]
	v_min3_f32 v83, v12, v10, 0x7f800000
	v_add_f64 v[10:11], v[20:21], v[64:65]
	v_add_f64 v[12:13], v[18:19], v[62:63]
	v_cvt_f32_f64_e32 v38, v[38:39]
	v_cvt_f32_f64_e32 v40, v[40:41]
	v_cvt_f32_f64_e32 v10, v[10:11]
	v_cvt_f32_f64_e32 v12, v[12:13]
	v_min3_f32 v90, v40, v38, 0x7f800000
	v_add_f64 v[38:39], v[24:25], v[60:61]
	v_add_f64 v[40:41], v[22:23], v[58:59]
	v_min3_f32 v82, v12, v10, 0x7f800000
	v_add_f64 v[10:11], v[24:25], v[64:65]
	v_add_f64 v[12:13], v[22:23], v[62:63]
	v_cvt_f32_f64_e32 v38, v[38:39]
	v_cvt_f32_f64_e32 v40, v[40:41]
	;; [unrolled: 1-line block ×4, first 2 shown]
	v_min3_f32 v89, v40, v38, 0x7f800000
	v_add_f64 v[38:39], v[28:29], v[60:61]
	v_add_f64 v[40:41], v[26:27], v[58:59]
	v_cvt_f32_f64_e32 v38, v[38:39]
	v_cvt_f32_f64_e32 v40, v[40:41]
	v_min3_f32 v88, v40, v38, 0x7f800000
	v_add_f64 v[38:39], v[32:33], v[60:61]
	v_add_f64 v[40:41], v[30:31], v[58:59]
	v_cvt_f32_f64_e32 v38, v[38:39]
	v_cvt_f32_f64_e32 v40, v[40:41]
	;; [unrolled: 5-line block ×3, first 2 shown]
	v_min3_f32 v86, v40, v38, 0x7f800000
	v_add_f64 v[38:39], v[80:81], v[64:65]
	v_min3_f32 v81, v12, v10, 0x7f800000
	v_add_f64 v[10:11], v[28:29], v[64:65]
	v_add_f64 v[12:13], v[26:27], v[62:63]
	;; [unrolled: 1-line block ×3, first 2 shown]
	v_cvt_f32_f64_e32 v38, v[38:39]
	v_cvt_f32_f64_e32 v10, v[10:11]
	;; [unrolled: 1-line block ×4, first 2 shown]
	v_min3_f32 v80, v12, v10, 0x7f800000
	v_add_f64 v[10:11], v[32:33], v[64:65]
	v_add_f64 v[12:13], v[30:31], v[62:63]
	v_min3_f32 v85, v40, v38, 0x7f800000
	v_cvt_f32_f64_e32 v10, v[10:11]
	v_cvt_f32_f64_e32 v12, v[12:13]
	v_min3_f32 v79, v12, v10, 0x7f800000
	v_add_f64 v[10:11], v[36:37], v[64:65]
	v_add_f64 v[12:13], v[34:35], v[62:63]
	v_cvt_f32_f64_e32 v10, v[10:11]
	v_cvt_f32_f64_e32 v12, v[12:13]
	v_min3_f32 v78, v12, v10, 0x7f800000
	ds_read_b128 v[34:37], v149 offset:16656
	ds_read_b128 v[30:33], v149 offset:16912
	;; [unrolled: 1-line block ×14, first 2 shown]
	ds_write_b64 v150, v[70:71] offset:18432
	ds_write2st64_b64 v150, v[72:73], v[74:75] offset0:16 offset1:20
	ds_write2st64_b64 v150, v[66:67], v[68:69] offset0:24 offset1:28
	s_waitcnt lgkmcnt(0)
	s_barrier
	buffer_gl0_inv
	v_add_f64 v[141:142], v[36:37], v[8:9]
	v_add_f64 v[143:144], v[34:35], v[6:7]
	v_cvt_f32_f64_e32 v141, v[141:142]
	v_cvt_f32_f64_e32 v143, v[143:144]
	v_min3_f32 v225, v143, v141, v140
	v_add_f64 v[140:141], v[32:33], v[8:9]
	v_add_f64 v[142:143], v[30:31], v[6:7]
	v_cvt_f32_f64_e32 v140, v[140:141]
	v_cvt_f32_f64_e32 v142, v[142:143]
	v_min3_f32 v224, v142, v140, v139
	;; [unrolled: 5-line block ×5, first 2 shown]
	v_add_f64 v[136:137], v[16:17], v[8:9]
	v_add_f64 v[138:139], v[14:15], v[6:7]
	;; [unrolled: 1-line block ×4, first 2 shown]
	v_cvt_f32_f64_e32 v136, v[136:137]
	v_cvt_f32_f64_e32 v138, v[138:139]
	;; [unrolled: 1-line block ×4, first 2 shown]
	v_add_f64 v[8:9], v[2:3], v[62:63]
	v_min3_f32 v221, v138, v136, v135
	v_min3_f32 v218, v6, v7, v134
	v_add_f64 v[6:7], v[4:5], v[64:65]
	v_cvt_f32_f64_e32 v8, v[8:9]
	v_cvt_f32_f64_e32 v6, v[6:7]
	v_min3_f32 v219, v8, v6, v133
	v_add_f64 v[6:7], v[36:37], v[64:65]
	v_add_f64 v[8:9], v[34:35], v[62:63]
	v_cvt_f32_f64_e32 v6, v[6:7]
	v_cvt_f32_f64_e32 v8, v[8:9]
	v_min3_f32 v216, v8, v6, v132
	v_add_f64 v[6:7], v[32:33], v[64:65]
	;; [unrolled: 5-line block ×40, first 2 shown]
	v_add_f64 v[8:9], v[2:3], v[42:43]
	v_add_f64 v[4:5], v[4:5], v[40:41]
	;; [unrolled: 1-line block ×3, first 2 shown]
	v_cvt_f32_f64_e32 v6, v[6:7]
	v_cvt_f32_f64_e32 v8, v[8:9]
	;; [unrolled: 1-line block ×4, first 2 shown]
	v_add_f64 v[4:5], v[34:35], v[38:39]
	v_min3_f32 v172, v8, v6, v93
	v_add_f64 v[6:7], v[36:37], v[44:45]
	v_add_f64 v[8:9], v[34:35], v[42:43]
	v_min3_f32 v158, v2, v3, v85
	v_add_f64 v[2:3], v[36:37], v[40:41]
	v_cvt_f32_f64_e32 v4, v[4:5]
	v_cvt_f32_f64_e32 v6, v[6:7]
	v_cvt_f32_f64_e32 v8, v[8:9]
	v_cvt_f32_f64_e32 v2, v[2:3]
	v_min3_f32 v164, v8, v6, v92
	v_add_f64 v[6:7], v[32:33], v[44:45]
	v_add_f64 v[8:9], v[30:31], v[42:43]
	v_min3_f32 v157, v4, v2, v84
	v_add_f64 v[2:3], v[32:33], v[40:41]
	v_add_f64 v[4:5], v[30:31], v[38:39]
	v_cvt_f32_f64_e32 v6, v[6:7]
	v_cvt_f32_f64_e32 v8, v[8:9]
	v_cvt_f32_f64_e32 v2, v[2:3]
	v_cvt_f32_f64_e32 v4, v[4:5]
	v_min3_f32 v165, v8, v6, v91
	v_add_f64 v[6:7], v[28:29], v[44:45]
	v_add_f64 v[8:9], v[26:27], v[42:43]
	v_min3_f32 v156, v4, v2, v83
	v_add_f64 v[2:3], v[28:29], v[40:41]
	;; [unrolled: 10-line block ×6, first 2 shown]
	v_add_f64 v[4:5], v[10:11], v[38:39]
	v_cvt_f32_f64_e32 v6, v[6:7]
	v_cvt_f32_f64_e32 v8, v[8:9]
	;; [unrolled: 1-line block ×4, first 2 shown]
	v_min3_f32 v159, v8, v6, v86
	v_min3_f32 v151, v4, v2, v78
	s_cbranch_scc1 .LBB168_33
; %bb.19:
	v_lshl_or_b32 v4, s6, 6, v77
	v_add_nc_u32_e32 v5, 12, v76
	s_lshl_b32 s6, s7, 6
	v_add_nc_u32_e32 v10, 8, v76
	v_add_nc_u32_e32 v8, s24, v77
	v_subrev_nc_u32_e32 v4, s6, v4
	v_mad_i64_i32 v[2:3], null, v5, s8, 0
	v_mad_i64_i32 v[6:7], null, v5, s14, 0
	v_ashrrev_i32_e32 v5, 31, v4
	v_ashrrev_i32_e32 v9, 31, v8
	v_or_b32_e32 v166, 0x4000, v150
	v_or_b32_e32 v167, 0x4000, v149
	v_lshlrev_b64 v[130:131], 3, v[2:3]
	v_lshlrev_b64 v[2:3], 3, v[4:5]
	;; [unrolled: 1-line block ×3, first 2 shown]
	v_mad_i64_i32 v[6:7], null, v10, s14, 0
	v_mad_i64_i32 v[10:11], null, v10, s8, 0
	v_add_co_u32 v174, vcc_lo, s22, v2
	v_add_co_ci_u32_e64 v175, null, s23, v3, vcc_lo
	v_lshlrev_b64 v[2:3], 3, v[6:7]
	v_add_co_u32 v176, vcc_lo, s20, v4
	v_add_co_ci_u32_e64 v177, null, s21, v5, vcc_lo
	v_lshlrev_b64 v[132:133], 3, v[8:9]
	v_add_co_u32 v178, vcc_lo, s20, v2
	v_lshlrev_b64 v[134:135], 3, v[10:11]
	v_add_nc_u32_e32 v168, 0x4800, v150
	v_or_b32_e32 v169, 0x2000, v150
	v_lshl_add_u32 v171, v0, 5, 0x4800
	v_lshl_or_b32 v173, v1, 5, 0x2000
	v_add_co_ci_u32_e64 v179, null, s21, v3, vcc_lo
	s_add_i32 s25, s25, -8
	s_lshl_b64 s[6:7], s[8:9], 6
	s_lshl_b64 s[8:9], s[14:15], 6
	s_mov_b32 s14, 0
	s_branch .LBB168_21
.LBB168_20:                             ;   in Loop: Header=BB168_21 Depth=1
	v_add_f64 v[146:147], v[100:101], v[128:129]
	v_add_f64 v[227:228], v[98:99], v[126:127]
	;; [unrolled: 1-line block ×3, first 2 shown]
	v_add_co_u32 v174, vcc_lo, v174, s6
	v_add_co_ci_u32_e64 v175, null, s7, v175, vcc_lo
	v_add_co_u32 v176, vcc_lo, v176, s8
	v_add_co_ci_u32_e64 v177, null, s9, v177, vcc_lo
	;; [unrolled: 2-line block ×3, first 2 shown]
	s_add_i32 s14, s14, 8
	s_cmp_ge_i32 s14, s25
	v_cvt_f32_f64_e32 v146, v[146:147]
	v_cvt_f32_f64_e32 v227, v[227:228]
	v_min3_f32 v226, v227, v146, v226
	v_add_f64 v[146:147], v[96:97], v[128:129]
	v_add_f64 v[227:228], v[94:95], v[126:127]
	v_cvt_f32_f64_e32 v146, v[146:147]
	v_cvt_f32_f64_e32 v227, v[227:228]
	v_min3_f32 v225, v227, v146, v225
	v_add_f64 v[146:147], v[92:93], v[128:129]
	v_add_f64 v[227:228], v[90:91], v[126:127]
	;; [unrolled: 5-line block ×5, first 2 shown]
	v_add_f64 v[126:127], v[66:67], v[126:127]
	v_cvt_f32_f64_e32 v146, v[146:147]
	v_cvt_f32_f64_e32 v227, v[227:228]
	;; [unrolled: 1-line block ×4, first 2 shown]
	v_min3_f32 v146, v227, v146, v220
	v_add_f64 v[227:228], v[72:73], v[128:129]
	v_add_f64 v[128:129], v[68:69], v[128:129]
	v_cvt_f32_f64_e32 v220, v[227:228]
	v_cvt_f32_f64_e32 v127, v[128:129]
	v_min3_f32 v147, v147, v220, v221
	v_min3_f32 v126, v126, v127, v218
	v_add_f64 v[127:128], v[100:101], v[124:125]
	v_add_f64 v[220:221], v[98:99], v[122:123]
	v_cvt_f32_f64_e32 v127, v[127:128]
	v_cvt_f32_f64_e32 v129, v[220:221]
	v_min3_f32 v127, v129, v127, v219
	v_add_f64 v[128:129], v[96:97], v[124:125]
	v_add_f64 v[218:219], v[94:95], v[122:123]
	v_cvt_f32_f64_e32 v128, v[128:129]
	v_cvt_f32_f64_e32 v218, v[218:219]
	;; [unrolled: 5-line block ×6, first 2 shown]
	v_min3_f32 v212, v218, v128, v212
	v_add_f64 v[128:129], v[72:73], v[124:125]
	v_add_f64 v[218:219], v[70:71], v[122:123]
	;; [unrolled: 1-line block ×4, first 2 shown]
	v_cvt_f32_f64_e32 v128, v[128:129]
	v_cvt_f32_f64_e32 v218, v[218:219]
	;; [unrolled: 1-line block ×4, first 2 shown]
	v_add_f64 v[124:125], v[98:99], v[118:119]
	v_min3_f32 v213, v218, v128, v213
	v_add_f64 v[128:129], v[86:87], v[110:111]
	v_min3_f32 v218, v122, v123, v210
	v_add_f64 v[122:123], v[100:101], v[120:121]
	v_cvt_f32_f64_e32 v124, v[124:125]
	v_cvt_f32_f64_e32 v122, v[122:123]
	v_min3_f32 v210, v124, v122, v211
	v_add_f64 v[122:123], v[96:97], v[120:121]
	v_add_f64 v[124:125], v[94:95], v[118:119]
	v_cvt_f32_f64_e32 v122, v[122:123]
	v_cvt_f32_f64_e32 v124, v[124:125]
	v_min3_f32 v208, v124, v122, v208
	v_add_f64 v[122:123], v[92:93], v[120:121]
	;; [unrolled: 5-line block ×6, first 2 shown]
	v_add_f64 v[124:125], v[70:71], v[118:119]
	v_add_f64 v[120:121], v[68:69], v[120:121]
	;; [unrolled: 1-line block ×3, first 2 shown]
	v_cvt_f32_f64_e32 v122, v[122:123]
	v_cvt_f32_f64_e32 v124, v[124:125]
	;; [unrolled: 1-line block ×4, first 2 shown]
	v_add_f64 v[120:121], v[98:99], v[114:115]
	v_min3_f32 v205, v124, v122, v205
	v_min3_f32 v202, v118, v119, v202
	v_add_f64 v[118:119], v[100:101], v[116:117]
	v_cvt_f32_f64_e32 v120, v[120:121]
	v_cvt_f32_f64_e32 v118, v[118:119]
	v_min3_f32 v203, v120, v118, v203
	v_add_f64 v[118:119], v[96:97], v[116:117]
	v_add_f64 v[120:121], v[94:95], v[114:115]
	v_cvt_f32_f64_e32 v118, v[118:119]
	v_cvt_f32_f64_e32 v120, v[120:121]
	v_min3_f32 v200, v120, v118, v200
	v_add_f64 v[118:119], v[92:93], v[116:117]
	v_add_f64 v[120:121], v[90:91], v[114:115]
	v_cvt_f32_f64_e32 v118, v[118:119]
	v_cvt_f32_f64_e32 v120, v[120:121]
	v_min3_f32 v201, v120, v118, v201
	v_add_f64 v[118:119], v[88:89], v[116:117]
	v_add_f64 v[120:121], v[86:87], v[114:115]
	v_cvt_f32_f64_e32 v118, v[118:119]
	v_cvt_f32_f64_e32 v120, v[120:121]
	v_add_f64 v[121:122], v[82:83], v[114:115]
	v_min3_f32 v118, v120, v118, v199
	v_add_f64 v[119:120], v[84:85], v[116:117]
	v_cvt_f32_f64_e32 v121, v[121:122]
	v_add_f64 v[122:123], v[78:79], v[114:115]
	v_cvt_f32_f64_e32 v119, v[119:120]
	v_cvt_f32_f64_e32 v122, v[122:123]
	v_add_f64 v[123:124], v[70:71], v[114:115]
	v_add_f64 v[114:115], v[66:67], v[114:115]
	v_min3_f32 v119, v121, v119, v198
	v_add_f64 v[120:121], v[80:81], v[116:117]
	v_cvt_f32_f64_e32 v123, v[123:124]
	v_cvt_f32_f64_e32 v114, v[114:115]
	v_add_f64 v[124:125], v[94:95], v[110:111]
	v_cvt_f32_f64_e32 v120, v[120:121]
	v_min3_f32 v120, v122, v120, v196
	v_add_f64 v[121:122], v[72:73], v[116:117]
	v_add_f64 v[116:117], v[68:69], v[116:117]
	v_cvt_f32_f64_e32 v121, v[121:122]
	v_cvt_f32_f64_e32 v115, v[116:117]
	v_add_f64 v[116:117], v[100:101], v[112:113]
	v_min3_f32 v121, v123, v121, v197
	v_add_f64 v[122:123], v[98:99], v[110:111]
	v_min3_f32 v115, v114, v115, v194
	v_cvt_f32_f64_e32 v116, v[116:117]
	v_cvt_f32_f64_e32 v114, v[122:123]
	v_add_f64 v[122:123], v[96:97], v[112:113]
	v_min3_f32 v116, v114, v116, v195
	v_cvt_f32_f64_e32 v114, v[124:125]
	v_cvt_f32_f64_e32 v117, v[122:123]
	v_add_f64 v[122:123], v[92:93], v[112:113]
	v_add_f64 v[124:125], v[90:91], v[110:111]
	v_min3_f32 v117, v114, v117, v192
	v_cvt_f32_f64_e32 v122, v[122:123]
	v_cvt_f32_f64_e32 v114, v[124:125]
	v_add_f64 v[123:124], v[88:89], v[112:113]
	v_min3_f32 v122, v114, v122, v193
	v_cvt_f32_f64_e32 v114, v[128:129]
	v_cvt_f32_f64_e32 v123, v[123:124]
	v_add_f64 v[124:125], v[84:85], v[112:113]
	v_add_f64 v[128:129], v[82:83], v[110:111]
	v_min3_f32 v123, v114, v123, v190
	v_cvt_f32_f64_e32 v124, v[124:125]
	v_cvt_f32_f64_e32 v114, v[128:129]
	v_add_f64 v[128:129], v[80:81], v[112:113]
	v_min3_f32 v124, v114, v124, v191
	v_add_f64 v[190:191], v[78:79], v[110:111]
	v_cvt_f32_f64_e32 v125, v[128:129]
	v_add_f64 v[128:129], v[72:73], v[112:113]
	v_add_f64 v[112:113], v[68:69], v[112:113]
	v_cvt_f32_f64_e32 v114, v[190:191]
	v_add_f64 v[190:191], v[70:71], v[110:111]
	v_add_f64 v[110:111], v[66:67], v[110:111]
	v_cvt_f32_f64_e32 v128, v[128:129]
	v_min3_f32 v125, v114, v125, v188
	v_cvt_f32_f64_e32 v114, v[190:191]
	v_cvt_f32_f64_e32 v110, v[110:111]
	;; [unrolled: 1-line block ×3, first 2 shown]
	v_min3_f32 v114, v114, v128, v189
	v_add_f64 v[128:129], v[98:99], v[106:107]
	v_min3_f32 v112, v110, v111, v186
	v_add_f64 v[110:111], v[100:101], v[108:109]
	v_cvt_f32_f64_e32 v113, v[128:129]
	v_add_f64 v[128:129], v[94:95], v[106:107]
	v_cvt_f32_f64_e32 v110, v[110:111]
	v_cvt_f32_f64_e32 v128, v[128:129]
	v_min3_f32 v113, v113, v110, v187
	v_add_f64 v[110:111], v[96:97], v[108:109]
	v_add_f64 v[186:187], v[90:91], v[106:107]
	v_cvt_f32_f64_e32 v110, v[110:111]
	v_cvt_f32_f64_e32 v129, v[186:187]
	v_min3_f32 v128, v128, v110, v184
	v_add_f64 v[110:111], v[92:93], v[108:109]
	v_cvt_f32_f64_e32 v110, v[110:111]
	v_min3_f32 v129, v129, v110, v185
	v_add_f64 v[110:111], v[88:89], v[108:109]
	v_add_f64 v[184:185], v[86:87], v[106:107]
	v_cvt_f32_f64_e32 v110, v[110:111]
	v_cvt_f32_f64_e32 v184, v[184:185]
	v_min3_f32 v182, v184, v110, v182
	v_add_f64 v[110:111], v[84:85], v[108:109]
	v_add_f64 v[184:185], v[82:83], v[106:107]
	v_cvt_f32_f64_e32 v110, v[110:111]
	;; [unrolled: 5-line block ×3, first 2 shown]
	v_cvt_f32_f64_e32 v184, v[184:185]
	v_min3_f32 v180, v184, v110, v180
	v_add_f64 v[110:111], v[72:73], v[108:109]
	v_add_f64 v[184:185], v[70:71], v[106:107]
	;; [unrolled: 1-line block ×4, first 2 shown]
	v_cvt_f32_f64_e32 v110, v[110:111]
	v_cvt_f32_f64_e32 v184, v[184:185]
	;; [unrolled: 1-line block ×4, first 2 shown]
	v_add_f64 v[108:109], v[98:99], v[102:103]
	v_add_f64 v[98:99], v[98:99], v[74:75]
	v_min3_f32 v181, v184, v110, v181
	v_min3_f32 v170, v106, v107, v170
	v_add_f64 v[106:107], v[100:101], v[104:105]
	v_cvt_f32_f64_e32 v108, v[108:109]
	v_add_f64 v[100:101], v[100:101], v[76:77]
	v_cvt_f32_f64_e32 v98, v[98:99]
	v_cvt_f32_f64_e32 v106, v[106:107]
	;; [unrolled: 1-line block ×3, first 2 shown]
	v_min3_f32 v172, v108, v106, v172
	v_add_f64 v[106:107], v[96:97], v[104:105]
	v_add_f64 v[108:109], v[94:95], v[102:103]
	;; [unrolled: 1-line block ×4, first 2 shown]
	v_min3_f32 v98, v98, v99, v158
	v_add_f64 v[99:100], v[10:11], v[46:47]
	v_cvt_f32_f64_e32 v106, v[106:107]
	v_cvt_f32_f64_e32 v108, v[108:109]
	v_add_f64 v[109:110], v[90:91], v[102:103]
	v_add_f64 v[90:91], v[90:91], v[74:75]
	v_cvt_f32_f64_e32 v94, v[94:95]
	v_cvt_f32_f64_e32 v95, v[96:97]
	v_min3_f32 v106, v108, v106, v164
	v_add_f64 v[107:108], v[92:93], v[104:105]
	v_cvt_f32_f64_e32 v109, v[109:110]
	v_add_f64 v[110:111], v[86:87], v[102:103]
	v_add_f64 v[86:87], v[86:87], v[74:75]
	v_add_f64 v[92:93], v[92:93], v[76:77]
	v_cvt_f32_f64_e32 v90, v[90:91]
	v_min3_f32 v94, v94, v95, v157
	v_add_f64 v[95:96], v[6:7], v[50:51]
	v_cvt_f32_f64_e32 v107, v[107:108]
	v_cvt_f32_f64_e32 v110, v[110:111]
	;; [unrolled: 1-line block ×4, first 2 shown]
	v_min3_f32 v107, v109, v107, v165
	v_add_f64 v[108:109], v[88:89], v[104:105]
	v_add_f64 v[164:165], v[82:83], v[102:103]
	;; [unrolled: 1-line block ×4, first 2 shown]
	v_min3_f32 v90, v90, v91, v156
	v_add_f64 v[91:92], v[26:27], v[50:51]
	v_cvt_f32_f64_e32 v108, v[108:109]
	v_cvt_f32_f64_e32 v111, v[164:165]
	v_add_f64 v[164:165], v[70:71], v[102:103]
	v_add_f64 v[70:71], v[70:71], v[74:75]
	v_cvt_f32_f64_e32 v82, v[82:83]
	v_cvt_f32_f64_e32 v87, v[88:89]
	v_min3_f32 v108, v110, v108, v162
	v_add_f64 v[109:110], v[84:85], v[104:105]
	v_add_f64 v[84:85], v[84:85], v[76:77]
	v_cvt_f32_f64_e32 v70, v[70:71]
	v_min3_f32 v86, v86, v87, v154
	v_add_f64 v[87:88], v[14:15], v[54:55]
	v_cvt_f32_f64_e32 v109, v[109:110]
	v_cvt_f32_f64_e32 v83, v[84:85]
	v_min3_f32 v109, v111, v109, v163
	v_add_f64 v[110:111], v[80:81], v[104:105]
	v_add_f64 v[162:163], v[78:79], v[102:103]
	v_add_f64 v[102:103], v[66:67], v[102:103]
	v_add_f64 v[66:67], v[66:67], v[74:75]
	v_add_f64 v[78:79], v[78:79], v[74:75]
	v_add_f64 v[74:75], v[26:27], v[62:63]
	v_add_f64 v[80:81], v[80:81], v[76:77]
	v_min3_f32 v82, v82, v83, v155
	v_add_f64 v[83:84], v[10:11], v[58:59]
	v_cvt_f32_f64_e32 v110, v[110:111]
	v_cvt_f32_f64_e32 v162, v[162:163]
	;; [unrolled: 1-line block ×7, first 2 shown]
	v_min3_f32 v110, v162, v110, v160
	v_add_f64 v[162:163], v[72:73], v[104:105]
	v_add_f64 v[104:105], v[68:69], v[104:105]
	;; [unrolled: 1-line block ×5, first 2 shown]
	v_min3_f32 v78, v78, v79, v152
	v_add_f64 v[79:80], v[26:27], v[58:59]
	v_cvt_f32_f64_e32 v160, v[162:163]
	v_cvt_f32_f64_e32 v103, v[104:105]
	;; [unrolled: 1-line block ×4, first 2 shown]
	v_add_f64 v[68:69], v[34:35], v[62:63]
	v_min3_f32 v111, v111, v160, v161
	v_min3_f32 v102, v102, v103, v159
	v_min3_f32 v73, v66, v67, v151
	v_add_f64 v[66:67], v[36:37], v[64:65]
	v_cvt_f32_f64_e32 v68, v[68:69]
	v_min3_f32 v71, v70, v71, v153
	v_add_f64 v[69:70], v[30:31], v[62:63]
	v_cvt_f32_f64_e32 v66, v[66:67]
	v_cvt_f32_f64_e32 v69, v[69:70]
	v_cvt_f32_f64_e32 v70, v[74:75]
	v_add_f64 v[74:75], v[18:19], v[62:63]
	v_min3_f32 v66, v68, v66, v226
	v_add_f64 v[67:68], v[32:33], v[64:65]
	v_cvt_f32_f64_e32 v72, v[74:75]
	v_add_f64 v[74:75], v[16:17], v[64:65]
	v_cvt_f32_f64_e32 v67, v[67:68]
	v_min3_f32 v67, v69, v67, v225
	v_add_f64 v[68:69], v[28:29], v[64:65]
	v_cvt_f32_f64_e32 v68, v[68:69]
	v_min3_f32 v68, v70, v68, v224
	v_add_f64 v[69:70], v[20:21], v[64:65]
	v_cvt_f32_f64_e32 v69, v[69:70]
	v_cvt_f32_f64_e32 v70, v[76:77]
	v_add_f64 v[76:77], v[10:11], v[62:63]
	v_min3_f32 v69, v72, v69, v222
	v_cvt_f32_f64_e32 v72, v[74:75]
	v_add_f64 v[74:75], v[12:13], v[64:65]
	v_min3_f32 v70, v70, v72, v223
	v_cvt_f32_f64_e32 v72, v[76:77]
	v_cvt_f32_f64_e32 v74, v[74:75]
	v_add_f64 v[76:77], v[6:7], v[62:63]
	v_add_f64 v[62:63], v[2:3], v[62:63]
	v_min3_f32 v72, v72, v74, v146
	v_add_f64 v[74:75], v[8:9], v[64:65]
	v_add_f64 v[64:65], v[4:5], v[64:65]
	v_cvt_f32_f64_e32 v76, v[76:77]
	v_cvt_f32_f64_e32 v62, v[62:63]
	;; [unrolled: 1-line block ×4, first 2 shown]
	v_min3_f32 v74, v76, v74, v147
	v_min3_f32 v62, v62, v63, v126
	v_add_f64 v[63:64], v[36:37], v[60:61]
	v_add_f64 v[75:76], v[34:35], v[58:59]
	v_cvt_f32_f64_e32 v63, v[63:64]
	v_cvt_f32_f64_e32 v65, v[75:76]
	v_add_f64 v[75:76], v[30:31], v[58:59]
	v_min3_f32 v63, v65, v63, v127
	v_add_f64 v[64:65], v[32:33], v[60:61]
	v_cvt_f32_f64_e32 v75, v[75:76]
	v_cvt_f32_f64_e32 v64, v[64:65]
	;; [unrolled: 1-line block ×3, first 2 shown]
	v_add_f64 v[79:80], v[18:19], v[58:59]
	v_min3_f32 v64, v75, v64, v216
	v_add_f64 v[75:76], v[28:29], v[60:61]
	v_cvt_f32_f64_e32 v77, v[79:80]
	v_add_f64 v[79:80], v[14:15], v[58:59]
	v_cvt_f32_f64_e32 v75, v[75:76]
	v_cvt_f32_f64_e32 v79, v[79:80]
	v_min3_f32 v65, v65, v75, v217
	v_add_f64 v[75:76], v[20:21], v[60:61]
	v_cvt_f32_f64_e32 v75, v[75:76]
	v_min3_f32 v75, v77, v75, v214
	v_add_f64 v[76:77], v[16:17], v[60:61]
	v_cvt_f32_f64_e32 v76, v[76:77]
	v_cvt_f32_f64_e32 v77, v[83:84]
	v_add_f64 v[83:84], v[6:7], v[58:59]
	v_add_f64 v[58:59], v[2:3], v[58:59]
	v_min3_f32 v76, v79, v76, v215
	v_add_f64 v[79:80], v[12:13], v[60:61]
	v_cvt_f32_f64_e32 v81, v[83:84]
	v_cvt_f32_f64_e32 v58, v[58:59]
	v_add_f64 v[83:84], v[26:27], v[54:55]
	v_cvt_f32_f64_e32 v79, v[79:80]
	v_min3_f32 v77, v77, v79, v212
	v_add_f64 v[79:80], v[8:9], v[60:61]
	v_add_f64 v[60:61], v[4:5], v[60:61]
	v_cvt_f32_f64_e32 v79, v[79:80]
	v_cvt_f32_f64_e32 v59, v[60:61]
	v_min3_f32 v79, v81, v79, v213
	v_min3_f32 v58, v58, v59, v218
	v_add_f64 v[59:60], v[36:37], v[56:57]
	v_add_f64 v[80:81], v[34:35], v[54:55]
	v_cvt_f32_f64_e32 v59, v[59:60]
	v_cvt_f32_f64_e32 v61, v[80:81]
	v_add_f64 v[80:81], v[30:31], v[54:55]
	v_min3_f32 v59, v61, v59, v210
	v_add_f64 v[60:61], v[32:33], v[56:57]
	v_cvt_f32_f64_e32 v80, v[80:81]
	v_cvt_f32_f64_e32 v60, v[60:61]
	v_cvt_f32_f64_e32 v61, v[83:84]
	v_add_f64 v[83:84], v[18:19], v[54:55]
	v_min3_f32 v60, v80, v60, v208
	v_add_f64 v[80:81], v[28:29], v[56:57]
	v_cvt_f32_f64_e32 v83, v[83:84]
	v_cvt_f32_f64_e32 v80, v[80:81]
	v_min3_f32 v61, v61, v80, v209
	v_add_f64 v[80:81], v[20:21], v[56:57]
	v_cvt_f32_f64_e32 v80, v[80:81]
	v_cvt_f32_f64_e32 v81, v[87:88]
	v_add_f64 v[87:88], v[10:11], v[54:55]
	v_min3_f32 v80, v83, v80, v206
	v_add_f64 v[83:84], v[16:17], v[56:57]
	v_cvt_f32_f64_e32 v85, v[87:88]
	v_add_f64 v[87:88], v[6:7], v[54:55]
	v_add_f64 v[54:55], v[2:3], v[54:55]
	v_cvt_f32_f64_e32 v83, v[83:84]
	v_cvt_f32_f64_e32 v87, v[87:88]
	;; [unrolled: 1-line block ×3, first 2 shown]
	v_min3_f32 v81, v81, v83, v207
	v_add_f64 v[83:84], v[12:13], v[56:57]
	v_cvt_f32_f64_e32 v83, v[83:84]
	v_min3_f32 v83, v85, v83, v204
	v_add_f64 v[84:85], v[8:9], v[56:57]
	v_add_f64 v[56:57], v[4:5], v[56:57]
	v_cvt_f32_f64_e32 v84, v[84:85]
	v_cvt_f32_f64_e32 v55, v[56:57]
	v_min3_f32 v84, v87, v84, v205
	v_min3_f32 v54, v54, v55, v202
	v_add_f64 v[55:56], v[36:37], v[52:53]
	v_add_f64 v[87:88], v[34:35], v[50:51]
	v_cvt_f32_f64_e32 v55, v[55:56]
	v_cvt_f32_f64_e32 v57, v[87:88]
	v_add_f64 v[87:88], v[30:31], v[50:51]
	v_min3_f32 v55, v57, v55, v203
	v_add_f64 v[56:57], v[32:33], v[52:53]
	v_cvt_f32_f64_e32 v85, v[87:88]
	v_add_f64 v[87:88], v[28:29], v[52:53]
	v_cvt_f32_f64_e32 v56, v[56:57]
	v_cvt_f32_f64_e32 v57, v[91:92]
	v_add_f64 v[91:92], v[18:19], v[50:51]
	v_min3_f32 v56, v85, v56, v200
	v_cvt_f32_f64_e32 v85, v[87:88]
	v_add_f64 v[87:88], v[20:21], v[52:53]
	v_min3_f32 v57, v57, v85, v201
	v_cvt_f32_f64_e32 v85, v[91:92]
	v_cvt_f32_f64_e32 v87, v[87:88]
	v_add_f64 v[91:92], v[14:15], v[50:51]
	v_min3_f32 v85, v85, v87, v118
	v_add_f64 v[87:88], v[16:17], v[52:53]
	v_cvt_f32_f64_e32 v89, v[91:92]
	v_add_f64 v[91:92], v[10:11], v[50:51]
	v_add_f64 v[50:51], v[2:3], v[50:51]
	v_cvt_f32_f64_e32 v87, v[87:88]
	v_cvt_f32_f64_e32 v91, v[91:92]
	;; [unrolled: 1-line block ×3, first 2 shown]
	v_min3_f32 v87, v89, v87, v119
	v_add_f64 v[88:89], v[12:13], v[52:53]
	v_cvt_f32_f64_e32 v88, v[88:89]
	v_cvt_f32_f64_e32 v89, v[95:96]
	v_add_f64 v[95:96], v[26:27], v[46:47]
	v_min3_f32 v88, v91, v88, v120
	v_add_f64 v[91:92], v[8:9], v[52:53]
	v_add_f64 v[52:53], v[4:5], v[52:53]
	v_cvt_f32_f64_e32 v91, v[91:92]
	v_cvt_f32_f64_e32 v51, v[52:53]
	v_min3_f32 v89, v89, v91, v121
	v_min3_f32 v50, v50, v51, v115
	v_add_f64 v[51:52], v[36:37], v[48:49]
	v_add_f64 v[91:92], v[34:35], v[46:47]
	v_cvt_f32_f64_e32 v51, v[51:52]
	v_cvt_f32_f64_e32 v53, v[91:92]
	v_add_f64 v[91:92], v[30:31], v[46:47]
	v_min3_f32 v51, v53, v51, v116
	v_add_f64 v[52:53], v[32:33], v[48:49]
	v_cvt_f32_f64_e32 v91, v[91:92]
	v_cvt_f32_f64_e32 v52, v[52:53]
	;; [unrolled: 1-line block ×3, first 2 shown]
	v_add_f64 v[95:96], v[18:19], v[46:47]
	v_min3_f32 v52, v91, v52, v117
	v_add_f64 v[91:92], v[28:29], v[48:49]
	v_cvt_f32_f64_e32 v93, v[95:96]
	v_add_f64 v[95:96], v[14:15], v[46:47]
	v_cvt_f32_f64_e32 v91, v[91:92]
	v_cvt_f32_f64_e32 v95, v[95:96]
	v_min3_f32 v53, v53, v91, v122
	v_add_f64 v[91:92], v[20:21], v[48:49]
	v_cvt_f32_f64_e32 v91, v[91:92]
	v_min3_f32 v91, v93, v91, v123
	v_add_f64 v[92:93], v[16:17], v[48:49]
	v_cvt_f32_f64_e32 v92, v[92:93]
	v_cvt_f32_f64_e32 v93, v[99:100]
	v_add_f64 v[99:100], v[6:7], v[46:47]
	v_add_f64 v[46:47], v[2:3], v[46:47]
	v_min3_f32 v92, v95, v92, v124
	v_add_f64 v[95:96], v[12:13], v[48:49]
	v_cvt_f32_f64_e32 v46, v[46:47]
	v_cvt_f32_f64_e32 v95, v[95:96]
	v_min3_f32 v146, v93, v95, v125
	v_add_f64 v[95:96], v[8:9], v[48:49]
	v_add_f64 v[48:49], v[4:5], v[48:49]
	v_cvt_f32_f64_e32 v93, v[99:100]
	v_add_f64 v[99:100], v[26:27], v[42:43]
	v_cvt_f32_f64_e32 v95, v[95:96]
	v_cvt_f32_f64_e32 v47, v[48:49]
	v_min3_f32 v147, v93, v95, v114
	v_min3_f32 v46, v46, v47, v112
	v_add_f64 v[47:48], v[36:37], v[44:45]
	v_add_f64 v[95:96], v[34:35], v[42:43]
	v_cvt_f32_f64_e32 v47, v[47:48]
	v_cvt_f32_f64_e32 v49, v[95:96]
	v_add_f64 v[95:96], v[30:31], v[42:43]
	v_min3_f32 v47, v49, v47, v113
	v_add_f64 v[48:49], v[32:33], v[44:45]
	v_cvt_f32_f64_e32 v93, v[95:96]
	v_add_f64 v[95:96], v[28:29], v[44:45]
	v_cvt_f32_f64_e32 v48, v[48:49]
	v_cvt_f32_f64_e32 v49, v[99:100]
	v_add_f64 v[99:100], v[18:19], v[42:43]
	v_min3_f32 v48, v93, v48, v128
	v_cvt_f32_f64_e32 v93, v[95:96]
	v_add_f64 v[95:96], v[20:21], v[44:45]
	v_min3_f32 v49, v49, v93, v129
	v_cvt_f32_f64_e32 v93, v[99:100]
	v_cvt_f32_f64_e32 v95, v[95:96]
	v_add_f64 v[99:100], v[14:15], v[42:43]
	v_min3_f32 v151, v93, v95, v182
	v_add_f64 v[95:96], v[16:17], v[44:45]
	v_cvt_f32_f64_e32 v93, v[99:100]
	v_add_f64 v[99:100], v[10:11], v[42:43]
	v_cvt_f32_f64_e32 v95, v[95:96]
	v_min3_f32 v152, v93, v95, v183
	v_add_f64 v[95:96], v[12:13], v[44:45]
	v_cvt_f32_f64_e32 v93, v[99:100]
	v_add_f64 v[99:100], v[6:7], v[42:43]
	v_add_f64 v[42:43], v[2:3], v[42:43]
	v_cvt_f32_f64_e32 v95, v[95:96]
	v_cvt_f32_f64_e32 v42, v[42:43]
	v_min3_f32 v153, v93, v95, v180
	v_add_f64 v[95:96], v[8:9], v[44:45]
	v_add_f64 v[44:45], v[4:5], v[44:45]
	v_cvt_f32_f64_e32 v93, v[99:100]
	v_add_f64 v[99:100], v[26:27], v[38:39]
	v_add_f64 v[26:27], v[26:27], v[22:23]
	v_cvt_f32_f64_e32 v95, v[95:96]
	v_cvt_f32_f64_e32 v43, v[44:45]
	v_cvt_f32_f64_e32 v26, v[26:27]
	v_min3_f32 v154, v93, v95, v181
	v_min3_f32 v42, v42, v43, v170
	v_add_f64 v[43:44], v[36:37], v[40:41]
	v_add_f64 v[95:96], v[34:35], v[38:39]
	;; [unrolled: 1-line block ×4, first 2 shown]
	v_cvt_f32_f64_e32 v43, v[43:44]
	v_cvt_f32_f64_e32 v45, v[95:96]
	v_add_f64 v[95:96], v[30:31], v[38:39]
	v_add_f64 v[30:31], v[30:31], v[22:23]
	v_cvt_f32_f64_e32 v34, v[34:35]
	v_cvt_f32_f64_e32 v35, v[36:37]
	v_min3_f32 v43, v45, v43, v172
	v_add_f64 v[44:45], v[32:33], v[40:41]
	v_cvt_f32_f64_e32 v93, v[95:96]
	v_add_f64 v[95:96], v[28:29], v[40:41]
	v_add_f64 v[32:33], v[32:33], v[24:25]
	;; [unrolled: 1-line block ×3, first 2 shown]
	v_cvt_f32_f64_e32 v30, v[30:31]
	v_min3_f32 v196, v34, v35, v98
	v_cvt_f32_f64_e32 v44, v[44:45]
	v_cvt_f32_f64_e32 v45, v[99:100]
	v_add_f64 v[99:100], v[18:19], v[38:39]
	v_add_f64 v[18:19], v[18:19], v[22:23]
	v_cvt_f32_f64_e32 v31, v[32:33]
	v_cvt_f32_f64_e32 v27, v[28:29]
	v_min3_f32 v44, v93, v44, v106
	v_cvt_f32_f64_e32 v93, v[95:96]
	v_add_f64 v[95:96], v[20:21], v[40:41]
	v_add_f64 v[20:21], v[20:21], v[24:25]
	v_cvt_f32_f64_e32 v18, v[18:19]
	v_min3_f32 v197, v30, v31, v94
	v_min3_f32 v198, v26, v27, v90
	;; [unrolled: 1-line block ×3, first 2 shown]
	v_cvt_f32_f64_e32 v93, v[99:100]
	v_cvt_f32_f64_e32 v95, v[95:96]
	v_add_f64 v[99:100], v[14:15], v[38:39]
	v_add_f64 v[14:15], v[14:15], v[22:23]
	v_cvt_f32_f64_e32 v19, v[20:21]
	v_min3_f32 v155, v93, v95, v108
	v_add_f64 v[95:96], v[16:17], v[40:41]
	v_cvt_f32_f64_e32 v93, v[99:100]
	v_add_f64 v[99:100], v[10:11], v[38:39]
	v_add_f64 v[16:17], v[16:17], v[24:25]
	;; [unrolled: 1-line block ×3, first 2 shown]
	v_cvt_f32_f64_e32 v14, v[14:15]
	v_min3_f32 v199, v18, v19, v86
	v_cvt_f32_f64_e32 v95, v[95:96]
	v_cvt_f32_f64_e32 v15, v[16:17]
	;; [unrolled: 1-line block ×3, first 2 shown]
	v_min3_f32 v156, v93, v95, v109
	v_add_f64 v[95:96], v[12:13], v[40:41]
	v_cvt_f32_f64_e32 v93, v[99:100]
	v_add_f64 v[99:100], v[6:7], v[38:39]
	v_add_f64 v[38:39], v[2:3], v[38:39]
	;; [unrolled: 1-line block ×5, first 2 shown]
	v_min3_f32 v200, v14, v15, v82
	v_cvt_f32_f64_e32 v95, v[95:96]
	v_cvt_f32_f64_e32 v38, v[38:39]
	;; [unrolled: 1-line block ×5, first 2 shown]
	v_min3_f32 v157, v93, v95, v110
	v_add_f64 v[95:96], v[8:9], v[40:41]
	v_add_f64 v[40:41], v[4:5], v[40:41]
	v_add_f64 v[8:9], v[8:9], v[24:25]
	v_add_f64 v[4:5], v[4:5], v[24:25]
	v_cvt_f32_f64_e32 v93, v[99:100]
	v_min3_f32 v201, v10, v11, v78
	v_cvt_f32_f64_e32 v95, v[95:96]
	v_cvt_f32_f64_e32 v39, v[40:41]
	;; [unrolled: 1-line block ×4, first 2 shown]
	v_min3_f32 v170, v93, v95, v111
	v_min3_f32 v172, v38, v39, v102
	;; [unrolled: 1-line block ×4, first 2 shown]
	ds_read_b128 v[6:9], v167 offset:256
	ds_read_b128 v[10:13], v167 offset:512
	;; [unrolled: 1-line block ×14, first 2 shown]
	ds_read_b128 v[97:100], v148
	ds_read_b128 v[34:37], v148 offset:16
	ds_read_b128 v[192:195], v167
	ds_read_b128 v[2:5], v167 offset:16
	s_waitcnt lgkmcnt(1)
	v_add_f64 v[101:102], v[194:195], v[99:100]
	v_add_f64 v[103:104], v[192:193], v[97:98]
	v_cvt_f32_f64_e32 v73, v[101:102]
	v_cvt_f32_f64_e32 v71, v[103:104]
	v_add_f64 v[101:102], v[8:9], v[99:100]
	v_add_f64 v[103:104], v[6:7], v[97:98]
	v_min3_f32 v129, v71, v73, v66
	v_cvt_f32_f64_e32 v71, v[101:102]
	v_cvt_f32_f64_e32 v66, v[103:104]
	v_add_f64 v[101:102], v[10:11], v[97:98]
	v_min3_f32 v128, v66, v71, v67
	v_add_f64 v[66:67], v[12:13], v[99:100]
	v_cvt_f32_f64_e32 v71, v[101:102]
	v_add_f64 v[101:102], v[14:15], v[97:98]
	v_cvt_f32_f64_e32 v66, v[66:67]
	v_min3_f32 v127, v71, v66, v68
	v_add_f64 v[66:67], v[16:17], v[99:100]
	v_cvt_f32_f64_e32 v68, v[101:102]
	v_cvt_f32_f64_e32 v66, v[66:67]
	v_min3_f32 v126, v68, v66, v69
	v_add_f64 v[66:67], v[20:21], v[99:100]
	v_add_f64 v[68:69], v[18:19], v[97:98]
	v_cvt_f32_f64_e32 v66, v[66:67]
	v_cvt_f32_f64_e32 v68, v[68:69]
	v_min3_f32 v125, v68, v66, v70
	v_add_f64 v[66:67], v[24:25], v[99:100]
	v_add_f64 v[68:69], v[22:23], v[97:98]
	v_cvt_f32_f64_e32 v66, v[66:67]
	v_cvt_f32_f64_e32 v68, v[68:69]
	v_min3_f32 v124, v68, v66, v72
	v_add_f64 v[66:67], v[28:29], v[99:100]
	v_add_f64 v[68:69], v[26:27], v[97:98]
	v_cvt_f32_f64_e32 v66, v[66:67]
	v_cvt_f32_f64_e32 v68, v[68:69]
	v_min3_f32 v123, v68, v66, v74
	v_add_f64 v[66:67], v[32:33], v[99:100]
	v_add_f64 v[68:69], v[30:31], v[97:98]
	v_cvt_f32_f64_e32 v66, v[66:67]
	v_cvt_f32_f64_e32 v68, v[68:69]
	v_min3_f32 v122, v68, v66, v62
	v_add_f64 v[66:67], v[194:195], v[40:41]
	v_add_f64 v[68:69], v[192:193], v[38:39]
	v_cvt_f32_f64_e32 v66, v[66:67]
	v_cvt_f32_f64_e32 v62, v[68:69]
	v_min3_f32 v121, v62, v66, v63
	v_add_f64 v[62:63], v[8:9], v[40:41]
	v_add_f64 v[66:67], v[6:7], v[38:39]
	v_cvt_f32_f64_e32 v62, v[62:63]
	v_cvt_f32_f64_e32 v66, v[66:67]
	v_min3_f32 v120, v66, v62, v64
	v_add_f64 v[62:63], v[12:13], v[40:41]
	v_add_f64 v[66:67], v[10:11], v[38:39]
	v_cvt_f32_f64_e32 v62, v[62:63]
	v_cvt_f32_f64_e32 v64, v[66:67]
	v_min3_f32 v119, v64, v62, v65
	v_add_f64 v[62:63], v[16:17], v[40:41]
	v_add_f64 v[64:65], v[14:15], v[38:39]
	v_cvt_f32_f64_e32 v62, v[62:63]
	v_cvt_f32_f64_e32 v64, v[64:65]
	v_min3_f32 v118, v64, v62, v75
	v_add_f64 v[62:63], v[20:21], v[40:41]
	v_add_f64 v[64:65], v[18:19], v[38:39]
	v_cvt_f32_f64_e32 v62, v[62:63]
	v_cvt_f32_f64_e32 v64, v[64:65]
	v_min3_f32 v117, v64, v62, v76
	v_add_f64 v[62:63], v[24:25], v[40:41]
	v_add_f64 v[64:65], v[22:23], v[38:39]
	v_cvt_f32_f64_e32 v62, v[62:63]
	v_cvt_f32_f64_e32 v64, v[64:65]
	v_min3_f32 v116, v64, v62, v77
	v_add_f64 v[62:63], v[28:29], v[40:41]
	v_add_f64 v[64:65], v[26:27], v[38:39]
	v_add_f64 v[40:41], v[32:33], v[40:41]
	;; [unrolled: 1-line block ×3, first 2 shown]
	v_cvt_f32_f64_e32 v62, v[62:63]
	v_cvt_f32_f64_e32 v64, v[64:65]
	v_cvt_f32_f64_e32 v38, v[38:39]
	v_cvt_f32_f64_e32 v39, v[40:41]
	v_add_f64 v[40:41], v[192:193], v[93:94]
	v_min3_f32 v115, v64, v62, v79
	v_min3_f32 v114, v38, v39, v58
	v_add_f64 v[38:39], v[194:195], v[95:96]
	v_cvt_f32_f64_e32 v40, v[40:41]
	v_cvt_f32_f64_e32 v38, v[38:39]
	v_min3_f32 v113, v40, v38, v59
	v_add_f64 v[38:39], v[8:9], v[95:96]
	v_add_f64 v[40:41], v[6:7], v[93:94]
	v_cvt_f32_f64_e32 v38, v[38:39]
	v_cvt_f32_f64_e32 v40, v[40:41]
	v_min3_f32 v112, v40, v38, v60
	v_add_f64 v[38:39], v[12:13], v[95:96]
	;; [unrolled: 5-line block ×23, first 2 shown]
	v_add_f64 v[40:41], v[30:31], v[162:163]
	s_waitcnt lgkmcnt(0)
	v_add_f64 v[146:147], v[4:5], v[36:37]
	v_cvt_f32_f64_e32 v38, v[38:39]
	v_cvt_f32_f64_e32 v40, v[40:41]
	;; [unrolled: 1-line block ×3, first 2 shown]
	v_min3_f32 v90, v40, v38, v46
	v_add_f64 v[38:39], v[194:195], v[182:183]
	v_add_f64 v[40:41], v[192:193], v[180:181]
	v_cvt_f32_f64_e32 v38, v[38:39]
	v_cvt_f32_f64_e32 v40, v[40:41]
	v_min3_f32 v89, v40, v38, v47
	v_add_f64 v[38:39], v[8:9], v[182:183]
	v_add_f64 v[40:41], v[6:7], v[180:181]
	v_cvt_f32_f64_e32 v38, v[38:39]
	v_cvt_f32_f64_e32 v40, v[40:41]
	v_min3_f32 v88, v40, v38, v48
	v_add_f64 v[38:39], v[12:13], v[182:183]
	v_add_f64 v[40:41], v[10:11], v[180:181]
	v_cvt_f32_f64_e32 v38, v[38:39]
	v_cvt_f32_f64_e32 v40, v[40:41]
	v_min3_f32 v87, v40, v38, v49
	v_add_f64 v[38:39], v[16:17], v[182:183]
	v_add_f64 v[40:41], v[14:15], v[180:181]
	v_cvt_f32_f64_e32 v38, v[38:39]
	v_cvt_f32_f64_e32 v40, v[40:41]
	v_min3_f32 v86, v40, v38, v151
	v_add_f64 v[38:39], v[20:21], v[182:183]
	v_add_f64 v[40:41], v[18:19], v[180:181]
	v_cvt_f32_f64_e32 v38, v[38:39]
	v_cvt_f32_f64_e32 v40, v[40:41]
	v_min3_f32 v85, v40, v38, v152
	v_add_f64 v[38:39], v[24:25], v[182:183]
	v_add_f64 v[40:41], v[22:23], v[180:181]
	v_add_f64 v[151:152], v[2:3], v[34:35]
	v_cvt_f32_f64_e32 v38, v[38:39]
	v_cvt_f32_f64_e32 v40, v[40:41]
	v_cvt_f32_f64_e32 v151, v[151:152]
	v_min3_f32 v84, v40, v38, v153
	v_add_f64 v[38:39], v[28:29], v[182:183]
	v_add_f64 v[40:41], v[26:27], v[180:181]
	v_min3_f32 v226, v151, v146, v129
	v_cvt_f32_f64_e32 v38, v[38:39]
	v_cvt_f32_f64_e32 v40, v[40:41]
	v_min3_f32 v83, v40, v38, v154
	v_add_f64 v[38:39], v[32:33], v[182:183]
	v_add_f64 v[40:41], v[30:31], v[180:181]
	v_cvt_f32_f64_e32 v38, v[38:39]
	v_cvt_f32_f64_e32 v40, v[40:41]
	v_min3_f32 v82, v40, v38, v42
	v_add_f64 v[38:39], v[194:195], v[186:187]
	v_add_f64 v[40:41], v[192:193], v[184:185]
	;; [unrolled: 5-line block ×3, first 2 shown]
	v_add_f64 v[8:9], v[8:9], v[190:191]
	v_add_f64 v[6:7], v[6:7], v[188:189]
	v_cvt_f32_f64_e32 v38, v[38:39]
	v_cvt_f32_f64_e32 v40, v[40:41]
	v_cvt_f32_f64_e32 v6, v[6:7]
	v_cvt_f32_f64_e32 v7, v[8:9]
	v_add_f64 v[8:9], v[10:11], v[188:189]
	v_min3_f32 v80, v40, v38, v44
	v_add_f64 v[38:39], v[12:13], v[186:187]
	v_add_f64 v[40:41], v[10:11], v[184:185]
	v_min3_f32 v72, v6, v7, v197
	v_add_f64 v[6:7], v[12:13], v[190:191]
	v_cvt_f32_f64_e32 v8, v[8:9]
	v_cvt_f32_f64_e32 v38, v[38:39]
	v_cvt_f32_f64_e32 v40, v[40:41]
	v_cvt_f32_f64_e32 v6, v[6:7]
	v_min3_f32 v79, v40, v38, v45
	v_add_f64 v[38:39], v[16:17], v[186:187]
	v_add_f64 v[40:41], v[14:15], v[184:185]
	v_min3_f32 v71, v8, v6, v198
	v_add_f64 v[6:7], v[16:17], v[190:191]
	v_add_f64 v[8:9], v[14:15], v[188:189]
	v_cvt_f32_f64_e32 v38, v[38:39]
	v_cvt_f32_f64_e32 v40, v[40:41]
	v_cvt_f32_f64_e32 v6, v[6:7]
	v_cvt_f32_f64_e32 v8, v[8:9]
	v_min3_f32 v78, v40, v38, v155
	v_add_f64 v[38:39], v[20:21], v[186:187]
	v_add_f64 v[40:41], v[18:19], v[184:185]
	v_min3_f32 v70, v8, v6, v199
	v_add_f64 v[6:7], v[20:21], v[190:191]
	;; [unrolled: 10-line block ×5, first 2 shown]
	v_add_f64 v[8:9], v[30:31], v[188:189]
	v_cvt_f32_f64_e32 v38, v[38:39]
	v_cvt_f32_f64_e32 v40, v[40:41]
	;; [unrolled: 1-line block ×4, first 2 shown]
	v_min3_f32 v74, v40, v38, v172
	v_add_f64 v[38:39], v[194:195], v[190:191]
	v_add_f64 v[40:41], v[192:193], v[188:189]
	v_min3_f32 v66, v8, v6, v203
	v_cvt_f32_f64_e32 v38, v[38:39]
	v_cvt_f32_f64_e32 v40, v[40:41]
	v_min3_f32 v73, v40, v38, v196
	ds_read_b128 v[22:25], v167 offset:272
	ds_read_b128 v[18:21], v167 offset:528
	;; [unrolled: 1-line block ×14, first 2 shown]
	ds_write_b64 v168, v[136:137]
	ds_write2st64_b64 v169, v[140:141], v[142:143] offset1:4
	ds_write2st64_b64 v169, v[138:139], v[144:145] offset0:8 offset1:12
	s_waitcnt lgkmcnt(0)
	s_barrier
	buffer_gl0_inv
	v_add_f64 v[146:147], v[24:25], v[36:37]
	v_add_f64 v[151:152], v[22:23], v[34:35]
	v_cvt_f32_f64_e32 v146, v[146:147]
	v_cvt_f32_f64_e32 v129, v[151:152]
	v_min3_f32 v225, v129, v146, v128
	v_add_f64 v[128:129], v[20:21], v[36:37]
	v_add_f64 v[146:147], v[18:19], v[34:35]
	v_cvt_f32_f64_e32 v128, v[128:129]
	v_cvt_f32_f64_e32 v146, v[146:147]
	v_min3_f32 v224, v146, v128, v127
	;; [unrolled: 5-line block ×5, first 2 shown]
	v_add_f64 v[124:125], v[32:33], v[36:37]
	v_add_f64 v[126:127], v[30:31], v[34:35]
	;; [unrolled: 1-line block ×4, first 2 shown]
	v_cvt_f32_f64_e32 v124, v[124:125]
	v_cvt_f32_f64_e32 v126, v[126:127]
	;; [unrolled: 1-line block ×4, first 2 shown]
	v_add_f64 v[36:37], v[2:3], v[62:63]
	v_min3_f32 v221, v126, v124, v123
	v_min3_f32 v218, v34, v35, v122
	v_add_f64 v[34:35], v[4:5], v[64:65]
	v_cvt_f32_f64_e32 v36, v[36:37]
	v_cvt_f32_f64_e32 v34, v[34:35]
	v_min3_f32 v219, v36, v34, v121
	v_add_f64 v[34:35], v[24:25], v[64:65]
	v_add_f64 v[36:37], v[22:23], v[62:63]
	v_cvt_f32_f64_e32 v34, v[34:35]
	v_cvt_f32_f64_e32 v36, v[36:37]
	v_min3_f32 v216, v36, v34, v120
	v_add_f64 v[34:35], v[20:21], v[64:65]
	;; [unrolled: 5-line block ×40, first 2 shown]
	v_add_f64 v[36:37], v[2:3], v[42:43]
	v_add_f64 v[4:5], v[4:5], v[40:41]
	;; [unrolled: 1-line block ×3, first 2 shown]
	v_cvt_f32_f64_e32 v34, v[34:35]
	v_cvt_f32_f64_e32 v36, v[36:37]
	;; [unrolled: 1-line block ×4, first 2 shown]
	v_add_f64 v[4:5], v[22:23], v[38:39]
	v_min3_f32 v172, v36, v34, v81
	v_add_f64 v[34:35], v[24:25], v[44:45]
	v_add_f64 v[36:37], v[22:23], v[42:43]
	v_min3_f32 v158, v2, v3, v73
	v_add_f64 v[2:3], v[24:25], v[40:41]
	v_cvt_f32_f64_e32 v4, v[4:5]
	v_cvt_f32_f64_e32 v34, v[34:35]
	v_cvt_f32_f64_e32 v36, v[36:37]
	v_cvt_f32_f64_e32 v2, v[2:3]
	v_min3_f32 v164, v36, v34, v80
	v_add_f64 v[34:35], v[20:21], v[44:45]
	v_add_f64 v[36:37], v[18:19], v[42:43]
	v_min3_f32 v157, v4, v2, v72
	v_add_f64 v[2:3], v[20:21], v[40:41]
	v_add_f64 v[4:5], v[18:19], v[38:39]
	v_cvt_f32_f64_e32 v34, v[34:35]
	v_cvt_f32_f64_e32 v36, v[36:37]
	v_cvt_f32_f64_e32 v2, v[2:3]
	v_cvt_f32_f64_e32 v4, v[4:5]
	v_min3_f32 v165, v36, v34, v79
	v_add_f64 v[34:35], v[16:17], v[44:45]
	v_add_f64 v[36:37], v[14:15], v[42:43]
	v_min3_f32 v156, v4, v2, v71
	v_add_f64 v[2:3], v[16:17], v[40:41]
	;; [unrolled: 10-line block ×6, first 2 shown]
	v_add_f64 v[4:5], v[26:27], v[38:39]
	v_cvt_f32_f64_e32 v34, v[34:35]
	v_cvt_f32_f64_e32 v36, v[36:37]
	;; [unrolled: 1-line block ×4, first 2 shown]
	v_min3_f32 v159, v36, v34, v74
	v_min3_f32 v151, v4, v2, v66
	s_cbranch_scc1 .LBB168_33
.LBB168_21:                             ; =>This Inner Loop Header: Depth=1
	v_mov_b32_e32 v138, 0
	v_mov_b32_e32 v140, 0
	;; [unrolled: 1-line block ×4, first 2 shown]
	s_and_b32 vcc_lo, exec_lo, s1
	s_cbranch_vccnz .LBB168_23
; %bb.22:                               ;   in Loop: Header=BB168_21 Depth=1
	v_add_co_u32 v2, vcc_lo, v174, v134
	v_add_co_ci_u32_e64 v3, null, v175, v135, vcc_lo
	global_load_dwordx2 v[2:3], v[2:3], off
	s_waitcnt vmcnt(0)
	v_mul_f64 v[140:141], s[18:19], v[2:3]
.LBB168_23:                             ;   in Loop: Header=BB168_21 Depth=1
	v_mov_b32_e32 v142, 0
	v_mov_b32_e32 v143, 0
	s_and_b32 vcc_lo, exec_lo, s1
	s_cbranch_vccnz .LBB168_25
; %bb.24:                               ;   in Loop: Header=BB168_21 Depth=1
	v_add_co_u32 v2, vcc_lo, v178, v132
	v_add_co_ci_u32_e64 v3, null, v179, v133, vcc_lo
	s_clause 0x1
	global_load_dwordx2 v[4:5], v[2:3], off
	global_load_dwordx2 v[2:3], v[2:3], off offset:512
	s_waitcnt vmcnt(1)
	v_mul_f64 v[138:139], s[18:19], v[4:5]
	s_waitcnt vmcnt(0)
	v_mul_f64 v[142:143], s[18:19], v[2:3]
.LBB168_25:                             ;   in Loop: Header=BB168_21 Depth=1
	v_mov_b32_e32 v136, 0
	v_mov_b32_e32 v144, 0
	;; [unrolled: 1-line block ×6, first 2 shown]
	s_and_b32 vcc_lo, exec_lo, s1
	s_cbranch_vccnz .LBB168_27
; %bb.26:                               ;   in Loop: Header=BB168_21 Depth=1
	v_add_co_u32 v2, vcc_lo, v178, v132
	v_add_co_ci_u32_e64 v3, null, v179, v133, vcc_lo
	s_clause 0x1
	global_load_dwordx2 v[4:5], v[2:3], off offset:1024
	global_load_dwordx2 v[2:3], v[2:3], off offset:1536
	s_waitcnt vmcnt(1)
	v_mul_f64 v[144:145], s[18:19], v[4:5]
	s_waitcnt vmcnt(0)
	v_mul_f64 v[146:147], s[18:19], v[2:3]
.LBB168_27:                             ;   in Loop: Header=BB168_21 Depth=1
	ds_read_b128 v[126:129], v173
	ds_read_b128 v[62:65], v173 offset:16
	ds_read_b128 v[98:101], v171
	ds_read_b128 v[34:37], v171 offset:16
	ds_read_b128 v[94:97], v171 offset:256
	;; [unrolled: 1-line block ×29, first 2 shown]
	s_and_b32 vcc_lo, exec_lo, s1
	ds_write_b64 v166, v[140:141]
	ds_write2st64_b64 v150, v[138:139], v[142:143] offset1:4
	ds_write2st64_b64 v150, v[144:145], v[146:147] offset0:8 offset1:12
	s_waitcnt lgkmcnt(0)
	s_barrier
	buffer_gl0_inv
	s_cbranch_vccnz .LBB168_29
; %bb.28:                               ;   in Loop: Header=BB168_21 Depth=1
	v_add_co_u32 v136, vcc_lo, v174, v130
	v_add_co_ci_u32_e64 v137, null, v175, v131, vcc_lo
	global_load_dwordx2 v[136:137], v[136:137], off
	s_waitcnt vmcnt(0)
	v_mul_f64 v[136:137], s[18:19], v[136:137]
.LBB168_29:                             ;   in Loop: Header=BB168_21 Depth=1
	v_mov_b32_e32 v138, 0
	v_mov_b32_e32 v140, 0
	;; [unrolled: 1-line block ×6, first 2 shown]
	s_and_b32 vcc_lo, exec_lo, s1
	s_cbranch_vccnz .LBB168_31
; %bb.30:                               ;   in Loop: Header=BB168_21 Depth=1
	v_add_co_u32 v140, vcc_lo, v176, v132
	v_add_co_ci_u32_e64 v141, null, v177, v133, vcc_lo
	s_clause 0x1
	global_load_dwordx2 v[142:143], v[140:141], off
	global_load_dwordx2 v[144:145], v[140:141], off offset:512
	s_waitcnt vmcnt(1)
	v_mul_f64 v[140:141], s[18:19], v[142:143]
	s_waitcnt vmcnt(0)
	v_mul_f64 v[142:143], s[18:19], v[144:145]
.LBB168_31:                             ;   in Loop: Header=BB168_21 Depth=1
	v_mov_b32_e32 v144, 0
	v_mov_b32_e32 v145, 0
	s_and_b32 vcc_lo, exec_lo, s1
	s_cbranch_vccnz .LBB168_20
; %bb.32:                               ;   in Loop: Header=BB168_21 Depth=1
	v_add_co_u32 v138, vcc_lo, v176, v132
	v_add_co_ci_u32_e64 v139, null, v177, v133, vcc_lo
	s_clause 0x1
	global_load_dwordx2 v[144:145], v[138:139], off offset:1024
	global_load_dwordx2 v[146:147], v[138:139], off offset:1536
	s_waitcnt vmcnt(1)
	v_mul_f64 v[138:139], s[18:19], v[144:145]
	s_waitcnt vmcnt(0)
	v_mul_f64 v[144:145], s[18:19], v[146:147]
	s_branch .LBB168_20
.LBB168_33:
	ds_read_b128 v[124:127], v148 offset:8192
	ds_read_b128 v[68:71], v149 offset:18432
	;; [unrolled: 1-line block ×4, first 2 shown]
	s_clause 0x2
	s_load_dwordx2 s[8:9], s[4:5], 0x78
	s_load_dword s6, s[4:5], 0x70
	s_load_dword s1, s[4:5], 0x58
	v_add_nc_u32_e32 v144, s24, v1
	v_add_nc_u32_e32 v138, s17, v0
	v_ashrrev_i32_e32 v139, 31, v138
	v_add_nc_u32_e32 v0, 8, v138
	v_lshlrev_b64 v[130:131], 3, v[138:139]
	v_ashrrev_i32_e32 v1, 31, v0
	s_waitcnt lgkmcnt(0)
	v_add_f64 v[2:3], v[68:69], v[124:125]
	v_add_f64 v[4:5], v[70:71], v[126:127]
	;; [unrolled: 1-line block ×4, first 2 shown]
	s_mul_i32 s5, s9, s16
	s_mul_hi_u32 s7, s8, s16
	s_mul_i32 s4, s8, s16
	s_add_i32 s5, s7, s5
	s_mov_b32 s7, -1
	s_lshl_b64 s[4:5], s[4:5], 3
	s_add_u32 s4, s10, s4
	s_addc_u32 s5, s11, s5
	v_cvt_f32_f64_e32 v10, v[2:3]
	v_cvt_f32_f64_e32 v11, v[4:5]
	;; [unrolled: 1-line block ×4, first 2 shown]
	v_mad_i64_i32 v[2:3], null, v144, s6, 0
	v_mad_i64_i32 v[4:5], null, v144, s1, 0
	v_lshlrev_b64 v[2:3], 3, v[2:3]
	v_lshlrev_b64 v[4:5], 3, v[4:5]
	v_add_co_u32 v145, vcc_lo, s4, v2
	v_add_co_ci_u32_e64 v146, null, s5, v3, vcc_lo
	v_add_co_u32 v147, vcc_lo, s2, v4
	v_min3_f32 v8, v10, v11, v226
	v_add_co_ci_u32_e64 v150, null, s3, v5, vcc_lo
	s_mov_b32 vcc_lo, s0
	v_min3_f32 v2, v6, v7, v8
	v_max_f32_e32 v2, v2, v2
	s_cbranch_vccz .LBB168_35
; %bb.34:
	v_min_f32_e32 v3, 0, v2
	v_add_co_u32 v5, vcc_lo, v145, v130
	v_add_co_ci_u32_e64 v6, null, v146, v131, vcc_lo
	v_cvt_f64_f32_e32 v[3:4], v3
	s_mov_b32 s7, 0
	global_store_dwordx2 v[5:6], v[3:4], off
.LBB168_35:
	ds_read_b128 v[60:63], v149 offset:18688
	ds_read_b128 v[52:55], v149 offset:18704
	;; [unrolled: 1-line block ×4, first 2 shown]
	v_lshlrev_b64 v[128:129], 3, v[0:1]
	v_mov_b32_e32 v8, 0
	s_andn2_b32 vcc_lo, exec_lo, s7
	s_cbranch_vccnz .LBB168_37
; %bb.36:
	v_add_co_u32 v0, vcc_lo, v147, v130
	v_add_co_ci_u32_e64 v1, null, v150, v131, vcc_lo
	global_load_dwordx2 v[0:1], v[0:1], off
	s_waitcnt vmcnt(0)
	v_mul_f64 v[0:1], s[12:13], v[0:1]
	v_cvt_f32_f64_e32 v0, v[0:1]
	v_min_f32_e32 v0, v0, v2
	v_add_co_u32 v2, vcc_lo, v145, v130
	v_add_co_ci_u32_e64 v3, null, v146, v131, vcc_lo
	v_cvt_f64_f32_e32 v[0:1], v0
	v_add_co_u32 v4, vcc_lo, v147, v128
	v_add_co_ci_u32_e64 v5, null, v150, v129, vcc_lo
	global_store_dwordx2 v[2:3], v[0:1], off
	global_load_dwordx2 v[0:1], v[4:5], off
	s_waitcnt vmcnt(0)
	v_mul_f64 v[0:1], s[12:13], v[0:1]
	v_cvt_f32_f64_e32 v8, v[0:1]
.LBB168_37:
	s_waitcnt lgkmcnt(3)
	v_add_f64 v[0:1], v[60:61], v[124:125]
	v_add_f64 v[2:3], v[62:63], v[126:127]
	s_waitcnt lgkmcnt(2)
	v_add_f64 v[4:5], v[52:53], v[120:121]
	v_add_f64 v[6:7], v[54:55], v[122:123]
	;; [unrolled: 3-line block ×4, first 2 shown]
	v_add_nc_u32_e32 v134, 16, v138
	v_add_co_u32 v141, vcc_lo, v145, v128
	v_add_co_ci_u32_e64 v142, null, v146, v129, vcc_lo
	v_ashrrev_i32_e32 v135, 31, v134
	s_mov_b32 s7, -1
	s_mov_b32 vcc_lo, s0
	v_cvt_f32_f64_e32 v15, v[0:1]
	v_cvt_f32_f64_e32 v74, v[2:3]
	;; [unrolled: 1-line block ×8, first 2 shown]
	ds_read_b128 v[56:59], v149 offset:19200
	ds_read_b128 v[44:47], v149 offset:19216
	;; [unrolled: 1-line block ×18, first 2 shown]
	v_min3_f32 v9, v15, v74, v225
	v_min_f32_e32 v10, v75, v76
	v_min3_f32 v133, v132, v133, v224
	v_add_nc_u32_e32 v132, 24, v138
	v_min3_f32 v8, v8, v10, v9
	v_min3_f32 v143, v136, v137, v133
	v_lshlrev_b64 v[136:137], 3, v[134:135]
	v_ashrrev_i32_e32 v133, 31, v132
	v_cvt_f64_f32_e32 v[139:140], v8
	ds_read_b128 v[84:87], v148 offset:13312
	ds_read_b128 v[80:83], v148 offset:13328
	;; [unrolled: 1-line block ×6, first 2 shown]
	v_max_f32_e32 v135, v143, v143
	global_store_dwordx2 v[141:142], v[139:140], off
	s_cbranch_vccz .LBB168_39
; %bb.38:
	v_min_f32_e32 v134, 0, v135
	v_add_co_u32 v141, vcc_lo, v145, v136
	v_add_co_ci_u32_e64 v142, null, v146, v137, vcc_lo
	v_cvt_f64_f32_e32 v[139:140], v134
	s_mov_b32 s7, 0
	global_store_dwordx2 v[141:142], v[139:140], off
.LBB168_39:
	v_lshlrev_b64 v[132:133], 3, v[132:133]
	v_mov_b32_e32 v134, 0
	s_andn2_b32 vcc_lo, exec_lo, s7
	s_cbranch_vccnz .LBB168_41
; %bb.40:
	v_add_co_u32 v139, vcc_lo, v147, v136
	v_add_co_ci_u32_e64 v140, null, v150, v137, vcc_lo
	global_load_dwordx2 v[139:140], v[139:140], off
	s_waitcnt vmcnt(0)
	v_mul_f64 v[139:140], s[12:13], v[139:140]
	v_cvt_f32_f64_e32 v134, v[139:140]
	v_add_co_u32 v139, vcc_lo, v145, v136
	v_add_co_ci_u32_e64 v140, null, v146, v137, vcc_lo
	v_add_co_u32 v141, vcc_lo, v147, v132
	v_add_co_ci_u32_e64 v142, null, v150, v133, vcc_lo
	v_min_f32_e32 v134, v134, v135
	v_cvt_f64_f32_e32 v[134:135], v134
	global_store_dwordx2 v[139:140], v[134:135], off
	global_load_dwordx2 v[134:135], v[141:142], off
	s_waitcnt vmcnt(0)
	v_mul_f64 v[134:135], s[12:13], v[134:135]
	v_cvt_f32_f64_e32 v134, v[134:135]
.LBB168_41:
	s_waitcnt lgkmcnt(23)
	v_add_f64 v[139:140], v[56:57], v[124:125]
	v_add_f64 v[141:142], v[58:59], v[126:127]
	s_waitcnt lgkmcnt(22)
	v_add_f64 v[148:149], v[44:45], v[120:121]
	v_add_f64 v[166:167], v[46:47], v[122:123]
	;; [unrolled: 3-line block ×3, first 2 shown]
	s_waitcnt lgkmcnt(20)
	v_add_f64 v[175:176], v[32:33], v[120:121]
	s_mov_b32 s7, -1
	v_cvt_f32_f64_e32 v135, v[139:140]
	v_cvt_f32_f64_e32 v141, v[141:142]
	;; [unrolled: 1-line block ×4, first 2 shown]
	v_add_f64 v[139:140], v[34:35], v[122:123]
	v_cvt_f32_f64_e32 v166, v[173:174]
	v_cvt_f32_f64_e32 v167, v[168:169]
	;; [unrolled: 1-line block ×3, first 2 shown]
	v_min3_f32 v135, v135, v141, v222
	v_min_f32_e32 v141, v142, v143
	v_cvt_f32_f64_e32 v142, v[139:140]
	v_add_nc_u32_e32 v139, 32, v138
	v_min3_f32 v134, v134, v141, v135
	v_min3_f32 v135, v166, v167, v223
	v_ashrrev_i32_e32 v140, 31, v139
	v_add_co_u32 v166, vcc_lo, v145, v132
	v_cvt_f64_f32_e32 v[148:149], v134
	v_add_nc_u32_e32 v134, 40, v138
	v_lshlrev_b64 v[140:141], 3, v[139:140]
	v_add_co_ci_u32_e64 v167, null, v146, v133, vcc_lo
	s_mov_b32 vcc_lo, s0
	v_min3_f32 v142, v168, v142, v135
	v_ashrrev_i32_e32 v135, 31, v134
	v_max_f32_e32 v142, v142, v142
	global_store_dwordx2 v[166:167], v[148:149], off
	s_cbranch_vccz .LBB168_43
; %bb.42:
	v_min_f32_e32 v139, 0, v142
	v_add_co_u32 v166, vcc_lo, v145, v140
	v_add_co_ci_u32_e64 v167, null, v146, v141, vcc_lo
	v_cvt_f64_f32_e32 v[148:149], v139
	s_mov_b32 s7, 0
	global_store_dwordx2 v[166:167], v[148:149], off
.LBB168_43:
	v_lshlrev_b64 v[134:135], 3, v[134:135]
	v_mov_b32_e32 v139, 0
	s_andn2_b32 vcc_lo, exec_lo, s7
	s_cbranch_vccnz .LBB168_45
; %bb.44:
	v_add_co_u32 v148, vcc_lo, v147, v140
	v_add_co_ci_u32_e64 v149, null, v150, v141, vcc_lo
	global_load_dwordx2 v[148:149], v[148:149], off
	s_waitcnt vmcnt(0)
	v_mul_f64 v[148:149], s[12:13], v[148:149]
	v_cvt_f32_f64_e32 v139, v[148:149]
	v_add_co_u32 v148, vcc_lo, v145, v140
	v_add_co_ci_u32_e64 v149, null, v146, v141, vcc_lo
	v_add_co_u32 v166, vcc_lo, v147, v134
	v_add_co_ci_u32_e64 v167, null, v150, v135, vcc_lo
	v_min_f32_e32 v139, v139, v142
	v_cvt_f64_f32_e32 v[142:143], v139
	global_store_dwordx2 v[148:149], v[142:143], off
	global_load_dwordx2 v[142:143], v[166:167], off
	s_waitcnt vmcnt(0)
	v_mul_f64 v[142:143], s[12:13], v[142:143]
	v_cvt_f32_f64_e32 v139, v[142:143]
.LBB168_45:
	s_waitcnt lgkmcnt(19)
	v_add_f64 v[142:143], v[28:29], v[124:125]
	v_add_f64 v[148:149], v[30:31], v[126:127]
	s_waitcnt lgkmcnt(18)
	v_add_f64 v[166:167], v[24:25], v[120:121]
	v_add_f64 v[168:169], v[26:27], v[122:123]
	;; [unrolled: 3-line block ×3, first 2 shown]
	s_waitcnt lgkmcnt(16)
	v_add_f64 v[177:178], v[16:17], v[120:121]
	s_mov_b32 s7, -1
	v_cvt_f32_f64_e32 v171, v[142:143]
	v_cvt_f32_f64_e32 v148, v[148:149]
	v_cvt_f32_f64_e32 v149, v[166:167]
	v_cvt_f32_f64_e32 v166, v[168:169]
	v_add_f64 v[142:143], v[18:19], v[122:123]
	v_cvt_f32_f64_e32 v168, v[175:176]
	v_cvt_f32_f64_e32 v169, v[173:174]
	v_cvt_f32_f64_e32 v173, v[177:178]
	v_min3_f32 v148, v171, v148, v220
	v_min_f32_e32 v149, v149, v166
	v_cvt_f32_f64_e32 v171, v[142:143]
	v_add_nc_u32_e32 v142, 48, v138
	v_add_nc_u32_e32 v138, 56, v138
	v_min3_f32 v139, v139, v149, v148
	v_ashrrev_i32_e32 v143, 31, v142
	v_cvt_f64_f32_e32 v[166:167], v139
	v_min3_f32 v139, v168, v169, v221
	v_add_co_u32 v168, vcc_lo, v145, v134
	v_lshlrev_b64 v[142:143], 3, v[142:143]
	v_add_co_ci_u32_e64 v169, null, v146, v135, vcc_lo
	s_mov_b32 vcc_lo, s0
	v_min3_f32 v148, v173, v171, v139
	v_ashrrev_i32_e32 v139, 31, v138
	v_max_f32_e32 v149, v148, v148
	global_store_dwordx2 v[168:169], v[166:167], off
	s_cbranch_vccz .LBB168_47
; %bb.46:
	v_min_f32_e32 v148, 0, v149
	v_add_co_u32 v168, vcc_lo, v145, v142
	v_add_co_ci_u32_e64 v169, null, v146, v143, vcc_lo
	v_cvt_f64_f32_e32 v[166:167], v148
	s_mov_b32 s7, 0
	global_store_dwordx2 v[168:169], v[166:167], off
.LBB168_47:
	v_lshlrev_b64 v[138:139], 3, v[138:139]
	v_mov_b32_e32 v148, 0
	s_andn2_b32 vcc_lo, exec_lo, s7
	s_cbranch_vccnz .LBB168_49
; %bb.48:
	v_add_co_u32 v166, vcc_lo, v147, v142
	v_add_co_ci_u32_e64 v167, null, v150, v143, vcc_lo
	global_load_dwordx2 v[166:167], v[166:167], off
	s_waitcnt vmcnt(0)
	v_mul_f64 v[166:167], s[12:13], v[166:167]
	v_cvt_f32_f64_e32 v148, v[166:167]
	v_add_co_u32 v166, vcc_lo, v145, v142
	v_add_co_ci_u32_e64 v167, null, v146, v143, vcc_lo
	v_add_co_u32 v168, vcc_lo, v147, v138
	v_add_co_ci_u32_e64 v169, null, v150, v139, vcc_lo
	v_min_f32_e32 v148, v148, v149
	v_cvt_f64_f32_e32 v[148:149], v148
	global_store_dwordx2 v[166:167], v[148:149], off
	global_load_dwordx2 v[147:148], v[168:169], off
	s_waitcnt vmcnt(0)
	v_mul_f64 v[147:148], s[12:13], v[147:148]
	v_cvt_f32_f64_e32 v148, v[147:148]
.LBB168_49:
	s_waitcnt lgkmcnt(15)
	v_add_f64 v[124:125], v[0:1], v[124:125]
	v_add_f64 v[126:127], v[2:3], v[126:127]
	s_waitcnt lgkmcnt(14)
	v_add_f64 v[120:121], v[4:5], v[120:121]
	v_add_f64 v[122:123], v[6:7], v[122:123]
	;; [unrolled: 3-line block ×3, first 2 shown]
	v_add_co_u32 v145, vcc_lo, v145, v138
	v_add_co_ci_u32_e64 v146, null, v146, v139, vcc_lo
	s_mov_b32 s7, -1
	v_cvt_f32_f64_e32 v124, v[124:125]
	v_cvt_f32_f64_e32 v125, v[126:127]
	;; [unrolled: 1-line block ×4, first 2 shown]
	s_waitcnt lgkmcnt(12)
	v_add_f64 v[120:121], v[64:65], v[112:113]
	v_add_f64 v[122:123], v[66:67], v[114:115]
	v_cvt_f32_f64_e32 v147, v[166:167]
	v_cvt_f32_f64_e32 v149, v[149:150]
	v_add_nc_u32_e32 v150, 32, v144
	v_min3_f32 v124, v124, v125, v218
	v_min_f32_e32 v125, v126, v127
	v_cvt_f32_f64_e32 v166, v[120:121]
	v_cvt_f32_f64_e32 v167, v[122:123]
	v_mad_i64_i32 v[120:121], null, v150, s6, 0
	v_min3_f32 v122, v148, v125, v124
	v_min3_f32 v124, v147, v149, v219
	v_cvt_f64_f32_e32 v[126:127], v122
	v_mad_i64_i32 v[122:123], null, v150, s1, 0
	v_lshlrev_b64 v[120:121], 3, v[120:121]
	v_add_co_u32 v120, vcc_lo, s4, v120
	v_lshlrev_b64 v[122:123], 3, v[122:123]
	v_add_co_ci_u32_e64 v121, null, s5, v121, vcc_lo
	v_min3_f32 v124, v166, v167, v124
	v_add_co_u32 v122, vcc_lo, s2, v122
	v_add_co_ci_u32_e64 v123, null, s3, v123, vcc_lo
	v_max_f32_e32 v125, v124, v124
	s_mov_b32 vcc_lo, s0
	global_store_dwordx2 v[145:146], v[126:127], off
	s_cbranch_vccz .LBB168_51
; %bb.50:
	v_min_f32_e32 v124, 0, v125
	v_add_co_u32 v145, vcc_lo, v120, v130
	v_add_co_ci_u32_e64 v146, null, v121, v131, vcc_lo
	v_cvt_f64_f32_e32 v[126:127], v124
	s_mov_b32 s7, 0
	global_store_dwordx2 v[145:146], v[126:127], off
.LBB168_51:
	v_mov_b32_e32 v124, 0
	s_andn2_b32 vcc_lo, exec_lo, s7
	s_cbranch_vccnz .LBB168_53
; %bb.52:
	v_add_co_u32 v126, vcc_lo, v122, v130
	v_add_co_ci_u32_e64 v127, null, v123, v131, vcc_lo
	global_load_dwordx2 v[126:127], v[126:127], off
	s_waitcnt vmcnt(0)
	v_mul_f64 v[126:127], s[12:13], v[126:127]
	v_cvt_f32_f64_e32 v124, v[126:127]
	v_add_co_u32 v126, vcc_lo, v120, v130
	v_add_co_ci_u32_e64 v127, null, v121, v131, vcc_lo
	v_add_co_u32 v145, vcc_lo, v122, v128
	v_add_co_ci_u32_e64 v146, null, v123, v129, vcc_lo
	v_min_f32_e32 v124, v124, v125
	v_cvt_f64_f32_e32 v[124:125], v124
	global_store_dwordx2 v[126:127], v[124:125], off
	global_load_dwordx2 v[124:125], v[145:146], off
	s_waitcnt vmcnt(0)
	v_mul_f64 v[124:125], s[12:13], v[124:125]
	v_cvt_f32_f64_e32 v124, v[124:125]
.LBB168_53:
	v_add_f64 v[125:126], v[60:61], v[116:117]
	v_add_f64 v[145:146], v[62:63], v[118:119]
	v_add_f64 v[147:148], v[52:53], v[112:113]
	v_add_f64 v[149:150], v[54:55], v[114:115]
	v_add_f64 v[166:167], v[50:51], v[118:119]
	v_add_f64 v[168:169], v[48:49], v[116:117]
	v_add_f64 v[173:174], v[36:37], v[112:113]
	s_mov_b32 s7, -1
	v_cvt_f32_f64_e32 v127, v[125:126]
	v_cvt_f32_f64_e32 v145, v[145:146]
	v_cvt_f32_f64_e32 v146, v[147:148]
	v_cvt_f32_f64_e32 v147, v[149:150]
	v_add_f64 v[125:126], v[38:39], v[114:115]
	v_cvt_f32_f64_e32 v148, v[168:169]
	v_cvt_f32_f64_e32 v149, v[166:167]
	v_cvt_f32_f64_e32 v150, v[173:174]
	v_min3_f32 v127, v127, v145, v216
	v_min_f32_e32 v145, v146, v147
	v_cvt_f32_f64_e32 v125, v[125:126]
	v_min3_f32 v124, v124, v145, v127
	v_add_co_u32 v145, vcc_lo, v120, v128
	v_add_co_ci_u32_e64 v146, null, v121, v129, vcc_lo
	v_cvt_f64_f32_e32 v[126:127], v124
	v_min3_f32 v124, v148, v149, v217
	s_mov_b32 vcc_lo, s0
	v_min3_f32 v124, v150, v125, v124
	v_max_f32_e32 v125, v124, v124
	global_store_dwordx2 v[145:146], v[126:127], off
	s_cbranch_vccz .LBB168_55
; %bb.54:
	v_min_f32_e32 v124, 0, v125
	v_add_co_u32 v145, vcc_lo, v120, v136
	v_add_co_ci_u32_e64 v146, null, v121, v137, vcc_lo
	v_cvt_f64_f32_e32 v[126:127], v124
	s_mov_b32 s7, 0
	global_store_dwordx2 v[145:146], v[126:127], off
.LBB168_55:
	v_mov_b32_e32 v124, 0
	s_andn2_b32 vcc_lo, exec_lo, s7
	s_cbranch_vccnz .LBB168_57
; %bb.56:
	v_add_co_u32 v126, vcc_lo, v122, v136
	v_add_co_ci_u32_e64 v127, null, v123, v137, vcc_lo
	global_load_dwordx2 v[126:127], v[126:127], off
	s_waitcnt vmcnt(0)
	v_mul_f64 v[126:127], s[12:13], v[126:127]
	v_cvt_f32_f64_e32 v124, v[126:127]
	v_add_co_u32 v126, vcc_lo, v120, v136
	v_add_co_ci_u32_e64 v127, null, v121, v137, vcc_lo
	v_add_co_u32 v145, vcc_lo, v122, v132
	v_add_co_ci_u32_e64 v146, null, v123, v133, vcc_lo
	v_min_f32_e32 v124, v124, v125
	v_cvt_f64_f32_e32 v[124:125], v124
	global_store_dwordx2 v[126:127], v[124:125], off
	global_load_dwordx2 v[124:125], v[145:146], off
	s_waitcnt vmcnt(0)
	v_mul_f64 v[124:125], s[12:13], v[124:125]
	v_cvt_f32_f64_e32 v124, v[124:125]
.LBB168_57:
	v_add_f64 v[125:126], v[56:57], v[116:117]
	v_add_f64 v[145:146], v[58:59], v[118:119]
	v_add_f64 v[147:148], v[44:45], v[112:113]
	v_add_f64 v[149:150], v[46:47], v[114:115]
	v_add_f64 v[166:167], v[42:43], v[118:119]
	v_add_f64 v[168:169], v[40:41], v[116:117]
	v_add_f64 v[173:174], v[32:33], v[112:113]
	s_mov_b32 s7, -1
	v_cvt_f32_f64_e32 v127, v[125:126]
	v_cvt_f32_f64_e32 v145, v[145:146]
	v_cvt_f32_f64_e32 v146, v[147:148]
	v_cvt_f32_f64_e32 v147, v[149:150]
	v_add_f64 v[125:126], v[34:35], v[114:115]
	v_cvt_f32_f64_e32 v148, v[168:169]
	v_cvt_f32_f64_e32 v149, v[166:167]
	v_cvt_f32_f64_e32 v150, v[173:174]
	v_min3_f32 v127, v127, v145, v214
	v_min_f32_e32 v145, v146, v147
	v_cvt_f32_f64_e32 v125, v[125:126]
	v_min3_f32 v124, v124, v145, v127
	v_add_co_u32 v145, vcc_lo, v120, v132
	v_add_co_ci_u32_e64 v146, null, v121, v133, vcc_lo
	v_cvt_f64_f32_e32 v[126:127], v124
	v_min3_f32 v124, v148, v149, v215
	s_mov_b32 vcc_lo, s0
	v_min3_f32 v124, v150, v125, v124
	v_max_f32_e32 v125, v124, v124
	;; [unrolled: 59-line block ×3, first 2 shown]
	global_store_dwordx2 v[145:146], v[126:127], off
	s_cbranch_vccz .LBB168_63
; %bb.62:
	v_min_f32_e32 v124, 0, v125
	v_add_co_u32 v145, vcc_lo, v120, v142
	v_add_co_ci_u32_e64 v146, null, v121, v143, vcc_lo
	v_cvt_f64_f32_e32 v[126:127], v124
	s_mov_b32 s7, 0
	global_store_dwordx2 v[145:146], v[126:127], off
.LBB168_63:
	v_mov_b32_e32 v124, 0
	s_andn2_b32 vcc_lo, exec_lo, s7
	s_cbranch_vccnz .LBB168_65
; %bb.64:
	v_add_co_u32 v126, vcc_lo, v122, v142
	v_add_co_ci_u32_e64 v127, null, v123, v143, vcc_lo
	global_load_dwordx2 v[126:127], v[126:127], off
	s_waitcnt vmcnt(0)
	v_mul_f64 v[126:127], s[12:13], v[126:127]
	v_cvt_f32_f64_e32 v124, v[126:127]
	v_add_co_u32 v126, vcc_lo, v120, v142
	v_add_co_ci_u32_e64 v127, null, v121, v143, vcc_lo
	v_add_co_u32 v122, vcc_lo, v122, v138
	v_add_co_ci_u32_e64 v123, null, v123, v139, vcc_lo
	v_min_f32_e32 v124, v124, v125
	v_cvt_f64_f32_e32 v[124:125], v124
	global_store_dwordx2 v[126:127], v[124:125], off
	global_load_dwordx2 v[122:123], v[122:123], off
	s_waitcnt vmcnt(0)
	v_mul_f64 v[122:123], s[12:13], v[122:123]
	v_cvt_f32_f64_e32 v124, v[122:123]
.LBB168_65:
	v_add_f64 v[116:117], v[0:1], v[116:117]
	v_add_f64 v[118:119], v[2:3], v[118:119]
	;; [unrolled: 1-line block ×4, first 2 shown]
	s_waitcnt lgkmcnt(11)
	v_add_f64 v[122:123], v[70:71], v[110:111]
	v_add_f64 v[125:126], v[68:69], v[108:109]
	v_add_co_u32 v120, vcc_lo, v120, v138
	v_add_co_ci_u32_e64 v121, null, v121, v139, vcc_lo
	s_mov_b32 s7, -1
	v_cvt_f32_f64_e32 v116, v[116:117]
	v_cvt_f32_f64_e32 v117, v[118:119]
	;; [unrolled: 1-line block ×4, first 2 shown]
	s_waitcnt lgkmcnt(10)
	v_add_f64 v[112:113], v[64:65], v[104:105]
	v_add_f64 v[114:115], v[66:67], v[106:107]
	v_cvt_f32_f64_e32 v125, v[125:126]
	v_cvt_f32_f64_e32 v122, v[122:123]
	v_add_nc_u32_e32 v123, 64, v144
	v_min3_f32 v116, v116, v117, v210
	v_min_f32_e32 v117, v118, v119
	v_cvt_f32_f64_e32 v126, v[112:113]
	v_cvt_f32_f64_e32 v127, v[114:115]
	v_mad_i64_i32 v[112:113], null, v123, s6, 0
	v_min3_f32 v114, v124, v117, v116
	v_min3_f32 v116, v125, v122, v211
	v_cvt_f64_f32_e32 v[118:119], v114
	v_mad_i64_i32 v[114:115], null, v123, s1, 0
	v_lshlrev_b64 v[112:113], 3, v[112:113]
	v_add_co_u32 v112, vcc_lo, s4, v112
	v_lshlrev_b64 v[114:115], 3, v[114:115]
	v_add_co_ci_u32_e64 v113, null, s5, v113, vcc_lo
	v_min3_f32 v116, v126, v127, v116
	v_add_co_u32 v114, vcc_lo, s2, v114
	v_add_co_ci_u32_e64 v115, null, s3, v115, vcc_lo
	v_max_f32_e32 v117, v116, v116
	s_mov_b32 vcc_lo, s0
	global_store_dwordx2 v[120:121], v[118:119], off
	s_cbranch_vccz .LBB168_67
; %bb.66:
	v_min_f32_e32 v116, 0, v117
	v_add_co_u32 v120, vcc_lo, v112, v130
	v_add_co_ci_u32_e64 v121, null, v113, v131, vcc_lo
	v_cvt_f64_f32_e32 v[118:119], v116
	s_mov_b32 s7, 0
	global_store_dwordx2 v[120:121], v[118:119], off
.LBB168_67:
	v_mov_b32_e32 v116, 0
	s_andn2_b32 vcc_lo, exec_lo, s7
	s_cbranch_vccnz .LBB168_69
; %bb.68:
	v_add_co_u32 v118, vcc_lo, v114, v130
	v_add_co_ci_u32_e64 v119, null, v115, v131, vcc_lo
	global_load_dwordx2 v[118:119], v[118:119], off
	s_waitcnt vmcnt(0)
	v_mul_f64 v[118:119], s[12:13], v[118:119]
	v_cvt_f32_f64_e32 v116, v[118:119]
	v_add_co_u32 v118, vcc_lo, v112, v130
	v_add_co_ci_u32_e64 v119, null, v113, v131, vcc_lo
	v_add_co_u32 v120, vcc_lo, v114, v128
	v_add_co_ci_u32_e64 v121, null, v115, v129, vcc_lo
	v_min_f32_e32 v116, v116, v117
	v_cvt_f64_f32_e32 v[116:117], v116
	global_store_dwordx2 v[118:119], v[116:117], off
	global_load_dwordx2 v[116:117], v[120:121], off
	s_waitcnt vmcnt(0)
	v_mul_f64 v[116:117], s[12:13], v[116:117]
	v_cvt_f32_f64_e32 v116, v[116:117]
.LBB168_69:
	v_add_f64 v[117:118], v[60:61], v[108:109]
	v_add_f64 v[119:120], v[62:63], v[110:111]
	v_add_f64 v[121:122], v[52:53], v[104:105]
	v_add_f64 v[123:124], v[54:55], v[106:107]
	v_add_f64 v[125:126], v[50:51], v[110:111]
	v_add_f64 v[145:146], v[48:49], v[108:109]
	v_add_f64 v[147:148], v[36:37], v[104:105]
	s_mov_b32 s7, -1
	v_cvt_f32_f64_e32 v127, v[117:118]
	v_cvt_f32_f64_e32 v119, v[119:120]
	v_cvt_f32_f64_e32 v120, v[121:122]
	v_cvt_f32_f64_e32 v121, v[123:124]
	v_add_f64 v[117:118], v[38:39], v[106:107]
	v_cvt_f32_f64_e32 v122, v[145:146]
	v_cvt_f32_f64_e32 v123, v[125:126]
	v_cvt_f32_f64_e32 v124, v[147:148]
	v_min3_f32 v119, v127, v119, v208
	v_min_f32_e32 v120, v120, v121
	v_cvt_f32_f64_e32 v117, v[117:118]
	v_min3_f32 v116, v116, v120, v119
	v_add_co_u32 v120, vcc_lo, v112, v128
	v_add_co_ci_u32_e64 v121, null, v113, v129, vcc_lo
	v_cvt_f64_f32_e32 v[118:119], v116
	v_min3_f32 v116, v122, v123, v209
	s_mov_b32 vcc_lo, s0
	v_min3_f32 v116, v124, v117, v116
	v_max_f32_e32 v117, v116, v116
	global_store_dwordx2 v[120:121], v[118:119], off
	s_cbranch_vccz .LBB168_71
; %bb.70:
	v_min_f32_e32 v116, 0, v117
	v_add_co_u32 v120, vcc_lo, v112, v136
	v_add_co_ci_u32_e64 v121, null, v113, v137, vcc_lo
	v_cvt_f64_f32_e32 v[118:119], v116
	s_mov_b32 s7, 0
	global_store_dwordx2 v[120:121], v[118:119], off
.LBB168_71:
	v_mov_b32_e32 v116, 0
	s_andn2_b32 vcc_lo, exec_lo, s7
	s_cbranch_vccnz .LBB168_73
; %bb.72:
	v_add_co_u32 v118, vcc_lo, v114, v136
	v_add_co_ci_u32_e64 v119, null, v115, v137, vcc_lo
	global_load_dwordx2 v[118:119], v[118:119], off
	s_waitcnt vmcnt(0)
	v_mul_f64 v[118:119], s[12:13], v[118:119]
	v_cvt_f32_f64_e32 v116, v[118:119]
	v_add_co_u32 v118, vcc_lo, v112, v136
	v_add_co_ci_u32_e64 v119, null, v113, v137, vcc_lo
	v_add_co_u32 v120, vcc_lo, v114, v132
	v_add_co_ci_u32_e64 v121, null, v115, v133, vcc_lo
	v_min_f32_e32 v116, v116, v117
	v_cvt_f64_f32_e32 v[116:117], v116
	global_store_dwordx2 v[118:119], v[116:117], off
	global_load_dwordx2 v[116:117], v[120:121], off
	s_waitcnt vmcnt(0)
	v_mul_f64 v[116:117], s[12:13], v[116:117]
	v_cvt_f32_f64_e32 v116, v[116:117]
.LBB168_73:
	v_add_f64 v[117:118], v[56:57], v[108:109]
	v_add_f64 v[119:120], v[58:59], v[110:111]
	v_add_f64 v[121:122], v[44:45], v[104:105]
	v_add_f64 v[123:124], v[46:47], v[106:107]
	v_add_f64 v[125:126], v[42:43], v[110:111]
	v_add_f64 v[145:146], v[40:41], v[108:109]
	v_add_f64 v[147:148], v[32:33], v[104:105]
	s_mov_b32 s7, -1
	v_cvt_f32_f64_e32 v127, v[117:118]
	v_cvt_f32_f64_e32 v119, v[119:120]
	v_cvt_f32_f64_e32 v120, v[121:122]
	v_cvt_f32_f64_e32 v121, v[123:124]
	v_add_f64 v[117:118], v[34:35], v[106:107]
	v_cvt_f32_f64_e32 v122, v[145:146]
	v_cvt_f32_f64_e32 v123, v[125:126]
	v_cvt_f32_f64_e32 v124, v[147:148]
	v_min3_f32 v119, v127, v119, v206
	v_min_f32_e32 v120, v120, v121
	v_cvt_f32_f64_e32 v117, v[117:118]
	v_min3_f32 v116, v116, v120, v119
	v_add_co_u32 v120, vcc_lo, v112, v132
	v_add_co_ci_u32_e64 v121, null, v113, v133, vcc_lo
	v_cvt_f64_f32_e32 v[118:119], v116
	v_min3_f32 v116, v122, v123, v207
	s_mov_b32 vcc_lo, s0
	v_min3_f32 v116, v124, v117, v116
	v_max_f32_e32 v117, v116, v116
	;; [unrolled: 59-line block ×3, first 2 shown]
	global_store_dwordx2 v[120:121], v[118:119], off
	s_cbranch_vccz .LBB168_79
; %bb.78:
	v_min_f32_e32 v116, 0, v117
	v_add_co_u32 v120, vcc_lo, v112, v142
	v_add_co_ci_u32_e64 v121, null, v113, v143, vcc_lo
	v_cvt_f64_f32_e32 v[118:119], v116
	s_mov_b32 s7, 0
	global_store_dwordx2 v[120:121], v[118:119], off
.LBB168_79:
	v_mov_b32_e32 v116, 0
	s_andn2_b32 vcc_lo, exec_lo, s7
	s_cbranch_vccnz .LBB168_81
; %bb.80:
	v_add_co_u32 v118, vcc_lo, v114, v142
	v_add_co_ci_u32_e64 v119, null, v115, v143, vcc_lo
	global_load_dwordx2 v[118:119], v[118:119], off
	s_waitcnt vmcnt(0)
	v_mul_f64 v[118:119], s[12:13], v[118:119]
	v_cvt_f32_f64_e32 v116, v[118:119]
	v_add_co_u32 v118, vcc_lo, v112, v142
	v_add_co_ci_u32_e64 v119, null, v113, v143, vcc_lo
	v_add_co_u32 v114, vcc_lo, v114, v138
	v_add_co_ci_u32_e64 v115, null, v115, v139, vcc_lo
	v_min_f32_e32 v116, v116, v117
	v_cvt_f64_f32_e32 v[116:117], v116
	global_store_dwordx2 v[118:119], v[116:117], off
	global_load_dwordx2 v[114:115], v[114:115], off
	s_waitcnt vmcnt(0)
	v_mul_f64 v[114:115], s[12:13], v[114:115]
	v_cvt_f32_f64_e32 v116, v[114:115]
.LBB168_81:
	v_add_f64 v[108:109], v[0:1], v[108:109]
	v_add_f64 v[110:111], v[2:3], v[110:111]
	;; [unrolled: 1-line block ×4, first 2 shown]
	s_waitcnt lgkmcnt(9)
	v_add_f64 v[114:115], v[70:71], v[102:103]
	v_add_f64 v[117:118], v[68:69], v[100:101]
	v_add_co_u32 v112, vcc_lo, v112, v138
	v_add_co_ci_u32_e64 v113, null, v113, v139, vcc_lo
	s_mov_b32 s7, -1
	v_cvt_f32_f64_e32 v108, v[108:109]
	v_cvt_f32_f64_e32 v109, v[110:111]
	;; [unrolled: 1-line block ×4, first 2 shown]
	s_waitcnt lgkmcnt(8)
	v_add_f64 v[104:105], v[64:65], v[96:97]
	v_add_f64 v[106:107], v[66:67], v[98:99]
	v_cvt_f32_f64_e32 v117, v[117:118]
	v_cvt_f32_f64_e32 v114, v[114:115]
	v_add_nc_u32_e32 v115, 0x60, v144
	v_min3_f32 v108, v108, v109, v202
	v_min_f32_e32 v109, v110, v111
	v_cvt_f32_f64_e32 v118, v[104:105]
	v_cvt_f32_f64_e32 v119, v[106:107]
	v_mad_i64_i32 v[104:105], null, v115, s6, 0
	v_min3_f32 v106, v116, v109, v108
	v_min3_f32 v108, v117, v114, v203
	v_cvt_f64_f32_e32 v[110:111], v106
	v_mad_i64_i32 v[106:107], null, v115, s1, 0
	v_lshlrev_b64 v[104:105], 3, v[104:105]
	v_add_co_u32 v104, vcc_lo, s4, v104
	v_lshlrev_b64 v[106:107], 3, v[106:107]
	v_add_co_ci_u32_e64 v105, null, s5, v105, vcc_lo
	v_min3_f32 v108, v118, v119, v108
	v_add_co_u32 v106, vcc_lo, s2, v106
	v_add_co_ci_u32_e64 v107, null, s3, v107, vcc_lo
	v_max_f32_e32 v109, v108, v108
	s_mov_b32 vcc_lo, s0
	global_store_dwordx2 v[112:113], v[110:111], off
	s_cbranch_vccz .LBB168_83
; %bb.82:
	v_min_f32_e32 v108, 0, v109
	v_add_co_u32 v112, vcc_lo, v104, v130
	v_add_co_ci_u32_e64 v113, null, v105, v131, vcc_lo
	v_cvt_f64_f32_e32 v[110:111], v108
	s_mov_b32 s7, 0
	global_store_dwordx2 v[112:113], v[110:111], off
.LBB168_83:
	v_mov_b32_e32 v108, 0
	s_andn2_b32 vcc_lo, exec_lo, s7
	s_cbranch_vccnz .LBB168_85
; %bb.84:
	v_add_co_u32 v110, vcc_lo, v106, v130
	v_add_co_ci_u32_e64 v111, null, v107, v131, vcc_lo
	global_load_dwordx2 v[110:111], v[110:111], off
	s_waitcnt vmcnt(0)
	v_mul_f64 v[110:111], s[12:13], v[110:111]
	v_cvt_f32_f64_e32 v108, v[110:111]
	v_add_co_u32 v110, vcc_lo, v104, v130
	v_add_co_ci_u32_e64 v111, null, v105, v131, vcc_lo
	v_add_co_u32 v112, vcc_lo, v106, v128
	v_add_co_ci_u32_e64 v113, null, v107, v129, vcc_lo
	v_min_f32_e32 v108, v108, v109
	v_cvt_f64_f32_e32 v[108:109], v108
	global_store_dwordx2 v[110:111], v[108:109], off
	global_load_dwordx2 v[108:109], v[112:113], off
	s_waitcnt vmcnt(0)
	v_mul_f64 v[108:109], s[12:13], v[108:109]
	v_cvt_f32_f64_e32 v108, v[108:109]
.LBB168_85:
	v_add_f64 v[109:110], v[60:61], v[100:101]
	v_add_f64 v[111:112], v[62:63], v[102:103]
	v_add_f64 v[113:114], v[52:53], v[96:97]
	v_add_f64 v[115:116], v[54:55], v[98:99]
	v_add_f64 v[117:118], v[50:51], v[102:103]
	v_add_f64 v[119:120], v[48:49], v[100:101]
	v_add_f64 v[121:122], v[36:37], v[96:97]
	s_mov_b32 s7, -1
	v_cvt_f32_f64_e32 v123, v[109:110]
	v_cvt_f32_f64_e32 v111, v[111:112]
	v_cvt_f32_f64_e32 v112, v[113:114]
	v_cvt_f32_f64_e32 v113, v[115:116]
	v_add_f64 v[109:110], v[38:39], v[98:99]
	v_cvt_f32_f64_e32 v114, v[119:120]
	v_cvt_f32_f64_e32 v115, v[117:118]
	v_cvt_f32_f64_e32 v116, v[121:122]
	v_min3_f32 v111, v123, v111, v200
	v_min_f32_e32 v112, v112, v113
	v_cvt_f32_f64_e32 v109, v[109:110]
	v_min3_f32 v108, v108, v112, v111
	v_add_co_u32 v112, vcc_lo, v104, v128
	v_add_co_ci_u32_e64 v113, null, v105, v129, vcc_lo
	v_cvt_f64_f32_e32 v[110:111], v108
	v_min3_f32 v108, v114, v115, v201
	s_mov_b32 vcc_lo, s0
	v_min3_f32 v108, v116, v109, v108
	v_max_f32_e32 v109, v108, v108
	global_store_dwordx2 v[112:113], v[110:111], off
	s_cbranch_vccz .LBB168_87
; %bb.86:
	v_min_f32_e32 v108, 0, v109
	v_add_co_u32 v112, vcc_lo, v104, v136
	v_add_co_ci_u32_e64 v113, null, v105, v137, vcc_lo
	v_cvt_f64_f32_e32 v[110:111], v108
	s_mov_b32 s7, 0
	global_store_dwordx2 v[112:113], v[110:111], off
.LBB168_87:
	v_mov_b32_e32 v108, 0
	s_andn2_b32 vcc_lo, exec_lo, s7
	s_cbranch_vccnz .LBB168_89
; %bb.88:
	v_add_co_u32 v110, vcc_lo, v106, v136
	v_add_co_ci_u32_e64 v111, null, v107, v137, vcc_lo
	global_load_dwordx2 v[110:111], v[110:111], off
	s_waitcnt vmcnt(0)
	v_mul_f64 v[110:111], s[12:13], v[110:111]
	v_cvt_f32_f64_e32 v108, v[110:111]
	v_add_co_u32 v110, vcc_lo, v104, v136
	v_add_co_ci_u32_e64 v111, null, v105, v137, vcc_lo
	v_add_co_u32 v112, vcc_lo, v106, v132
	v_add_co_ci_u32_e64 v113, null, v107, v133, vcc_lo
	v_min_f32_e32 v108, v108, v109
	v_cvt_f64_f32_e32 v[108:109], v108
	global_store_dwordx2 v[110:111], v[108:109], off
	global_load_dwordx2 v[108:109], v[112:113], off
	s_waitcnt vmcnt(0)
	v_mul_f64 v[108:109], s[12:13], v[108:109]
	v_cvt_f32_f64_e32 v108, v[108:109]
.LBB168_89:
	v_add_f64 v[109:110], v[56:57], v[100:101]
	v_add_f64 v[111:112], v[58:59], v[102:103]
	v_add_f64 v[113:114], v[44:45], v[96:97]
	v_add_f64 v[115:116], v[46:47], v[98:99]
	v_add_f64 v[117:118], v[42:43], v[102:103]
	v_add_f64 v[119:120], v[40:41], v[100:101]
	v_add_f64 v[121:122], v[32:33], v[96:97]
	s_mov_b32 s7, -1
	v_cvt_f32_f64_e32 v123, v[109:110]
	v_cvt_f32_f64_e32 v111, v[111:112]
	v_cvt_f32_f64_e32 v112, v[113:114]
	v_cvt_f32_f64_e32 v113, v[115:116]
	v_add_f64 v[109:110], v[34:35], v[98:99]
	v_cvt_f32_f64_e32 v114, v[119:120]
	v_cvt_f32_f64_e32 v115, v[117:118]
	v_cvt_f32_f64_e32 v116, v[121:122]
	v_min3_f32 v111, v123, v111, v199
	v_min_f32_e32 v112, v112, v113
	v_cvt_f32_f64_e32 v109, v[109:110]
	v_min3_f32 v108, v108, v112, v111
	v_add_co_u32 v112, vcc_lo, v104, v132
	v_add_co_ci_u32_e64 v113, null, v105, v133, vcc_lo
	v_cvt_f64_f32_e32 v[110:111], v108
	v_min3_f32 v108, v114, v115, v198
	s_mov_b32 vcc_lo, s0
	v_min3_f32 v108, v116, v109, v108
	v_max_f32_e32 v109, v108, v108
	;; [unrolled: 59-line block ×3, first 2 shown]
	global_store_dwordx2 v[112:113], v[110:111], off
	s_cbranch_vccz .LBB168_95
; %bb.94:
	v_min_f32_e32 v108, 0, v109
	v_add_co_u32 v112, vcc_lo, v104, v142
	v_add_co_ci_u32_e64 v113, null, v105, v143, vcc_lo
	v_cvt_f64_f32_e32 v[110:111], v108
	s_mov_b32 s7, 0
	global_store_dwordx2 v[112:113], v[110:111], off
.LBB168_95:
	v_mov_b32_e32 v108, 0
	s_andn2_b32 vcc_lo, exec_lo, s7
	s_cbranch_vccnz .LBB168_97
; %bb.96:
	v_add_co_u32 v110, vcc_lo, v106, v142
	v_add_co_ci_u32_e64 v111, null, v107, v143, vcc_lo
	global_load_dwordx2 v[110:111], v[110:111], off
	s_waitcnt vmcnt(0)
	v_mul_f64 v[110:111], s[12:13], v[110:111]
	v_cvt_f32_f64_e32 v108, v[110:111]
	v_add_co_u32 v110, vcc_lo, v104, v142
	v_add_co_ci_u32_e64 v111, null, v105, v143, vcc_lo
	v_add_co_u32 v106, vcc_lo, v106, v138
	v_add_co_ci_u32_e64 v107, null, v107, v139, vcc_lo
	v_min_f32_e32 v108, v108, v109
	v_cvt_f64_f32_e32 v[108:109], v108
	global_store_dwordx2 v[110:111], v[108:109], off
	global_load_dwordx2 v[106:107], v[106:107], off
	s_waitcnt vmcnt(0)
	v_mul_f64 v[106:107], s[12:13], v[106:107]
	v_cvt_f32_f64_e32 v108, v[106:107]
.LBB168_97:
	v_add_f64 v[100:101], v[0:1], v[100:101]
	v_add_f64 v[102:103], v[2:3], v[102:103]
	;; [unrolled: 1-line block ×4, first 2 shown]
	s_waitcnt lgkmcnt(7)
	v_add_f64 v[106:107], v[70:71], v[94:95]
	v_add_f64 v[109:110], v[68:69], v[92:93]
	v_add_co_u32 v104, vcc_lo, v104, v138
	v_add_co_ci_u32_e64 v105, null, v105, v139, vcc_lo
	s_mov_b32 s7, -1
	v_cvt_f32_f64_e32 v100, v[100:101]
	v_cvt_f32_f64_e32 v101, v[102:103]
	;; [unrolled: 1-line block ×4, first 2 shown]
	s_waitcnt lgkmcnt(6)
	v_add_f64 v[96:97], v[64:65], v[88:89]
	v_add_f64 v[98:99], v[66:67], v[90:91]
	v_cvt_f32_f64_e32 v109, v[109:110]
	v_cvt_f32_f64_e32 v106, v[106:107]
	v_add_nc_u32_e32 v107, 0x80, v144
	v_min3_f32 v100, v100, v101, v194
	v_min_f32_e32 v101, v102, v103
	v_cvt_f32_f64_e32 v110, v[96:97]
	v_cvt_f32_f64_e32 v111, v[98:99]
	v_mad_i64_i32 v[96:97], null, v107, s6, 0
	v_min3_f32 v98, v108, v101, v100
	v_min3_f32 v100, v109, v106, v195
	v_cvt_f64_f32_e32 v[102:103], v98
	v_mad_i64_i32 v[98:99], null, v107, s1, 0
	v_lshlrev_b64 v[96:97], 3, v[96:97]
	v_add_co_u32 v96, vcc_lo, s4, v96
	v_lshlrev_b64 v[98:99], 3, v[98:99]
	v_add_co_ci_u32_e64 v97, null, s5, v97, vcc_lo
	v_min3_f32 v100, v110, v111, v100
	v_add_co_u32 v98, vcc_lo, s2, v98
	v_add_co_ci_u32_e64 v99, null, s3, v99, vcc_lo
	v_max_f32_e32 v101, v100, v100
	s_mov_b32 vcc_lo, s0
	global_store_dwordx2 v[104:105], v[102:103], off
	s_cbranch_vccz .LBB168_99
; %bb.98:
	v_min_f32_e32 v100, 0, v101
	v_add_co_u32 v104, vcc_lo, v96, v130
	v_add_co_ci_u32_e64 v105, null, v97, v131, vcc_lo
	v_cvt_f64_f32_e32 v[102:103], v100
	s_mov_b32 s7, 0
	global_store_dwordx2 v[104:105], v[102:103], off
.LBB168_99:
	v_mov_b32_e32 v100, 0
	s_andn2_b32 vcc_lo, exec_lo, s7
	s_cbranch_vccnz .LBB168_101
; %bb.100:
	v_add_co_u32 v102, vcc_lo, v98, v130
	v_add_co_ci_u32_e64 v103, null, v99, v131, vcc_lo
	global_load_dwordx2 v[102:103], v[102:103], off
	s_waitcnt vmcnt(0)
	v_mul_f64 v[102:103], s[12:13], v[102:103]
	v_cvt_f32_f64_e32 v100, v[102:103]
	v_add_co_u32 v102, vcc_lo, v96, v130
	v_add_co_ci_u32_e64 v103, null, v97, v131, vcc_lo
	v_add_co_u32 v104, vcc_lo, v98, v128
	v_add_co_ci_u32_e64 v105, null, v99, v129, vcc_lo
	v_min_f32_e32 v100, v100, v101
	v_cvt_f64_f32_e32 v[100:101], v100
	global_store_dwordx2 v[102:103], v[100:101], off
	global_load_dwordx2 v[100:101], v[104:105], off
	s_waitcnt vmcnt(0)
	v_mul_f64 v[100:101], s[12:13], v[100:101]
	v_cvt_f32_f64_e32 v100, v[100:101]
.LBB168_101:
	v_add_f64 v[101:102], v[60:61], v[92:93]
	v_add_f64 v[103:104], v[62:63], v[94:95]
	v_add_f64 v[105:106], v[52:53], v[88:89]
	v_add_f64 v[107:108], v[54:55], v[90:91]
	v_add_f64 v[109:110], v[50:51], v[94:95]
	v_add_f64 v[111:112], v[48:49], v[92:93]
	v_add_f64 v[113:114], v[36:37], v[88:89]
	s_mov_b32 s7, -1
	v_cvt_f32_f64_e32 v115, v[101:102]
	v_cvt_f32_f64_e32 v103, v[103:104]
	v_cvt_f32_f64_e32 v104, v[105:106]
	v_cvt_f32_f64_e32 v105, v[107:108]
	v_add_f64 v[101:102], v[38:39], v[90:91]
	v_cvt_f32_f64_e32 v106, v[111:112]
	v_cvt_f32_f64_e32 v107, v[109:110]
	v_cvt_f32_f64_e32 v108, v[113:114]
	v_min3_f32 v103, v115, v103, v192
	v_min_f32_e32 v104, v104, v105
	v_cvt_f32_f64_e32 v101, v[101:102]
	v_min3_f32 v100, v100, v104, v103
	v_add_co_u32 v104, vcc_lo, v96, v128
	v_add_co_ci_u32_e64 v105, null, v97, v129, vcc_lo
	v_cvt_f64_f32_e32 v[102:103], v100
	v_min3_f32 v100, v106, v107, v193
	s_mov_b32 vcc_lo, s0
	v_min3_f32 v100, v108, v101, v100
	v_max_f32_e32 v101, v100, v100
	global_store_dwordx2 v[104:105], v[102:103], off
	s_cbranch_vccz .LBB168_103
; %bb.102:
	v_min_f32_e32 v100, 0, v101
	v_add_co_u32 v104, vcc_lo, v96, v136
	v_add_co_ci_u32_e64 v105, null, v97, v137, vcc_lo
	v_cvt_f64_f32_e32 v[102:103], v100
	s_mov_b32 s7, 0
	global_store_dwordx2 v[104:105], v[102:103], off
.LBB168_103:
	v_mov_b32_e32 v100, 0
	s_andn2_b32 vcc_lo, exec_lo, s7
	s_cbranch_vccnz .LBB168_105
; %bb.104:
	v_add_co_u32 v102, vcc_lo, v98, v136
	v_add_co_ci_u32_e64 v103, null, v99, v137, vcc_lo
	global_load_dwordx2 v[102:103], v[102:103], off
	s_waitcnt vmcnt(0)
	v_mul_f64 v[102:103], s[12:13], v[102:103]
	v_cvt_f32_f64_e32 v100, v[102:103]
	v_add_co_u32 v102, vcc_lo, v96, v136
	v_add_co_ci_u32_e64 v103, null, v97, v137, vcc_lo
	v_add_co_u32 v104, vcc_lo, v98, v132
	v_add_co_ci_u32_e64 v105, null, v99, v133, vcc_lo
	v_min_f32_e32 v100, v100, v101
	v_cvt_f64_f32_e32 v[100:101], v100
	global_store_dwordx2 v[102:103], v[100:101], off
	global_load_dwordx2 v[100:101], v[104:105], off
	s_waitcnt vmcnt(0)
	v_mul_f64 v[100:101], s[12:13], v[100:101]
	v_cvt_f32_f64_e32 v100, v[100:101]
.LBB168_105:
	v_add_f64 v[101:102], v[56:57], v[92:93]
	v_add_f64 v[103:104], v[58:59], v[94:95]
	v_add_f64 v[105:106], v[44:45], v[88:89]
	v_add_f64 v[107:108], v[46:47], v[90:91]
	v_add_f64 v[109:110], v[42:43], v[94:95]
	v_add_f64 v[111:112], v[40:41], v[92:93]
	v_add_f64 v[113:114], v[32:33], v[88:89]
	s_mov_b32 s7, -1
	v_cvt_f32_f64_e32 v115, v[101:102]
	v_cvt_f32_f64_e32 v103, v[103:104]
	v_cvt_f32_f64_e32 v104, v[105:106]
	v_cvt_f32_f64_e32 v105, v[107:108]
	v_add_f64 v[101:102], v[34:35], v[90:91]
	v_cvt_f32_f64_e32 v106, v[111:112]
	v_cvt_f32_f64_e32 v107, v[109:110]
	v_cvt_f32_f64_e32 v108, v[113:114]
	v_min3_f32 v103, v115, v103, v190
	v_min_f32_e32 v104, v104, v105
	v_cvt_f32_f64_e32 v101, v[101:102]
	v_min3_f32 v100, v100, v104, v103
	v_add_co_u32 v104, vcc_lo, v96, v132
	v_add_co_ci_u32_e64 v105, null, v97, v133, vcc_lo
	v_cvt_f64_f32_e32 v[102:103], v100
	v_min3_f32 v100, v106, v107, v191
	s_mov_b32 vcc_lo, s0
	v_min3_f32 v100, v108, v101, v100
	v_max_f32_e32 v101, v100, v100
	;; [unrolled: 59-line block ×3, first 2 shown]
	global_store_dwordx2 v[104:105], v[102:103], off
	s_cbranch_vccz .LBB168_111
; %bb.110:
	v_min_f32_e32 v100, 0, v101
	v_add_co_u32 v104, vcc_lo, v96, v142
	v_add_co_ci_u32_e64 v105, null, v97, v143, vcc_lo
	v_cvt_f64_f32_e32 v[102:103], v100
	s_mov_b32 s7, 0
	global_store_dwordx2 v[104:105], v[102:103], off
.LBB168_111:
	v_mov_b32_e32 v100, 0
	s_andn2_b32 vcc_lo, exec_lo, s7
	s_cbranch_vccnz .LBB168_113
; %bb.112:
	v_add_co_u32 v102, vcc_lo, v98, v142
	v_add_co_ci_u32_e64 v103, null, v99, v143, vcc_lo
	global_load_dwordx2 v[102:103], v[102:103], off
	s_waitcnt vmcnt(0)
	v_mul_f64 v[102:103], s[12:13], v[102:103]
	v_cvt_f32_f64_e32 v100, v[102:103]
	v_add_co_u32 v102, vcc_lo, v96, v142
	v_add_co_ci_u32_e64 v103, null, v97, v143, vcc_lo
	v_add_co_u32 v98, vcc_lo, v98, v138
	v_add_co_ci_u32_e64 v99, null, v99, v139, vcc_lo
	v_min_f32_e32 v100, v100, v101
	v_cvt_f64_f32_e32 v[100:101], v100
	global_store_dwordx2 v[102:103], v[100:101], off
	global_load_dwordx2 v[98:99], v[98:99], off
	s_waitcnt vmcnt(0)
	v_mul_f64 v[98:99], s[12:13], v[98:99]
	v_cvt_f32_f64_e32 v100, v[98:99]
.LBB168_113:
	v_add_f64 v[92:93], v[0:1], v[92:93]
	v_add_f64 v[94:95], v[2:3], v[94:95]
	;; [unrolled: 1-line block ×4, first 2 shown]
	s_waitcnt lgkmcnt(5)
	v_add_f64 v[98:99], v[70:71], v[86:87]
	v_add_f64 v[101:102], v[68:69], v[84:85]
	v_add_co_u32 v96, vcc_lo, v96, v138
	v_add_co_ci_u32_e64 v97, null, v97, v139, vcc_lo
	s_mov_b32 s7, -1
	v_cvt_f32_f64_e32 v92, v[92:93]
	v_cvt_f32_f64_e32 v93, v[94:95]
	;; [unrolled: 1-line block ×4, first 2 shown]
	s_waitcnt lgkmcnt(4)
	v_add_f64 v[88:89], v[64:65], v[80:81]
	v_add_f64 v[90:91], v[66:67], v[82:83]
	v_cvt_f32_f64_e32 v101, v[101:102]
	v_cvt_f32_f64_e32 v98, v[98:99]
	v_add_nc_u32_e32 v99, 0xa0, v144
	v_min3_f32 v92, v92, v93, v186
	v_min_f32_e32 v93, v94, v95
	v_cvt_f32_f64_e32 v102, v[88:89]
	v_cvt_f32_f64_e32 v103, v[90:91]
	v_mad_i64_i32 v[88:89], null, v99, s6, 0
	v_min3_f32 v90, v100, v93, v92
	v_min3_f32 v92, v101, v98, v187
	v_cvt_f64_f32_e32 v[94:95], v90
	v_mad_i64_i32 v[90:91], null, v99, s1, 0
	v_lshlrev_b64 v[88:89], 3, v[88:89]
	v_add_co_u32 v88, vcc_lo, s4, v88
	v_lshlrev_b64 v[90:91], 3, v[90:91]
	v_add_co_ci_u32_e64 v89, null, s5, v89, vcc_lo
	v_min3_f32 v92, v102, v103, v92
	v_add_co_u32 v90, vcc_lo, s2, v90
	v_add_co_ci_u32_e64 v91, null, s3, v91, vcc_lo
	v_max_f32_e32 v93, v92, v92
	s_mov_b32 vcc_lo, s0
	global_store_dwordx2 v[96:97], v[94:95], off
	s_cbranch_vccz .LBB168_115
; %bb.114:
	v_min_f32_e32 v92, 0, v93
	v_add_co_u32 v96, vcc_lo, v88, v130
	v_add_co_ci_u32_e64 v97, null, v89, v131, vcc_lo
	v_cvt_f64_f32_e32 v[94:95], v92
	s_mov_b32 s7, 0
	global_store_dwordx2 v[96:97], v[94:95], off
.LBB168_115:
	v_mov_b32_e32 v92, 0
	s_andn2_b32 vcc_lo, exec_lo, s7
	s_cbranch_vccnz .LBB168_117
; %bb.116:
	v_add_co_u32 v94, vcc_lo, v90, v130
	v_add_co_ci_u32_e64 v95, null, v91, v131, vcc_lo
	global_load_dwordx2 v[94:95], v[94:95], off
	s_waitcnt vmcnt(0)
	v_mul_f64 v[94:95], s[12:13], v[94:95]
	v_cvt_f32_f64_e32 v92, v[94:95]
	v_add_co_u32 v94, vcc_lo, v88, v130
	v_add_co_ci_u32_e64 v95, null, v89, v131, vcc_lo
	v_add_co_u32 v96, vcc_lo, v90, v128
	v_add_co_ci_u32_e64 v97, null, v91, v129, vcc_lo
	v_min_f32_e32 v92, v92, v93
	v_cvt_f64_f32_e32 v[92:93], v92
	global_store_dwordx2 v[94:95], v[92:93], off
	global_load_dwordx2 v[92:93], v[96:97], off
	s_waitcnt vmcnt(0)
	v_mul_f64 v[92:93], s[12:13], v[92:93]
	v_cvt_f32_f64_e32 v92, v[92:93]
.LBB168_117:
	v_add_f64 v[93:94], v[60:61], v[84:85]
	v_add_f64 v[95:96], v[62:63], v[86:87]
	v_add_f64 v[97:98], v[52:53], v[80:81]
	v_add_f64 v[99:100], v[54:55], v[82:83]
	v_add_f64 v[101:102], v[50:51], v[86:87]
	v_add_f64 v[103:104], v[48:49], v[84:85]
	v_add_f64 v[105:106], v[36:37], v[80:81]
	s_mov_b32 s7, -1
	v_cvt_f32_f64_e32 v107, v[93:94]
	v_cvt_f32_f64_e32 v95, v[95:96]
	v_cvt_f32_f64_e32 v96, v[97:98]
	v_cvt_f32_f64_e32 v97, v[99:100]
	v_add_f64 v[93:94], v[38:39], v[82:83]
	v_cvt_f32_f64_e32 v98, v[103:104]
	v_cvt_f32_f64_e32 v99, v[101:102]
	v_cvt_f32_f64_e32 v100, v[105:106]
	v_min3_f32 v95, v107, v95, v184
	v_min_f32_e32 v96, v96, v97
	v_cvt_f32_f64_e32 v93, v[93:94]
	v_min3_f32 v92, v92, v96, v95
	v_add_co_u32 v96, vcc_lo, v88, v128
	v_add_co_ci_u32_e64 v97, null, v89, v129, vcc_lo
	v_cvt_f64_f32_e32 v[94:95], v92
	v_min3_f32 v92, v98, v99, v185
	s_mov_b32 vcc_lo, s0
	v_min3_f32 v92, v100, v93, v92
	v_max_f32_e32 v93, v92, v92
	global_store_dwordx2 v[96:97], v[94:95], off
	s_cbranch_vccz .LBB168_119
; %bb.118:
	v_min_f32_e32 v92, 0, v93
	v_add_co_u32 v96, vcc_lo, v88, v136
	v_add_co_ci_u32_e64 v97, null, v89, v137, vcc_lo
	v_cvt_f64_f32_e32 v[94:95], v92
	s_mov_b32 s7, 0
	global_store_dwordx2 v[96:97], v[94:95], off
.LBB168_119:
	v_mov_b32_e32 v92, 0
	s_andn2_b32 vcc_lo, exec_lo, s7
	s_cbranch_vccnz .LBB168_121
; %bb.120:
	v_add_co_u32 v94, vcc_lo, v90, v136
	v_add_co_ci_u32_e64 v95, null, v91, v137, vcc_lo
	global_load_dwordx2 v[94:95], v[94:95], off
	s_waitcnt vmcnt(0)
	v_mul_f64 v[94:95], s[12:13], v[94:95]
	v_cvt_f32_f64_e32 v92, v[94:95]
	v_add_co_u32 v94, vcc_lo, v88, v136
	v_add_co_ci_u32_e64 v95, null, v89, v137, vcc_lo
	v_add_co_u32 v96, vcc_lo, v90, v132
	v_add_co_ci_u32_e64 v97, null, v91, v133, vcc_lo
	v_min_f32_e32 v92, v92, v93
	v_cvt_f64_f32_e32 v[92:93], v92
	global_store_dwordx2 v[94:95], v[92:93], off
	global_load_dwordx2 v[92:93], v[96:97], off
	s_waitcnt vmcnt(0)
	v_mul_f64 v[92:93], s[12:13], v[92:93]
	v_cvt_f32_f64_e32 v92, v[92:93]
.LBB168_121:
	v_add_f64 v[93:94], v[56:57], v[84:85]
	v_add_f64 v[95:96], v[58:59], v[86:87]
	v_add_f64 v[97:98], v[44:45], v[80:81]
	v_add_f64 v[99:100], v[46:47], v[82:83]
	v_add_f64 v[101:102], v[42:43], v[86:87]
	v_add_f64 v[103:104], v[40:41], v[84:85]
	v_add_f64 v[105:106], v[32:33], v[80:81]
	s_mov_b32 s7, -1
	v_cvt_f32_f64_e32 v107, v[93:94]
	v_cvt_f32_f64_e32 v95, v[95:96]
	v_cvt_f32_f64_e32 v96, v[97:98]
	v_cvt_f32_f64_e32 v97, v[99:100]
	v_add_f64 v[93:94], v[34:35], v[82:83]
	v_cvt_f32_f64_e32 v98, v[103:104]
	v_cvt_f32_f64_e32 v99, v[101:102]
	v_cvt_f32_f64_e32 v100, v[105:106]
	v_min3_f32 v95, v107, v95, v182
	v_min_f32_e32 v96, v96, v97
	v_cvt_f32_f64_e32 v93, v[93:94]
	v_min3_f32 v92, v92, v96, v95
	v_add_co_u32 v96, vcc_lo, v88, v132
	v_add_co_ci_u32_e64 v97, null, v89, v133, vcc_lo
	v_cvt_f64_f32_e32 v[94:95], v92
	v_min3_f32 v92, v98, v99, v183
	s_mov_b32 vcc_lo, s0
	v_min3_f32 v92, v100, v93, v92
	v_max_f32_e32 v93, v92, v92
	;; [unrolled: 59-line block ×3, first 2 shown]
	global_store_dwordx2 v[96:97], v[94:95], off
	s_cbranch_vccz .LBB168_127
; %bb.126:
	v_min_f32_e32 v92, 0, v93
	v_add_co_u32 v96, vcc_lo, v88, v142
	v_add_co_ci_u32_e64 v97, null, v89, v143, vcc_lo
	v_cvt_f64_f32_e32 v[94:95], v92
	s_mov_b32 s7, 0
	global_store_dwordx2 v[96:97], v[94:95], off
.LBB168_127:
	v_mov_b32_e32 v92, 0
	s_andn2_b32 vcc_lo, exec_lo, s7
	s_cbranch_vccnz .LBB168_129
; %bb.128:
	v_add_co_u32 v94, vcc_lo, v90, v142
	v_add_co_ci_u32_e64 v95, null, v91, v143, vcc_lo
	global_load_dwordx2 v[94:95], v[94:95], off
	s_waitcnt vmcnt(0)
	v_mul_f64 v[94:95], s[12:13], v[94:95]
	v_cvt_f32_f64_e32 v92, v[94:95]
	v_add_co_u32 v94, vcc_lo, v88, v142
	v_add_co_ci_u32_e64 v95, null, v89, v143, vcc_lo
	v_add_co_u32 v90, vcc_lo, v90, v138
	v_add_co_ci_u32_e64 v91, null, v91, v139, vcc_lo
	v_min_f32_e32 v92, v92, v93
	v_cvt_f64_f32_e32 v[92:93], v92
	global_store_dwordx2 v[94:95], v[92:93], off
	global_load_dwordx2 v[90:91], v[90:91], off
	s_waitcnt vmcnt(0)
	v_mul_f64 v[90:91], s[12:13], v[90:91]
	v_cvt_f32_f64_e32 v92, v[90:91]
.LBB168_129:
	v_add_f64 v[84:85], v[0:1], v[84:85]
	v_add_f64 v[86:87], v[2:3], v[86:87]
	;; [unrolled: 1-line block ×4, first 2 shown]
	s_waitcnt lgkmcnt(3)
	v_add_f64 v[90:91], v[70:71], v[78:79]
	v_add_f64 v[93:94], v[68:69], v[76:77]
	v_add_co_u32 v88, vcc_lo, v88, v138
	v_add_co_ci_u32_e64 v89, null, v89, v139, vcc_lo
	s_mov_b32 s7, -1
	v_cvt_f32_f64_e32 v84, v[84:85]
	v_cvt_f32_f64_e32 v85, v[86:87]
	;; [unrolled: 1-line block ×4, first 2 shown]
	s_waitcnt lgkmcnt(2)
	v_add_f64 v[80:81], v[64:65], v[72:73]
	v_add_f64 v[82:83], v[66:67], v[74:75]
	v_cvt_f32_f64_e32 v93, v[93:94]
	v_cvt_f32_f64_e32 v90, v[90:91]
	v_add_nc_u32_e32 v91, 0xc0, v144
	v_min3_f32 v84, v84, v85, v170
	v_min_f32_e32 v85, v86, v87
	v_cvt_f32_f64_e32 v94, v[80:81]
	v_cvt_f32_f64_e32 v95, v[82:83]
	v_mad_i64_i32 v[80:81], null, v91, s6, 0
	v_min3_f32 v82, v92, v85, v84
	v_min3_f32 v84, v93, v90, v172
	v_cvt_f64_f32_e32 v[86:87], v82
	v_mad_i64_i32 v[82:83], null, v91, s1, 0
	v_lshlrev_b64 v[80:81], 3, v[80:81]
	v_add_co_u32 v80, vcc_lo, s4, v80
	v_lshlrev_b64 v[82:83], 3, v[82:83]
	v_add_co_ci_u32_e64 v81, null, s5, v81, vcc_lo
	v_min3_f32 v84, v94, v95, v84
	v_add_co_u32 v82, vcc_lo, s2, v82
	v_add_co_ci_u32_e64 v83, null, s3, v83, vcc_lo
	v_max_f32_e32 v85, v84, v84
	s_mov_b32 vcc_lo, s0
	global_store_dwordx2 v[88:89], v[86:87], off
	s_cbranch_vccz .LBB168_131
; %bb.130:
	v_min_f32_e32 v84, 0, v85
	v_add_co_u32 v88, vcc_lo, v80, v130
	v_add_co_ci_u32_e64 v89, null, v81, v131, vcc_lo
	v_cvt_f64_f32_e32 v[86:87], v84
	s_mov_b32 s7, 0
	global_store_dwordx2 v[88:89], v[86:87], off
.LBB168_131:
	v_mov_b32_e32 v84, 0
	s_andn2_b32 vcc_lo, exec_lo, s7
	s_cbranch_vccnz .LBB168_133
; %bb.132:
	v_add_co_u32 v86, vcc_lo, v82, v130
	v_add_co_ci_u32_e64 v87, null, v83, v131, vcc_lo
	global_load_dwordx2 v[86:87], v[86:87], off
	s_waitcnt vmcnt(0)
	v_mul_f64 v[86:87], s[12:13], v[86:87]
	v_cvt_f32_f64_e32 v84, v[86:87]
	v_add_co_u32 v86, vcc_lo, v80, v130
	v_add_co_ci_u32_e64 v87, null, v81, v131, vcc_lo
	v_add_co_u32 v88, vcc_lo, v82, v128
	v_add_co_ci_u32_e64 v89, null, v83, v129, vcc_lo
	v_min_f32_e32 v84, v84, v85
	v_cvt_f64_f32_e32 v[84:85], v84
	global_store_dwordx2 v[86:87], v[84:85], off
	global_load_dwordx2 v[84:85], v[88:89], off
	s_waitcnt vmcnt(0)
	v_mul_f64 v[84:85], s[12:13], v[84:85]
	v_cvt_f32_f64_e32 v84, v[84:85]
.LBB168_133:
	v_add_f64 v[85:86], v[60:61], v[76:77]
	v_add_f64 v[87:88], v[62:63], v[78:79]
	v_add_f64 v[89:90], v[52:53], v[72:73]
	v_add_f64 v[91:92], v[54:55], v[74:75]
	v_add_f64 v[93:94], v[50:51], v[78:79]
	v_add_f64 v[95:96], v[48:49], v[76:77]
	v_add_f64 v[97:98], v[36:37], v[72:73]
	s_mov_b32 s7, -1
	v_cvt_f32_f64_e32 v99, v[85:86]
	v_cvt_f32_f64_e32 v87, v[87:88]
	v_cvt_f32_f64_e32 v88, v[89:90]
	v_cvt_f32_f64_e32 v89, v[91:92]
	v_add_f64 v[85:86], v[38:39], v[74:75]
	v_cvt_f32_f64_e32 v90, v[95:96]
	v_cvt_f32_f64_e32 v91, v[93:94]
	v_cvt_f32_f64_e32 v92, v[97:98]
	v_min3_f32 v87, v99, v87, v164
	v_min_f32_e32 v88, v88, v89
	v_cvt_f32_f64_e32 v85, v[85:86]
	v_min3_f32 v84, v84, v88, v87
	v_add_co_u32 v88, vcc_lo, v80, v128
	v_add_co_ci_u32_e64 v89, null, v81, v129, vcc_lo
	v_cvt_f64_f32_e32 v[86:87], v84
	v_min3_f32 v84, v90, v91, v165
	s_mov_b32 vcc_lo, s0
	v_min3_f32 v84, v92, v85, v84
	v_max_f32_e32 v85, v84, v84
	global_store_dwordx2 v[88:89], v[86:87], off
	s_cbranch_vccz .LBB168_135
; %bb.134:
	v_min_f32_e32 v84, 0, v85
	v_add_co_u32 v88, vcc_lo, v80, v136
	v_add_co_ci_u32_e64 v89, null, v81, v137, vcc_lo
	v_cvt_f64_f32_e32 v[86:87], v84
	s_mov_b32 s7, 0
	global_store_dwordx2 v[88:89], v[86:87], off
.LBB168_135:
	v_mov_b32_e32 v84, 0
	s_andn2_b32 vcc_lo, exec_lo, s7
	s_cbranch_vccnz .LBB168_137
; %bb.136:
	v_add_co_u32 v86, vcc_lo, v82, v136
	v_add_co_ci_u32_e64 v87, null, v83, v137, vcc_lo
	global_load_dwordx2 v[86:87], v[86:87], off
	s_waitcnt vmcnt(0)
	v_mul_f64 v[86:87], s[12:13], v[86:87]
	v_cvt_f32_f64_e32 v84, v[86:87]
	v_add_co_u32 v86, vcc_lo, v80, v136
	v_add_co_ci_u32_e64 v87, null, v81, v137, vcc_lo
	v_add_co_u32 v88, vcc_lo, v82, v132
	v_add_co_ci_u32_e64 v89, null, v83, v133, vcc_lo
	v_min_f32_e32 v84, v84, v85
	v_cvt_f64_f32_e32 v[84:85], v84
	global_store_dwordx2 v[86:87], v[84:85], off
	global_load_dwordx2 v[84:85], v[88:89], off
	s_waitcnt vmcnt(0)
	v_mul_f64 v[84:85], s[12:13], v[84:85]
	v_cvt_f32_f64_e32 v84, v[84:85]
.LBB168_137:
	v_add_f64 v[85:86], v[56:57], v[76:77]
	v_add_f64 v[87:88], v[58:59], v[78:79]
	v_add_f64 v[89:90], v[44:45], v[72:73]
	v_add_f64 v[91:92], v[46:47], v[74:75]
	v_add_f64 v[93:94], v[42:43], v[78:79]
	v_add_f64 v[95:96], v[40:41], v[76:77]
	v_add_f64 v[97:98], v[32:33], v[72:73]
	s_mov_b32 s7, -1
	v_cvt_f32_f64_e32 v99, v[85:86]
	v_cvt_f32_f64_e32 v87, v[87:88]
	v_cvt_f32_f64_e32 v88, v[89:90]
	v_cvt_f32_f64_e32 v89, v[91:92]
	v_add_f64 v[85:86], v[34:35], v[74:75]
	v_cvt_f32_f64_e32 v90, v[95:96]
	v_cvt_f32_f64_e32 v91, v[93:94]
	v_cvt_f32_f64_e32 v92, v[97:98]
	v_min3_f32 v87, v99, v87, v162
	v_min_f32_e32 v88, v88, v89
	v_cvt_f32_f64_e32 v85, v[85:86]
	v_min3_f32 v84, v84, v88, v87
	v_add_co_u32 v88, vcc_lo, v80, v132
	v_add_co_ci_u32_e64 v89, null, v81, v133, vcc_lo
	v_cvt_f64_f32_e32 v[86:87], v84
	v_min3_f32 v84, v90, v91, v163
	s_mov_b32 vcc_lo, s0
	v_min3_f32 v84, v92, v85, v84
	v_max_f32_e32 v85, v84, v84
	;; [unrolled: 59-line block ×3, first 2 shown]
	global_store_dwordx2 v[88:89], v[86:87], off
	s_cbranch_vccz .LBB168_143
; %bb.142:
	v_min_f32_e32 v84, 0, v85
	v_add_co_u32 v88, vcc_lo, v80, v142
	v_add_co_ci_u32_e64 v89, null, v81, v143, vcc_lo
	v_cvt_f64_f32_e32 v[86:87], v84
	s_mov_b32 s7, 0
	global_store_dwordx2 v[88:89], v[86:87], off
.LBB168_143:
	v_mov_b32_e32 v84, 0
	s_andn2_b32 vcc_lo, exec_lo, s7
	s_cbranch_vccnz .LBB168_145
; %bb.144:
	v_add_co_u32 v86, vcc_lo, v82, v142
	v_add_co_ci_u32_e64 v87, null, v83, v143, vcc_lo
	global_load_dwordx2 v[86:87], v[86:87], off
	s_waitcnt vmcnt(0)
	v_mul_f64 v[86:87], s[12:13], v[86:87]
	v_cvt_f32_f64_e32 v84, v[86:87]
	v_add_co_u32 v86, vcc_lo, v80, v142
	v_add_co_ci_u32_e64 v87, null, v81, v143, vcc_lo
	v_add_co_u32 v82, vcc_lo, v82, v138
	v_add_co_ci_u32_e64 v83, null, v83, v139, vcc_lo
	v_min_f32_e32 v84, v84, v85
	v_cvt_f64_f32_e32 v[84:85], v84
	global_store_dwordx2 v[86:87], v[84:85], off
	global_load_dwordx2 v[82:83], v[82:83], off
	s_waitcnt vmcnt(0)
	v_mul_f64 v[82:83], s[12:13], v[82:83]
	v_cvt_f32_f64_e32 v84, v[82:83]
.LBB168_145:
	v_add_f64 v[76:77], v[0:1], v[76:77]
	v_add_f64 v[78:79], v[2:3], v[78:79]
	;; [unrolled: 1-line block ×4, first 2 shown]
	s_waitcnt lgkmcnt(1)
	v_add_f64 v[70:71], v[70:71], v[10:11]
	v_add_f64 v[68:69], v[68:69], v[8:9]
	s_waitcnt lgkmcnt(0)
	v_add_f64 v[64:65], v[64:65], v[12:13]
	v_add_f64 v[66:67], v[66:67], v[14:15]
	v_cvt_f32_f64_e32 v76, v[76:77]
	v_cvt_f32_f64_e32 v77, v[78:79]
	;; [unrolled: 1-line block ×8, first 2 shown]
	v_min3_f32 v70, v76, v77, v159
	v_min_f32_e32 v71, v72, v73
	v_add_nc_u32_e32 v72, 0xe0, v144
	v_min3_f32 v68, v68, v69, v158
	v_min3_f32 v66, v84, v71, v70
	v_mad_i64_i32 v[64:65], null, v72, s6, 0
	v_min3_f32 v68, v74, v75, v68
	v_cvt_f64_f32_e32 v[70:71], v66
	v_mad_i64_i32 v[66:67], null, v72, s1, 0
	v_add_co_u32 v72, vcc_lo, v80, v138
	v_lshlrev_b64 v[64:65], 3, v[64:65]
	v_add_co_ci_u32_e64 v73, null, v81, v139, vcc_lo
	v_max_f32_e32 v69, v68, v68
	v_lshlrev_b64 v[66:67], 3, v[66:67]
	s_mov_b32 s1, -1
	v_add_co_u32 v64, vcc_lo, s4, v64
	v_add_co_ci_u32_e64 v65, null, s5, v65, vcc_lo
	v_add_co_u32 v66, vcc_lo, s2, v66
	v_add_co_ci_u32_e64 v67, null, s3, v67, vcc_lo
	s_mov_b32 vcc_lo, s0
	global_store_dwordx2 v[72:73], v[70:71], off
	s_cbranch_vccz .LBB168_147
; %bb.146:
	v_min_f32_e32 v68, 0, v69
	v_add_co_u32 v72, vcc_lo, v64, v130
	v_add_co_ci_u32_e64 v73, null, v65, v131, vcc_lo
	v_cvt_f64_f32_e32 v[70:71], v68
	s_mov_b32 s1, 0
	global_store_dwordx2 v[72:73], v[70:71], off
.LBB168_147:
	v_mov_b32_e32 v68, 0
	s_andn2_b32 vcc_lo, exec_lo, s1
	s_cbranch_vccnz .LBB168_149
; %bb.148:
	v_add_co_u32 v70, vcc_lo, v66, v130
	v_add_co_ci_u32_e64 v71, null, v67, v131, vcc_lo
	global_load_dwordx2 v[70:71], v[70:71], off
	s_waitcnt vmcnt(0)
	v_mul_f64 v[70:71], s[12:13], v[70:71]
	v_cvt_f32_f64_e32 v68, v[70:71]
	v_add_co_u32 v70, vcc_lo, v64, v130
	v_add_co_ci_u32_e64 v71, null, v65, v131, vcc_lo
	v_add_co_u32 v72, vcc_lo, v66, v128
	v_add_co_ci_u32_e64 v73, null, v67, v129, vcc_lo
	v_min_f32_e32 v68, v68, v69
	v_cvt_f64_f32_e32 v[68:69], v68
	global_store_dwordx2 v[70:71], v[68:69], off
	global_load_dwordx2 v[68:69], v[72:73], off
	s_waitcnt vmcnt(0)
	v_mul_f64 v[68:69], s[12:13], v[68:69]
	v_cvt_f32_f64_e32 v68, v[68:69]
.LBB168_149:
	v_add_f64 v[60:61], v[60:61], v[8:9]
	v_add_f64 v[62:63], v[62:63], v[10:11]
	;; [unrolled: 1-line block ×8, first 2 shown]
	s_mov_b32 s1, -1
	v_cvt_f32_f64_e32 v60, v[60:61]
	v_cvt_f32_f64_e32 v61, v[62:63]
	;; [unrolled: 1-line block ×8, first 2 shown]
	v_min3_f32 v37, v60, v61, v157
	v_min_f32_e32 v50, v52, v53
	v_min3_f32 v37, v68, v50, v37
	v_cvt_f64_f32_e32 v[38:39], v37
	v_min3_f32 v37, v48, v49, v156
	v_add_co_u32 v48, vcc_lo, v64, v128
	v_add_co_ci_u32_e64 v49, null, v65, v129, vcc_lo
	v_min3_f32 v36, v36, v51, v37
	s_mov_b32 vcc_lo, s0
	v_max_f32_e32 v37, v36, v36
	global_store_dwordx2 v[48:49], v[38:39], off
	s_cbranch_vccz .LBB168_151
; %bb.150:
	v_min_f32_e32 v36, 0, v37
	v_add_co_u32 v48, vcc_lo, v64, v136
	v_add_co_ci_u32_e64 v49, null, v65, v137, vcc_lo
	v_cvt_f64_f32_e32 v[38:39], v36
	s_mov_b32 s1, 0
	global_store_dwordx2 v[48:49], v[38:39], off
.LBB168_151:
	v_mov_b32_e32 v36, 0
	s_andn2_b32 vcc_lo, exec_lo, s1
	s_cbranch_vccnz .LBB168_153
; %bb.152:
	v_add_co_u32 v38, vcc_lo, v66, v136
	v_add_co_ci_u32_e64 v39, null, v67, v137, vcc_lo
	global_load_dwordx2 v[38:39], v[38:39], off
	s_waitcnt vmcnt(0)
	v_mul_f64 v[38:39], s[12:13], v[38:39]
	v_cvt_f32_f64_e32 v36, v[38:39]
	v_add_co_u32 v38, vcc_lo, v64, v136
	v_add_co_ci_u32_e64 v39, null, v65, v137, vcc_lo
	v_add_co_u32 v48, vcc_lo, v66, v132
	v_add_co_ci_u32_e64 v49, null, v67, v133, vcc_lo
	v_min_f32_e32 v36, v36, v37
	v_cvt_f64_f32_e32 v[36:37], v36
	global_store_dwordx2 v[38:39], v[36:37], off
	global_load_dwordx2 v[36:37], v[48:49], off
	s_waitcnt vmcnt(0)
	v_mul_f64 v[36:37], s[12:13], v[36:37]
	v_cvt_f32_f64_e32 v36, v[36:37]
.LBB168_153:
	v_add_f64 v[37:38], v[56:57], v[8:9]
	v_add_f64 v[48:49], v[58:59], v[10:11]
	;; [unrolled: 1-line block ×8, first 2 shown]
	s_mov_b32 s1, -1
	v_cvt_f32_f64_e32 v37, v[37:38]
	v_cvt_f32_f64_e32 v38, v[48:49]
	;; [unrolled: 1-line block ×7, first 2 shown]
	v_min3_f32 v33, v37, v38, v154
	v_cvt_f32_f64_e32 v38, v[34:35]
	v_min_f32_e32 v37, v41, v44
	v_min3_f32 v33, v36, v37, v33
	v_add_co_u32 v36, vcc_lo, v64, v132
	v_add_co_ci_u32_e64 v37, null, v65, v133, vcc_lo
	v_cvt_f64_f32_e32 v[34:35], v33
	v_min3_f32 v33, v39, v40, v155
	s_mov_b32 vcc_lo, s0
	v_min3_f32 v32, v32, v38, v33
	v_max_f32_e32 v33, v32, v32
	global_store_dwordx2 v[36:37], v[34:35], off
	s_cbranch_vccz .LBB168_155
; %bb.154:
	v_min_f32_e32 v32, 0, v33
	v_add_co_u32 v36, vcc_lo, v64, v140
	v_add_co_ci_u32_e64 v37, null, v65, v141, vcc_lo
	v_cvt_f64_f32_e32 v[34:35], v32
	s_mov_b32 s1, 0
	global_store_dwordx2 v[36:37], v[34:35], off
.LBB168_155:
	v_mov_b32_e32 v32, 0
	s_andn2_b32 vcc_lo, exec_lo, s1
	s_cbranch_vccnz .LBB168_157
; %bb.156:
	v_add_co_u32 v34, vcc_lo, v66, v140
	v_add_co_ci_u32_e64 v35, null, v67, v141, vcc_lo
	global_load_dwordx2 v[34:35], v[34:35], off
	s_waitcnt vmcnt(0)
	v_mul_f64 v[34:35], s[12:13], v[34:35]
	v_cvt_f32_f64_e32 v32, v[34:35]
	v_add_co_u32 v34, vcc_lo, v64, v140
	v_add_co_ci_u32_e64 v35, null, v65, v141, vcc_lo
	v_add_co_u32 v36, vcc_lo, v66, v134
	v_add_co_ci_u32_e64 v37, null, v67, v135, vcc_lo
	v_min_f32_e32 v32, v32, v33
	v_cvt_f64_f32_e32 v[32:33], v32
	global_store_dwordx2 v[34:35], v[32:33], off
	global_load_dwordx2 v[32:33], v[36:37], off
	s_waitcnt vmcnt(0)
	v_mul_f64 v[32:33], s[12:13], v[32:33]
	v_cvt_f32_f64_e32 v32, v[32:33]
.LBB168_157:
	v_add_f64 v[28:29], v[28:29], v[8:9]
	v_add_f64 v[30:31], v[30:31], v[10:11]
	;; [unrolled: 1-line block ×8, first 2 shown]
	s_mov_b32 s1, -1
	v_cvt_f32_f64_e32 v28, v[28:29]
	v_cvt_f32_f64_e32 v29, v[30:31]
	;; [unrolled: 1-line block ×8, first 2 shown]
	v_min3_f32 v17, v28, v29, v152
	v_min_f32_e32 v22, v24, v25
	v_min3_f32 v17, v32, v22, v17
	v_cvt_f64_f32_e32 v[18:19], v17
	v_min3_f32 v17, v20, v21, v153
	v_add_co_u32 v20, vcc_lo, v64, v134
	v_add_co_ci_u32_e64 v21, null, v65, v135, vcc_lo
	v_min3_f32 v16, v16, v23, v17
	s_mov_b32 vcc_lo, s0
	v_max_f32_e32 v17, v16, v16
	global_store_dwordx2 v[20:21], v[18:19], off
	s_cbranch_vccz .LBB168_159
; %bb.158:
	v_min_f32_e32 v16, 0, v17
	v_add_co_u32 v20, vcc_lo, v64, v142
	v_add_co_ci_u32_e64 v21, null, v65, v143, vcc_lo
	v_cvt_f64_f32_e32 v[18:19], v16
	s_mov_b32 s1, 0
	global_store_dwordx2 v[20:21], v[18:19], off
.LBB168_159:
	v_mov_b32_e32 v16, 0
	s_andn2_b32 vcc_lo, exec_lo, s1
	s_cbranch_vccnz .LBB168_161
; %bb.160:
	v_add_co_u32 v18, vcc_lo, v66, v142
	v_add_co_ci_u32_e64 v19, null, v67, v143, vcc_lo
	global_load_dwordx2 v[18:19], v[18:19], off
	s_waitcnt vmcnt(0)
	v_mul_f64 v[18:19], s[12:13], v[18:19]
	v_cvt_f32_f64_e32 v16, v[18:19]
	v_add_co_u32 v18, vcc_lo, v64, v142
	v_add_co_ci_u32_e64 v19, null, v65, v143, vcc_lo
	v_add_co_u32 v20, vcc_lo, v66, v138
	v_add_co_ci_u32_e64 v21, null, v67, v139, vcc_lo
	v_min_f32_e32 v16, v16, v17
	v_cvt_f64_f32_e32 v[16:17], v16
	global_store_dwordx2 v[18:19], v[16:17], off
	global_load_dwordx2 v[16:17], v[20:21], off
	s_waitcnt vmcnt(0)
	v_mul_f64 v[16:17], s[12:13], v[16:17]
	v_cvt_f32_f64_e32 v16, v[16:17]
.LBB168_161:
	v_add_f64 v[4:5], v[4:5], v[12:13]
	v_add_f64 v[6:7], v[6:7], v[14:15]
	;; [unrolled: 1-line block ×4, first 2 shown]
	v_cvt_f32_f64_e32 v4, v[4:5]
	v_cvt_f32_f64_e32 v5, v[6:7]
	;; [unrolled: 1-line block ×4, first 2 shown]
	v_min_f32_e32 v2, v4, v5
	v_min3_f32 v0, v0, v1, v151
	v_min3_f32 v0, v16, v2, v0
	v_add_co_u32 v2, vcc_lo, v64, v138
	v_add_co_ci_u32_e64 v3, null, v65, v139, vcc_lo
	v_cvt_f64_f32_e32 v[0:1], v0
	global_store_dwordx2 v[2:3], v[0:1], off
	s_endpgm
	.section	.rodata,"a",@progbits
	.p2align	6, 0x0
	.amdhsa_kernel _ZN12_GLOBAL__N_120geam_min_plus_kernelId15HIP_vector_typeIdLj2EEdLi8ELi32ELi64ELi256ELi4ELi64ELi4ELi64ELi4ELc78ELc84ELb0ELb0ELb1EPKdS3_dEEviiiT16_PT17_ilS7_ilS5_S7_ilPT18_ili26rocblas_geam_ex_operation_
		.amdhsa_group_segment_fixed_size 20480
		.amdhsa_private_segment_fixed_size 0
		.amdhsa_kernarg_size 136
		.amdhsa_user_sgpr_count 6
		.amdhsa_user_sgpr_private_segment_buffer 1
		.amdhsa_user_sgpr_dispatch_ptr 0
		.amdhsa_user_sgpr_queue_ptr 0
		.amdhsa_user_sgpr_kernarg_segment_ptr 1
		.amdhsa_user_sgpr_dispatch_id 0
		.amdhsa_user_sgpr_flat_scratch_init 0
		.amdhsa_user_sgpr_private_segment_size 0
		.amdhsa_wavefront_size32 1
		.amdhsa_uses_dynamic_stack 0
		.amdhsa_system_sgpr_private_segment_wavefront_offset 0
		.amdhsa_system_sgpr_workgroup_id_x 1
		.amdhsa_system_sgpr_workgroup_id_y 0
		.amdhsa_system_sgpr_workgroup_id_z 1
		.amdhsa_system_sgpr_workgroup_info 0
		.amdhsa_system_vgpr_workitem_id 1
		.amdhsa_next_free_vgpr 231
		.amdhsa_next_free_sgpr 26
		.amdhsa_reserve_vcc 1
		.amdhsa_reserve_flat_scratch 0
		.amdhsa_float_round_mode_32 0
		.amdhsa_float_round_mode_16_64 0
		.amdhsa_float_denorm_mode_32 3
		.amdhsa_float_denorm_mode_16_64 3
		.amdhsa_dx10_clamp 1
		.amdhsa_ieee_mode 1
		.amdhsa_fp16_overflow 0
		.amdhsa_workgroup_processor_mode 1
		.amdhsa_memory_ordered 1
		.amdhsa_forward_progress 1
		.amdhsa_shared_vgpr_count 0
		.amdhsa_exception_fp_ieee_invalid_op 0
		.amdhsa_exception_fp_denorm_src 0
		.amdhsa_exception_fp_ieee_div_zero 0
		.amdhsa_exception_fp_ieee_overflow 0
		.amdhsa_exception_fp_ieee_underflow 0
		.amdhsa_exception_fp_ieee_inexact 0
		.amdhsa_exception_int_div_zero 0
	.end_amdhsa_kernel
	.section	.text._ZN12_GLOBAL__N_120geam_min_plus_kernelId15HIP_vector_typeIdLj2EEdLi8ELi32ELi64ELi256ELi4ELi64ELi4ELi64ELi4ELc78ELc84ELb0ELb0ELb1EPKdS3_dEEviiiT16_PT17_ilS7_ilS5_S7_ilPT18_ili26rocblas_geam_ex_operation_,"axG",@progbits,_ZN12_GLOBAL__N_120geam_min_plus_kernelId15HIP_vector_typeIdLj2EEdLi8ELi32ELi64ELi256ELi4ELi64ELi4ELi64ELi4ELc78ELc84ELb0ELb0ELb1EPKdS3_dEEviiiT16_PT17_ilS7_ilS5_S7_ilPT18_ili26rocblas_geam_ex_operation_,comdat
.Lfunc_end168:
	.size	_ZN12_GLOBAL__N_120geam_min_plus_kernelId15HIP_vector_typeIdLj2EEdLi8ELi32ELi64ELi256ELi4ELi64ELi4ELi64ELi4ELc78ELc84ELb0ELb0ELb1EPKdS3_dEEviiiT16_PT17_ilS7_ilS5_S7_ilPT18_ili26rocblas_geam_ex_operation_, .Lfunc_end168-_ZN12_GLOBAL__N_120geam_min_plus_kernelId15HIP_vector_typeIdLj2EEdLi8ELi32ELi64ELi256ELi4ELi64ELi4ELi64ELi4ELc78ELc84ELb0ELb0ELb1EPKdS3_dEEviiiT16_PT17_ilS7_ilS5_S7_ilPT18_ili26rocblas_geam_ex_operation_
                                        ; -- End function
	.set _ZN12_GLOBAL__N_120geam_min_plus_kernelId15HIP_vector_typeIdLj2EEdLi8ELi32ELi64ELi256ELi4ELi64ELi4ELi64ELi4ELc78ELc84ELb0ELb0ELb1EPKdS3_dEEviiiT16_PT17_ilS7_ilS5_S7_ilPT18_ili26rocblas_geam_ex_operation_.num_vgpr, 231
	.set _ZN12_GLOBAL__N_120geam_min_plus_kernelId15HIP_vector_typeIdLj2EEdLi8ELi32ELi64ELi256ELi4ELi64ELi4ELi64ELi4ELc78ELc84ELb0ELb0ELb1EPKdS3_dEEviiiT16_PT17_ilS7_ilS5_S7_ilPT18_ili26rocblas_geam_ex_operation_.num_agpr, 0
	.set _ZN12_GLOBAL__N_120geam_min_plus_kernelId15HIP_vector_typeIdLj2EEdLi8ELi32ELi64ELi256ELi4ELi64ELi4ELi64ELi4ELc78ELc84ELb0ELb0ELb1EPKdS3_dEEviiiT16_PT17_ilS7_ilS5_S7_ilPT18_ili26rocblas_geam_ex_operation_.numbered_sgpr, 26
	.set _ZN12_GLOBAL__N_120geam_min_plus_kernelId15HIP_vector_typeIdLj2EEdLi8ELi32ELi64ELi256ELi4ELi64ELi4ELi64ELi4ELc78ELc84ELb0ELb0ELb1EPKdS3_dEEviiiT16_PT17_ilS7_ilS5_S7_ilPT18_ili26rocblas_geam_ex_operation_.num_named_barrier, 0
	.set _ZN12_GLOBAL__N_120geam_min_plus_kernelId15HIP_vector_typeIdLj2EEdLi8ELi32ELi64ELi256ELi4ELi64ELi4ELi64ELi4ELc78ELc84ELb0ELb0ELb1EPKdS3_dEEviiiT16_PT17_ilS7_ilS5_S7_ilPT18_ili26rocblas_geam_ex_operation_.private_seg_size, 0
	.set _ZN12_GLOBAL__N_120geam_min_plus_kernelId15HIP_vector_typeIdLj2EEdLi8ELi32ELi64ELi256ELi4ELi64ELi4ELi64ELi4ELc78ELc84ELb0ELb0ELb1EPKdS3_dEEviiiT16_PT17_ilS7_ilS5_S7_ilPT18_ili26rocblas_geam_ex_operation_.uses_vcc, 1
	.set _ZN12_GLOBAL__N_120geam_min_plus_kernelId15HIP_vector_typeIdLj2EEdLi8ELi32ELi64ELi256ELi4ELi64ELi4ELi64ELi4ELc78ELc84ELb0ELb0ELb1EPKdS3_dEEviiiT16_PT17_ilS7_ilS5_S7_ilPT18_ili26rocblas_geam_ex_operation_.uses_flat_scratch, 0
	.set _ZN12_GLOBAL__N_120geam_min_plus_kernelId15HIP_vector_typeIdLj2EEdLi8ELi32ELi64ELi256ELi4ELi64ELi4ELi64ELi4ELc78ELc84ELb0ELb0ELb1EPKdS3_dEEviiiT16_PT17_ilS7_ilS5_S7_ilPT18_ili26rocblas_geam_ex_operation_.has_dyn_sized_stack, 0
	.set _ZN12_GLOBAL__N_120geam_min_plus_kernelId15HIP_vector_typeIdLj2EEdLi8ELi32ELi64ELi256ELi4ELi64ELi4ELi64ELi4ELc78ELc84ELb0ELb0ELb1EPKdS3_dEEviiiT16_PT17_ilS7_ilS5_S7_ilPT18_ili26rocblas_geam_ex_operation_.has_recursion, 0
	.set _ZN12_GLOBAL__N_120geam_min_plus_kernelId15HIP_vector_typeIdLj2EEdLi8ELi32ELi64ELi256ELi4ELi64ELi4ELi64ELi4ELc78ELc84ELb0ELb0ELb1EPKdS3_dEEviiiT16_PT17_ilS7_ilS5_S7_ilPT18_ili26rocblas_geam_ex_operation_.has_indirect_call, 0
	.section	.AMDGPU.csdata,"",@progbits
; Kernel info:
; codeLenInByte = 27232
; TotalNumSgprs: 28
; NumVgprs: 231
; ScratchSize: 0
; MemoryBound: 1
; FloatMode: 240
; IeeeMode: 1
; LDSByteSize: 20480 bytes/workgroup (compile time only)
; SGPRBlocks: 0
; VGPRBlocks: 28
; NumSGPRsForWavesPerEU: 28
; NumVGPRsForWavesPerEU: 231
; Occupancy: 4
; WaveLimiterHint : 1
; COMPUTE_PGM_RSRC2:SCRATCH_EN: 0
; COMPUTE_PGM_RSRC2:USER_SGPR: 6
; COMPUTE_PGM_RSRC2:TRAP_HANDLER: 0
; COMPUTE_PGM_RSRC2:TGID_X_EN: 1
; COMPUTE_PGM_RSRC2:TGID_Y_EN: 0
; COMPUTE_PGM_RSRC2:TGID_Z_EN: 1
; COMPUTE_PGM_RSRC2:TIDIG_COMP_CNT: 1
	.section	.text._ZN12_GLOBAL__N_120geam_min_plus_kernelId15HIP_vector_typeIdLj2EEdLi8ELi32ELi64ELi256ELi4ELi64ELi4ELi64ELi4ELc78ELc84ELb1ELb0ELb1EdKddEEviiiT16_PT17_ilS6_ilS4_S6_ilPT18_ili26rocblas_geam_ex_operation_,"axG",@progbits,_ZN12_GLOBAL__N_120geam_min_plus_kernelId15HIP_vector_typeIdLj2EEdLi8ELi32ELi64ELi256ELi4ELi64ELi4ELi64ELi4ELc78ELc84ELb1ELb0ELb1EdKddEEviiiT16_PT17_ilS6_ilS4_S6_ilPT18_ili26rocblas_geam_ex_operation_,comdat
	.globl	_ZN12_GLOBAL__N_120geam_min_plus_kernelId15HIP_vector_typeIdLj2EEdLi8ELi32ELi64ELi256ELi4ELi64ELi4ELi64ELi4ELc78ELc84ELb1ELb0ELb1EdKddEEviiiT16_PT17_ilS6_ilS4_S6_ilPT18_ili26rocblas_geam_ex_operation_ ; -- Begin function _ZN12_GLOBAL__N_120geam_min_plus_kernelId15HIP_vector_typeIdLj2EEdLi8ELi32ELi64ELi256ELi4ELi64ELi4ELi64ELi4ELc78ELc84ELb1ELb0ELb1EdKddEEviiiT16_PT17_ilS6_ilS4_S6_ilPT18_ili26rocblas_geam_ex_operation_
	.p2align	8
	.type	_ZN12_GLOBAL__N_120geam_min_plus_kernelId15HIP_vector_typeIdLj2EEdLi8ELi32ELi64ELi256ELi4ELi64ELi4ELi64ELi4ELc78ELc84ELb1ELb0ELb1EdKddEEviiiT16_PT17_ilS6_ilS4_S6_ilPT18_ili26rocblas_geam_ex_operation_,@function
_ZN12_GLOBAL__N_120geam_min_plus_kernelId15HIP_vector_typeIdLj2EEdLi8ELi32ELi64ELi256ELi4ELi64ELi4ELi64ELi4ELc78ELc84ELb1ELb0ELb1EdKddEEviiiT16_PT17_ilS6_ilS4_S6_ilPT18_ili26rocblas_geam_ex_operation_: ; @_ZN12_GLOBAL__N_120geam_min_plus_kernelId15HIP_vector_typeIdLj2EEdLi8ELi32ELi64ELi256ELi4ELi64ELi4ELi64ELi4ELc78ELc84ELb1ELb0ELb1EdKddEEviiiT16_PT17_ilS6_ilS4_S6_ilPT18_ili26rocblas_geam_ex_operation_
; %bb.0:
	s_clause 0x1
	s_load_dwordx4 s[0:3], s[4:5], 0x10
	s_load_dwordx4 s[8:11], s[4:5], 0x28
	s_mov_b64 s[14:15], 0
	s_waitcnt lgkmcnt(0)
	v_cmp_eq_f64_e64 s12, s[0:1], 0
	s_and_b32 vcc_lo, exec_lo, s12
	s_cbranch_vccnz .LBB169_2
; %bb.1:
	s_mul_i32 s0, s9, s7
	s_mul_hi_u32 s1, s8, s7
	s_add_i32 s1, s1, s0
	s_mul_i32 s0, s8, s7
	s_lshl_b64 s[0:1], s[0:1], 3
	s_add_u32 s14, s2, s0
	s_addc_u32 s15, s3, s1
.LBB169_2:
	s_clause 0x1
	s_load_dwordx4 s[0:3], s[4:5], 0x40
	s_load_dwordx2 s[18:19], s[4:5], 0x50
	s_andn2_b32 vcc_lo, exec_lo, s12
	s_mov_b32 s8, -1
	s_cbranch_vccnz .LBB169_4
; %bb.3:
	s_mov_b32 s8, 0
.LBB169_4:
	s_mov_b64 s[12:13], 0
	s_andn2_b32 vcc_lo, exec_lo, s8
	s_mov_b64 s[16:17], 0
	s_cbranch_vccnz .LBB169_6
; %bb.5:
	s_waitcnt lgkmcnt(0)
	s_mul_i32 s1, s1, s7
	s_mul_hi_u32 s8, s0, s7
	s_mul_i32 s0, s0, s7
	s_add_i32 s1, s8, s1
	s_lshl_b64 s[0:1], s[0:1], 3
	s_add_u32 s16, s10, s0
	s_addc_u32 s17, s11, s1
.LBB169_6:
	s_waitcnt lgkmcnt(0)
	v_cmp_eq_f64_e64 s0, s[2:3], 0
	s_load_dwordx4 s[8:11], s[4:5], 0x60
	s_and_b32 s0, exec_lo, s0
	s_mov_b32 vcc_lo, s0
	s_cbranch_vccnz .LBB169_8
; %bb.7:
	s_waitcnt lgkmcnt(0)
	s_mul_i32 s1, s9, s7
	s_mul_hi_u32 s9, s8, s7
	s_mul_i32 s8, s8, s7
	s_add_i32 s9, s9, s1
	s_lshl_b64 s[8:9], s[8:9], 3
	s_add_u32 s12, s18, s8
	s_addc_u32 s13, s19, s9
.LBB169_8:
	s_clause 0x1
	s_load_dword s1, s[4:5], 0x0
	s_load_dword s20, s[4:5], 0x8
	s_waitcnt lgkmcnt(0)
	s_clause 0x1
	s_load_dword s8, s[4:5], 0x20
	s_load_dword s18, s[4:5], 0x38
	v_lshlrev_b32_e32 v82, 5, v0
	v_lshlrev_b32_e32 v132, 5, v1
	s_add_i32 s1, s1, -1
	s_ashr_i32 s9, s1, 31
	s_lshr_b32 s9, s9, 26
	s_add_i32 s1, s1, s9
	s_ashr_i32 s1, s1, 6
	s_add_i32 s9, s1, 1
	s_not_b32 s1, s1
	v_cvt_f32_u32_e32 v2, s9
	v_rcp_iflag_f32_e32 v2, v2
	v_mul_f32_e32 v2, 0x4f7ffffe, v2
	v_cvt_u32_f32_e32 v2, v2
	v_readfirstlane_b32 s19, v2
	v_lshl_add_u32 v2, v1, 3, v0
	s_mul_i32 s1, s1, s19
	v_lshrrev_b32_e32 v80, 6, v2
	s_mul_hi_u32 s1, s19, s1
	v_and_b32_e32 v14, 63, v2
	s_add_i32 s19, s19, s1
	s_waitcnt lgkmcnt(0)
	v_mad_i64_i32 v[4:5], null, s8, v80, 0
	s_mul_hi_u32 s1, s6, s19
	v_add_nc_u32_e32 v15, 4, v80
	s_mul_i32 s19, s1, s9
	s_add_i32 s21, s1, 1
	s_sub_i32 s19, s6, s19
	s_sub_i32 s22, s19, s9
	s_cmp_ge_u32 s19, s9
	v_lshlrev_b64 v[4:5], 3, v[4:5]
	s_cselect_b32 s1, s21, s1
	s_cselect_b32 s19, s22, s19
	s_add_i32 s21, s1, 1
	s_cmp_ge_u32 s19, s9
	v_mad_i64_i32 v[12:13], null, s8, v15, 0
	s_cselect_b32 s19, s21, s1
	v_add_co_u32 v4, vcc_lo, s14, v4
	s_mul_i32 s1, s19, s9
	v_add_co_ci_u32_e64 v5, null, s15, v5, vcc_lo
	s_sub_i32 s1, s6, s1
	s_lshl_b32 s6, s19, 8
	s_lshl_b32 s1, s1, 6
	v_lshlrev_b64 v[12:13], 3, v[12:13]
	v_or_b32_e32 v2, s1, v14
	s_cmp_lt_i32 s20, 9
	v_ashrrev_i32_e32 v3, 31, v2
	v_lshlrev_b64 v[68:69], 3, v[2:3]
	v_add_co_u32 v2, vcc_lo, v4, v68
	v_add_co_ci_u32_e64 v3, null, v5, v69, vcc_lo
	v_mad_i64_i32 v[5:6], null, s18, v80, 0
	v_or_b32_e32 v4, s6, v14
	global_load_dwordx2 v[2:3], v[2:3], off
	v_lshlrev_b64 v[5:6], 3, v[5:6]
	v_add_co_u32 v7, vcc_lo, s16, v5
	v_ashrrev_i32_e32 v5, 31, v4
	v_add_co_ci_u32_e64 v6, null, s17, v6, vcc_lo
	v_lshlrev_b64 v[66:67], 3, v[4:5]
	v_add_co_u32 v4, vcc_lo, v7, v66
	v_add_co_ci_u32_e64 v5, null, v6, v67, vcc_lo
	s_clause 0x3
	global_load_dwordx2 v[6:7], v[4:5], off
	global_load_dwordx2 v[8:9], v[4:5], off offset:512
	global_load_dwordx2 v[10:11], v[4:5], off offset:1024
	;; [unrolled: 1-line block ×3, first 2 shown]
	v_add_co_u32 v12, vcc_lo, s14, v12
	v_add_co_ci_u32_e64 v13, null, s15, v13, vcc_lo
	v_add_co_u32 v12, vcc_lo, v12, v68
	v_add_co_ci_u32_e64 v13, null, v13, v69, vcc_lo
	global_load_dwordx2 v[70:71], v[12:13], off
	v_mad_i64_i32 v[12:13], null, s18, v15, 0
	v_lshlrev_b64 v[12:13], 3, v[12:13]
	v_add_co_u32 v12, vcc_lo, s16, v12
	v_add_co_ci_u32_e64 v13, null, s17, v13, vcc_lo
	v_add_co_u32 v12, vcc_lo, v12, v66
	v_add_co_ci_u32_e64 v13, null, v13, v67, vcc_lo
	s_clause 0x3
	global_load_dwordx2 v[76:77], v[12:13], off
	global_load_dwordx2 v[78:79], v[12:13], off offset:512
	global_load_dwordx2 v[72:73], v[12:13], off offset:1024
	;; [unrolled: 1-line block ×3, first 2 shown]
	v_lshlrev_b32_e32 v12, 5, v14
	v_lshl_add_u32 v83, v80, 3, v12
	s_waitcnt vmcnt(9)
	ds_write_b64 v83, v[2:3] offset:16384
	s_waitcnt vmcnt(7)
	ds_write2st64_b64 v83, v[6:7], v[8:9] offset1:4
	s_waitcnt vmcnt(5)
	ds_write2st64_b64 v83, v[10:11], v[4:5] offset0:8 offset1:12
	s_waitcnt vmcnt(0) lgkmcnt(0)
	s_barrier
	buffer_gl0_inv
	ds_read_b128 v[10:13], v82 offset:16640
	ds_read_b128 v[14:17], v82 offset:16896
	ds_read_b128 v[18:21], v82 offset:17152
	ds_read_b128 v[22:25], v82 offset:17408
	ds_read_b128 v[26:29], v82 offset:17664
	ds_read_b128 v[30:33], v82 offset:17920
	ds_read_b128 v[34:37], v82 offset:18176
	ds_read_b128 v[38:41], v132 offset:1024
	ds_read_b128 v[42:45], v132 offset:2048
	ds_read_b128 v[46:49], v132 offset:3072
	ds_read_b128 v[50:53], v132 offset:4096
	ds_read_b128 v[54:57], v132 offset:5120
	ds_read_b128 v[58:61], v132 offset:6144
	ds_read_b128 v[62:65], v132 offset:7168
	ds_read_b128 v[84:87], v82 offset:16384
	ds_read_b128 v[2:5], v82 offset:16400
	ds_read_b128 v[88:91], v132
	ds_read_b128 v[6:9], v132 offset:16
	s_waitcnt lgkmcnt(1)
	v_add_f64 v[92:93], v[86:87], v[90:91]
	v_add_f64 v[94:95], v[84:85], v[88:89]
	s_waitcnt lgkmcnt(0)
	v_add_f64 v[148:149], v[4:5], v[8:9]
	v_add_f64 v[150:151], v[2:3], v[6:7]
	v_cvt_f32_f64_e32 v92, v[92:93]
	v_cvt_f32_f64_e32 v81, v[94:95]
	v_add_f64 v[94:95], v[10:11], v[88:89]
	v_cvt_f32_f64_e32 v150, v[150:151]
	v_cvt_f32_f64_e32 v148, v[148:149]
	v_min3_f32 v97, v81, v92, 0x7f800000
	v_add_f64 v[92:93], v[12:13], v[90:91]
	v_cvt_f32_f64_e32 v81, v[94:95]
	v_add_f64 v[94:95], v[14:15], v[88:89]
	v_min3_f32 v97, v150, v148, v97
	v_cvt_f32_f64_e32 v92, v[92:93]
	v_min3_f32 v96, v81, v92, 0x7f800000
	v_add_f64 v[92:93], v[16:17], v[90:91]
	v_cvt_f32_f64_e32 v81, v[94:95]
	v_add_f64 v[94:95], v[18:19], v[88:89]
	v_cvt_f32_f64_e32 v92, v[92:93]
	v_min3_f32 v133, v81, v92, 0x7f800000
	v_add_f64 v[92:93], v[20:21], v[90:91]
	v_cvt_f32_f64_e32 v81, v[94:95]
	v_add_f64 v[94:95], v[22:23], v[88:89]
	;; [unrolled: 5-line block ×4, first 2 shown]
	v_add_f64 v[88:89], v[34:35], v[88:89]
	v_cvt_f32_f64_e32 v92, v[92:93]
	v_min3_f32 v142, v81, v92, 0x7f800000
	v_add_f64 v[92:93], v[32:33], v[90:91]
	v_cvt_f32_f64_e32 v81, v[94:95]
	v_add_f64 v[90:91], v[36:37], v[90:91]
	v_cvt_f32_f64_e32 v92, v[92:93]
	v_min3_f32 v143, v81, v92, 0x7f800000
	v_cvt_f32_f64_e32 v81, v[88:89]
	v_cvt_f32_f64_e32 v88, v[90:91]
	v_add_f64 v[90:91], v[84:85], v[38:39]
	v_min3_f32 v147, v81, v88, 0x7f800000
	v_add_f64 v[88:89], v[86:87], v[40:41]
	v_cvt_f32_f64_e32 v81, v[90:91]
	v_add_f64 v[90:91], v[10:11], v[38:39]
	v_cvt_f32_f64_e32 v88, v[88:89]
	v_min3_f32 v146, v81, v88, 0x7f800000
	v_add_f64 v[88:89], v[12:13], v[40:41]
	v_cvt_f32_f64_e32 v81, v[90:91]
	v_add_f64 v[90:91], v[14:15], v[38:39]
	v_cvt_f32_f64_e32 v88, v[88:89]
	;; [unrolled: 5-line block ×5, first 2 shown]
	v_min3_f32 v140, v81, v88, 0x7f800000
	v_add_f64 v[88:89], v[28:29], v[40:41]
	v_cvt_f32_f64_e32 v81, v[90:91]
	v_add_f64 v[90:91], v[30:31], v[38:39]
	v_add_f64 v[38:39], v[34:35], v[38:39]
	v_cvt_f32_f64_e32 v88, v[88:89]
	v_cvt_f32_f64_e32 v38, v[38:39]
	v_min3_f32 v139, v81, v88, 0x7f800000
	v_add_f64 v[88:89], v[32:33], v[40:41]
	v_add_f64 v[40:41], v[36:37], v[40:41]
	v_cvt_f32_f64_e32 v81, v[90:91]
	v_cvt_f32_f64_e32 v88, v[88:89]
	;; [unrolled: 1-line block ×3, first 2 shown]
	v_add_f64 v[40:41], v[84:85], v[42:43]
	v_min3_f32 v138, v81, v88, 0x7f800000
	v_min3_f32 v137, v38, v39, 0x7f800000
	v_add_f64 v[38:39], v[86:87], v[44:45]
	v_cvt_f32_f64_e32 v40, v[40:41]
	v_cvt_f32_f64_e32 v38, v[38:39]
	v_min3_f32 v136, v40, v38, 0x7f800000
	v_add_f64 v[38:39], v[12:13], v[44:45]
	v_add_f64 v[40:41], v[10:11], v[42:43]
	v_cvt_f32_f64_e32 v38, v[38:39]
	v_cvt_f32_f64_e32 v40, v[40:41]
	v_min3_f32 v131, v40, v38, 0x7f800000
	v_add_f64 v[38:39], v[16:17], v[44:45]
	;; [unrolled: 5-line block ×33, first 2 shown]
	v_add_f64 v[40:41], v[10:11], v[58:59]
	v_add_f64 v[12:13], v[12:13], v[64:65]
	;; [unrolled: 1-line block ×3, first 2 shown]
	v_cvt_f32_f64_e32 v38, v[38:39]
	v_cvt_f32_f64_e32 v40, v[40:41]
	;; [unrolled: 1-line block ×4, first 2 shown]
	v_add_f64 v[12:13], v[14:15], v[62:63]
	v_min3_f32 v99, v40, v38, 0x7f800000
	v_add_f64 v[38:39], v[16:17], v[60:61]
	v_add_f64 v[40:41], v[14:15], v[58:59]
	v_min3_f32 v89, v10, v11, 0x7f800000
	v_add_f64 v[10:11], v[16:17], v[64:65]
	v_cvt_f32_f64_e32 v12, v[12:13]
	v_cvt_f32_f64_e32 v38, v[38:39]
	;; [unrolled: 1-line block ×4, first 2 shown]
	v_min3_f32 v98, v40, v38, 0x7f800000
	v_add_f64 v[38:39], v[20:21], v[60:61]
	v_add_f64 v[40:41], v[18:19], v[58:59]
	v_min3_f32 v88, v12, v10, 0x7f800000
	v_add_f64 v[10:11], v[20:21], v[64:65]
	v_add_f64 v[12:13], v[18:19], v[62:63]
	v_cvt_f32_f64_e32 v38, v[38:39]
	v_cvt_f32_f64_e32 v40, v[40:41]
	;; [unrolled: 1-line block ×4, first 2 shown]
	v_min3_f32 v95, v40, v38, 0x7f800000
	v_add_f64 v[38:39], v[24:25], v[60:61]
	v_add_f64 v[40:41], v[22:23], v[58:59]
	v_cvt_f32_f64_e32 v38, v[38:39]
	v_cvt_f32_f64_e32 v40, v[40:41]
	v_min3_f32 v94, v40, v38, 0x7f800000
	v_add_f64 v[38:39], v[28:29], v[60:61]
	v_add_f64 v[40:41], v[26:27], v[58:59]
	v_cvt_f32_f64_e32 v38, v[38:39]
	v_cvt_f32_f64_e32 v40, v[40:41]
	;; [unrolled: 5-line block ×4, first 2 shown]
	v_min3_f32 v91, v40, v38, 0x7f800000
	v_add_f64 v[38:39], v[86:87], v[64:65]
	v_min3_f32 v87, v12, v10, 0x7f800000
	v_add_f64 v[10:11], v[24:25], v[64:65]
	v_add_f64 v[12:13], v[22:23], v[62:63]
	;; [unrolled: 1-line block ×3, first 2 shown]
	v_cvt_f32_f64_e32 v38, v[38:39]
	v_cvt_f32_f64_e32 v10, v[10:11]
	;; [unrolled: 1-line block ×4, first 2 shown]
	v_min3_f32 v86, v12, v10, 0x7f800000
	v_add_f64 v[10:11], v[28:29], v[64:65]
	v_add_f64 v[12:13], v[26:27], v[62:63]
	v_min3_f32 v90, v40, v38, 0x7f800000
	v_cvt_f32_f64_e32 v10, v[10:11]
	v_cvt_f32_f64_e32 v12, v[12:13]
	v_min3_f32 v85, v12, v10, 0x7f800000
	v_add_f64 v[10:11], v[32:33], v[64:65]
	v_add_f64 v[12:13], v[30:31], v[62:63]
	v_cvt_f32_f64_e32 v10, v[10:11]
	v_cvt_f32_f64_e32 v12, v[12:13]
	v_min3_f32 v84, v12, v10, 0x7f800000
	v_add_f64 v[10:11], v[36:37], v[64:65]
	v_add_f64 v[12:13], v[34:35], v[62:63]
	v_cvt_f32_f64_e32 v10, v[10:11]
	v_cvt_f32_f64_e32 v12, v[12:13]
	v_min3_f32 v81, v12, v10, 0x7f800000
	ds_read_b128 v[34:37], v82 offset:16656
	ds_read_b128 v[30:33], v82 offset:16912
	;; [unrolled: 1-line block ×14, first 2 shown]
	ds_write_b64 v83, v[70:71] offset:18432
	ds_write2st64_b64 v83, v[76:77], v[78:79] offset0:16 offset1:20
	ds_write2st64_b64 v83, v[72:73], v[74:75] offset0:24 offset1:28
	s_waitcnt lgkmcnt(0)
	s_barrier
	buffer_gl0_inv
	v_add_f64 v[148:149], v[36:37], v[8:9]
	v_add_f64 v[150:151], v[34:35], v[6:7]
	v_cvt_f32_f64_e32 v148, v[148:149]
	v_cvt_f32_f64_e32 v150, v[150:151]
	v_min3_f32 v96, v150, v148, v96
	v_add_f64 v[148:149], v[32:33], v[8:9]
	v_add_f64 v[150:151], v[30:31], v[6:7]
	v_cvt_f32_f64_e32 v148, v[148:149]
	v_cvt_f32_f64_e32 v150, v[150:151]
	v_min3_f32 v133, v150, v148, v133
	;; [unrolled: 5-line block ×5, first 2 shown]
	v_add_f64 v[148:149], v[16:17], v[8:9]
	v_add_f64 v[150:151], v[14:15], v[6:7]
	;; [unrolled: 1-line block ×4, first 2 shown]
	v_cvt_f32_f64_e32 v148, v[148:149]
	v_cvt_f32_f64_e32 v150, v[150:151]
	;; [unrolled: 1-line block ×4, first 2 shown]
	v_add_f64 v[8:9], v[2:3], v[62:63]
	v_min3_f32 v143, v150, v148, v143
	v_min3_f32 v199, v6, v7, v147
	v_add_f64 v[6:7], v[4:5], v[64:65]
	v_cvt_f32_f64_e32 v8, v[8:9]
	v_cvt_f32_f64_e32 v6, v[6:7]
	v_min3_f32 v200, v8, v6, v146
	v_add_f64 v[6:7], v[36:37], v[64:65]
	v_add_f64 v[8:9], v[34:35], v[62:63]
	v_cvt_f32_f64_e32 v6, v[6:7]
	v_cvt_f32_f64_e32 v8, v[8:9]
	v_min3_f32 v197, v8, v6, v145
	v_add_f64 v[6:7], v[32:33], v[64:65]
	;; [unrolled: 5-line block ×40, first 2 shown]
	v_add_f64 v[8:9], v[2:3], v[42:43]
	v_add_f64 v[4:5], v[4:5], v[40:41]
	v_add_f64 v[2:3], v[2:3], v[38:39]
	v_cvt_f32_f64_e32 v6, v[6:7]
	v_cvt_f32_f64_e32 v8, v[8:9]
	;; [unrolled: 1-line block ×4, first 2 shown]
	v_add_f64 v[4:5], v[34:35], v[38:39]
	v_min3_f32 v160, v8, v6, v100
	v_add_f64 v[6:7], v[36:37], v[44:45]
	v_add_f64 v[8:9], v[34:35], v[42:43]
	v_min3_f32 v152, v2, v3, v90
	v_add_f64 v[2:3], v[36:37], v[40:41]
	v_cvt_f32_f64_e32 v4, v[4:5]
	v_cvt_f32_f64_e32 v6, v[6:7]
	v_cvt_f32_f64_e32 v8, v[8:9]
	v_cvt_f32_f64_e32 v2, v[2:3]
	v_min3_f32 v157, v8, v6, v99
	v_add_f64 v[6:7], v[32:33], v[44:45]
	v_add_f64 v[8:9], v[30:31], v[42:43]
	v_min3_f32 v149, v4, v2, v89
	v_add_f64 v[2:3], v[32:33], v[40:41]
	v_add_f64 v[4:5], v[30:31], v[38:39]
	v_cvt_f32_f64_e32 v6, v[6:7]
	v_cvt_f32_f64_e32 v8, v[8:9]
	v_cvt_f32_f64_e32 v2, v[2:3]
	v_cvt_f32_f64_e32 v4, v[4:5]
	v_min3_f32 v158, v8, v6, v98
	v_add_f64 v[6:7], v[28:29], v[44:45]
	v_add_f64 v[8:9], v[26:27], v[42:43]
	v_min3_f32 v150, v4, v2, v88
	v_add_f64 v[2:3], v[28:29], v[40:41]
	;; [unrolled: 10-line block ×6, first 2 shown]
	v_add_f64 v[4:5], v[10:11], v[38:39]
	v_cvt_f32_f64_e32 v6, v[6:7]
	v_cvt_f32_f64_e32 v8, v[8:9]
	;; [unrolled: 1-line block ×4, first 2 shown]
	v_min3_f32 v151, v8, v6, v91
	v_min3_f32 v144, v4, v2, v81
	s_cbranch_scc1 .LBB169_11
; %bb.9:
	v_add_nc_u32_e32 v8, 8, v80
	v_add_nc_u32_e32 v6, 12, v80
	v_add_co_u32 v88, vcc_lo, s14, v68
	v_add_co_ci_u32_e64 v89, null, s15, v69, vcc_lo
	v_mad_i64_i32 v[4:5], null, v8, s18, 0
	v_mad_i64_i32 v[2:3], null, v6, s8, 0
	;; [unrolled: 1-line block ×4, first 2 shown]
	v_lshlrev_b64 v[4:5], 3, v[4:5]
	v_or_b32_e32 v84, 0x4000, v83
	v_lshlrev_b64 v[68:69], 3, v[2:3]
	v_or_b32_e32 v85, 0x4000, v82
	v_lshlrev_b64 v[2:3], 3, v[6:7]
	v_add_nc_u32_e32 v86, 0x4800, v83
	v_add_co_u32 v92, vcc_lo, s16, v4
	v_add_co_ci_u32_e64 v93, null, s17, v5, vcc_lo
	v_add_co_u32 v94, vcc_lo, s16, v2
	v_lshlrev_b64 v[70:71], 3, v[8:9]
	v_or_b32_e32 v87, 0x2000, v83
	v_lshl_add_u32 v90, v0, 5, 0x4800
	v_lshl_or_b32 v91, v1, 5, 0x2000
	v_add_co_ci_u32_e64 v95, null, s17, v3, vcc_lo
	s_ashr_i32 s9, s8, 31
	s_ashr_i32 s19, s18, 31
	s_add_i32 s20, s20, -8
	s_lshl_b64 s[8:9], s[8:9], 6
	s_lshl_b64 s[14:15], s[18:19], 6
	s_mov_b32 s16, 0
.LBB169_10:                             ; =>This Inner Loop Header: Depth=1
	v_add_co_u32 v2, vcc_lo, v88, v70
	v_add_co_ci_u32_e64 v3, null, v89, v71, vcc_lo
	s_add_i32 s16, s16, 8
	s_cmp_ge_i32 s16, s20
	global_load_dwordx2 v[80:81], v[2:3], off
	v_add_co_u32 v2, vcc_lo, v92, v66
	v_add_co_ci_u32_e64 v3, null, v93, v67, vcc_lo
	s_clause 0x3
	global_load_dwordx2 v[76:77], v[2:3], off
	global_load_dwordx2 v[78:79], v[2:3], off offset:512
	global_load_dwordx2 v[72:73], v[2:3], off offset:1024
	;; [unrolled: 1-line block ×3, first 2 shown]
	ds_read_b128 v[10:13], v90 offset:256
	ds_read_b128 v[14:17], v90 offset:512
	;; [unrolled: 1-line block ×14, first 2 shown]
	ds_read_b128 v[98:101], v91
	ds_read_b128 v[6:9], v91 offset:16
	ds_read_b128 v[209:212], v90
	ds_read_b128 v[2:5], v90 offset:16
	s_waitcnt lgkmcnt(1)
	v_add_f64 v[102:103], v[211:212], v[100:101]
	v_add_f64 v[104:105], v[209:210], v[98:99]
	v_cvt_f32_f64_e32 v102, v[102:103]
	v_cvt_f32_f64_e32 v104, v[104:105]
	v_min3_f32 v208, v104, v102, v97
	v_add_f64 v[102:103], v[12:13], v[100:101]
	v_add_f64 v[104:105], v[10:11], v[98:99]
	v_cvt_f32_f64_e32 v102, v[102:103]
	v_cvt_f32_f64_e32 v97, v[104:105]
	v_min3_f32 v207, v97, v102, v96
	;; [unrolled: 5-line block ×6, first 2 shown]
	v_add_f64 v[96:97], v[32:33], v[100:101]
	v_add_f64 v[102:103], v[30:31], v[98:99]
	;; [unrolled: 1-line block ×3, first 2 shown]
	v_cvt_f32_f64_e32 v96, v[96:97]
	v_cvt_f32_f64_e32 v102, v[102:103]
	;; [unrolled: 1-line block ×3, first 2 shown]
	v_min3_f32 v202, v102, v96, v143
	v_add_f64 v[96:97], v[36:37], v[100:101]
	v_cvt_f32_f64_e32 v96, v[96:97]
	v_min3_f32 v201, v98, v96, v199
	v_add_f64 v[96:97], v[211:212], v[40:41]
	v_add_f64 v[98:99], v[209:210], v[38:39]
	v_cvt_f32_f64_e32 v96, v[96:97]
	v_cvt_f32_f64_e32 v98, v[98:99]
	v_min3_f32 v200, v98, v96, v200
	v_add_f64 v[96:97], v[12:13], v[40:41]
	v_add_f64 v[98:99], v[10:11], v[38:39]
	v_cvt_f32_f64_e32 v96, v[96:97]
	;; [unrolled: 5-line block ×6, first 2 shown]
	v_cvt_f32_f64_e32 v98, v[98:99]
	v_min3_f32 v195, v98, v96, v193
	v_add_f64 v[96:97], v[32:33], v[40:41]
	v_add_f64 v[98:99], v[30:31], v[38:39]
	;; [unrolled: 1-line block ×4, first 2 shown]
	v_cvt_f32_f64_e32 v96, v[96:97]
	v_cvt_f32_f64_e32 v98, v[98:99]
	;; [unrolled: 1-line block ×4, first 2 shown]
	v_add_f64 v[40:41], v[209:210], v[42:43]
	v_min3_f32 v194, v98, v96, v194
	v_min3_f32 v193, v38, v39, v191
	v_add_f64 v[38:39], v[211:212], v[44:45]
	v_cvt_f32_f64_e32 v40, v[40:41]
	v_cvt_f32_f64_e32 v38, v[38:39]
	v_min3_f32 v191, v40, v38, v192
	v_add_f64 v[38:39], v[12:13], v[44:45]
	v_add_f64 v[40:41], v[10:11], v[42:43]
	v_cvt_f32_f64_e32 v38, v[38:39]
	v_cvt_f32_f64_e32 v40, v[40:41]
	v_min3_f32 v143, v40, v38, v189
	v_add_f64 v[38:39], v[16:17], v[44:45]
	v_add_f64 v[40:41], v[14:15], v[42:43]
	v_cvt_f32_f64_e32 v38, v[38:39]
	v_cvt_f32_f64_e32 v40, v[40:41]
	v_min3_f32 v142, v40, v38, v190
	v_add_f64 v[38:39], v[20:21], v[44:45]
	v_add_f64 v[40:41], v[18:19], v[42:43]
	v_cvt_f32_f64_e32 v38, v[38:39]
	v_cvt_f32_f64_e32 v40, v[40:41]
	v_min3_f32 v141, v40, v38, v187
	v_add_f64 v[38:39], v[24:25], v[44:45]
	v_add_f64 v[40:41], v[22:23], v[42:43]
	v_cvt_f32_f64_e32 v38, v[38:39]
	v_cvt_f32_f64_e32 v40, v[40:41]
	v_min3_f32 v140, v40, v38, v188
	v_add_f64 v[38:39], v[28:29], v[44:45]
	v_add_f64 v[40:41], v[26:27], v[42:43]
	v_cvt_f32_f64_e32 v38, v[38:39]
	v_cvt_f32_f64_e32 v40, v[40:41]
	v_min3_f32 v139, v40, v38, v185
	v_add_f64 v[38:39], v[32:33], v[44:45]
	v_add_f64 v[40:41], v[30:31], v[42:43]
	v_cvt_f32_f64_e32 v38, v[38:39]
	v_cvt_f32_f64_e32 v40, v[40:41]
	v_min3_f32 v138, v40, v38, v186
	v_add_f64 v[38:39], v[36:37], v[44:45]
	v_add_f64 v[40:41], v[34:35], v[42:43]
	v_cvt_f32_f64_e32 v38, v[38:39]
	v_cvt_f32_f64_e32 v40, v[40:41]
	v_min3_f32 v137, v40, v38, v183
	v_add_f64 v[38:39], v[211:212], v[48:49]
	v_add_f64 v[40:41], v[209:210], v[46:47]
	v_cvt_f32_f64_e32 v38, v[38:39]
	v_cvt_f32_f64_e32 v40, v[40:41]
	v_min3_f32 v136, v40, v38, v184
	v_add_f64 v[38:39], v[12:13], v[48:49]
	v_add_f64 v[40:41], v[10:11], v[46:47]
	v_cvt_f32_f64_e32 v38, v[38:39]
	v_cvt_f32_f64_e32 v40, v[40:41]
	v_min3_f32 v135, v40, v38, v181
	v_add_f64 v[38:39], v[16:17], v[48:49]
	v_add_f64 v[40:41], v[14:15], v[46:47]
	v_cvt_f32_f64_e32 v38, v[38:39]
	v_cvt_f32_f64_e32 v40, v[40:41]
	v_min3_f32 v134, v40, v38, v182
	v_add_f64 v[38:39], v[20:21], v[48:49]
	v_add_f64 v[40:41], v[18:19], v[46:47]
	v_cvt_f32_f64_e32 v38, v[38:39]
	v_cvt_f32_f64_e32 v40, v[40:41]
	v_min3_f32 v133, v40, v38, v179
	v_add_f64 v[38:39], v[24:25], v[48:49]
	v_add_f64 v[40:41], v[22:23], v[46:47]
	v_cvt_f32_f64_e32 v38, v[38:39]
	v_cvt_f32_f64_e32 v40, v[40:41]
	v_min3_f32 v131, v40, v38, v180
	v_add_f64 v[38:39], v[28:29], v[48:49]
	v_add_f64 v[40:41], v[26:27], v[46:47]
	v_cvt_f32_f64_e32 v38, v[38:39]
	v_cvt_f32_f64_e32 v40, v[40:41]
	v_min3_f32 v130, v40, v38, v177
	v_add_f64 v[38:39], v[32:33], v[48:49]
	v_add_f64 v[40:41], v[30:31], v[46:47]
	v_cvt_f32_f64_e32 v38, v[38:39]
	v_cvt_f32_f64_e32 v40, v[40:41]
	v_min3_f32 v129, v40, v38, v178
	v_add_f64 v[38:39], v[36:37], v[48:49]
	v_add_f64 v[40:41], v[34:35], v[46:47]
	v_cvt_f32_f64_e32 v38, v[38:39]
	v_cvt_f32_f64_e32 v40, v[40:41]
	v_min3_f32 v128, v40, v38, v175
	v_add_f64 v[38:39], v[211:212], v[52:53]
	v_add_f64 v[40:41], v[209:210], v[50:51]
	v_cvt_f32_f64_e32 v38, v[38:39]
	v_cvt_f32_f64_e32 v40, v[40:41]
	v_min3_f32 v127, v40, v38, v176
	v_add_f64 v[38:39], v[12:13], v[52:53]
	v_add_f64 v[40:41], v[10:11], v[50:51]
	v_cvt_f32_f64_e32 v38, v[38:39]
	v_cvt_f32_f64_e32 v40, v[40:41]
	v_min3_f32 v126, v40, v38, v173
	v_add_f64 v[38:39], v[16:17], v[52:53]
	v_add_f64 v[40:41], v[14:15], v[50:51]
	v_cvt_f32_f64_e32 v38, v[38:39]
	v_cvt_f32_f64_e32 v40, v[40:41]
	v_min3_f32 v125, v40, v38, v174
	v_add_f64 v[38:39], v[20:21], v[52:53]
	v_add_f64 v[40:41], v[18:19], v[50:51]
	v_cvt_f32_f64_e32 v38, v[38:39]
	v_cvt_f32_f64_e32 v40, v[40:41]
	v_min3_f32 v124, v40, v38, v171
	v_add_f64 v[38:39], v[24:25], v[52:53]
	v_add_f64 v[40:41], v[22:23], v[50:51]
	v_cvt_f32_f64_e32 v38, v[38:39]
	v_cvt_f32_f64_e32 v40, v[40:41]
	v_min3_f32 v123, v40, v38, v172
	v_add_f64 v[38:39], v[28:29], v[52:53]
	v_add_f64 v[40:41], v[26:27], v[50:51]
	v_cvt_f32_f64_e32 v38, v[38:39]
	v_cvt_f32_f64_e32 v40, v[40:41]
	v_min3_f32 v122, v40, v38, v169
	v_add_f64 v[38:39], v[32:33], v[52:53]
	v_add_f64 v[40:41], v[30:31], v[50:51]
	v_cvt_f32_f64_e32 v38, v[38:39]
	v_cvt_f32_f64_e32 v40, v[40:41]
	v_min3_f32 v121, v40, v38, v170
	v_add_f64 v[38:39], v[36:37], v[52:53]
	v_add_f64 v[40:41], v[34:35], v[50:51]
	v_cvt_f32_f64_e32 v38, v[38:39]
	v_cvt_f32_f64_e32 v40, v[40:41]
	v_min3_f32 v120, v40, v38, v167
	v_add_f64 v[38:39], v[211:212], v[56:57]
	v_add_f64 v[40:41], v[209:210], v[54:55]
	v_cvt_f32_f64_e32 v38, v[38:39]
	v_cvt_f32_f64_e32 v40, v[40:41]
	v_min3_f32 v119, v40, v38, v168
	v_add_f64 v[38:39], v[12:13], v[56:57]
	v_add_f64 v[40:41], v[10:11], v[54:55]
	v_cvt_f32_f64_e32 v38, v[38:39]
	v_cvt_f32_f64_e32 v40, v[40:41]
	v_min3_f32 v118, v40, v38, v165
	v_add_f64 v[38:39], v[16:17], v[56:57]
	v_add_f64 v[40:41], v[14:15], v[54:55]
	v_cvt_f32_f64_e32 v38, v[38:39]
	v_cvt_f32_f64_e32 v40, v[40:41]
	v_min3_f32 v117, v40, v38, v166
	v_add_f64 v[38:39], v[20:21], v[56:57]
	v_add_f64 v[40:41], v[18:19], v[54:55]
	v_cvt_f32_f64_e32 v38, v[38:39]
	v_cvt_f32_f64_e32 v40, v[40:41]
	v_min3_f32 v116, v40, v38, v163
	v_add_f64 v[38:39], v[24:25], v[56:57]
	v_add_f64 v[40:41], v[22:23], v[54:55]
	v_cvt_f32_f64_e32 v38, v[38:39]
	v_cvt_f32_f64_e32 v40, v[40:41]
	v_min3_f32 v115, v40, v38, v164
	v_add_f64 v[38:39], v[28:29], v[56:57]
	v_add_f64 v[40:41], v[26:27], v[54:55]
	v_cvt_f32_f64_e32 v38, v[38:39]
	v_cvt_f32_f64_e32 v40, v[40:41]
	v_min3_f32 v114, v40, v38, v161
	v_add_f64 v[38:39], v[32:33], v[56:57]
	v_add_f64 v[40:41], v[30:31], v[54:55]
	v_cvt_f32_f64_e32 v38, v[38:39]
	v_cvt_f32_f64_e32 v40, v[40:41]
	v_min3_f32 v113, v40, v38, v162
	v_add_f64 v[38:39], v[36:37], v[56:57]
	v_add_f64 v[40:41], v[34:35], v[54:55]
	v_cvt_f32_f64_e32 v38, v[38:39]
	v_cvt_f32_f64_e32 v40, v[40:41]
	v_min3_f32 v112, v40, v38, v159
	v_add_f64 v[38:39], v[211:212], v[60:61]
	v_add_f64 v[40:41], v[209:210], v[58:59]
	v_cvt_f32_f64_e32 v38, v[38:39]
	v_cvt_f32_f64_e32 v40, v[40:41]
	v_min3_f32 v111, v40, v38, v160
	v_add_f64 v[38:39], v[12:13], v[60:61]
	v_add_f64 v[40:41], v[10:11], v[58:59]
	v_add_f64 v[12:13], v[12:13], v[64:65]
	;; [unrolled: 1-line block ×3, first 2 shown]
	v_cvt_f32_f64_e32 v38, v[38:39]
	v_cvt_f32_f64_e32 v40, v[40:41]
	;; [unrolled: 1-line block ×4, first 2 shown]
	v_add_f64 v[12:13], v[14:15], v[62:63]
	v_min3_f32 v110, v40, v38, v157
	v_add_f64 v[38:39], v[16:17], v[60:61]
	v_add_f64 v[40:41], v[14:15], v[58:59]
	v_min3_f32 v102, v10, v11, v149
	v_add_f64 v[10:11], v[16:17], v[64:65]
	v_cvt_f32_f64_e32 v12, v[12:13]
	v_cvt_f32_f64_e32 v38, v[38:39]
	v_cvt_f32_f64_e32 v40, v[40:41]
	v_cvt_f32_f64_e32 v10, v[10:11]
	v_min3_f32 v109, v40, v38, v158
	v_add_f64 v[38:39], v[20:21], v[60:61]
	v_add_f64 v[40:41], v[18:19], v[58:59]
	v_min3_f32 v101, v12, v10, v150
	v_add_f64 v[10:11], v[20:21], v[64:65]
	v_add_f64 v[12:13], v[18:19], v[62:63]
	v_cvt_f32_f64_e32 v38, v[38:39]
	v_cvt_f32_f64_e32 v40, v[40:41]
	v_cvt_f32_f64_e32 v10, v[10:11]
	v_cvt_f32_f64_e32 v12, v[12:13]
	v_min3_f32 v108, v40, v38, v155
	v_add_f64 v[38:39], v[24:25], v[60:61]
	v_add_f64 v[40:41], v[22:23], v[58:59]
	v_min3_f32 v100, v12, v10, v147
	v_add_f64 v[10:11], v[24:25], v[64:65]
	;; [unrolled: 10-line block ×5, first 2 shown]
	v_add_f64 v[12:13], v[34:35], v[62:63]
	s_waitcnt lgkmcnt(0)
	v_add_f64 v[146:147], v[2:3], v[6:7]
	v_cvt_f32_f64_e32 v38, v[38:39]
	v_cvt_f32_f64_e32 v40, v[40:41]
	;; [unrolled: 1-line block ×5, first 2 shown]
	v_min3_f32 v104, v40, v38, v151
	v_add_f64 v[38:39], v[211:212], v[64:65]
	v_add_f64 v[40:41], v[209:210], v[62:63]
	v_min3_f32 v96, v12, v10, v144
	v_add_f64 v[144:145], v[4:5], v[8:9]
	v_cvt_f32_f64_e32 v38, v[38:39]
	v_cvt_f32_f64_e32 v40, v[40:41]
	;; [unrolled: 1-line block ×3, first 2 shown]
	v_min3_f32 v103, v40, v38, v152
	ds_read_b128 v[34:37], v90 offset:272
	ds_read_b128 v[30:33], v90 offset:528
	;; [unrolled: 1-line block ×14, first 2 shown]
	v_min3_f32 v144, v146, v144, v208
	s_waitcnt vmcnt(4)
	ds_write_b64 v84, v[80:81]
	s_waitcnt vmcnt(2)
	ds_write2st64_b64 v83, v[76:77], v[78:79] offset1:4
	s_waitcnt vmcnt(0)
	ds_write2st64_b64 v83, v[72:73], v[74:75] offset0:8 offset1:12
	s_waitcnt lgkmcnt(0)
	s_barrier
	buffer_gl0_inv
	v_add_f64 v[145:146], v[36:37], v[8:9]
	v_add_f64 v[147:148], v[34:35], v[6:7]
	v_cvt_f32_f64_e32 v145, v[145:146]
	v_cvt_f32_f64_e32 v147, v[147:148]
	v_add_f64 v[148:149], v[30:31], v[6:7]
	v_min3_f32 v145, v147, v145, v207
	v_add_f64 v[146:147], v[32:33], v[8:9]
	v_cvt_f32_f64_e32 v148, v[148:149]
	v_add_f64 v[149:150], v[26:27], v[6:7]
	v_cvt_f32_f64_e32 v146, v[146:147]
	v_cvt_f32_f64_e32 v149, v[149:150]
	v_add_f64 v[150:151], v[22:23], v[6:7]
	v_min3_f32 v146, v148, v146, v206
	v_add_f64 v[147:148], v[28:29], v[8:9]
	v_cvt_f32_f64_e32 v150, v[150:151]
	v_add_f64 v[151:152], v[18:19], v[6:7]
	v_cvt_f32_f64_e32 v147, v[147:148]
	v_cvt_f32_f64_e32 v151, v[151:152]
	v_add_f64 v[152:153], v[14:15], v[6:7]
	v_add_f64 v[6:7], v[10:11], v[6:7]
	v_min3_f32 v147, v149, v147, v205
	v_add_f64 v[148:149], v[24:25], v[8:9]
	v_cvt_f32_f64_e32 v152, v[152:153]
	v_cvt_f32_f64_e32 v6, v[6:7]
	v_add_f64 v[153:154], v[30:31], v[62:63]
	v_cvt_f32_f64_e32 v148, v[148:149]
	v_min3_f32 v148, v150, v148, v204
	v_add_f64 v[149:150], v[20:21], v[8:9]
	v_cvt_f32_f64_e32 v149, v[149:150]
	v_min3_f32 v149, v151, v149, v203
	v_add_f64 v[150:151], v[16:17], v[8:9]
	v_add_f64 v[8:9], v[12:13], v[8:9]
	v_cvt_f32_f64_e32 v150, v[150:151]
	v_cvt_f32_f64_e32 v7, v[8:9]
	v_min3_f32 v150, v152, v150, v202
	v_min3_f32 v6, v6, v7, v201
	v_add_f64 v[7:8], v[4:5], v[64:65]
	v_add_f64 v[151:152], v[2:3], v[62:63]
	v_cvt_f32_f64_e32 v7, v[7:8]
	v_cvt_f32_f64_e32 v9, v[151:152]
	v_add_f64 v[151:152], v[34:35], v[62:63]
	v_min3_f32 v7, v9, v7, v200
	v_add_f64 v[8:9], v[36:37], v[64:65]
	v_cvt_f32_f64_e32 v151, v[151:152]
	v_cvt_f32_f64_e32 v8, v[8:9]
	;; [unrolled: 1-line block ×3, first 2 shown]
	v_add_f64 v[153:154], v[26:27], v[62:63]
	v_min3_f32 v8, v151, v8, v199
	v_add_f64 v[151:152], v[32:33], v[64:65]
	v_cvt_f32_f64_e32 v153, v[153:154]
	v_add_f64 v[154:155], v[22:23], v[62:63]
	v_cvt_f32_f64_e32 v151, v[151:152]
	v_cvt_f32_f64_e32 v154, v[154:155]
	v_add_f64 v[155:156], v[18:19], v[62:63]
	v_min3_f32 v9, v9, v151, v198
	v_add_f64 v[151:152], v[28:29], v[64:65]
	v_cvt_f32_f64_e32 v155, v[155:156]
	v_add_f64 v[156:157], v[14:15], v[62:63]
	v_add_f64 v[62:63], v[10:11], v[62:63]
	v_cvt_f32_f64_e32 v151, v[151:152]
	v_cvt_f32_f64_e32 v156, v[156:157]
	;; [unrolled: 1-line block ×3, first 2 shown]
	v_min3_f32 v151, v153, v151, v197
	v_add_f64 v[152:153], v[24:25], v[64:65]
	v_cvt_f32_f64_e32 v152, v[152:153]
	v_min3_f32 v152, v154, v152, v196
	v_add_f64 v[153:154], v[20:21], v[64:65]
	v_cvt_f32_f64_e32 v153, v[153:154]
	v_min3_f32 v153, v155, v153, v195
	v_add_f64 v[154:155], v[16:17], v[64:65]
	v_add_f64 v[64:65], v[12:13], v[64:65]
	v_cvt_f32_f64_e32 v154, v[154:155]
	v_cvt_f32_f64_e32 v63, v[64:65]
	v_min3_f32 v161, v156, v154, v194
	v_min3_f32 v62, v62, v63, v193
	v_add_f64 v[63:64], v[4:5], v[60:61]
	v_add_f64 v[154:155], v[2:3], v[58:59]
	v_add_f64 v[156:157], v[30:31], v[58:59]
	v_cvt_f32_f64_e32 v63, v[63:64]
	v_cvt_f32_f64_e32 v65, v[154:155]
	v_add_f64 v[154:155], v[34:35], v[58:59]
	v_min3_f32 v63, v65, v63, v191
	v_add_f64 v[64:65], v[36:37], v[60:61]
	v_cvt_f32_f64_e32 v154, v[154:155]
	v_cvt_f32_f64_e32 v64, v[64:65]
	v_cvt_f32_f64_e32 v65, v[156:157]
	v_min3_f32 v64, v154, v64, v143
	v_add_f64 v[154:155], v[32:33], v[60:61]
	v_cvt_f32_f64_e32 v143, v[154:155]
	v_add_f64 v[154:155], v[26:27], v[58:59]
	v_min3_f32 v65, v65, v143, v142
	v_add_f64 v[142:143], v[28:29], v[60:61]
	v_cvt_f32_f64_e32 v154, v[154:155]
	v_cvt_f32_f64_e32 v142, v[142:143]
	v_min3_f32 v141, v154, v142, v141
	v_add_f64 v[142:143], v[24:25], v[60:61]
	v_add_f64 v[154:155], v[22:23], v[58:59]
	v_cvt_f32_f64_e32 v142, v[142:143]
	v_cvt_f32_f64_e32 v154, v[154:155]
	v_min3_f32 v140, v154, v142, v140
	v_add_f64 v[142:143], v[20:21], v[60:61]
	;; [unrolled: 5-line block ×3, first 2 shown]
	v_add_f64 v[154:155], v[14:15], v[58:59]
	v_add_f64 v[60:61], v[12:13], v[60:61]
	;; [unrolled: 1-line block ×3, first 2 shown]
	v_cvt_f32_f64_e32 v142, v[142:143]
	v_cvt_f32_f64_e32 v154, v[154:155]
	;; [unrolled: 1-line block ×4, first 2 shown]
	v_min3_f32 v138, v154, v142, v138
	v_add_f64 v[142:143], v[2:3], v[54:55]
	v_min3_f32 v58, v58, v59, v137
	v_add_f64 v[59:60], v[4:5], v[56:57]
	v_cvt_f32_f64_e32 v61, v[142:143]
	v_add_f64 v[142:143], v[30:31], v[54:55]
	v_cvt_f32_f64_e32 v59, v[59:60]
	v_min3_f32 v59, v61, v59, v136
	v_add_f64 v[60:61], v[36:37], v[56:57]
	v_add_f64 v[136:137], v[34:35], v[54:55]
	v_cvt_f32_f64_e32 v60, v[60:61]
	v_cvt_f32_f64_e32 v136, v[136:137]
	;; [unrolled: 1-line block ×3, first 2 shown]
	v_add_f64 v[142:143], v[22:23], v[54:55]
	v_min3_f32 v60, v136, v60, v135
	v_add_f64 v[135:136], v[32:33], v[56:57]
	v_cvt_f32_f64_e32 v135, v[135:136]
	v_add_f64 v[136:137], v[26:27], v[54:55]
	v_min3_f32 v61, v61, v135, v134
	v_add_f64 v[134:135], v[28:29], v[56:57]
	v_cvt_f32_f64_e32 v136, v[136:137]
	v_cvt_f32_f64_e32 v134, v[134:135]
	;; [unrolled: 1-line block ×3, first 2 shown]
	v_add_f64 v[142:143], v[18:19], v[54:55]
	v_min3_f32 v136, v136, v134, v133
	v_add_f64 v[133:134], v[24:25], v[56:57]
	v_cvt_f32_f64_e32 v133, v[133:134]
	v_min3_f32 v131, v135, v133, v131
	v_add_f64 v[133:134], v[20:21], v[56:57]
	v_cvt_f32_f64_e32 v135, v[142:143]
	v_add_f64 v[142:143], v[14:15], v[54:55]
	v_add_f64 v[54:55], v[10:11], v[54:55]
	v_cvt_f32_f64_e32 v133, v[133:134]
	v_cvt_f32_f64_e32 v54, v[54:55]
	v_min3_f32 v130, v135, v133, v130
	v_add_f64 v[133:134], v[16:17], v[56:57]
	v_add_f64 v[56:57], v[12:13], v[56:57]
	v_cvt_f32_f64_e32 v135, v[142:143]
	v_cvt_f32_f64_e32 v133, v[133:134]
	;; [unrolled: 1-line block ×3, first 2 shown]
	v_min3_f32 v129, v135, v133, v129
	v_min3_f32 v54, v54, v55, v128
	v_add_f64 v[55:56], v[4:5], v[52:53]
	v_add_f64 v[133:134], v[2:3], v[50:51]
	v_cvt_f32_f64_e32 v55, v[55:56]
	v_cvt_f32_f64_e32 v57, v[133:134]
	v_add_f64 v[133:134], v[30:31], v[50:51]
	v_min3_f32 v55, v57, v55, v127
	v_add_f64 v[56:57], v[36:37], v[52:53]
	v_add_f64 v[127:128], v[34:35], v[50:51]
	v_cvt_f32_f64_e32 v56, v[56:57]
	v_cvt_f32_f64_e32 v127, v[127:128]
	;; [unrolled: 1-line block ×3, first 2 shown]
	v_min3_f32 v56, v127, v56, v126
	v_add_f64 v[126:127], v[32:33], v[52:53]
	v_cvt_f32_f64_e32 v126, v[126:127]
	v_add_f64 v[127:128], v[26:27], v[50:51]
	v_min3_f32 v57, v57, v126, v125
	v_add_f64 v[125:126], v[28:29], v[52:53]
	v_cvt_f32_f64_e32 v127, v[127:128]
	v_cvt_f32_f64_e32 v125, v[125:126]
	v_min3_f32 v124, v127, v125, v124
	v_add_f64 v[125:126], v[24:25], v[52:53]
	v_add_f64 v[127:128], v[22:23], v[50:51]
	v_cvt_f32_f64_e32 v125, v[125:126]
	v_cvt_f32_f64_e32 v127, v[127:128]
	v_min3_f32 v123, v127, v125, v123
	v_add_f64 v[125:126], v[20:21], v[52:53]
	;; [unrolled: 5-line block ×3, first 2 shown]
	v_add_f64 v[127:128], v[14:15], v[50:51]
	v_add_f64 v[52:53], v[12:13], v[52:53]
	v_add_f64 v[50:51], v[10:11], v[50:51]
	v_cvt_f32_f64_e32 v125, v[125:126]
	v_cvt_f32_f64_e32 v127, v[127:128]
	;; [unrolled: 1-line block ×4, first 2 shown]
	v_min3_f32 v121, v127, v125, v121
	v_add_f64 v[125:126], v[2:3], v[46:47]
	v_min3_f32 v50, v50, v51, v120
	v_add_f64 v[51:52], v[4:5], v[48:49]
	v_cvt_f32_f64_e32 v53, v[125:126]
	v_add_f64 v[125:126], v[30:31], v[46:47]
	v_cvt_f32_f64_e32 v51, v[51:52]
	v_min3_f32 v51, v53, v51, v119
	v_add_f64 v[52:53], v[36:37], v[48:49]
	v_add_f64 v[119:120], v[34:35], v[46:47]
	v_cvt_f32_f64_e32 v52, v[52:53]
	v_cvt_f32_f64_e32 v119, v[119:120]
	;; [unrolled: 1-line block ×3, first 2 shown]
	v_min3_f32 v52, v119, v52, v118
	v_add_f64 v[118:119], v[32:33], v[48:49]
	v_cvt_f32_f64_e32 v118, v[118:119]
	v_add_f64 v[119:120], v[26:27], v[46:47]
	v_min3_f32 v53, v53, v118, v117
	v_add_f64 v[117:118], v[28:29], v[48:49]
	v_cvt_f32_f64_e32 v119, v[119:120]
	v_cvt_f32_f64_e32 v117, v[117:118]
	v_min3_f32 v116, v119, v117, v116
	v_add_f64 v[117:118], v[24:25], v[48:49]
	v_add_f64 v[119:120], v[22:23], v[46:47]
	v_cvt_f32_f64_e32 v117, v[117:118]
	v_cvt_f32_f64_e32 v119, v[119:120]
	v_min3_f32 v115, v119, v117, v115
	v_add_f64 v[117:118], v[20:21], v[48:49]
	;; [unrolled: 5-line block ×3, first 2 shown]
	v_add_f64 v[119:120], v[14:15], v[46:47]
	v_add_f64 v[48:49], v[12:13], v[48:49]
	;; [unrolled: 1-line block ×3, first 2 shown]
	v_cvt_f32_f64_e32 v117, v[117:118]
	v_cvt_f32_f64_e32 v119, v[119:120]
	;; [unrolled: 1-line block ×4, first 2 shown]
	v_min3_f32 v113, v119, v117, v113
	v_add_f64 v[117:118], v[2:3], v[42:43]
	v_add_f64 v[2:3], v[2:3], v[38:39]
	v_min3_f32 v46, v46, v47, v112
	v_add_f64 v[47:48], v[4:5], v[44:45]
	v_add_f64 v[4:5], v[4:5], v[40:41]
	v_cvt_f32_f64_e32 v49, v[117:118]
	v_add_f64 v[117:118], v[30:31], v[42:43]
	v_cvt_f32_f64_e32 v2, v[2:3]
	v_cvt_f32_f64_e32 v47, v[47:48]
	;; [unrolled: 1-line block ×3, first 2 shown]
	v_add_f64 v[4:5], v[34:35], v[38:39]
	v_min3_f32 v47, v49, v47, v111
	v_add_f64 v[48:49], v[36:37], v[44:45]
	v_add_f64 v[111:112], v[34:35], v[42:43]
	v_cvt_f32_f64_e32 v4, v[4:5]
	v_cvt_f32_f64_e32 v48, v[48:49]
	;; [unrolled: 1-line block ×4, first 2 shown]
	v_min3_f32 v48, v111, v48, v110
	v_add_f64 v[110:111], v[32:33], v[44:45]
	v_cvt_f32_f64_e32 v110, v[110:111]
	v_add_f64 v[111:112], v[26:27], v[42:43]
	v_min3_f32 v49, v49, v110, v109
	v_add_f64 v[109:110], v[28:29], v[44:45]
	v_cvt_f32_f64_e32 v111, v[111:112]
	v_cvt_f32_f64_e32 v109, v[109:110]
	v_min3_f32 v108, v111, v109, v108
	v_add_f64 v[109:110], v[24:25], v[44:45]
	v_add_f64 v[111:112], v[22:23], v[42:43]
	v_cvt_f32_f64_e32 v109, v[109:110]
	v_cvt_f32_f64_e32 v111, v[111:112]
	v_min3_f32 v107, v111, v109, v107
	v_add_f64 v[109:110], v[20:21], v[44:45]
	;; [unrolled: 5-line block ×3, first 2 shown]
	v_add_f64 v[111:112], v[14:15], v[42:43]
	v_add_f64 v[44:45], v[12:13], v[44:45]
	;; [unrolled: 1-line block ×3, first 2 shown]
	v_cvt_f32_f64_e32 v109, v[109:110]
	v_cvt_f32_f64_e32 v111, v[111:112]
	;; [unrolled: 1-line block ×4, first 2 shown]
	v_min3_f32 v105, v111, v109, v105
	v_min3_f32 v42, v42, v43, v104
	;; [unrolled: 1-line block ×3, first 2 shown]
	v_add_f64 v[2:3], v[36:37], v[40:41]
	v_cvt_f32_f64_e32 v2, v[2:3]
	v_min3_f32 v44, v4, v2, v102
	v_add_f64 v[2:3], v[32:33], v[40:41]
	v_add_f64 v[4:5], v[30:31], v[38:39]
	v_cvt_f32_f64_e32 v2, v[2:3]
	v_cvt_f32_f64_e32 v4, v[4:5]
	v_min3_f32 v30, v4, v2, v101
	v_add_f64 v[2:3], v[28:29], v[40:41]
	v_add_f64 v[4:5], v[26:27], v[38:39]
	v_cvt_f32_f64_e32 v2, v[2:3]
	;; [unrolled: 5-line block ×6, first 2 shown]
	v_cvt_f32_f64_e32 v4, v[4:5]
	v_min3_f32 v10, v4, v2, v96
	v_add_co_u32 v2, vcc_lo, v88, v68
	v_add_co_ci_u32_e64 v3, null, v89, v69, vcc_lo
	global_load_dwordx2 v[80:81], v[2:3], off
	v_add_co_u32 v2, vcc_lo, v94, v66
	v_add_co_ci_u32_e64 v3, null, v95, v67, vcc_lo
	s_clause 0x3
	global_load_dwordx2 v[76:77], v[2:3], off
	global_load_dwordx2 v[78:79], v[2:3], off offset:512
	global_load_dwordx2 v[72:73], v[2:3], off offset:1024
	;; [unrolled: 1-line block ×3, first 2 shown]
	ds_read_b128 v[38:41], v85 offset:256
	ds_read_b128 v[98:101], v85 offset:512
	;; [unrolled: 1-line block ×14, first 2 shown]
	ds_read_b128 v[198:201], v85
	ds_read_b128 v[2:5], v85 offset:16
	ds_read_b128 v[154:157], v132
	ds_read_b128 v[34:37], v132 offset:16
	v_add_co_u32 v88, vcc_lo, v88, s8
	v_add_co_ci_u32_e64 v89, null, s9, v89, vcc_lo
	v_add_co_u32 v92, vcc_lo, v92, s14
	v_add_co_ci_u32_e64 v93, null, s15, v93, vcc_lo
	;; [unrolled: 2-line block ×3, first 2 shown]
	s_waitcnt lgkmcnt(1)
	v_add_f64 v[11:12], v[200:201], v[156:157]
	v_add_f64 v[15:16], v[198:199], v[154:155]
	v_cvt_f32_f64_e32 v11, v[11:12]
	v_cvt_f32_f64_e32 v13, v[15:16]
	v_add_f64 v[15:16], v[38:39], v[154:155]
	v_min3_f32 v97, v13, v11, v144
	v_add_f64 v[11:12], v[40:41], v[156:157]
	v_cvt_f32_f64_e32 v13, v[15:16]
	v_add_f64 v[15:16], v[98:99], v[154:155]
	v_cvt_f32_f64_e32 v11, v[11:12]
	v_min3_f32 v96, v13, v11, v145
	v_add_f64 v[11:12], v[100:101], v[156:157]
	v_cvt_f32_f64_e32 v13, v[15:16]
	v_add_f64 v[15:16], v[162:163], v[154:155]
	v_cvt_f32_f64_e32 v11, v[11:12]
	;; [unrolled: 5-line block ×7, first 2 shown]
	v_min3_f32 v160, v13, v11, v6
	v_add_f64 v[11:12], v[200:201], v[111:112]
	v_cvt_f32_f64_e32 v6, v[15:16]
	v_cvt_f32_f64_e32 v11, v[11:12]
	v_min3_f32 v159, v6, v11, v7
	v_add_f64 v[6:7], v[40:41], v[111:112]
	v_add_f64 v[11:12], v[38:39], v[109:110]
	v_cvt_f32_f64_e32 v6, v[6:7]
	v_cvt_f32_f64_e32 v11, v[11:12]
	v_min3_f32 v158, v11, v6, v8
	v_add_f64 v[6:7], v[100:101], v[111:112]
	;; [unrolled: 5-line block ×51, first 2 shown]
	v_add_f64 v[8:9], v[162:163], v[194:195]
	s_waitcnt lgkmcnt(0)
	v_add_f64 v[161:162], v[4:5], v[36:37]
	v_add_f64 v[163:164], v[2:3], v[34:35]
	v_cvt_f32_f64_e32 v6, v[6:7]
	v_cvt_f32_f64_e32 v8, v[8:9]
	;; [unrolled: 1-line block ×4, first 2 shown]
	v_min3_f32 v102, v8, v6, v26
	v_add_f64 v[6:7], v[168:169], v[196:197]
	v_add_f64 v[8:9], v[166:167], v[194:195]
	v_min3_f32 v97, v163, v161, v97
	v_cvt_f32_f64_e32 v6, v[6:7]
	v_cvt_f32_f64_e32 v8, v[8:9]
	v_min3_f32 v101, v8, v6, v22
	v_add_f64 v[6:7], v[172:173], v[196:197]
	v_add_f64 v[8:9], v[170:171], v[194:195]
	v_cvt_f32_f64_e32 v6, v[6:7]
	v_cvt_f32_f64_e32 v8, v[8:9]
	v_min3_f32 v100, v8, v6, v18
	v_add_f64 v[6:7], v[176:177], v[196:197]
	v_add_f64 v[8:9], v[174:175], v[194:195]
	;; [unrolled: 5-line block ×3, first 2 shown]
	v_cvt_f32_f64_e32 v6, v[6:7]
	v_cvt_f32_f64_e32 v8, v[8:9]
	v_min3_f32 v98, v8, v6, v10
	ds_read_b128 v[30:33], v85 offset:272
	ds_read_b128 v[26:29], v85 offset:528
	;; [unrolled: 1-line block ×14, first 2 shown]
	s_waitcnt vmcnt(4)
	ds_write_b64 v86, v[80:81]
	s_waitcnt vmcnt(2)
	ds_write2st64_b64 v87, v[76:77], v[78:79] offset1:4
	s_waitcnt vmcnt(0)
	ds_write2st64_b64 v87, v[72:73], v[74:75] offset0:8 offset1:12
	s_waitcnt lgkmcnt(0)
	s_barrier
	buffer_gl0_inv
	v_add_f64 v[161:162], v[32:33], v[36:37]
	v_add_f64 v[163:164], v[30:31], v[34:35]
	v_cvt_f32_f64_e32 v161, v[161:162]
	v_cvt_f32_f64_e32 v163, v[163:164]
	v_min3_f32 v96, v163, v161, v96
	v_add_f64 v[161:162], v[28:29], v[36:37]
	v_add_f64 v[163:164], v[26:27], v[34:35]
	v_cvt_f32_f64_e32 v161, v[161:162]
	v_cvt_f32_f64_e32 v163, v[163:164]
	v_min3_f32 v133, v163, v161, v133
	;; [unrolled: 5-line block ×5, first 2 shown]
	v_add_f64 v[161:162], v[12:13], v[36:37]
	v_add_f64 v[163:164], v[10:11], v[34:35]
	v_add_f64 v[36:37], v[8:9], v[36:37]
	v_add_f64 v[34:35], v[6:7], v[34:35]
	v_cvt_f32_f64_e32 v161, v[161:162]
	v_cvt_f32_f64_e32 v163, v[163:164]
	;; [unrolled: 1-line block ×4, first 2 shown]
	v_add_f64 v[36:37], v[2:3], v[62:63]
	v_min3_f32 v143, v163, v161, v143
	v_min3_f32 v199, v34, v35, v160
	v_add_f64 v[34:35], v[4:5], v[64:65]
	v_cvt_f32_f64_e32 v36, v[36:37]
	v_cvt_f32_f64_e32 v34, v[34:35]
	v_min3_f32 v200, v36, v34, v159
	v_add_f64 v[34:35], v[32:33], v[64:65]
	v_add_f64 v[36:37], v[30:31], v[62:63]
	v_cvt_f32_f64_e32 v34, v[34:35]
	v_cvt_f32_f64_e32 v36, v[36:37]
	v_min3_f32 v197, v36, v34, v158
	v_add_f64 v[34:35], v[28:29], v[64:65]
	v_add_f64 v[36:37], v[26:27], v[62:63]
	v_cvt_f32_f64_e32 v34, v[34:35]
	v_cvt_f32_f64_e32 v36, v[36:37]
	v_min3_f32 v198, v36, v34, v157
	v_add_f64 v[34:35], v[24:25], v[64:65]
	v_add_f64 v[36:37], v[22:23], v[62:63]
	v_cvt_f32_f64_e32 v34, v[34:35]
	v_cvt_f32_f64_e32 v36, v[36:37]
	v_min3_f32 v195, v36, v34, v156
	v_add_f64 v[34:35], v[20:21], v[64:65]
	v_add_f64 v[36:37], v[18:19], v[62:63]
	v_cvt_f32_f64_e32 v34, v[34:35]
	v_cvt_f32_f64_e32 v36, v[36:37]
	v_min3_f32 v196, v36, v34, v155
	v_add_f64 v[34:35], v[16:17], v[64:65]
	v_add_f64 v[36:37], v[14:15], v[62:63]
	v_cvt_f32_f64_e32 v34, v[34:35]
	v_cvt_f32_f64_e32 v36, v[36:37]
	v_min3_f32 v193, v36, v34, v154
	v_add_f64 v[34:35], v[12:13], v[64:65]
	v_add_f64 v[36:37], v[10:11], v[62:63]
	v_cvt_f32_f64_e32 v34, v[34:35]
	v_cvt_f32_f64_e32 v36, v[36:37]
	v_min3_f32 v194, v36, v34, v153
	v_add_f64 v[34:35], v[8:9], v[64:65]
	v_add_f64 v[36:37], v[6:7], v[62:63]
	v_cvt_f32_f64_e32 v34, v[34:35]
	v_cvt_f32_f64_e32 v36, v[36:37]
	v_min3_f32 v191, v36, v34, v152
	v_add_f64 v[34:35], v[4:5], v[60:61]
	v_add_f64 v[36:37], v[2:3], v[58:59]
	v_cvt_f32_f64_e32 v34, v[34:35]
	v_cvt_f32_f64_e32 v36, v[36:37]
	v_min3_f32 v192, v36, v34, v151
	v_add_f64 v[34:35], v[32:33], v[60:61]
	v_add_f64 v[36:37], v[30:31], v[58:59]
	v_cvt_f32_f64_e32 v34, v[34:35]
	v_cvt_f32_f64_e32 v36, v[36:37]
	v_min3_f32 v189, v36, v34, v150
	v_add_f64 v[34:35], v[28:29], v[60:61]
	v_add_f64 v[36:37], v[26:27], v[58:59]
	v_cvt_f32_f64_e32 v34, v[34:35]
	v_cvt_f32_f64_e32 v36, v[36:37]
	v_min3_f32 v190, v36, v34, v149
	v_add_f64 v[34:35], v[24:25], v[60:61]
	v_add_f64 v[36:37], v[22:23], v[58:59]
	v_cvt_f32_f64_e32 v34, v[34:35]
	v_cvt_f32_f64_e32 v36, v[36:37]
	v_min3_f32 v187, v36, v34, v148
	v_add_f64 v[34:35], v[20:21], v[60:61]
	v_add_f64 v[36:37], v[18:19], v[58:59]
	v_cvt_f32_f64_e32 v34, v[34:35]
	v_cvt_f32_f64_e32 v36, v[36:37]
	v_min3_f32 v188, v36, v34, v147
	v_add_f64 v[34:35], v[16:17], v[60:61]
	v_add_f64 v[36:37], v[14:15], v[58:59]
	v_cvt_f32_f64_e32 v34, v[34:35]
	v_cvt_f32_f64_e32 v36, v[36:37]
	v_min3_f32 v185, v36, v34, v146
	v_add_f64 v[34:35], v[12:13], v[60:61]
	v_add_f64 v[36:37], v[10:11], v[58:59]
	v_cvt_f32_f64_e32 v34, v[34:35]
	v_cvt_f32_f64_e32 v36, v[36:37]
	v_min3_f32 v186, v36, v34, v145
	v_add_f64 v[34:35], v[8:9], v[60:61]
	v_add_f64 v[36:37], v[6:7], v[58:59]
	v_cvt_f32_f64_e32 v34, v[34:35]
	v_cvt_f32_f64_e32 v36, v[36:37]
	v_min3_f32 v183, v36, v34, v144
	v_add_f64 v[34:35], v[4:5], v[56:57]
	v_add_f64 v[36:37], v[2:3], v[54:55]
	v_cvt_f32_f64_e32 v34, v[34:35]
	v_cvt_f32_f64_e32 v36, v[36:37]
	v_min3_f32 v184, v36, v34, v141
	v_add_f64 v[34:35], v[32:33], v[56:57]
	v_add_f64 v[36:37], v[30:31], v[54:55]
	v_cvt_f32_f64_e32 v34, v[34:35]
	v_cvt_f32_f64_e32 v36, v[36:37]
	v_min3_f32 v181, v36, v34, v140
	v_add_f64 v[34:35], v[28:29], v[56:57]
	v_add_f64 v[36:37], v[26:27], v[54:55]
	v_cvt_f32_f64_e32 v34, v[34:35]
	v_cvt_f32_f64_e32 v36, v[36:37]
	v_min3_f32 v182, v36, v34, v139
	v_add_f64 v[34:35], v[24:25], v[56:57]
	v_add_f64 v[36:37], v[22:23], v[54:55]
	v_cvt_f32_f64_e32 v34, v[34:35]
	v_cvt_f32_f64_e32 v36, v[36:37]
	v_min3_f32 v179, v36, v34, v138
	v_add_f64 v[34:35], v[20:21], v[56:57]
	v_add_f64 v[36:37], v[18:19], v[54:55]
	v_cvt_f32_f64_e32 v34, v[34:35]
	v_cvt_f32_f64_e32 v36, v[36:37]
	v_min3_f32 v180, v36, v34, v137
	v_add_f64 v[34:35], v[16:17], v[56:57]
	v_add_f64 v[36:37], v[14:15], v[54:55]
	v_cvt_f32_f64_e32 v34, v[34:35]
	v_cvt_f32_f64_e32 v36, v[36:37]
	v_min3_f32 v177, v36, v34, v136
	v_add_f64 v[34:35], v[12:13], v[56:57]
	v_add_f64 v[36:37], v[10:11], v[54:55]
	v_cvt_f32_f64_e32 v34, v[34:35]
	v_cvt_f32_f64_e32 v36, v[36:37]
	v_min3_f32 v178, v36, v34, v131
	v_add_f64 v[34:35], v[8:9], v[56:57]
	v_add_f64 v[36:37], v[6:7], v[54:55]
	v_cvt_f32_f64_e32 v34, v[34:35]
	v_cvt_f32_f64_e32 v36, v[36:37]
	v_min3_f32 v175, v36, v34, v130
	v_add_f64 v[34:35], v[4:5], v[52:53]
	v_add_f64 v[36:37], v[2:3], v[50:51]
	v_cvt_f32_f64_e32 v34, v[34:35]
	v_cvt_f32_f64_e32 v36, v[36:37]
	v_min3_f32 v176, v36, v34, v129
	v_add_f64 v[34:35], v[32:33], v[52:53]
	v_add_f64 v[36:37], v[30:31], v[50:51]
	v_cvt_f32_f64_e32 v34, v[34:35]
	v_cvt_f32_f64_e32 v36, v[36:37]
	v_min3_f32 v173, v36, v34, v128
	v_add_f64 v[34:35], v[28:29], v[52:53]
	v_add_f64 v[36:37], v[26:27], v[50:51]
	v_cvt_f32_f64_e32 v34, v[34:35]
	v_cvt_f32_f64_e32 v36, v[36:37]
	v_min3_f32 v174, v36, v34, v127
	v_add_f64 v[34:35], v[24:25], v[52:53]
	v_add_f64 v[36:37], v[22:23], v[50:51]
	v_cvt_f32_f64_e32 v34, v[34:35]
	v_cvt_f32_f64_e32 v36, v[36:37]
	v_min3_f32 v171, v36, v34, v126
	v_add_f64 v[34:35], v[20:21], v[52:53]
	v_add_f64 v[36:37], v[18:19], v[50:51]
	v_cvt_f32_f64_e32 v34, v[34:35]
	v_cvt_f32_f64_e32 v36, v[36:37]
	v_min3_f32 v172, v36, v34, v125
	v_add_f64 v[34:35], v[16:17], v[52:53]
	v_add_f64 v[36:37], v[14:15], v[50:51]
	v_cvt_f32_f64_e32 v34, v[34:35]
	v_cvt_f32_f64_e32 v36, v[36:37]
	v_min3_f32 v169, v36, v34, v124
	v_add_f64 v[34:35], v[12:13], v[52:53]
	v_add_f64 v[36:37], v[10:11], v[50:51]
	v_cvt_f32_f64_e32 v34, v[34:35]
	v_cvt_f32_f64_e32 v36, v[36:37]
	v_min3_f32 v170, v36, v34, v123
	v_add_f64 v[34:35], v[8:9], v[52:53]
	v_add_f64 v[36:37], v[6:7], v[50:51]
	v_cvt_f32_f64_e32 v34, v[34:35]
	v_cvt_f32_f64_e32 v36, v[36:37]
	v_min3_f32 v167, v36, v34, v122
	v_add_f64 v[34:35], v[4:5], v[48:49]
	v_add_f64 v[36:37], v[2:3], v[46:47]
	v_cvt_f32_f64_e32 v34, v[34:35]
	v_cvt_f32_f64_e32 v36, v[36:37]
	v_min3_f32 v168, v36, v34, v121
	v_add_f64 v[34:35], v[32:33], v[48:49]
	v_add_f64 v[36:37], v[30:31], v[46:47]
	v_cvt_f32_f64_e32 v34, v[34:35]
	v_cvt_f32_f64_e32 v36, v[36:37]
	v_min3_f32 v165, v36, v34, v120
	v_add_f64 v[34:35], v[28:29], v[48:49]
	v_add_f64 v[36:37], v[26:27], v[46:47]
	v_cvt_f32_f64_e32 v34, v[34:35]
	v_cvt_f32_f64_e32 v36, v[36:37]
	v_min3_f32 v166, v36, v34, v119
	v_add_f64 v[34:35], v[24:25], v[48:49]
	v_add_f64 v[36:37], v[22:23], v[46:47]
	v_cvt_f32_f64_e32 v34, v[34:35]
	v_cvt_f32_f64_e32 v36, v[36:37]
	v_min3_f32 v163, v36, v34, v118
	v_add_f64 v[34:35], v[20:21], v[48:49]
	v_add_f64 v[36:37], v[18:19], v[46:47]
	v_cvt_f32_f64_e32 v34, v[34:35]
	v_cvt_f32_f64_e32 v36, v[36:37]
	v_min3_f32 v164, v36, v34, v117
	v_add_f64 v[34:35], v[16:17], v[48:49]
	v_add_f64 v[36:37], v[14:15], v[46:47]
	v_cvt_f32_f64_e32 v34, v[34:35]
	v_cvt_f32_f64_e32 v36, v[36:37]
	v_min3_f32 v161, v36, v34, v116
	v_add_f64 v[34:35], v[12:13], v[48:49]
	v_add_f64 v[36:37], v[10:11], v[46:47]
	v_cvt_f32_f64_e32 v34, v[34:35]
	v_cvt_f32_f64_e32 v36, v[36:37]
	v_min3_f32 v162, v36, v34, v115
	v_add_f64 v[34:35], v[8:9], v[48:49]
	v_add_f64 v[36:37], v[6:7], v[46:47]
	v_cvt_f32_f64_e32 v34, v[34:35]
	v_cvt_f32_f64_e32 v36, v[36:37]
	v_min3_f32 v159, v36, v34, v114
	v_add_f64 v[34:35], v[4:5], v[44:45]
	v_add_f64 v[36:37], v[2:3], v[42:43]
	v_add_f64 v[4:5], v[4:5], v[40:41]
	;; [unrolled: 1-line block ×3, first 2 shown]
	v_cvt_f32_f64_e32 v34, v[34:35]
	v_cvt_f32_f64_e32 v36, v[36:37]
	;; [unrolled: 1-line block ×4, first 2 shown]
	v_add_f64 v[4:5], v[30:31], v[38:39]
	v_min3_f32 v160, v36, v34, v113
	v_add_f64 v[34:35], v[32:33], v[44:45]
	v_add_f64 v[36:37], v[30:31], v[42:43]
	v_min3_f32 v152, v2, v3, v105
	v_add_f64 v[2:3], v[32:33], v[40:41]
	v_cvt_f32_f64_e32 v4, v[4:5]
	v_cvt_f32_f64_e32 v34, v[34:35]
	v_cvt_f32_f64_e32 v36, v[36:37]
	v_cvt_f32_f64_e32 v2, v[2:3]
	v_min3_f32 v157, v36, v34, v112
	v_add_f64 v[34:35], v[28:29], v[44:45]
	v_add_f64 v[36:37], v[26:27], v[42:43]
	v_min3_f32 v149, v4, v2, v104
	v_add_f64 v[2:3], v[28:29], v[40:41]
	v_add_f64 v[4:5], v[26:27], v[38:39]
	v_cvt_f32_f64_e32 v34, v[34:35]
	v_cvt_f32_f64_e32 v36, v[36:37]
	v_cvt_f32_f64_e32 v2, v[2:3]
	v_cvt_f32_f64_e32 v4, v[4:5]
	v_min3_f32 v158, v36, v34, v111
	v_add_f64 v[34:35], v[24:25], v[44:45]
	v_add_f64 v[36:37], v[22:23], v[42:43]
	v_min3_f32 v150, v4, v2, v103
	v_add_f64 v[2:3], v[24:25], v[40:41]
	;; [unrolled: 10-line block ×6, first 2 shown]
	v_add_f64 v[4:5], v[6:7], v[38:39]
	v_cvt_f32_f64_e32 v34, v[34:35]
	v_cvt_f32_f64_e32 v36, v[36:37]
	;; [unrolled: 1-line block ×4, first 2 shown]
	v_min3_f32 v151, v36, v34, v106
	v_min3_f32 v144, v4, v2, v98
	s_cbranch_scc0 .LBB169_10
.LBB169_11:
	ds_read_b128 v[124:127], v132 offset:8192
	ds_read_b128 v[68:71], v82 offset:18432
	;; [unrolled: 1-line block ×4, first 2 shown]
	s_clause 0x2
	s_load_dwordx2 s[14:15], s[4:5], 0x78
	s_load_dword s8, s[4:5], 0x70
	s_load_dword s4, s[4:5], 0x58
	v_add_nc_u32_e32 v201, s6, v1
	v_add_nc_u32_e32 v138, s1, v0
	v_ashrrev_i32_e32 v139, 31, v138
	v_add_nc_u32_e32 v0, 8, v138
	v_lshlrev_b64 v[130:131], 3, v[138:139]
	v_ashrrev_i32_e32 v1, 31, v0
	s_waitcnt lgkmcnt(0)
	v_add_f64 v[2:3], v[68:69], v[124:125]
	v_add_f64 v[4:5], v[70:71], v[126:127]
	;; [unrolled: 1-line block ×4, first 2 shown]
	s_mul_i32 s1, s15, s7
	s_mul_hi_u32 s5, s14, s7
	s_mul_i32 s6, s14, s7
	s_add_i32 s7, s5, s1
	s_lshl_b64 s[6:7], s[6:7], 3
	s_add_u32 s1, s10, s6
	s_addc_u32 s5, s11, s7
	s_mov_b32 s6, -1
	v_cvt_f32_f64_e32 v10, v[2:3]
	v_cvt_f32_f64_e32 v11, v[4:5]
	;; [unrolled: 1-line block ×4, first 2 shown]
	v_mad_i64_i32 v[2:3], null, v201, s8, 0
	v_mad_i64_i32 v[4:5], null, v201, s4, 0
	v_lshlrev_b64 v[2:3], 3, v[2:3]
	v_lshlrev_b64 v[4:5], 3, v[4:5]
	v_add_co_u32 v202, vcc_lo, s1, v2
	v_add_co_ci_u32_e64 v203, null, s5, v3, vcc_lo
	v_add_co_u32 v204, vcc_lo, s12, v4
	v_min3_f32 v8, v10, v11, v97
	v_add_co_ci_u32_e64 v205, null, s13, v5, vcc_lo
	s_mov_b32 vcc_lo, s0
	v_min3_f32 v2, v6, v7, v8
	v_max_f32_e32 v2, v2, v2
	s_cbranch_vccz .LBB169_13
; %bb.12:
	v_min_f32_e32 v3, 0, v2
	v_add_co_u32 v5, vcc_lo, v202, v130
	v_add_co_ci_u32_e64 v6, null, v203, v131, vcc_lo
	v_cvt_f64_f32_e32 v[3:4], v3
	s_mov_b32 s6, 0
	global_store_dwordx2 v[5:6], v[3:4], off
.LBB169_13:
	ds_read_b128 v[60:63], v82 offset:18688
	ds_read_b128 v[52:55], v82 offset:18704
	;; [unrolled: 1-line block ×4, first 2 shown]
	v_lshlrev_b64 v[128:129], 3, v[0:1]
	v_mov_b32_e32 v8, 0
	s_andn2_b32 vcc_lo, exec_lo, s6
	s_cbranch_vccnz .LBB169_15
; %bb.14:
	v_add_co_u32 v0, vcc_lo, v204, v130
	v_add_co_ci_u32_e64 v1, null, v205, v131, vcc_lo
	global_load_dwordx2 v[0:1], v[0:1], off
	s_waitcnt vmcnt(0)
	v_mul_f64 v[0:1], s[2:3], v[0:1]
	v_cvt_f32_f64_e32 v0, v[0:1]
	v_min_f32_e32 v0, v0, v2
	v_add_co_u32 v2, vcc_lo, v202, v130
	v_add_co_ci_u32_e64 v3, null, v203, v131, vcc_lo
	v_cvt_f64_f32_e32 v[0:1], v0
	v_add_co_u32 v4, vcc_lo, v204, v128
	v_add_co_ci_u32_e64 v5, null, v205, v129, vcc_lo
	global_store_dwordx2 v[2:3], v[0:1], off
	global_load_dwordx2 v[0:1], v[4:5], off
	s_waitcnt vmcnt(0)
	v_mul_f64 v[0:1], s[2:3], v[0:1]
	v_cvt_f32_f64_e32 v8, v[0:1]
.LBB169_15:
	s_waitcnt lgkmcnt(3)
	v_add_f64 v[0:1], v[60:61], v[124:125]
	v_add_f64 v[2:3], v[62:63], v[126:127]
	s_waitcnt lgkmcnt(2)
	v_add_f64 v[4:5], v[52:53], v[120:121]
	v_add_f64 v[6:7], v[54:55], v[122:123]
	;; [unrolled: 3-line block ×4, first 2 shown]
	v_add_nc_u32_e32 v136, 16, v138
	v_add_co_u32 v208, vcc_lo, v202, v128
	v_add_co_ci_u32_e64 v209, null, v203, v129, vcc_lo
	s_mov_b32 s6, -1
	s_mov_b32 vcc_lo, s0
	v_cvt_f32_f64_e32 v15, v[0:1]
	v_cvt_f32_f64_e32 v74, v[2:3]
	;; [unrolled: 1-line block ×8, first 2 shown]
	ds_read_b128 v[56:59], v82 offset:19200
	ds_read_b128 v[44:47], v82 offset:19216
	;; [unrolled: 1-line block ×14, first 2 shown]
	v_min3_f32 v9, v15, v74, v96
	ds_read_b128 v[100:103], v132 offset:11264
	ds_read_b128 v[96:99], v132 offset:11280
	;; [unrolled: 1-line block ×4, first 2 shown]
	v_min_f32_e32 v10, v75, v76
	v_min3_f32 v133, v137, v139, v133
	v_ashrrev_i32_e32 v137, 31, v136
	v_min3_f32 v8, v8, v10, v9
	v_min3_f32 v139, v140, v141, v133
	v_lshlrev_b64 v[136:137], 3, v[136:137]
	v_cvt_f64_f32_e32 v[206:207], v8
	ds_read_b128 v[84:87], v132 offset:13312
	ds_read_b128 v[80:83], v132 offset:13328
	;; [unrolled: 1-line block ×6, first 2 shown]
	v_add_nc_u32_e32 v132, 24, v138
	v_max_f32_e32 v140, v139, v139
	v_ashrrev_i32_e32 v133, 31, v132
	global_store_dwordx2 v[208:209], v[206:207], off
	s_cbranch_vccz .LBB169_17
; %bb.16:
	v_min_f32_e32 v139, 0, v140
	v_add_co_u32 v208, vcc_lo, v202, v136
	v_add_co_ci_u32_e64 v209, null, v203, v137, vcc_lo
	v_cvt_f64_f32_e32 v[206:207], v139
	s_mov_b32 s6, 0
	global_store_dwordx2 v[208:209], v[206:207], off
.LBB169_17:
	v_lshlrev_b64 v[132:133], 3, v[132:133]
	v_mov_b32_e32 v139, 0
	s_andn2_b32 vcc_lo, exec_lo, s6
	s_cbranch_vccnz .LBB169_19
; %bb.18:
	v_add_co_u32 v206, vcc_lo, v204, v136
	v_add_co_ci_u32_e64 v207, null, v205, v137, vcc_lo
	global_load_dwordx2 v[206:207], v[206:207], off
	s_waitcnt vmcnt(0)
	v_mul_f64 v[206:207], s[2:3], v[206:207]
	v_cvt_f32_f64_e32 v139, v[206:207]
	v_add_co_u32 v206, vcc_lo, v202, v136
	v_add_co_ci_u32_e64 v207, null, v203, v137, vcc_lo
	v_add_co_u32 v208, vcc_lo, v204, v132
	v_add_co_ci_u32_e64 v209, null, v205, v133, vcc_lo
	v_min_f32_e32 v139, v139, v140
	v_cvt_f64_f32_e32 v[139:140], v139
	global_store_dwordx2 v[206:207], v[139:140], off
	global_load_dwordx2 v[139:140], v[208:209], off
	s_waitcnt vmcnt(0)
	v_mul_f64 v[139:140], s[2:3], v[139:140]
	v_cvt_f32_f64_e32 v139, v[139:140]
.LBB169_19:
	s_waitcnt lgkmcnt(23)
	v_add_f64 v[140:141], v[56:57], v[124:125]
	v_add_f64 v[206:207], v[58:59], v[126:127]
	s_waitcnt lgkmcnt(22)
	v_add_f64 v[208:209], v[44:45], v[120:121]
	v_add_f64 v[210:211], v[46:47], v[122:123]
	;; [unrolled: 3-line block ×3, first 2 shown]
	s_waitcnt lgkmcnt(20)
	v_add_f64 v[216:217], v[32:33], v[120:121]
	s_mov_b32 s6, -1
	v_cvt_f32_f64_e32 v218, v[140:141]
	v_cvt_f32_f64_e32 v206, v[206:207]
	;; [unrolled: 1-line block ×4, first 2 shown]
	v_add_f64 v[140:141], v[34:35], v[122:123]
	v_cvt_f32_f64_e32 v209, v[214:215]
	v_cvt_f32_f64_e32 v210, v[212:213]
	;; [unrolled: 1-line block ×3, first 2 shown]
	v_min3_f32 v134, v218, v206, v134
	v_min_f32_e32 v206, v207, v208
	v_cvt_f32_f64_e32 v141, v[140:141]
	v_min3_f32 v135, v209, v210, v135
	v_add_co_u32 v209, vcc_lo, v202, v132
	v_min3_f32 v134, v139, v206, v134
	v_add_nc_u32_e32 v139, 32, v138
	v_add_co_ci_u32_e64 v210, null, v203, v133, vcc_lo
	s_mov_b32 vcc_lo, s0
	v_cvt_f64_f32_e32 v[207:208], v134
	v_ashrrev_i32_e32 v140, 31, v139
	v_add_nc_u32_e32 v134, 40, v138
	v_min3_f32 v206, v211, v141, v135
	v_lshlrev_b64 v[140:141], 3, v[139:140]
	v_ashrrev_i32_e32 v135, 31, v134
	v_max_f32_e32 v206, v206, v206
	global_store_dwordx2 v[209:210], v[207:208], off
	s_cbranch_vccz .LBB169_21
; %bb.20:
	v_min_f32_e32 v139, 0, v206
	v_add_co_u32 v209, vcc_lo, v202, v140
	v_add_co_ci_u32_e64 v210, null, v203, v141, vcc_lo
	v_cvt_f64_f32_e32 v[207:208], v139
	s_mov_b32 s6, 0
	global_store_dwordx2 v[209:210], v[207:208], off
.LBB169_21:
	v_lshlrev_b64 v[134:135], 3, v[134:135]
	v_mov_b32_e32 v139, 0
	s_andn2_b32 vcc_lo, exec_lo, s6
	s_cbranch_vccnz .LBB169_23
; %bb.22:
	v_add_co_u32 v207, vcc_lo, v204, v140
	v_add_co_ci_u32_e64 v208, null, v205, v141, vcc_lo
	global_load_dwordx2 v[207:208], v[207:208], off
	s_waitcnt vmcnt(0)
	v_mul_f64 v[207:208], s[2:3], v[207:208]
	v_cvt_f32_f64_e32 v139, v[207:208]
	v_add_co_u32 v208, vcc_lo, v202, v140
	v_add_co_ci_u32_e64 v209, null, v203, v141, vcc_lo
	v_add_co_u32 v210, vcc_lo, v204, v134
	v_add_co_ci_u32_e64 v211, null, v205, v135, vcc_lo
	v_min_f32_e32 v139, v139, v206
	v_cvt_f64_f32_e32 v[206:207], v139
	global_store_dwordx2 v[208:209], v[206:207], off
	global_load_dwordx2 v[206:207], v[210:211], off
	s_waitcnt vmcnt(0)
	v_mul_f64 v[206:207], s[2:3], v[206:207]
	v_cvt_f32_f64_e32 v139, v[206:207]
.LBB169_23:
	s_waitcnt lgkmcnt(19)
	v_add_f64 v[206:207], v[28:29], v[124:125]
	v_add_f64 v[208:209], v[30:31], v[126:127]
	s_waitcnt lgkmcnt(18)
	v_add_f64 v[210:211], v[24:25], v[120:121]
	v_add_f64 v[212:213], v[26:27], v[122:123]
	;; [unrolled: 3-line block ×3, first 2 shown]
	s_waitcnt lgkmcnt(16)
	v_add_f64 v[218:219], v[16:17], v[120:121]
	s_mov_b32 s6, -1
	v_cvt_f32_f64_e32 v220, v[206:207]
	v_cvt_f32_f64_e32 v208, v[208:209]
	;; [unrolled: 1-line block ×4, first 2 shown]
	v_add_f64 v[206:207], v[18:19], v[122:123]
	v_cvt_f32_f64_e32 v211, v[216:217]
	v_cvt_f32_f64_e32 v212, v[214:215]
	;; [unrolled: 1-line block ×3, first 2 shown]
	v_min3_f32 v142, v220, v208, v142
	v_min_f32_e32 v208, v209, v210
	v_cvt_f32_f64_e32 v206, v[206:207]
	v_add_co_u32 v210, vcc_lo, v202, v134
	v_min3_f32 v139, v139, v208, v142
	v_add_nc_u32_e32 v142, 48, v138
	v_add_nc_u32_e32 v138, 56, v138
	v_cvt_f64_f32_e32 v[208:209], v139
	v_min3_f32 v139, v211, v212, v143
	v_ashrrev_i32_e32 v143, 31, v142
	v_add_co_ci_u32_e64 v211, null, v203, v135, vcc_lo
	s_mov_b32 vcc_lo, s0
	v_lshlrev_b64 v[142:143], 3, v[142:143]
	v_min3_f32 v206, v213, v206, v139
	v_ashrrev_i32_e32 v139, 31, v138
	v_max_f32_e32 v207, v206, v206
	global_store_dwordx2 v[210:211], v[208:209], off
	s_cbranch_vccz .LBB169_25
; %bb.24:
	v_min_f32_e32 v206, 0, v207
	v_add_co_u32 v210, vcc_lo, v202, v142
	v_add_co_ci_u32_e64 v211, null, v203, v143, vcc_lo
	v_cvt_f64_f32_e32 v[208:209], v206
	s_mov_b32 s6, 0
	global_store_dwordx2 v[210:211], v[208:209], off
.LBB169_25:
	v_lshlrev_b64 v[138:139], 3, v[138:139]
	v_mov_b32_e32 v206, 0
	s_andn2_b32 vcc_lo, exec_lo, s6
	s_cbranch_vccnz .LBB169_27
; %bb.26:
	v_add_co_u32 v208, vcc_lo, v204, v142
	v_add_co_ci_u32_e64 v209, null, v205, v143, vcc_lo
	global_load_dwordx2 v[208:209], v[208:209], off
	s_waitcnt vmcnt(0)
	v_mul_f64 v[208:209], s[2:3], v[208:209]
	v_cvt_f32_f64_e32 v206, v[208:209]
	v_add_co_u32 v208, vcc_lo, v202, v142
	v_add_co_ci_u32_e64 v209, null, v203, v143, vcc_lo
	v_add_co_u32 v204, vcc_lo, v204, v138
	v_add_co_ci_u32_e64 v205, null, v205, v139, vcc_lo
	v_min_f32_e32 v206, v206, v207
	v_cvt_f64_f32_e32 v[206:207], v206
	global_store_dwordx2 v[208:209], v[206:207], off
	global_load_dwordx2 v[204:205], v[204:205], off
	s_waitcnt vmcnt(0)
	v_mul_f64 v[204:205], s[2:3], v[204:205]
	v_cvt_f32_f64_e32 v206, v[204:205]
.LBB169_27:
	s_waitcnt lgkmcnt(15)
	v_add_f64 v[124:125], v[0:1], v[124:125]
	v_add_f64 v[126:127], v[2:3], v[126:127]
	s_waitcnt lgkmcnt(14)
	v_add_f64 v[120:121], v[4:5], v[120:121]
	v_add_f64 v[122:123], v[6:7], v[122:123]
	;; [unrolled: 3-line block ×3, first 2 shown]
	v_add_co_u32 v202, vcc_lo, v202, v138
	v_add_co_ci_u32_e64 v203, null, v203, v139, vcc_lo
	s_mov_b32 s6, -1
	v_cvt_f32_f64_e32 v124, v[124:125]
	v_cvt_f32_f64_e32 v125, v[126:127]
	;; [unrolled: 1-line block ×4, first 2 shown]
	s_waitcnt lgkmcnt(12)
	v_add_f64 v[120:121], v[64:65], v[112:113]
	v_add_f64 v[122:123], v[66:67], v[114:115]
	v_cvt_f32_f64_e32 v207, v[207:208]
	v_cvt_f32_f64_e32 v204, v[204:205]
	v_min3_f32 v124, v124, v125, v199
	v_add_nc_u32_e32 v199, 32, v201
	v_min_f32_e32 v125, v126, v127
	v_cvt_f32_f64_e32 v205, v[120:121]
	v_cvt_f32_f64_e32 v208, v[122:123]
	v_mad_i64_i32 v[120:121], null, v199, s8, 0
	v_min3_f32 v122, v206, v125, v124
	v_min3_f32 v124, v207, v204, v200
	v_cvt_f64_f32_e32 v[126:127], v122
	v_mad_i64_i32 v[122:123], null, v199, s4, 0
	v_lshlrev_b64 v[120:121], 3, v[120:121]
	v_lshlrev_b64 v[122:123], 3, v[122:123]
	v_add_co_u32 v120, vcc_lo, s1, v120
	v_add_co_ci_u32_e64 v121, null, s5, v121, vcc_lo
	v_min3_f32 v124, v205, v208, v124
	v_add_co_u32 v122, vcc_lo, s12, v122
	v_add_co_ci_u32_e64 v123, null, s13, v123, vcc_lo
	v_max_f32_e32 v125, v124, v124
	s_mov_b32 vcc_lo, s0
	global_store_dwordx2 v[202:203], v[126:127], off
	s_cbranch_vccz .LBB169_29
; %bb.28:
	v_min_f32_e32 v124, 0, v125
	v_add_co_u32 v199, vcc_lo, v120, v130
	v_add_co_ci_u32_e64 v200, null, v121, v131, vcc_lo
	v_cvt_f64_f32_e32 v[126:127], v124
	s_mov_b32 s6, 0
	global_store_dwordx2 v[199:200], v[126:127], off
.LBB169_29:
	v_mov_b32_e32 v124, 0
	s_andn2_b32 vcc_lo, exec_lo, s6
	s_cbranch_vccnz .LBB169_31
; %bb.30:
	v_add_co_u32 v126, vcc_lo, v122, v130
	v_add_co_ci_u32_e64 v127, null, v123, v131, vcc_lo
	global_load_dwordx2 v[126:127], v[126:127], off
	s_waitcnt vmcnt(0)
	v_mul_f64 v[126:127], s[2:3], v[126:127]
	v_cvt_f32_f64_e32 v124, v[126:127]
	v_add_co_u32 v126, vcc_lo, v120, v130
	v_add_co_ci_u32_e64 v127, null, v121, v131, vcc_lo
	v_add_co_u32 v199, vcc_lo, v122, v128
	v_add_co_ci_u32_e64 v200, null, v123, v129, vcc_lo
	v_min_f32_e32 v124, v124, v125
	v_cvt_f64_f32_e32 v[124:125], v124
	global_store_dwordx2 v[126:127], v[124:125], off
	global_load_dwordx2 v[124:125], v[199:200], off
	s_waitcnt vmcnt(0)
	v_mul_f64 v[124:125], s[2:3], v[124:125]
	v_cvt_f32_f64_e32 v124, v[124:125]
.LBB169_31:
	v_add_f64 v[125:126], v[60:61], v[116:117]
	v_add_f64 v[199:200], v[62:63], v[118:119]
	v_add_f64 v[202:203], v[52:53], v[112:113]
	v_add_f64 v[204:205], v[54:55], v[114:115]
	v_add_f64 v[206:207], v[50:51], v[118:119]
	v_add_f64 v[208:209], v[48:49], v[116:117]
	v_add_f64 v[210:211], v[36:37], v[112:113]
	s_mov_b32 s6, -1
	v_cvt_f32_f64_e32 v127, v[125:126]
	v_cvt_f32_f64_e32 v199, v[199:200]
	v_cvt_f32_f64_e32 v200, v[202:203]
	v_cvt_f32_f64_e32 v202, v[204:205]
	v_add_f64 v[125:126], v[38:39], v[114:115]
	v_cvt_f32_f64_e32 v203, v[208:209]
	v_cvt_f32_f64_e32 v204, v[206:207]
	v_cvt_f32_f64_e32 v205, v[210:211]
	v_min3_f32 v127, v127, v199, v197
	v_min_f32_e32 v197, v200, v202
	v_cvt_f32_f64_e32 v125, v[125:126]
	v_min3_f32 v124, v124, v197, v127
	v_add_co_u32 v197, vcc_lo, v120, v128
	v_cvt_f64_f32_e32 v[126:127], v124
	v_min3_f32 v124, v203, v204, v198
	v_add_co_ci_u32_e64 v198, null, v121, v129, vcc_lo
	s_mov_b32 vcc_lo, s0
	v_min3_f32 v124, v205, v125, v124
	v_max_f32_e32 v125, v124, v124
	global_store_dwordx2 v[197:198], v[126:127], off
	s_cbranch_vccz .LBB169_33
; %bb.32:
	v_min_f32_e32 v124, 0, v125
	v_add_co_u32 v197, vcc_lo, v120, v136
	v_add_co_ci_u32_e64 v198, null, v121, v137, vcc_lo
	v_cvt_f64_f32_e32 v[126:127], v124
	s_mov_b32 s6, 0
	global_store_dwordx2 v[197:198], v[126:127], off
.LBB169_33:
	v_mov_b32_e32 v124, 0
	s_andn2_b32 vcc_lo, exec_lo, s6
	s_cbranch_vccnz .LBB169_35
; %bb.34:
	v_add_co_u32 v126, vcc_lo, v122, v136
	v_add_co_ci_u32_e64 v127, null, v123, v137, vcc_lo
	global_load_dwordx2 v[126:127], v[126:127], off
	s_waitcnt vmcnt(0)
	v_mul_f64 v[126:127], s[2:3], v[126:127]
	v_cvt_f32_f64_e32 v124, v[126:127]
	v_add_co_u32 v126, vcc_lo, v120, v136
	v_add_co_ci_u32_e64 v127, null, v121, v137, vcc_lo
	v_add_co_u32 v197, vcc_lo, v122, v132
	v_add_co_ci_u32_e64 v198, null, v123, v133, vcc_lo
	v_min_f32_e32 v124, v124, v125
	v_cvt_f64_f32_e32 v[124:125], v124
	global_store_dwordx2 v[126:127], v[124:125], off
	global_load_dwordx2 v[124:125], v[197:198], off
	s_waitcnt vmcnt(0)
	v_mul_f64 v[124:125], s[2:3], v[124:125]
	v_cvt_f32_f64_e32 v124, v[124:125]
.LBB169_35:
	v_add_f64 v[125:126], v[56:57], v[116:117]
	v_add_f64 v[197:198], v[58:59], v[118:119]
	v_add_f64 v[199:200], v[44:45], v[112:113]
	v_add_f64 v[202:203], v[46:47], v[114:115]
	v_add_f64 v[204:205], v[42:43], v[118:119]
	v_add_f64 v[206:207], v[40:41], v[116:117]
	v_add_f64 v[208:209], v[32:33], v[112:113]
	s_mov_b32 s6, -1
	v_cvt_f32_f64_e32 v127, v[125:126]
	v_cvt_f32_f64_e32 v197, v[197:198]
	v_cvt_f32_f64_e32 v198, v[199:200]
	v_cvt_f32_f64_e32 v199, v[202:203]
	v_add_f64 v[125:126], v[34:35], v[114:115]
	v_cvt_f32_f64_e32 v200, v[206:207]
	v_cvt_f32_f64_e32 v202, v[204:205]
	v_cvt_f32_f64_e32 v203, v[208:209]
	v_min3_f32 v127, v127, v197, v195
	v_min_f32_e32 v195, v198, v199
	v_cvt_f32_f64_e32 v125, v[125:126]
	v_min3_f32 v124, v124, v195, v127
	v_add_co_u32 v195, vcc_lo, v120, v132
	v_cvt_f64_f32_e32 v[126:127], v124
	v_min3_f32 v124, v200, v202, v196
	v_add_co_ci_u32_e64 v196, null, v121, v133, vcc_lo
	s_mov_b32 vcc_lo, s0
	v_min3_f32 v124, v203, v125, v124
	v_max_f32_e32 v125, v124, v124
	;; [unrolled: 59-line block ×3, first 2 shown]
	global_store_dwordx2 v[193:194], v[126:127], off
	s_cbranch_vccz .LBB169_41
; %bb.40:
	v_min_f32_e32 v124, 0, v125
	v_add_co_u32 v193, vcc_lo, v120, v142
	v_add_co_ci_u32_e64 v194, null, v121, v143, vcc_lo
	v_cvt_f64_f32_e32 v[126:127], v124
	s_mov_b32 s6, 0
	global_store_dwordx2 v[193:194], v[126:127], off
.LBB169_41:
	v_mov_b32_e32 v124, 0
	s_andn2_b32 vcc_lo, exec_lo, s6
	s_cbranch_vccnz .LBB169_43
; %bb.42:
	v_add_co_u32 v126, vcc_lo, v122, v142
	v_add_co_ci_u32_e64 v127, null, v123, v143, vcc_lo
	global_load_dwordx2 v[126:127], v[126:127], off
	s_waitcnt vmcnt(0)
	v_mul_f64 v[126:127], s[2:3], v[126:127]
	v_cvt_f32_f64_e32 v124, v[126:127]
	v_add_co_u32 v126, vcc_lo, v120, v142
	v_add_co_ci_u32_e64 v127, null, v121, v143, vcc_lo
	v_add_co_u32 v122, vcc_lo, v122, v138
	v_add_co_ci_u32_e64 v123, null, v123, v139, vcc_lo
	v_min_f32_e32 v124, v124, v125
	v_cvt_f64_f32_e32 v[124:125], v124
	global_store_dwordx2 v[126:127], v[124:125], off
	global_load_dwordx2 v[122:123], v[122:123], off
	s_waitcnt vmcnt(0)
	v_mul_f64 v[122:123], s[2:3], v[122:123]
	v_cvt_f32_f64_e32 v124, v[122:123]
.LBB169_43:
	v_add_f64 v[116:117], v[0:1], v[116:117]
	v_add_f64 v[118:119], v[2:3], v[118:119]
	;; [unrolled: 1-line block ×4, first 2 shown]
	s_waitcnt lgkmcnt(11)
	v_add_f64 v[122:123], v[70:71], v[110:111]
	v_add_f64 v[125:126], v[68:69], v[108:109]
	v_add_co_u32 v120, vcc_lo, v120, v138
	v_add_co_ci_u32_e64 v121, null, v121, v139, vcc_lo
	s_mov_b32 s6, -1
	v_cvt_f32_f64_e32 v116, v[116:117]
	v_cvt_f32_f64_e32 v117, v[118:119]
	;; [unrolled: 1-line block ×4, first 2 shown]
	s_waitcnt lgkmcnt(10)
	v_add_f64 v[112:113], v[64:65], v[104:105]
	v_add_f64 v[114:115], v[66:67], v[106:107]
	v_cvt_f32_f64_e32 v125, v[125:126]
	v_cvt_f32_f64_e32 v122, v[122:123]
	v_add_nc_u32_e32 v123, 64, v201
	v_min3_f32 v116, v116, v117, v191
	v_min_f32_e32 v117, v118, v119
	v_cvt_f32_f64_e32 v126, v[112:113]
	v_cvt_f32_f64_e32 v127, v[114:115]
	v_mad_i64_i32 v[112:113], null, v123, s8, 0
	v_min3_f32 v114, v124, v117, v116
	v_min3_f32 v116, v125, v122, v192
	v_cvt_f64_f32_e32 v[118:119], v114
	v_mad_i64_i32 v[114:115], null, v123, s4, 0
	v_lshlrev_b64 v[112:113], 3, v[112:113]
	v_add_co_u32 v112, vcc_lo, s1, v112
	v_lshlrev_b64 v[114:115], 3, v[114:115]
	v_add_co_ci_u32_e64 v113, null, s5, v113, vcc_lo
	v_min3_f32 v116, v126, v127, v116
	v_add_co_u32 v114, vcc_lo, s12, v114
	v_add_co_ci_u32_e64 v115, null, s13, v115, vcc_lo
	v_max_f32_e32 v117, v116, v116
	s_mov_b32 vcc_lo, s0
	global_store_dwordx2 v[120:121], v[118:119], off
	s_cbranch_vccz .LBB169_45
; %bb.44:
	v_min_f32_e32 v116, 0, v117
	v_add_co_u32 v120, vcc_lo, v112, v130
	v_add_co_ci_u32_e64 v121, null, v113, v131, vcc_lo
	v_cvt_f64_f32_e32 v[118:119], v116
	s_mov_b32 s6, 0
	global_store_dwordx2 v[120:121], v[118:119], off
.LBB169_45:
	v_mov_b32_e32 v116, 0
	s_andn2_b32 vcc_lo, exec_lo, s6
	s_cbranch_vccnz .LBB169_47
; %bb.46:
	v_add_co_u32 v118, vcc_lo, v114, v130
	v_add_co_ci_u32_e64 v119, null, v115, v131, vcc_lo
	global_load_dwordx2 v[118:119], v[118:119], off
	s_waitcnt vmcnt(0)
	v_mul_f64 v[118:119], s[2:3], v[118:119]
	v_cvt_f32_f64_e32 v116, v[118:119]
	v_add_co_u32 v118, vcc_lo, v112, v130
	v_add_co_ci_u32_e64 v119, null, v113, v131, vcc_lo
	v_add_co_u32 v120, vcc_lo, v114, v128
	v_add_co_ci_u32_e64 v121, null, v115, v129, vcc_lo
	v_min_f32_e32 v116, v116, v117
	v_cvt_f64_f32_e32 v[116:117], v116
	global_store_dwordx2 v[118:119], v[116:117], off
	global_load_dwordx2 v[116:117], v[120:121], off
	s_waitcnt vmcnt(0)
	v_mul_f64 v[116:117], s[2:3], v[116:117]
	v_cvt_f32_f64_e32 v116, v[116:117]
.LBB169_47:
	v_add_f64 v[117:118], v[60:61], v[108:109]
	v_add_f64 v[119:120], v[62:63], v[110:111]
	v_add_f64 v[121:122], v[52:53], v[104:105]
	v_add_f64 v[123:124], v[54:55], v[106:107]
	v_add_f64 v[125:126], v[50:51], v[110:111]
	v_add_f64 v[191:192], v[48:49], v[108:109]
	v_add_f64 v[193:194], v[36:37], v[104:105]
	s_mov_b32 s6, -1
	v_cvt_f32_f64_e32 v127, v[117:118]
	v_cvt_f32_f64_e32 v119, v[119:120]
	v_cvt_f32_f64_e32 v120, v[121:122]
	v_cvt_f32_f64_e32 v121, v[123:124]
	v_add_f64 v[117:118], v[38:39], v[106:107]
	v_cvt_f32_f64_e32 v122, v[191:192]
	v_cvt_f32_f64_e32 v123, v[125:126]
	v_cvt_f32_f64_e32 v124, v[193:194]
	v_min3_f32 v119, v127, v119, v189
	v_min_f32_e32 v120, v120, v121
	v_cvt_f32_f64_e32 v117, v[117:118]
	v_min3_f32 v116, v116, v120, v119
	v_add_co_u32 v120, vcc_lo, v112, v128
	v_add_co_ci_u32_e64 v121, null, v113, v129, vcc_lo
	v_cvt_f64_f32_e32 v[118:119], v116
	v_min3_f32 v116, v122, v123, v190
	s_mov_b32 vcc_lo, s0
	v_min3_f32 v116, v124, v117, v116
	v_max_f32_e32 v117, v116, v116
	global_store_dwordx2 v[120:121], v[118:119], off
	s_cbranch_vccz .LBB169_49
; %bb.48:
	v_min_f32_e32 v116, 0, v117
	v_add_co_u32 v120, vcc_lo, v112, v136
	v_add_co_ci_u32_e64 v121, null, v113, v137, vcc_lo
	v_cvt_f64_f32_e32 v[118:119], v116
	s_mov_b32 s6, 0
	global_store_dwordx2 v[120:121], v[118:119], off
.LBB169_49:
	v_mov_b32_e32 v116, 0
	s_andn2_b32 vcc_lo, exec_lo, s6
	s_cbranch_vccnz .LBB169_51
; %bb.50:
	v_add_co_u32 v118, vcc_lo, v114, v136
	v_add_co_ci_u32_e64 v119, null, v115, v137, vcc_lo
	global_load_dwordx2 v[118:119], v[118:119], off
	s_waitcnt vmcnt(0)
	v_mul_f64 v[118:119], s[2:3], v[118:119]
	v_cvt_f32_f64_e32 v116, v[118:119]
	v_add_co_u32 v118, vcc_lo, v112, v136
	v_add_co_ci_u32_e64 v119, null, v113, v137, vcc_lo
	v_add_co_u32 v120, vcc_lo, v114, v132
	v_add_co_ci_u32_e64 v121, null, v115, v133, vcc_lo
	v_min_f32_e32 v116, v116, v117
	v_cvt_f64_f32_e32 v[116:117], v116
	global_store_dwordx2 v[118:119], v[116:117], off
	global_load_dwordx2 v[116:117], v[120:121], off
	s_waitcnt vmcnt(0)
	v_mul_f64 v[116:117], s[2:3], v[116:117]
	v_cvt_f32_f64_e32 v116, v[116:117]
.LBB169_51:
	v_add_f64 v[117:118], v[56:57], v[108:109]
	v_add_f64 v[119:120], v[58:59], v[110:111]
	v_add_f64 v[121:122], v[44:45], v[104:105]
	v_add_f64 v[123:124], v[46:47], v[106:107]
	v_add_f64 v[125:126], v[42:43], v[110:111]
	v_add_f64 v[189:190], v[40:41], v[108:109]
	v_add_f64 v[191:192], v[32:33], v[104:105]
	s_mov_b32 s6, -1
	v_cvt_f32_f64_e32 v127, v[117:118]
	v_cvt_f32_f64_e32 v119, v[119:120]
	v_cvt_f32_f64_e32 v120, v[121:122]
	v_cvt_f32_f64_e32 v121, v[123:124]
	v_add_f64 v[117:118], v[34:35], v[106:107]
	v_cvt_f32_f64_e32 v122, v[189:190]
	v_cvt_f32_f64_e32 v123, v[125:126]
	v_cvt_f32_f64_e32 v124, v[191:192]
	v_min3_f32 v119, v127, v119, v187
	v_min_f32_e32 v120, v120, v121
	v_cvt_f32_f64_e32 v117, v[117:118]
	v_min3_f32 v116, v116, v120, v119
	v_add_co_u32 v120, vcc_lo, v112, v132
	v_add_co_ci_u32_e64 v121, null, v113, v133, vcc_lo
	v_cvt_f64_f32_e32 v[118:119], v116
	v_min3_f32 v116, v122, v123, v188
	s_mov_b32 vcc_lo, s0
	v_min3_f32 v116, v124, v117, v116
	v_max_f32_e32 v117, v116, v116
	;; [unrolled: 59-line block ×3, first 2 shown]
	global_store_dwordx2 v[120:121], v[118:119], off
	s_cbranch_vccz .LBB169_57
; %bb.56:
	v_min_f32_e32 v116, 0, v117
	v_add_co_u32 v120, vcc_lo, v112, v142
	v_add_co_ci_u32_e64 v121, null, v113, v143, vcc_lo
	v_cvt_f64_f32_e32 v[118:119], v116
	s_mov_b32 s6, 0
	global_store_dwordx2 v[120:121], v[118:119], off
.LBB169_57:
	v_mov_b32_e32 v116, 0
	s_andn2_b32 vcc_lo, exec_lo, s6
	s_cbranch_vccnz .LBB169_59
; %bb.58:
	v_add_co_u32 v118, vcc_lo, v114, v142
	v_add_co_ci_u32_e64 v119, null, v115, v143, vcc_lo
	global_load_dwordx2 v[118:119], v[118:119], off
	s_waitcnt vmcnt(0)
	v_mul_f64 v[118:119], s[2:3], v[118:119]
	v_cvt_f32_f64_e32 v116, v[118:119]
	v_add_co_u32 v118, vcc_lo, v112, v142
	v_add_co_ci_u32_e64 v119, null, v113, v143, vcc_lo
	v_add_co_u32 v114, vcc_lo, v114, v138
	v_add_co_ci_u32_e64 v115, null, v115, v139, vcc_lo
	v_min_f32_e32 v116, v116, v117
	v_cvt_f64_f32_e32 v[116:117], v116
	global_store_dwordx2 v[118:119], v[116:117], off
	global_load_dwordx2 v[114:115], v[114:115], off
	s_waitcnt vmcnt(0)
	v_mul_f64 v[114:115], s[2:3], v[114:115]
	v_cvt_f32_f64_e32 v116, v[114:115]
.LBB169_59:
	v_add_f64 v[108:109], v[0:1], v[108:109]
	v_add_f64 v[110:111], v[2:3], v[110:111]
	;; [unrolled: 1-line block ×4, first 2 shown]
	s_waitcnt lgkmcnt(9)
	v_add_f64 v[114:115], v[70:71], v[102:103]
	v_add_f64 v[117:118], v[68:69], v[100:101]
	v_add_co_u32 v112, vcc_lo, v112, v138
	v_add_co_ci_u32_e64 v113, null, v113, v139, vcc_lo
	s_mov_b32 s6, -1
	v_cvt_f32_f64_e32 v108, v[108:109]
	v_cvt_f32_f64_e32 v109, v[110:111]
	;; [unrolled: 1-line block ×4, first 2 shown]
	s_waitcnt lgkmcnt(8)
	v_add_f64 v[104:105], v[64:65], v[96:97]
	v_add_f64 v[106:107], v[66:67], v[98:99]
	v_cvt_f32_f64_e32 v117, v[117:118]
	v_cvt_f32_f64_e32 v114, v[114:115]
	v_add_nc_u32_e32 v115, 0x60, v201
	v_min3_f32 v108, v108, v109, v183
	v_min_f32_e32 v109, v110, v111
	v_cvt_f32_f64_e32 v118, v[104:105]
	v_cvt_f32_f64_e32 v119, v[106:107]
	v_mad_i64_i32 v[104:105], null, v115, s8, 0
	v_min3_f32 v106, v116, v109, v108
	v_min3_f32 v108, v117, v114, v184
	v_cvt_f64_f32_e32 v[110:111], v106
	v_mad_i64_i32 v[106:107], null, v115, s4, 0
	v_lshlrev_b64 v[104:105], 3, v[104:105]
	v_add_co_u32 v104, vcc_lo, s1, v104
	v_lshlrev_b64 v[106:107], 3, v[106:107]
	v_add_co_ci_u32_e64 v105, null, s5, v105, vcc_lo
	v_min3_f32 v108, v118, v119, v108
	v_add_co_u32 v106, vcc_lo, s12, v106
	v_add_co_ci_u32_e64 v107, null, s13, v107, vcc_lo
	v_max_f32_e32 v109, v108, v108
	s_mov_b32 vcc_lo, s0
	global_store_dwordx2 v[112:113], v[110:111], off
	s_cbranch_vccz .LBB169_61
; %bb.60:
	v_min_f32_e32 v108, 0, v109
	v_add_co_u32 v112, vcc_lo, v104, v130
	v_add_co_ci_u32_e64 v113, null, v105, v131, vcc_lo
	v_cvt_f64_f32_e32 v[110:111], v108
	s_mov_b32 s6, 0
	global_store_dwordx2 v[112:113], v[110:111], off
.LBB169_61:
	v_mov_b32_e32 v108, 0
	s_andn2_b32 vcc_lo, exec_lo, s6
	s_cbranch_vccnz .LBB169_63
; %bb.62:
	v_add_co_u32 v110, vcc_lo, v106, v130
	v_add_co_ci_u32_e64 v111, null, v107, v131, vcc_lo
	global_load_dwordx2 v[110:111], v[110:111], off
	s_waitcnt vmcnt(0)
	v_mul_f64 v[110:111], s[2:3], v[110:111]
	v_cvt_f32_f64_e32 v108, v[110:111]
	v_add_co_u32 v110, vcc_lo, v104, v130
	v_add_co_ci_u32_e64 v111, null, v105, v131, vcc_lo
	v_add_co_u32 v112, vcc_lo, v106, v128
	v_add_co_ci_u32_e64 v113, null, v107, v129, vcc_lo
	v_min_f32_e32 v108, v108, v109
	v_cvt_f64_f32_e32 v[108:109], v108
	global_store_dwordx2 v[110:111], v[108:109], off
	global_load_dwordx2 v[108:109], v[112:113], off
	s_waitcnt vmcnt(0)
	v_mul_f64 v[108:109], s[2:3], v[108:109]
	v_cvt_f32_f64_e32 v108, v[108:109]
.LBB169_63:
	v_add_f64 v[109:110], v[60:61], v[100:101]
	v_add_f64 v[111:112], v[62:63], v[102:103]
	v_add_f64 v[113:114], v[52:53], v[96:97]
	v_add_f64 v[115:116], v[54:55], v[98:99]
	v_add_f64 v[117:118], v[50:51], v[102:103]
	v_add_f64 v[119:120], v[48:49], v[100:101]
	v_add_f64 v[121:122], v[36:37], v[96:97]
	s_mov_b32 s6, -1
	v_cvt_f32_f64_e32 v123, v[109:110]
	v_cvt_f32_f64_e32 v111, v[111:112]
	v_cvt_f32_f64_e32 v112, v[113:114]
	v_cvt_f32_f64_e32 v113, v[115:116]
	v_add_f64 v[109:110], v[38:39], v[98:99]
	v_cvt_f32_f64_e32 v114, v[119:120]
	v_cvt_f32_f64_e32 v115, v[117:118]
	v_cvt_f32_f64_e32 v116, v[121:122]
	v_min3_f32 v111, v123, v111, v181
	v_min_f32_e32 v112, v112, v113
	v_cvt_f32_f64_e32 v109, v[109:110]
	v_min3_f32 v108, v108, v112, v111
	v_add_co_u32 v112, vcc_lo, v104, v128
	v_add_co_ci_u32_e64 v113, null, v105, v129, vcc_lo
	v_cvt_f64_f32_e32 v[110:111], v108
	v_min3_f32 v108, v114, v115, v182
	s_mov_b32 vcc_lo, s0
	v_min3_f32 v108, v116, v109, v108
	v_max_f32_e32 v109, v108, v108
	global_store_dwordx2 v[112:113], v[110:111], off
	s_cbranch_vccz .LBB169_65
; %bb.64:
	v_min_f32_e32 v108, 0, v109
	v_add_co_u32 v112, vcc_lo, v104, v136
	v_add_co_ci_u32_e64 v113, null, v105, v137, vcc_lo
	v_cvt_f64_f32_e32 v[110:111], v108
	s_mov_b32 s6, 0
	global_store_dwordx2 v[112:113], v[110:111], off
.LBB169_65:
	v_mov_b32_e32 v108, 0
	s_andn2_b32 vcc_lo, exec_lo, s6
	s_cbranch_vccnz .LBB169_67
; %bb.66:
	v_add_co_u32 v110, vcc_lo, v106, v136
	v_add_co_ci_u32_e64 v111, null, v107, v137, vcc_lo
	global_load_dwordx2 v[110:111], v[110:111], off
	s_waitcnt vmcnt(0)
	v_mul_f64 v[110:111], s[2:3], v[110:111]
	v_cvt_f32_f64_e32 v108, v[110:111]
	v_add_co_u32 v110, vcc_lo, v104, v136
	v_add_co_ci_u32_e64 v111, null, v105, v137, vcc_lo
	v_add_co_u32 v112, vcc_lo, v106, v132
	v_add_co_ci_u32_e64 v113, null, v107, v133, vcc_lo
	v_min_f32_e32 v108, v108, v109
	v_cvt_f64_f32_e32 v[108:109], v108
	global_store_dwordx2 v[110:111], v[108:109], off
	global_load_dwordx2 v[108:109], v[112:113], off
	s_waitcnt vmcnt(0)
	v_mul_f64 v[108:109], s[2:3], v[108:109]
	v_cvt_f32_f64_e32 v108, v[108:109]
.LBB169_67:
	v_add_f64 v[109:110], v[56:57], v[100:101]
	v_add_f64 v[111:112], v[58:59], v[102:103]
	v_add_f64 v[113:114], v[44:45], v[96:97]
	v_add_f64 v[115:116], v[46:47], v[98:99]
	v_add_f64 v[117:118], v[42:43], v[102:103]
	v_add_f64 v[119:120], v[40:41], v[100:101]
	v_add_f64 v[121:122], v[32:33], v[96:97]
	s_mov_b32 s6, -1
	v_cvt_f32_f64_e32 v123, v[109:110]
	v_cvt_f32_f64_e32 v111, v[111:112]
	v_cvt_f32_f64_e32 v112, v[113:114]
	v_cvt_f32_f64_e32 v113, v[115:116]
	v_add_f64 v[109:110], v[34:35], v[98:99]
	v_cvt_f32_f64_e32 v114, v[119:120]
	v_cvt_f32_f64_e32 v115, v[117:118]
	v_cvt_f32_f64_e32 v116, v[121:122]
	v_min3_f32 v111, v123, v111, v179
	v_min_f32_e32 v112, v112, v113
	v_cvt_f32_f64_e32 v109, v[109:110]
	v_min3_f32 v108, v108, v112, v111
	v_add_co_u32 v112, vcc_lo, v104, v132
	v_add_co_ci_u32_e64 v113, null, v105, v133, vcc_lo
	v_cvt_f64_f32_e32 v[110:111], v108
	v_min3_f32 v108, v114, v115, v180
	s_mov_b32 vcc_lo, s0
	v_min3_f32 v108, v116, v109, v108
	v_max_f32_e32 v109, v108, v108
	;; [unrolled: 59-line block ×3, first 2 shown]
	global_store_dwordx2 v[112:113], v[110:111], off
	s_cbranch_vccz .LBB169_73
; %bb.72:
	v_min_f32_e32 v108, 0, v109
	v_add_co_u32 v112, vcc_lo, v104, v142
	v_add_co_ci_u32_e64 v113, null, v105, v143, vcc_lo
	v_cvt_f64_f32_e32 v[110:111], v108
	s_mov_b32 s6, 0
	global_store_dwordx2 v[112:113], v[110:111], off
.LBB169_73:
	v_mov_b32_e32 v108, 0
	s_andn2_b32 vcc_lo, exec_lo, s6
	s_cbranch_vccnz .LBB169_75
; %bb.74:
	v_add_co_u32 v110, vcc_lo, v106, v142
	v_add_co_ci_u32_e64 v111, null, v107, v143, vcc_lo
	global_load_dwordx2 v[110:111], v[110:111], off
	s_waitcnt vmcnt(0)
	v_mul_f64 v[110:111], s[2:3], v[110:111]
	v_cvt_f32_f64_e32 v108, v[110:111]
	v_add_co_u32 v110, vcc_lo, v104, v142
	v_add_co_ci_u32_e64 v111, null, v105, v143, vcc_lo
	v_add_co_u32 v106, vcc_lo, v106, v138
	v_add_co_ci_u32_e64 v107, null, v107, v139, vcc_lo
	v_min_f32_e32 v108, v108, v109
	v_cvt_f64_f32_e32 v[108:109], v108
	global_store_dwordx2 v[110:111], v[108:109], off
	global_load_dwordx2 v[106:107], v[106:107], off
	s_waitcnt vmcnt(0)
	v_mul_f64 v[106:107], s[2:3], v[106:107]
	v_cvt_f32_f64_e32 v108, v[106:107]
.LBB169_75:
	v_add_f64 v[100:101], v[0:1], v[100:101]
	v_add_f64 v[102:103], v[2:3], v[102:103]
	;; [unrolled: 1-line block ×4, first 2 shown]
	s_waitcnt lgkmcnt(7)
	v_add_f64 v[106:107], v[70:71], v[94:95]
	v_add_f64 v[109:110], v[68:69], v[92:93]
	v_add_co_u32 v104, vcc_lo, v104, v138
	v_add_co_ci_u32_e64 v105, null, v105, v139, vcc_lo
	s_mov_b32 s6, -1
	v_cvt_f32_f64_e32 v100, v[100:101]
	v_cvt_f32_f64_e32 v101, v[102:103]
	;; [unrolled: 1-line block ×4, first 2 shown]
	s_waitcnt lgkmcnt(6)
	v_add_f64 v[96:97], v[64:65], v[88:89]
	v_add_f64 v[98:99], v[66:67], v[90:91]
	v_cvt_f32_f64_e32 v109, v[109:110]
	v_cvt_f32_f64_e32 v106, v[106:107]
	v_add_nc_u32_e32 v107, 0x80, v201
	v_min3_f32 v100, v100, v101, v175
	v_min_f32_e32 v101, v102, v103
	v_cvt_f32_f64_e32 v110, v[96:97]
	v_cvt_f32_f64_e32 v111, v[98:99]
	v_mad_i64_i32 v[96:97], null, v107, s8, 0
	v_min3_f32 v98, v108, v101, v100
	v_min3_f32 v100, v109, v106, v176
	v_cvt_f64_f32_e32 v[102:103], v98
	v_mad_i64_i32 v[98:99], null, v107, s4, 0
	v_lshlrev_b64 v[96:97], 3, v[96:97]
	v_add_co_u32 v96, vcc_lo, s1, v96
	v_lshlrev_b64 v[98:99], 3, v[98:99]
	v_add_co_ci_u32_e64 v97, null, s5, v97, vcc_lo
	v_min3_f32 v100, v110, v111, v100
	v_add_co_u32 v98, vcc_lo, s12, v98
	v_add_co_ci_u32_e64 v99, null, s13, v99, vcc_lo
	v_max_f32_e32 v101, v100, v100
	s_mov_b32 vcc_lo, s0
	global_store_dwordx2 v[104:105], v[102:103], off
	s_cbranch_vccz .LBB169_77
; %bb.76:
	v_min_f32_e32 v100, 0, v101
	v_add_co_u32 v104, vcc_lo, v96, v130
	v_add_co_ci_u32_e64 v105, null, v97, v131, vcc_lo
	v_cvt_f64_f32_e32 v[102:103], v100
	s_mov_b32 s6, 0
	global_store_dwordx2 v[104:105], v[102:103], off
.LBB169_77:
	v_mov_b32_e32 v100, 0
	s_andn2_b32 vcc_lo, exec_lo, s6
	s_cbranch_vccnz .LBB169_79
; %bb.78:
	v_add_co_u32 v102, vcc_lo, v98, v130
	v_add_co_ci_u32_e64 v103, null, v99, v131, vcc_lo
	global_load_dwordx2 v[102:103], v[102:103], off
	s_waitcnt vmcnt(0)
	v_mul_f64 v[102:103], s[2:3], v[102:103]
	v_cvt_f32_f64_e32 v100, v[102:103]
	v_add_co_u32 v102, vcc_lo, v96, v130
	v_add_co_ci_u32_e64 v103, null, v97, v131, vcc_lo
	v_add_co_u32 v104, vcc_lo, v98, v128
	v_add_co_ci_u32_e64 v105, null, v99, v129, vcc_lo
	v_min_f32_e32 v100, v100, v101
	v_cvt_f64_f32_e32 v[100:101], v100
	global_store_dwordx2 v[102:103], v[100:101], off
	global_load_dwordx2 v[100:101], v[104:105], off
	s_waitcnt vmcnt(0)
	v_mul_f64 v[100:101], s[2:3], v[100:101]
	v_cvt_f32_f64_e32 v100, v[100:101]
.LBB169_79:
	v_add_f64 v[101:102], v[60:61], v[92:93]
	v_add_f64 v[103:104], v[62:63], v[94:95]
	v_add_f64 v[105:106], v[52:53], v[88:89]
	v_add_f64 v[107:108], v[54:55], v[90:91]
	v_add_f64 v[109:110], v[50:51], v[94:95]
	v_add_f64 v[111:112], v[48:49], v[92:93]
	v_add_f64 v[113:114], v[36:37], v[88:89]
	s_mov_b32 s6, -1
	v_cvt_f32_f64_e32 v115, v[101:102]
	v_cvt_f32_f64_e32 v103, v[103:104]
	v_cvt_f32_f64_e32 v104, v[105:106]
	v_cvt_f32_f64_e32 v105, v[107:108]
	v_add_f64 v[101:102], v[38:39], v[90:91]
	v_cvt_f32_f64_e32 v106, v[111:112]
	v_cvt_f32_f64_e32 v107, v[109:110]
	v_cvt_f32_f64_e32 v108, v[113:114]
	v_min3_f32 v103, v115, v103, v173
	v_min_f32_e32 v104, v104, v105
	v_cvt_f32_f64_e32 v101, v[101:102]
	v_min3_f32 v100, v100, v104, v103
	v_add_co_u32 v104, vcc_lo, v96, v128
	v_add_co_ci_u32_e64 v105, null, v97, v129, vcc_lo
	v_cvt_f64_f32_e32 v[102:103], v100
	v_min3_f32 v100, v106, v107, v174
	s_mov_b32 vcc_lo, s0
	v_min3_f32 v100, v108, v101, v100
	v_max_f32_e32 v101, v100, v100
	global_store_dwordx2 v[104:105], v[102:103], off
	s_cbranch_vccz .LBB169_81
; %bb.80:
	v_min_f32_e32 v100, 0, v101
	v_add_co_u32 v104, vcc_lo, v96, v136
	v_add_co_ci_u32_e64 v105, null, v97, v137, vcc_lo
	v_cvt_f64_f32_e32 v[102:103], v100
	s_mov_b32 s6, 0
	global_store_dwordx2 v[104:105], v[102:103], off
.LBB169_81:
	v_mov_b32_e32 v100, 0
	s_andn2_b32 vcc_lo, exec_lo, s6
	s_cbranch_vccnz .LBB169_83
; %bb.82:
	v_add_co_u32 v102, vcc_lo, v98, v136
	v_add_co_ci_u32_e64 v103, null, v99, v137, vcc_lo
	global_load_dwordx2 v[102:103], v[102:103], off
	s_waitcnt vmcnt(0)
	v_mul_f64 v[102:103], s[2:3], v[102:103]
	v_cvt_f32_f64_e32 v100, v[102:103]
	v_add_co_u32 v102, vcc_lo, v96, v136
	v_add_co_ci_u32_e64 v103, null, v97, v137, vcc_lo
	v_add_co_u32 v104, vcc_lo, v98, v132
	v_add_co_ci_u32_e64 v105, null, v99, v133, vcc_lo
	v_min_f32_e32 v100, v100, v101
	v_cvt_f64_f32_e32 v[100:101], v100
	global_store_dwordx2 v[102:103], v[100:101], off
	global_load_dwordx2 v[100:101], v[104:105], off
	s_waitcnt vmcnt(0)
	v_mul_f64 v[100:101], s[2:3], v[100:101]
	v_cvt_f32_f64_e32 v100, v[100:101]
.LBB169_83:
	v_add_f64 v[101:102], v[56:57], v[92:93]
	v_add_f64 v[103:104], v[58:59], v[94:95]
	v_add_f64 v[105:106], v[44:45], v[88:89]
	v_add_f64 v[107:108], v[46:47], v[90:91]
	v_add_f64 v[109:110], v[42:43], v[94:95]
	v_add_f64 v[111:112], v[40:41], v[92:93]
	v_add_f64 v[113:114], v[32:33], v[88:89]
	s_mov_b32 s6, -1
	v_cvt_f32_f64_e32 v115, v[101:102]
	v_cvt_f32_f64_e32 v103, v[103:104]
	v_cvt_f32_f64_e32 v104, v[105:106]
	v_cvt_f32_f64_e32 v105, v[107:108]
	v_add_f64 v[101:102], v[34:35], v[90:91]
	v_cvt_f32_f64_e32 v106, v[111:112]
	v_cvt_f32_f64_e32 v107, v[109:110]
	v_cvt_f32_f64_e32 v108, v[113:114]
	v_min3_f32 v103, v115, v103, v171
	v_min_f32_e32 v104, v104, v105
	v_cvt_f32_f64_e32 v101, v[101:102]
	v_min3_f32 v100, v100, v104, v103
	v_add_co_u32 v104, vcc_lo, v96, v132
	v_add_co_ci_u32_e64 v105, null, v97, v133, vcc_lo
	v_cvt_f64_f32_e32 v[102:103], v100
	v_min3_f32 v100, v106, v107, v172
	s_mov_b32 vcc_lo, s0
	v_min3_f32 v100, v108, v101, v100
	v_max_f32_e32 v101, v100, v100
	;; [unrolled: 59-line block ×3, first 2 shown]
	global_store_dwordx2 v[104:105], v[102:103], off
	s_cbranch_vccz .LBB169_89
; %bb.88:
	v_min_f32_e32 v100, 0, v101
	v_add_co_u32 v104, vcc_lo, v96, v142
	v_add_co_ci_u32_e64 v105, null, v97, v143, vcc_lo
	v_cvt_f64_f32_e32 v[102:103], v100
	s_mov_b32 s6, 0
	global_store_dwordx2 v[104:105], v[102:103], off
.LBB169_89:
	v_mov_b32_e32 v100, 0
	s_andn2_b32 vcc_lo, exec_lo, s6
	s_cbranch_vccnz .LBB169_91
; %bb.90:
	v_add_co_u32 v102, vcc_lo, v98, v142
	v_add_co_ci_u32_e64 v103, null, v99, v143, vcc_lo
	global_load_dwordx2 v[102:103], v[102:103], off
	s_waitcnt vmcnt(0)
	v_mul_f64 v[102:103], s[2:3], v[102:103]
	v_cvt_f32_f64_e32 v100, v[102:103]
	v_add_co_u32 v102, vcc_lo, v96, v142
	v_add_co_ci_u32_e64 v103, null, v97, v143, vcc_lo
	v_add_co_u32 v98, vcc_lo, v98, v138
	v_add_co_ci_u32_e64 v99, null, v99, v139, vcc_lo
	v_min_f32_e32 v100, v100, v101
	v_cvt_f64_f32_e32 v[100:101], v100
	global_store_dwordx2 v[102:103], v[100:101], off
	global_load_dwordx2 v[98:99], v[98:99], off
	s_waitcnt vmcnt(0)
	v_mul_f64 v[98:99], s[2:3], v[98:99]
	v_cvt_f32_f64_e32 v100, v[98:99]
.LBB169_91:
	v_add_f64 v[92:93], v[0:1], v[92:93]
	v_add_f64 v[94:95], v[2:3], v[94:95]
	v_add_f64 v[88:89], v[4:5], v[88:89]
	v_add_f64 v[90:91], v[6:7], v[90:91]
	s_waitcnt lgkmcnt(5)
	v_add_f64 v[98:99], v[70:71], v[86:87]
	v_add_f64 v[101:102], v[68:69], v[84:85]
	v_add_co_u32 v96, vcc_lo, v96, v138
	v_add_co_ci_u32_e64 v97, null, v97, v139, vcc_lo
	s_mov_b32 s6, -1
	v_cvt_f32_f64_e32 v92, v[92:93]
	v_cvt_f32_f64_e32 v93, v[94:95]
	v_cvt_f32_f64_e32 v94, v[88:89]
	v_cvt_f32_f64_e32 v95, v[90:91]
	s_waitcnt lgkmcnt(4)
	v_add_f64 v[88:89], v[64:65], v[80:81]
	v_add_f64 v[90:91], v[66:67], v[82:83]
	v_cvt_f32_f64_e32 v101, v[101:102]
	v_cvt_f32_f64_e32 v98, v[98:99]
	v_add_nc_u32_e32 v99, 0xa0, v201
	v_min3_f32 v92, v92, v93, v167
	v_min_f32_e32 v93, v94, v95
	v_cvt_f32_f64_e32 v102, v[88:89]
	v_cvt_f32_f64_e32 v103, v[90:91]
	v_mad_i64_i32 v[88:89], null, v99, s8, 0
	v_min3_f32 v90, v100, v93, v92
	v_min3_f32 v92, v101, v98, v168
	v_cvt_f64_f32_e32 v[94:95], v90
	v_mad_i64_i32 v[90:91], null, v99, s4, 0
	v_lshlrev_b64 v[88:89], 3, v[88:89]
	v_add_co_u32 v88, vcc_lo, s1, v88
	v_lshlrev_b64 v[90:91], 3, v[90:91]
	v_add_co_ci_u32_e64 v89, null, s5, v89, vcc_lo
	v_min3_f32 v92, v102, v103, v92
	v_add_co_u32 v90, vcc_lo, s12, v90
	v_add_co_ci_u32_e64 v91, null, s13, v91, vcc_lo
	v_max_f32_e32 v93, v92, v92
	s_mov_b32 vcc_lo, s0
	global_store_dwordx2 v[96:97], v[94:95], off
	s_cbranch_vccz .LBB169_93
; %bb.92:
	v_min_f32_e32 v92, 0, v93
	v_add_co_u32 v96, vcc_lo, v88, v130
	v_add_co_ci_u32_e64 v97, null, v89, v131, vcc_lo
	v_cvt_f64_f32_e32 v[94:95], v92
	s_mov_b32 s6, 0
	global_store_dwordx2 v[96:97], v[94:95], off
.LBB169_93:
	v_mov_b32_e32 v92, 0
	s_andn2_b32 vcc_lo, exec_lo, s6
	s_cbranch_vccnz .LBB169_95
; %bb.94:
	v_add_co_u32 v94, vcc_lo, v90, v130
	v_add_co_ci_u32_e64 v95, null, v91, v131, vcc_lo
	global_load_dwordx2 v[94:95], v[94:95], off
	s_waitcnt vmcnt(0)
	v_mul_f64 v[94:95], s[2:3], v[94:95]
	v_cvt_f32_f64_e32 v92, v[94:95]
	v_add_co_u32 v94, vcc_lo, v88, v130
	v_add_co_ci_u32_e64 v95, null, v89, v131, vcc_lo
	v_add_co_u32 v96, vcc_lo, v90, v128
	v_add_co_ci_u32_e64 v97, null, v91, v129, vcc_lo
	v_min_f32_e32 v92, v92, v93
	v_cvt_f64_f32_e32 v[92:93], v92
	global_store_dwordx2 v[94:95], v[92:93], off
	global_load_dwordx2 v[92:93], v[96:97], off
	s_waitcnt vmcnt(0)
	v_mul_f64 v[92:93], s[2:3], v[92:93]
	v_cvt_f32_f64_e32 v92, v[92:93]
.LBB169_95:
	v_add_f64 v[93:94], v[60:61], v[84:85]
	v_add_f64 v[95:96], v[62:63], v[86:87]
	v_add_f64 v[97:98], v[52:53], v[80:81]
	v_add_f64 v[99:100], v[54:55], v[82:83]
	v_add_f64 v[101:102], v[50:51], v[86:87]
	v_add_f64 v[103:104], v[48:49], v[84:85]
	v_add_f64 v[105:106], v[36:37], v[80:81]
	s_mov_b32 s6, -1
	v_cvt_f32_f64_e32 v107, v[93:94]
	v_cvt_f32_f64_e32 v95, v[95:96]
	v_cvt_f32_f64_e32 v96, v[97:98]
	v_cvt_f32_f64_e32 v97, v[99:100]
	v_add_f64 v[93:94], v[38:39], v[82:83]
	v_cvt_f32_f64_e32 v98, v[103:104]
	v_cvt_f32_f64_e32 v99, v[101:102]
	v_cvt_f32_f64_e32 v100, v[105:106]
	v_min3_f32 v95, v107, v95, v165
	v_min_f32_e32 v96, v96, v97
	v_cvt_f32_f64_e32 v93, v[93:94]
	v_min3_f32 v92, v92, v96, v95
	v_add_co_u32 v96, vcc_lo, v88, v128
	v_add_co_ci_u32_e64 v97, null, v89, v129, vcc_lo
	v_cvt_f64_f32_e32 v[94:95], v92
	v_min3_f32 v92, v98, v99, v166
	s_mov_b32 vcc_lo, s0
	v_min3_f32 v92, v100, v93, v92
	v_max_f32_e32 v93, v92, v92
	global_store_dwordx2 v[96:97], v[94:95], off
	s_cbranch_vccz .LBB169_97
; %bb.96:
	v_min_f32_e32 v92, 0, v93
	v_add_co_u32 v96, vcc_lo, v88, v136
	v_add_co_ci_u32_e64 v97, null, v89, v137, vcc_lo
	v_cvt_f64_f32_e32 v[94:95], v92
	s_mov_b32 s6, 0
	global_store_dwordx2 v[96:97], v[94:95], off
.LBB169_97:
	v_mov_b32_e32 v92, 0
	s_andn2_b32 vcc_lo, exec_lo, s6
	s_cbranch_vccnz .LBB169_99
; %bb.98:
	v_add_co_u32 v94, vcc_lo, v90, v136
	v_add_co_ci_u32_e64 v95, null, v91, v137, vcc_lo
	global_load_dwordx2 v[94:95], v[94:95], off
	s_waitcnt vmcnt(0)
	v_mul_f64 v[94:95], s[2:3], v[94:95]
	v_cvt_f32_f64_e32 v92, v[94:95]
	v_add_co_u32 v94, vcc_lo, v88, v136
	v_add_co_ci_u32_e64 v95, null, v89, v137, vcc_lo
	v_add_co_u32 v96, vcc_lo, v90, v132
	v_add_co_ci_u32_e64 v97, null, v91, v133, vcc_lo
	v_min_f32_e32 v92, v92, v93
	v_cvt_f64_f32_e32 v[92:93], v92
	global_store_dwordx2 v[94:95], v[92:93], off
	global_load_dwordx2 v[92:93], v[96:97], off
	s_waitcnt vmcnt(0)
	v_mul_f64 v[92:93], s[2:3], v[92:93]
	v_cvt_f32_f64_e32 v92, v[92:93]
.LBB169_99:
	v_add_f64 v[93:94], v[56:57], v[84:85]
	v_add_f64 v[95:96], v[58:59], v[86:87]
	v_add_f64 v[97:98], v[44:45], v[80:81]
	v_add_f64 v[99:100], v[46:47], v[82:83]
	v_add_f64 v[101:102], v[42:43], v[86:87]
	v_add_f64 v[103:104], v[40:41], v[84:85]
	v_add_f64 v[105:106], v[32:33], v[80:81]
	s_mov_b32 s6, -1
	v_cvt_f32_f64_e32 v107, v[93:94]
	v_cvt_f32_f64_e32 v95, v[95:96]
	v_cvt_f32_f64_e32 v96, v[97:98]
	v_cvt_f32_f64_e32 v97, v[99:100]
	v_add_f64 v[93:94], v[34:35], v[82:83]
	v_cvt_f32_f64_e32 v98, v[103:104]
	v_cvt_f32_f64_e32 v99, v[101:102]
	v_cvt_f32_f64_e32 v100, v[105:106]
	v_min3_f32 v95, v107, v95, v163
	v_min_f32_e32 v96, v96, v97
	v_cvt_f32_f64_e32 v93, v[93:94]
	v_min3_f32 v92, v92, v96, v95
	v_add_co_u32 v96, vcc_lo, v88, v132
	v_add_co_ci_u32_e64 v97, null, v89, v133, vcc_lo
	v_cvt_f64_f32_e32 v[94:95], v92
	v_min3_f32 v92, v98, v99, v164
	s_mov_b32 vcc_lo, s0
	v_min3_f32 v92, v100, v93, v92
	v_max_f32_e32 v93, v92, v92
	;; [unrolled: 59-line block ×3, first 2 shown]
	global_store_dwordx2 v[96:97], v[94:95], off
	s_cbranch_vccz .LBB169_105
; %bb.104:
	v_min_f32_e32 v92, 0, v93
	v_add_co_u32 v96, vcc_lo, v88, v142
	v_add_co_ci_u32_e64 v97, null, v89, v143, vcc_lo
	v_cvt_f64_f32_e32 v[94:95], v92
	s_mov_b32 s6, 0
	global_store_dwordx2 v[96:97], v[94:95], off
.LBB169_105:
	v_mov_b32_e32 v92, 0
	s_andn2_b32 vcc_lo, exec_lo, s6
	s_cbranch_vccnz .LBB169_107
; %bb.106:
	v_add_co_u32 v94, vcc_lo, v90, v142
	v_add_co_ci_u32_e64 v95, null, v91, v143, vcc_lo
	global_load_dwordx2 v[94:95], v[94:95], off
	s_waitcnt vmcnt(0)
	v_mul_f64 v[94:95], s[2:3], v[94:95]
	v_cvt_f32_f64_e32 v92, v[94:95]
	v_add_co_u32 v94, vcc_lo, v88, v142
	v_add_co_ci_u32_e64 v95, null, v89, v143, vcc_lo
	v_add_co_u32 v90, vcc_lo, v90, v138
	v_add_co_ci_u32_e64 v91, null, v91, v139, vcc_lo
	v_min_f32_e32 v92, v92, v93
	v_cvt_f64_f32_e32 v[92:93], v92
	global_store_dwordx2 v[94:95], v[92:93], off
	global_load_dwordx2 v[90:91], v[90:91], off
	s_waitcnt vmcnt(0)
	v_mul_f64 v[90:91], s[2:3], v[90:91]
	v_cvt_f32_f64_e32 v92, v[90:91]
.LBB169_107:
	v_add_f64 v[84:85], v[0:1], v[84:85]
	v_add_f64 v[86:87], v[2:3], v[86:87]
	;; [unrolled: 1-line block ×4, first 2 shown]
	s_waitcnt lgkmcnt(3)
	v_add_f64 v[90:91], v[70:71], v[78:79]
	v_add_f64 v[93:94], v[68:69], v[76:77]
	v_add_co_u32 v88, vcc_lo, v88, v138
	v_add_co_ci_u32_e64 v89, null, v89, v139, vcc_lo
	s_mov_b32 s6, -1
	v_cvt_f32_f64_e32 v84, v[84:85]
	v_cvt_f32_f64_e32 v85, v[86:87]
	;; [unrolled: 1-line block ×4, first 2 shown]
	s_waitcnt lgkmcnt(2)
	v_add_f64 v[80:81], v[64:65], v[72:73]
	v_add_f64 v[82:83], v[66:67], v[74:75]
	v_cvt_f32_f64_e32 v93, v[93:94]
	v_cvt_f32_f64_e32 v90, v[90:91]
	v_add_nc_u32_e32 v91, 0xc0, v201
	v_min3_f32 v84, v84, v85, v159
	v_min_f32_e32 v85, v86, v87
	v_cvt_f32_f64_e32 v94, v[80:81]
	v_cvt_f32_f64_e32 v95, v[82:83]
	v_mad_i64_i32 v[80:81], null, v91, s8, 0
	v_min3_f32 v82, v92, v85, v84
	v_min3_f32 v84, v93, v90, v160
	v_cvt_f64_f32_e32 v[86:87], v82
	v_mad_i64_i32 v[82:83], null, v91, s4, 0
	v_lshlrev_b64 v[80:81], 3, v[80:81]
	v_add_co_u32 v80, vcc_lo, s1, v80
	v_lshlrev_b64 v[82:83], 3, v[82:83]
	v_add_co_ci_u32_e64 v81, null, s5, v81, vcc_lo
	v_min3_f32 v84, v94, v95, v84
	v_add_co_u32 v82, vcc_lo, s12, v82
	v_add_co_ci_u32_e64 v83, null, s13, v83, vcc_lo
	v_max_f32_e32 v85, v84, v84
	s_mov_b32 vcc_lo, s0
	global_store_dwordx2 v[88:89], v[86:87], off
	s_cbranch_vccz .LBB169_109
; %bb.108:
	v_min_f32_e32 v84, 0, v85
	v_add_co_u32 v88, vcc_lo, v80, v130
	v_add_co_ci_u32_e64 v89, null, v81, v131, vcc_lo
	v_cvt_f64_f32_e32 v[86:87], v84
	s_mov_b32 s6, 0
	global_store_dwordx2 v[88:89], v[86:87], off
.LBB169_109:
	v_mov_b32_e32 v84, 0
	s_andn2_b32 vcc_lo, exec_lo, s6
	s_cbranch_vccnz .LBB169_111
; %bb.110:
	v_add_co_u32 v86, vcc_lo, v82, v130
	v_add_co_ci_u32_e64 v87, null, v83, v131, vcc_lo
	global_load_dwordx2 v[86:87], v[86:87], off
	s_waitcnt vmcnt(0)
	v_mul_f64 v[86:87], s[2:3], v[86:87]
	v_cvt_f32_f64_e32 v84, v[86:87]
	v_add_co_u32 v86, vcc_lo, v80, v130
	v_add_co_ci_u32_e64 v87, null, v81, v131, vcc_lo
	v_add_co_u32 v88, vcc_lo, v82, v128
	v_add_co_ci_u32_e64 v89, null, v83, v129, vcc_lo
	v_min_f32_e32 v84, v84, v85
	v_cvt_f64_f32_e32 v[84:85], v84
	global_store_dwordx2 v[86:87], v[84:85], off
	global_load_dwordx2 v[84:85], v[88:89], off
	s_waitcnt vmcnt(0)
	v_mul_f64 v[84:85], s[2:3], v[84:85]
	v_cvt_f32_f64_e32 v84, v[84:85]
.LBB169_111:
	v_add_f64 v[85:86], v[60:61], v[76:77]
	v_add_f64 v[87:88], v[62:63], v[78:79]
	v_add_f64 v[89:90], v[52:53], v[72:73]
	v_add_f64 v[91:92], v[54:55], v[74:75]
	v_add_f64 v[93:94], v[50:51], v[78:79]
	v_add_f64 v[95:96], v[48:49], v[76:77]
	v_add_f64 v[97:98], v[36:37], v[72:73]
	s_mov_b32 s6, -1
	v_cvt_f32_f64_e32 v99, v[85:86]
	v_cvt_f32_f64_e32 v87, v[87:88]
	v_cvt_f32_f64_e32 v88, v[89:90]
	v_cvt_f32_f64_e32 v89, v[91:92]
	v_add_f64 v[85:86], v[38:39], v[74:75]
	v_cvt_f32_f64_e32 v90, v[95:96]
	v_cvt_f32_f64_e32 v91, v[93:94]
	v_cvt_f32_f64_e32 v92, v[97:98]
	v_min3_f32 v87, v99, v87, v157
	v_min_f32_e32 v88, v88, v89
	v_cvt_f32_f64_e32 v85, v[85:86]
	v_min3_f32 v84, v84, v88, v87
	v_add_co_u32 v88, vcc_lo, v80, v128
	v_add_co_ci_u32_e64 v89, null, v81, v129, vcc_lo
	v_cvt_f64_f32_e32 v[86:87], v84
	v_min3_f32 v84, v90, v91, v158
	s_mov_b32 vcc_lo, s0
	v_min3_f32 v84, v92, v85, v84
	v_max_f32_e32 v85, v84, v84
	global_store_dwordx2 v[88:89], v[86:87], off
	s_cbranch_vccz .LBB169_113
; %bb.112:
	v_min_f32_e32 v84, 0, v85
	v_add_co_u32 v88, vcc_lo, v80, v136
	v_add_co_ci_u32_e64 v89, null, v81, v137, vcc_lo
	v_cvt_f64_f32_e32 v[86:87], v84
	s_mov_b32 s6, 0
	global_store_dwordx2 v[88:89], v[86:87], off
.LBB169_113:
	v_mov_b32_e32 v84, 0
	s_andn2_b32 vcc_lo, exec_lo, s6
	s_cbranch_vccnz .LBB169_115
; %bb.114:
	v_add_co_u32 v86, vcc_lo, v82, v136
	v_add_co_ci_u32_e64 v87, null, v83, v137, vcc_lo
	global_load_dwordx2 v[86:87], v[86:87], off
	s_waitcnt vmcnt(0)
	v_mul_f64 v[86:87], s[2:3], v[86:87]
	v_cvt_f32_f64_e32 v84, v[86:87]
	v_add_co_u32 v86, vcc_lo, v80, v136
	v_add_co_ci_u32_e64 v87, null, v81, v137, vcc_lo
	v_add_co_u32 v88, vcc_lo, v82, v132
	v_add_co_ci_u32_e64 v89, null, v83, v133, vcc_lo
	v_min_f32_e32 v84, v84, v85
	v_cvt_f64_f32_e32 v[84:85], v84
	global_store_dwordx2 v[86:87], v[84:85], off
	global_load_dwordx2 v[84:85], v[88:89], off
	s_waitcnt vmcnt(0)
	v_mul_f64 v[84:85], s[2:3], v[84:85]
	v_cvt_f32_f64_e32 v84, v[84:85]
.LBB169_115:
	v_add_f64 v[85:86], v[56:57], v[76:77]
	v_add_f64 v[87:88], v[58:59], v[78:79]
	v_add_f64 v[89:90], v[44:45], v[72:73]
	v_add_f64 v[91:92], v[46:47], v[74:75]
	v_add_f64 v[93:94], v[42:43], v[78:79]
	v_add_f64 v[95:96], v[40:41], v[76:77]
	v_add_f64 v[97:98], v[32:33], v[72:73]
	s_mov_b32 s6, -1
	v_cvt_f32_f64_e32 v99, v[85:86]
	v_cvt_f32_f64_e32 v87, v[87:88]
	v_cvt_f32_f64_e32 v88, v[89:90]
	v_cvt_f32_f64_e32 v89, v[91:92]
	v_add_f64 v[85:86], v[34:35], v[74:75]
	v_cvt_f32_f64_e32 v90, v[95:96]
	v_cvt_f32_f64_e32 v91, v[93:94]
	v_cvt_f32_f64_e32 v92, v[97:98]
	v_min3_f32 v87, v99, v87, v155
	v_min_f32_e32 v88, v88, v89
	v_cvt_f32_f64_e32 v85, v[85:86]
	v_min3_f32 v84, v84, v88, v87
	v_add_co_u32 v88, vcc_lo, v80, v132
	v_add_co_ci_u32_e64 v89, null, v81, v133, vcc_lo
	v_cvt_f64_f32_e32 v[86:87], v84
	v_min3_f32 v84, v90, v91, v156
	s_mov_b32 vcc_lo, s0
	v_min3_f32 v84, v92, v85, v84
	v_max_f32_e32 v85, v84, v84
	;; [unrolled: 59-line block ×3, first 2 shown]
	global_store_dwordx2 v[88:89], v[86:87], off
	s_cbranch_vccz .LBB169_121
; %bb.120:
	v_min_f32_e32 v84, 0, v85
	v_add_co_u32 v88, vcc_lo, v80, v142
	v_add_co_ci_u32_e64 v89, null, v81, v143, vcc_lo
	v_cvt_f64_f32_e32 v[86:87], v84
	s_mov_b32 s6, 0
	global_store_dwordx2 v[88:89], v[86:87], off
.LBB169_121:
	v_mov_b32_e32 v84, 0
	s_andn2_b32 vcc_lo, exec_lo, s6
	s_cbranch_vccnz .LBB169_123
; %bb.122:
	v_add_co_u32 v86, vcc_lo, v82, v142
	v_add_co_ci_u32_e64 v87, null, v83, v143, vcc_lo
	global_load_dwordx2 v[86:87], v[86:87], off
	s_waitcnt vmcnt(0)
	v_mul_f64 v[86:87], s[2:3], v[86:87]
	v_cvt_f32_f64_e32 v84, v[86:87]
	v_add_co_u32 v86, vcc_lo, v80, v142
	v_add_co_ci_u32_e64 v87, null, v81, v143, vcc_lo
	v_add_co_u32 v82, vcc_lo, v82, v138
	v_add_co_ci_u32_e64 v83, null, v83, v139, vcc_lo
	v_min_f32_e32 v84, v84, v85
	v_cvt_f64_f32_e32 v[84:85], v84
	global_store_dwordx2 v[86:87], v[84:85], off
	global_load_dwordx2 v[82:83], v[82:83], off
	s_waitcnt vmcnt(0)
	v_mul_f64 v[82:83], s[2:3], v[82:83]
	v_cvt_f32_f64_e32 v84, v[82:83]
.LBB169_123:
	v_add_f64 v[76:77], v[0:1], v[76:77]
	v_add_f64 v[78:79], v[2:3], v[78:79]
	;; [unrolled: 1-line block ×4, first 2 shown]
	s_waitcnt lgkmcnt(1)
	v_add_f64 v[70:71], v[70:71], v[10:11]
	v_add_f64 v[68:69], v[68:69], v[8:9]
	s_waitcnt lgkmcnt(0)
	v_add_f64 v[64:65], v[64:65], v[12:13]
	v_add_f64 v[66:67], v[66:67], v[14:15]
	v_cvt_f32_f64_e32 v76, v[76:77]
	v_cvt_f32_f64_e32 v77, v[78:79]
	;; [unrolled: 1-line block ×8, first 2 shown]
	v_min3_f32 v70, v76, v77, v151
	v_min_f32_e32 v71, v72, v73
	v_add_nc_u32_e32 v72, 0xe0, v201
	v_min3_f32 v68, v68, v69, v152
	v_min3_f32 v66, v84, v71, v70
	v_mad_i64_i32 v[64:65], null, v72, s8, 0
	v_min3_f32 v68, v74, v75, v68
	v_cvt_f64_f32_e32 v[70:71], v66
	v_mad_i64_i32 v[66:67], null, v72, s4, 0
	v_add_co_u32 v72, vcc_lo, v80, v138
	v_lshlrev_b64 v[64:65], 3, v[64:65]
	v_add_co_ci_u32_e64 v73, null, v81, v139, vcc_lo
	v_max_f32_e32 v69, v68, v68
	v_lshlrev_b64 v[66:67], 3, v[66:67]
	s_mov_b32 s4, -1
	v_add_co_u32 v64, vcc_lo, s1, v64
	v_add_co_ci_u32_e64 v65, null, s5, v65, vcc_lo
	v_add_co_u32 v66, vcc_lo, s12, v66
	v_add_co_ci_u32_e64 v67, null, s13, v67, vcc_lo
	s_mov_b32 vcc_lo, s0
	global_store_dwordx2 v[72:73], v[70:71], off
	s_cbranch_vccz .LBB169_125
; %bb.124:
	v_min_f32_e32 v68, 0, v69
	v_add_co_u32 v72, vcc_lo, v64, v130
	v_add_co_ci_u32_e64 v73, null, v65, v131, vcc_lo
	v_cvt_f64_f32_e32 v[70:71], v68
	s_mov_b32 s4, 0
	global_store_dwordx2 v[72:73], v[70:71], off
.LBB169_125:
	v_mov_b32_e32 v68, 0
	s_andn2_b32 vcc_lo, exec_lo, s4
	s_cbranch_vccnz .LBB169_127
; %bb.126:
	v_add_co_u32 v70, vcc_lo, v66, v130
	v_add_co_ci_u32_e64 v71, null, v67, v131, vcc_lo
	global_load_dwordx2 v[70:71], v[70:71], off
	s_waitcnt vmcnt(0)
	v_mul_f64 v[70:71], s[2:3], v[70:71]
	v_cvt_f32_f64_e32 v68, v[70:71]
	v_add_co_u32 v70, vcc_lo, v64, v130
	v_add_co_ci_u32_e64 v71, null, v65, v131, vcc_lo
	v_add_co_u32 v72, vcc_lo, v66, v128
	v_add_co_ci_u32_e64 v73, null, v67, v129, vcc_lo
	v_min_f32_e32 v68, v68, v69
	v_cvt_f64_f32_e32 v[68:69], v68
	global_store_dwordx2 v[70:71], v[68:69], off
	global_load_dwordx2 v[68:69], v[72:73], off
	s_waitcnt vmcnt(0)
	v_mul_f64 v[68:69], s[2:3], v[68:69]
	v_cvt_f32_f64_e32 v68, v[68:69]
.LBB169_127:
	v_add_f64 v[60:61], v[60:61], v[8:9]
	v_add_f64 v[62:63], v[62:63], v[10:11]
	;; [unrolled: 1-line block ×8, first 2 shown]
	s_mov_b32 s1, -1
	v_cvt_f32_f64_e32 v60, v[60:61]
	v_cvt_f32_f64_e32 v61, v[62:63]
	;; [unrolled: 1-line block ×8, first 2 shown]
	v_min3_f32 v37, v60, v61, v149
	v_min_f32_e32 v50, v52, v53
	v_min3_f32 v37, v68, v50, v37
	v_cvt_f64_f32_e32 v[38:39], v37
	v_min3_f32 v37, v48, v49, v150
	v_add_co_u32 v48, vcc_lo, v64, v128
	v_add_co_ci_u32_e64 v49, null, v65, v129, vcc_lo
	v_min3_f32 v36, v36, v51, v37
	s_mov_b32 vcc_lo, s0
	v_max_f32_e32 v37, v36, v36
	global_store_dwordx2 v[48:49], v[38:39], off
	s_cbranch_vccz .LBB169_129
; %bb.128:
	v_min_f32_e32 v36, 0, v37
	v_add_co_u32 v48, vcc_lo, v64, v136
	v_add_co_ci_u32_e64 v49, null, v65, v137, vcc_lo
	v_cvt_f64_f32_e32 v[38:39], v36
	s_mov_b32 s1, 0
	global_store_dwordx2 v[48:49], v[38:39], off
.LBB169_129:
	v_mov_b32_e32 v36, 0
	s_andn2_b32 vcc_lo, exec_lo, s1
	s_cbranch_vccnz .LBB169_131
; %bb.130:
	v_add_co_u32 v38, vcc_lo, v66, v136
	v_add_co_ci_u32_e64 v39, null, v67, v137, vcc_lo
	global_load_dwordx2 v[38:39], v[38:39], off
	s_waitcnt vmcnt(0)
	v_mul_f64 v[38:39], s[2:3], v[38:39]
	v_cvt_f32_f64_e32 v36, v[38:39]
	v_add_co_u32 v38, vcc_lo, v64, v136
	v_add_co_ci_u32_e64 v39, null, v65, v137, vcc_lo
	v_add_co_u32 v48, vcc_lo, v66, v132
	v_add_co_ci_u32_e64 v49, null, v67, v133, vcc_lo
	v_min_f32_e32 v36, v36, v37
	v_cvt_f64_f32_e32 v[36:37], v36
	global_store_dwordx2 v[38:39], v[36:37], off
	global_load_dwordx2 v[36:37], v[48:49], off
	s_waitcnt vmcnt(0)
	v_mul_f64 v[36:37], s[2:3], v[36:37]
	v_cvt_f32_f64_e32 v36, v[36:37]
.LBB169_131:
	v_add_f64 v[37:38], v[56:57], v[8:9]
	v_add_f64 v[48:49], v[58:59], v[10:11]
	;; [unrolled: 1-line block ×8, first 2 shown]
	s_mov_b32 s1, -1
	v_cvt_f32_f64_e32 v37, v[37:38]
	v_cvt_f32_f64_e32 v38, v[48:49]
	;; [unrolled: 1-line block ×7, first 2 shown]
	v_min3_f32 v33, v37, v38, v147
	v_cvt_f32_f64_e32 v38, v[34:35]
	v_min_f32_e32 v37, v41, v44
	v_min3_f32 v33, v36, v37, v33
	v_add_co_u32 v36, vcc_lo, v64, v132
	v_add_co_ci_u32_e64 v37, null, v65, v133, vcc_lo
	v_cvt_f64_f32_e32 v[34:35], v33
	v_min3_f32 v33, v39, v40, v148
	s_mov_b32 vcc_lo, s0
	v_min3_f32 v32, v32, v38, v33
	v_max_f32_e32 v33, v32, v32
	global_store_dwordx2 v[36:37], v[34:35], off
	s_cbranch_vccz .LBB169_133
; %bb.132:
	v_min_f32_e32 v32, 0, v33
	v_add_co_u32 v36, vcc_lo, v64, v140
	v_add_co_ci_u32_e64 v37, null, v65, v141, vcc_lo
	v_cvt_f64_f32_e32 v[34:35], v32
	s_mov_b32 s1, 0
	global_store_dwordx2 v[36:37], v[34:35], off
.LBB169_133:
	v_mov_b32_e32 v32, 0
	s_andn2_b32 vcc_lo, exec_lo, s1
	s_cbranch_vccnz .LBB169_135
; %bb.134:
	v_add_co_u32 v34, vcc_lo, v66, v140
	v_add_co_ci_u32_e64 v35, null, v67, v141, vcc_lo
	global_load_dwordx2 v[34:35], v[34:35], off
	s_waitcnt vmcnt(0)
	v_mul_f64 v[34:35], s[2:3], v[34:35]
	v_cvt_f32_f64_e32 v32, v[34:35]
	v_add_co_u32 v34, vcc_lo, v64, v140
	v_add_co_ci_u32_e64 v35, null, v65, v141, vcc_lo
	v_add_co_u32 v36, vcc_lo, v66, v134
	v_add_co_ci_u32_e64 v37, null, v67, v135, vcc_lo
	v_min_f32_e32 v32, v32, v33
	v_cvt_f64_f32_e32 v[32:33], v32
	global_store_dwordx2 v[34:35], v[32:33], off
	global_load_dwordx2 v[32:33], v[36:37], off
	s_waitcnt vmcnt(0)
	v_mul_f64 v[32:33], s[2:3], v[32:33]
	v_cvt_f32_f64_e32 v32, v[32:33]
.LBB169_135:
	v_add_f64 v[28:29], v[28:29], v[8:9]
	v_add_f64 v[30:31], v[30:31], v[10:11]
	;; [unrolled: 1-line block ×8, first 2 shown]
	s_mov_b32 s1, -1
	v_cvt_f32_f64_e32 v28, v[28:29]
	v_cvt_f32_f64_e32 v29, v[30:31]
	;; [unrolled: 1-line block ×8, first 2 shown]
	v_min3_f32 v17, v28, v29, v145
	v_min_f32_e32 v22, v24, v25
	v_min3_f32 v17, v32, v22, v17
	v_cvt_f64_f32_e32 v[18:19], v17
	v_min3_f32 v17, v20, v21, v146
	v_add_co_u32 v20, vcc_lo, v64, v134
	v_add_co_ci_u32_e64 v21, null, v65, v135, vcc_lo
	v_min3_f32 v16, v16, v23, v17
	s_mov_b32 vcc_lo, s0
	v_max_f32_e32 v17, v16, v16
	global_store_dwordx2 v[20:21], v[18:19], off
	s_cbranch_vccz .LBB169_137
; %bb.136:
	v_min_f32_e32 v16, 0, v17
	v_add_co_u32 v20, vcc_lo, v64, v142
	v_add_co_ci_u32_e64 v21, null, v65, v143, vcc_lo
	v_cvt_f64_f32_e32 v[18:19], v16
	s_mov_b32 s1, 0
	global_store_dwordx2 v[20:21], v[18:19], off
.LBB169_137:
	v_mov_b32_e32 v16, 0
	s_andn2_b32 vcc_lo, exec_lo, s1
	s_cbranch_vccnz .LBB169_139
; %bb.138:
	v_add_co_u32 v18, vcc_lo, v66, v142
	v_add_co_ci_u32_e64 v19, null, v67, v143, vcc_lo
	global_load_dwordx2 v[18:19], v[18:19], off
	s_waitcnt vmcnt(0)
	v_mul_f64 v[18:19], s[2:3], v[18:19]
	v_cvt_f32_f64_e32 v16, v[18:19]
	v_add_co_u32 v18, vcc_lo, v64, v142
	v_add_co_ci_u32_e64 v19, null, v65, v143, vcc_lo
	v_add_co_u32 v20, vcc_lo, v66, v138
	v_add_co_ci_u32_e64 v21, null, v67, v139, vcc_lo
	v_min_f32_e32 v16, v16, v17
	v_cvt_f64_f32_e32 v[16:17], v16
	global_store_dwordx2 v[18:19], v[16:17], off
	global_load_dwordx2 v[16:17], v[20:21], off
	s_waitcnt vmcnt(0)
	v_mul_f64 v[16:17], s[2:3], v[16:17]
	v_cvt_f32_f64_e32 v16, v[16:17]
.LBB169_139:
	v_add_f64 v[4:5], v[4:5], v[12:13]
	v_add_f64 v[6:7], v[6:7], v[14:15]
	;; [unrolled: 1-line block ×4, first 2 shown]
	v_cvt_f32_f64_e32 v4, v[4:5]
	v_cvt_f32_f64_e32 v5, v[6:7]
	;; [unrolled: 1-line block ×4, first 2 shown]
	v_min_f32_e32 v2, v4, v5
	v_min3_f32 v0, v0, v1, v144
	v_min3_f32 v0, v16, v2, v0
	v_add_co_u32 v2, vcc_lo, v64, v138
	v_add_co_ci_u32_e64 v3, null, v65, v139, vcc_lo
	v_cvt_f64_f32_e32 v[0:1], v0
	global_store_dwordx2 v[2:3], v[0:1], off
	s_endpgm
	.section	.rodata,"a",@progbits
	.p2align	6, 0x0
	.amdhsa_kernel _ZN12_GLOBAL__N_120geam_min_plus_kernelId15HIP_vector_typeIdLj2EEdLi8ELi32ELi64ELi256ELi4ELi64ELi4ELi64ELi4ELc78ELc84ELb1ELb0ELb1EdKddEEviiiT16_PT17_ilS6_ilS4_S6_ilPT18_ili26rocblas_geam_ex_operation_
		.amdhsa_group_segment_fixed_size 20480
		.amdhsa_private_segment_fixed_size 0
		.amdhsa_kernarg_size 136
		.amdhsa_user_sgpr_count 6
		.amdhsa_user_sgpr_private_segment_buffer 1
		.amdhsa_user_sgpr_dispatch_ptr 0
		.amdhsa_user_sgpr_queue_ptr 0
		.amdhsa_user_sgpr_kernarg_segment_ptr 1
		.amdhsa_user_sgpr_dispatch_id 0
		.amdhsa_user_sgpr_flat_scratch_init 0
		.amdhsa_user_sgpr_private_segment_size 0
		.amdhsa_wavefront_size32 1
		.amdhsa_uses_dynamic_stack 0
		.amdhsa_system_sgpr_private_segment_wavefront_offset 0
		.amdhsa_system_sgpr_workgroup_id_x 1
		.amdhsa_system_sgpr_workgroup_id_y 0
		.amdhsa_system_sgpr_workgroup_id_z 1
		.amdhsa_system_sgpr_workgroup_info 0
		.amdhsa_system_vgpr_workitem_id 1
		.amdhsa_next_free_vgpr 221
		.amdhsa_next_free_sgpr 23
		.amdhsa_reserve_vcc 1
		.amdhsa_reserve_flat_scratch 0
		.amdhsa_float_round_mode_32 0
		.amdhsa_float_round_mode_16_64 0
		.amdhsa_float_denorm_mode_32 3
		.amdhsa_float_denorm_mode_16_64 3
		.amdhsa_dx10_clamp 1
		.amdhsa_ieee_mode 1
		.amdhsa_fp16_overflow 0
		.amdhsa_workgroup_processor_mode 1
		.amdhsa_memory_ordered 1
		.amdhsa_forward_progress 1
		.amdhsa_shared_vgpr_count 0
		.amdhsa_exception_fp_ieee_invalid_op 0
		.amdhsa_exception_fp_denorm_src 0
		.amdhsa_exception_fp_ieee_div_zero 0
		.amdhsa_exception_fp_ieee_overflow 0
		.amdhsa_exception_fp_ieee_underflow 0
		.amdhsa_exception_fp_ieee_inexact 0
		.amdhsa_exception_int_div_zero 0
	.end_amdhsa_kernel
	.section	.text._ZN12_GLOBAL__N_120geam_min_plus_kernelId15HIP_vector_typeIdLj2EEdLi8ELi32ELi64ELi256ELi4ELi64ELi4ELi64ELi4ELc78ELc84ELb1ELb0ELb1EdKddEEviiiT16_PT17_ilS6_ilS4_S6_ilPT18_ili26rocblas_geam_ex_operation_,"axG",@progbits,_ZN12_GLOBAL__N_120geam_min_plus_kernelId15HIP_vector_typeIdLj2EEdLi8ELi32ELi64ELi256ELi4ELi64ELi4ELi64ELi4ELc78ELc84ELb1ELb0ELb1EdKddEEviiiT16_PT17_ilS6_ilS4_S6_ilPT18_ili26rocblas_geam_ex_operation_,comdat
.Lfunc_end169:
	.size	_ZN12_GLOBAL__N_120geam_min_plus_kernelId15HIP_vector_typeIdLj2EEdLi8ELi32ELi64ELi256ELi4ELi64ELi4ELi64ELi4ELc78ELc84ELb1ELb0ELb1EdKddEEviiiT16_PT17_ilS6_ilS4_S6_ilPT18_ili26rocblas_geam_ex_operation_, .Lfunc_end169-_ZN12_GLOBAL__N_120geam_min_plus_kernelId15HIP_vector_typeIdLj2EEdLi8ELi32ELi64ELi256ELi4ELi64ELi4ELi64ELi4ELc78ELc84ELb1ELb0ELb1EdKddEEviiiT16_PT17_ilS6_ilS4_S6_ilPT18_ili26rocblas_geam_ex_operation_
                                        ; -- End function
	.set _ZN12_GLOBAL__N_120geam_min_plus_kernelId15HIP_vector_typeIdLj2EEdLi8ELi32ELi64ELi256ELi4ELi64ELi4ELi64ELi4ELc78ELc84ELb1ELb0ELb1EdKddEEviiiT16_PT17_ilS6_ilS4_S6_ilPT18_ili26rocblas_geam_ex_operation_.num_vgpr, 221
	.set _ZN12_GLOBAL__N_120geam_min_plus_kernelId15HIP_vector_typeIdLj2EEdLi8ELi32ELi64ELi256ELi4ELi64ELi4ELi64ELi4ELc78ELc84ELb1ELb0ELb1EdKddEEviiiT16_PT17_ilS6_ilS4_S6_ilPT18_ili26rocblas_geam_ex_operation_.num_agpr, 0
	.set _ZN12_GLOBAL__N_120geam_min_plus_kernelId15HIP_vector_typeIdLj2EEdLi8ELi32ELi64ELi256ELi4ELi64ELi4ELi64ELi4ELc78ELc84ELb1ELb0ELb1EdKddEEviiiT16_PT17_ilS6_ilS4_S6_ilPT18_ili26rocblas_geam_ex_operation_.numbered_sgpr, 23
	.set _ZN12_GLOBAL__N_120geam_min_plus_kernelId15HIP_vector_typeIdLj2EEdLi8ELi32ELi64ELi256ELi4ELi64ELi4ELi64ELi4ELc78ELc84ELb1ELb0ELb1EdKddEEviiiT16_PT17_ilS6_ilS4_S6_ilPT18_ili26rocblas_geam_ex_operation_.num_named_barrier, 0
	.set _ZN12_GLOBAL__N_120geam_min_plus_kernelId15HIP_vector_typeIdLj2EEdLi8ELi32ELi64ELi256ELi4ELi64ELi4ELi64ELi4ELc78ELc84ELb1ELb0ELb1EdKddEEviiiT16_PT17_ilS6_ilS4_S6_ilPT18_ili26rocblas_geam_ex_operation_.private_seg_size, 0
	.set _ZN12_GLOBAL__N_120geam_min_plus_kernelId15HIP_vector_typeIdLj2EEdLi8ELi32ELi64ELi256ELi4ELi64ELi4ELi64ELi4ELc78ELc84ELb1ELb0ELb1EdKddEEviiiT16_PT17_ilS6_ilS4_S6_ilPT18_ili26rocblas_geam_ex_operation_.uses_vcc, 1
	.set _ZN12_GLOBAL__N_120geam_min_plus_kernelId15HIP_vector_typeIdLj2EEdLi8ELi32ELi64ELi256ELi4ELi64ELi4ELi64ELi4ELc78ELc84ELb1ELb0ELb1EdKddEEviiiT16_PT17_ilS6_ilS4_S6_ilPT18_ili26rocblas_geam_ex_operation_.uses_flat_scratch, 0
	.set _ZN12_GLOBAL__N_120geam_min_plus_kernelId15HIP_vector_typeIdLj2EEdLi8ELi32ELi64ELi256ELi4ELi64ELi4ELi64ELi4ELc78ELc84ELb1ELb0ELb1EdKddEEviiiT16_PT17_ilS6_ilS4_S6_ilPT18_ili26rocblas_geam_ex_operation_.has_dyn_sized_stack, 0
	.set _ZN12_GLOBAL__N_120geam_min_plus_kernelId15HIP_vector_typeIdLj2EEdLi8ELi32ELi64ELi256ELi4ELi64ELi4ELi64ELi4ELc78ELc84ELb1ELb0ELb1EdKddEEviiiT16_PT17_ilS6_ilS4_S6_ilPT18_ili26rocblas_geam_ex_operation_.has_recursion, 0
	.set _ZN12_GLOBAL__N_120geam_min_plus_kernelId15HIP_vector_typeIdLj2EEdLi8ELi32ELi64ELi256ELi4ELi64ELi4ELi64ELi4ELc78ELc84ELb1ELb0ELb1EdKddEEviiiT16_PT17_ilS6_ilS4_S6_ilPT18_ili26rocblas_geam_ex_operation_.has_indirect_call, 0
	.section	.AMDGPU.csdata,"",@progbits
; Kernel info:
; codeLenInByte = 26572
; TotalNumSgprs: 25
; NumVgprs: 221
; ScratchSize: 0
; MemoryBound: 0
; FloatMode: 240
; IeeeMode: 1
; LDSByteSize: 20480 bytes/workgroup (compile time only)
; SGPRBlocks: 0
; VGPRBlocks: 27
; NumSGPRsForWavesPerEU: 25
; NumVGPRsForWavesPerEU: 221
; Occupancy: 4
; WaveLimiterHint : 1
; COMPUTE_PGM_RSRC2:SCRATCH_EN: 0
; COMPUTE_PGM_RSRC2:USER_SGPR: 6
; COMPUTE_PGM_RSRC2:TRAP_HANDLER: 0
; COMPUTE_PGM_RSRC2:TGID_X_EN: 1
; COMPUTE_PGM_RSRC2:TGID_Y_EN: 0
; COMPUTE_PGM_RSRC2:TGID_Z_EN: 1
; COMPUTE_PGM_RSRC2:TIDIG_COMP_CNT: 1
	.section	.text._ZN12_GLOBAL__N_120geam_min_plus_kernelId15HIP_vector_typeIdLj2EEdLi8ELi32ELi64ELi256ELi4ELi64ELi4ELi64ELi4ELc78ELc84ELb0ELb0ELb1EdKddEEviiiT16_PT17_ilS6_ilS4_S6_ilPT18_ili26rocblas_geam_ex_operation_,"axG",@progbits,_ZN12_GLOBAL__N_120geam_min_plus_kernelId15HIP_vector_typeIdLj2EEdLi8ELi32ELi64ELi256ELi4ELi64ELi4ELi64ELi4ELc78ELc84ELb0ELb0ELb1EdKddEEviiiT16_PT17_ilS6_ilS4_S6_ilPT18_ili26rocblas_geam_ex_operation_,comdat
	.globl	_ZN12_GLOBAL__N_120geam_min_plus_kernelId15HIP_vector_typeIdLj2EEdLi8ELi32ELi64ELi256ELi4ELi64ELi4ELi64ELi4ELc78ELc84ELb0ELb0ELb1EdKddEEviiiT16_PT17_ilS6_ilS4_S6_ilPT18_ili26rocblas_geam_ex_operation_ ; -- Begin function _ZN12_GLOBAL__N_120geam_min_plus_kernelId15HIP_vector_typeIdLj2EEdLi8ELi32ELi64ELi256ELi4ELi64ELi4ELi64ELi4ELc78ELc84ELb0ELb0ELb1EdKddEEviiiT16_PT17_ilS6_ilS4_S6_ilPT18_ili26rocblas_geam_ex_operation_
	.p2align	8
	.type	_ZN12_GLOBAL__N_120geam_min_plus_kernelId15HIP_vector_typeIdLj2EEdLi8ELi32ELi64ELi256ELi4ELi64ELi4ELi64ELi4ELc78ELc84ELb0ELb0ELb1EdKddEEviiiT16_PT17_ilS6_ilS4_S6_ilPT18_ili26rocblas_geam_ex_operation_,@function
_ZN12_GLOBAL__N_120geam_min_plus_kernelId15HIP_vector_typeIdLj2EEdLi8ELi32ELi64ELi256ELi4ELi64ELi4ELi64ELi4ELc78ELc84ELb0ELb0ELb1EdKddEEviiiT16_PT17_ilS6_ilS4_S6_ilPT18_ili26rocblas_geam_ex_operation_: ; @_ZN12_GLOBAL__N_120geam_min_plus_kernelId15HIP_vector_typeIdLj2EEdLi8ELi32ELi64ELi256ELi4ELi64ELi4ELi64ELi4ELc78ELc84ELb0ELb0ELb1EdKddEEviiiT16_PT17_ilS6_ilS4_S6_ilPT18_ili26rocblas_geam_ex_operation_
; %bb.0:
	s_clause 0x1
	s_load_dwordx4 s[12:15], s[4:5], 0x10
	s_load_dwordx4 s[8:11], s[4:5], 0x28
	s_mov_b64 s[16:17], 0
	s_waitcnt lgkmcnt(0)
	v_cmp_eq_f64_e64 s18, s[12:13], 0
	s_and_b32 vcc_lo, exec_lo, s18
	s_cbranch_vccnz .LBB170_2
; %bb.1:
	s_mul_i32 s0, s9, s7
	s_mul_hi_u32 s1, s8, s7
	s_add_i32 s1, s1, s0
	s_mul_i32 s0, s8, s7
	s_lshl_b64 s[0:1], s[0:1], 3
	s_add_u32 s16, s14, s0
	s_addc_u32 s17, s15, s1
.LBB170_2:
	s_clause 0x1
	s_load_dwordx4 s[0:3], s[4:5], 0x40
	s_load_dwordx2 s[20:21], s[4:5], 0x50
	s_andn2_b32 vcc_lo, exec_lo, s18
	s_mov_b32 s8, -1
	s_cbranch_vccnz .LBB170_4
; %bb.3:
	s_mov_b32 s8, 0
.LBB170_4:
	s_mov_b64 s[14:15], 0
	s_andn2_b32 vcc_lo, exec_lo, s8
	s_mov_b64 s[18:19], 0
	s_cbranch_vccnz .LBB170_6
; %bb.5:
	s_waitcnt lgkmcnt(0)
	s_mul_i32 s1, s1, s7
	s_mul_hi_u32 s8, s0, s7
	s_mul_i32 s0, s0, s7
	s_add_i32 s1, s8, s1
	s_lshl_b64 s[0:1], s[0:1], 3
	s_add_u32 s18, s10, s0
	s_addc_u32 s19, s11, s1
.LBB170_6:
	s_waitcnt lgkmcnt(0)
	v_cmp_eq_f64_e64 s0, s[2:3], 0
	v_cmp_neq_f64_e64 s23, s[12:13], 0
	s_load_dwordx4 s[8:11], s[4:5], 0x60
	s_and_b32 s0, exec_lo, s0
	s_mov_b32 vcc_lo, s0
	s_cbranch_vccnz .LBB170_8
; %bb.7:
	s_waitcnt lgkmcnt(0)
	s_mul_i32 s1, s9, s7
	s_mul_hi_u32 s9, s8, s7
	s_mul_i32 s8, s8, s7
	s_add_i32 s9, s9, s1
	s_lshl_b64 s[8:9], s[8:9], 3
	s_add_u32 s14, s20, s8
	s_addc_u32 s15, s21, s9
.LBB170_8:
	s_load_dword s1, s[4:5], 0x0
	s_waitcnt lgkmcnt(0)
	s_load_dword s8, s[4:5], 0x20
	v_cndmask_b32_e64 v3, 0, 1, s23
	v_mov_b32_e32 v4, 0
	v_mov_b32_e32 v5, 0
	s_add_i32 s1, s1, -1
	s_ashr_i32 s9, s1, 31
	s_lshr_b32 s9, s9, 26
	s_add_i32 s1, s1, s9
	s_ashr_i32 s1, s1, 6
	s_add_i32 s20, s1, 1
	s_not_b32 s1, s1
	v_cvt_f32_u32_e32 v2, s20
	v_rcp_iflag_f32_e32 v2, v2
	v_mul_f32_e32 v2, 0x4f7ffffe, v2
	v_cvt_u32_f32_e32 v2, v2
	v_readfirstlane_b32 s9, v2
	v_lshl_add_u32 v2, v1, 3, v0
	s_mul_i32 s1, s1, s9
	v_and_b32_e32 v77, 63, v2
	s_mul_hi_u32 s1, s9, s1
	v_lshrrev_b32_e32 v76, 6, v2
	s_add_i32 s9, s9, s1
	s_mul_hi_u32 s1, s6, s9
	s_waitcnt lgkmcnt(0)
	s_ashr_i32 s9, s8, 31
	s_mul_i32 s21, s1, s20
	s_add_i32 s22, s1, 1
	s_sub_i32 s21, s6, s21
	s_sub_i32 s24, s21, s20
	s_cmp_ge_u32 s21, s20
	s_cselect_b32 s1, s22, s1
	s_cselect_b32 s21, s24, s21
	s_add_i32 s22, s1, 1
	s_cmp_ge_u32 s21, s20
	s_cselect_b32 s21, s22, s1
	s_andn2_b32 vcc_lo, exec_lo, s23
	s_mul_i32 s24, s21, s20
	s_sub_i32 s1, s6, s24
	s_lshl_b32 s22, s1, 6
	v_cmp_ne_u32_e64 s1, 1, v3
	v_or_b32_e32 v10, s22, v77
	v_mov_b32_e32 v2, 0
	v_mov_b32_e32 v3, 0
	v_ashrrev_i32_e32 v11, 31, v10
	s_cbranch_vccnz .LBB170_10
; %bb.9:
	v_mad_i64_i32 v[4:5], null, s8, v76, 0
	v_lshlrev_b64 v[6:7], 3, v[10:11]
	v_lshlrev_b64 v[4:5], 3, v[4:5]
	v_add_co_u32 v4, vcc_lo, s16, v4
	v_add_co_ci_u32_e64 v5, null, s17, v5, vcc_lo
	v_add_co_u32 v4, vcc_lo, v4, v6
	v_add_co_ci_u32_e64 v5, null, v5, v7, vcc_lo
	global_load_dwordx2 v[4:5], v[4:5], off
	s_waitcnt vmcnt(0)
	v_mul_f64 v[4:5], s[12:13], v[4:5]
.LBB170_10:
	s_load_dword s20, s[4:5], 0x38
	s_lshl_b32 s23, s21, 8
	v_or_b32_e32 v8, s23, v77
	v_ashrrev_i32_e32 v9, 31, v8
	s_waitcnt lgkmcnt(0)
	v_mad_i64_i32 v[6:7], null, v76, s20, 0
	s_ashr_i32 s21, s20, 31
	v_lshlrev_b64 v[12:13], 3, v[6:7]
	v_mov_b32_e32 v6, 0
	v_mov_b32_e32 v7, 0
	v_add_co_u32 v16, vcc_lo, s18, v12
	v_add_co_ci_u32_e64 v17, null, s19, v13, vcc_lo
	s_and_b32 vcc_lo, exec_lo, s1
	s_cbranch_vccnz .LBB170_12
; %bb.11:
	v_lshlrev_b64 v[2:3], 3, v[8:9]
	v_add_co_u32 v2, vcc_lo, v16, v2
	v_add_co_ci_u32_e64 v3, null, v17, v3, vcc_lo
	s_clause 0x1
	global_load_dwordx2 v[6:7], v[2:3], off
	global_load_dwordx2 v[12:13], v[2:3], off offset:512
	s_waitcnt vmcnt(1)
	v_mul_f64 v[2:3], s[12:13], v[6:7]
	s_waitcnt vmcnt(0)
	v_mul_f64 v[6:7], s[12:13], v[12:13]
.LBB170_12:
	v_mov_b32_e32 v70, 0
	v_mov_b32_e32 v12, 0
	;; [unrolled: 1-line block ×6, first 2 shown]
	s_and_b32 vcc_lo, exec_lo, s1
	s_cbranch_vccnz .LBB170_14
; %bb.13:
	v_lshlrev_b64 v[12:13], 3, v[8:9]
	v_add_co_u32 v12, vcc_lo, v16, v12
	v_add_co_ci_u32_e64 v13, null, v17, v13, vcc_lo
	s_clause 0x1
	global_load_dwordx2 v[14:15], v[12:13], off offset:1024
	global_load_dwordx2 v[16:17], v[12:13], off offset:1536
	s_waitcnt vmcnt(1)
	v_mul_f64 v[12:13], s[12:13], v[14:15]
	s_waitcnt vmcnt(0)
	v_mul_f64 v[14:15], s[12:13], v[16:17]
.LBB170_14:
	v_add_nc_u32_e32 v16, 4, v76
	s_and_b32 vcc_lo, exec_lo, s1
	s_cbranch_vccnz .LBB170_16
; %bb.15:
	v_mad_i64_i32 v[17:18], null, s8, v16, 0
	v_lshlrev_b64 v[10:11], 3, v[10:11]
	v_lshlrev_b64 v[17:18], 3, v[17:18]
	v_add_co_u32 v17, vcc_lo, s16, v17
	v_add_co_ci_u32_e64 v18, null, s17, v18, vcc_lo
	v_add_co_u32 v10, vcc_lo, v17, v10
	v_add_co_ci_u32_e64 v11, null, v18, v11, vcc_lo
	global_load_dwordx2 v[10:11], v[10:11], off
	s_waitcnt vmcnt(0)
	v_mul_f64 v[70:71], s[12:13], v[10:11]
.LBB170_16:
	v_mad_i64_i32 v[10:11], null, v16, s20, 0
	v_mov_b32_e32 v66, 0
	v_mov_b32_e32 v72, 0
	;; [unrolled: 1-line block ×6, first 2 shown]
	v_lshlrev_b64 v[10:11], 3, v[10:11]
	v_add_co_u32 v10, vcc_lo, s18, v10
	v_add_co_ci_u32_e64 v11, null, s19, v11, vcc_lo
	s_and_b32 vcc_lo, exec_lo, s1
	s_cbranch_vccnz .LBB170_18
; %bb.17:
	v_lshlrev_b64 v[16:17], 3, v[8:9]
	v_add_co_u32 v16, vcc_lo, v10, v16
	v_add_co_ci_u32_e64 v17, null, v11, v17, vcc_lo
	s_clause 0x1
	global_load_dwordx2 v[18:19], v[16:17], off
	global_load_dwordx2 v[16:17], v[16:17], off offset:512
	s_waitcnt vmcnt(1)
	v_mul_f64 v[72:73], s[12:13], v[18:19]
	s_waitcnt vmcnt(0)
	v_mul_f64 v[74:75], s[12:13], v[16:17]
.LBB170_18:
	v_mov_b32_e32 v68, 0
	v_mov_b32_e32 v69, 0
	s_and_b32 vcc_lo, exec_lo, s1
	s_cbranch_vccnz .LBB170_20
; %bb.19:
	v_lshlrev_b64 v[8:9], 3, v[8:9]
	v_add_co_u32 v8, vcc_lo, v10, v8
	v_add_co_ci_u32_e64 v9, null, v11, v9, vcc_lo
	s_clause 0x1
	global_load_dwordx2 v[10:11], v[8:9], off offset:1024
	global_load_dwordx2 v[8:9], v[8:9], off offset:1536
	s_waitcnt vmcnt(1)
	v_mul_f64 v[66:67], s[12:13], v[10:11]
	s_waitcnt vmcnt(0)
	v_mul_f64 v[68:69], s[12:13], v[8:9]
.LBB170_20:
	v_lshlrev_b32_e32 v8, 5, v77
	v_lshlrev_b32_e32 v149, 5, v0
	;; [unrolled: 1-line block ×3, first 2 shown]
	s_load_dword s25, s[4:5], 0x8
	v_lshl_add_u32 v150, v76, 3, v8
	ds_write_b64 v150, v[4:5] offset:16384
	ds_write2st64_b64 v150, v[2:3], v[6:7] offset1:4
	ds_write2st64_b64 v150, v[12:13], v[14:15] offset0:8 offset1:12
	s_waitcnt lgkmcnt(0)
	s_barrier
	buffer_gl0_inv
	ds_read_b128 v[10:13], v149 offset:16640
	ds_read_b128 v[14:17], v149 offset:16896
	;; [unrolled: 1-line block ×16, first 2 shown]
	ds_read_b128 v[82:85], v148
	ds_read_b128 v[6:9], v148 offset:16
	s_cmp_lt_i32 s25, 9
	s_waitcnt lgkmcnt(1)
	v_add_f64 v[86:87], v[80:81], v[84:85]
	v_add_f64 v[88:89], v[78:79], v[82:83]
	s_waitcnt lgkmcnt(0)
	v_add_f64 v[142:143], v[4:5], v[8:9]
	v_add_f64 v[144:145], v[2:3], v[6:7]
	v_cvt_f32_f64_e32 v86, v[86:87]
	v_cvt_f32_f64_e32 v88, v[88:89]
	;; [unrolled: 1-line block ×4, first 2 shown]
	v_min3_f32 v141, v88, v86, 0x7f800000
	v_add_f64 v[86:87], v[12:13], v[84:85]
	v_add_f64 v[88:89], v[10:11], v[82:83]
	v_min3_f32 v226, v144, v142, v141
	v_cvt_f32_f64_e32 v86, v[86:87]
	v_cvt_f32_f64_e32 v88, v[88:89]
	v_min3_f32 v140, v88, v86, 0x7f800000
	v_add_f64 v[86:87], v[16:17], v[84:85]
	v_add_f64 v[88:89], v[14:15], v[82:83]
	v_cvt_f32_f64_e32 v86, v[86:87]
	v_cvt_f32_f64_e32 v88, v[88:89]
	v_min3_f32 v139, v88, v86, 0x7f800000
	v_add_f64 v[86:87], v[20:21], v[84:85]
	v_add_f64 v[88:89], v[18:19], v[82:83]
	;; [unrolled: 5-line block ×5, first 2 shown]
	v_add_f64 v[84:85], v[36:37], v[84:85]
	v_add_f64 v[82:83], v[34:35], v[82:83]
	v_cvt_f32_f64_e32 v86, v[86:87]
	v_cvt_f32_f64_e32 v88, v[88:89]
	;; [unrolled: 1-line block ×4, first 2 shown]
	v_add_f64 v[84:85], v[78:79], v[38:39]
	v_min3_f32 v135, v88, v86, 0x7f800000
	v_min3_f32 v134, v82, v83, 0x7f800000
	v_add_f64 v[82:83], v[80:81], v[40:41]
	v_cvt_f32_f64_e32 v84, v[84:85]
	v_cvt_f32_f64_e32 v82, v[82:83]
	v_min3_f32 v133, v84, v82, 0x7f800000
	v_add_f64 v[82:83], v[12:13], v[40:41]
	v_add_f64 v[84:85], v[10:11], v[38:39]
	v_cvt_f32_f64_e32 v82, v[82:83]
	v_cvt_f32_f64_e32 v84, v[84:85]
	v_min3_f32 v132, v84, v82, 0x7f800000
	v_add_f64 v[82:83], v[16:17], v[40:41]
	;; [unrolled: 5-line block ×6, first 2 shown]
	v_add_f64 v[84:85], v[30:31], v[38:39]
	v_add_f64 v[40:41], v[36:37], v[40:41]
	;; [unrolled: 1-line block ×3, first 2 shown]
	v_cvt_f32_f64_e32 v82, v[82:83]
	v_cvt_f32_f64_e32 v84, v[84:85]
	;; [unrolled: 1-line block ×4, first 2 shown]
	v_add_f64 v[40:41], v[78:79], v[42:43]
	v_min3_f32 v127, v84, v82, 0x7f800000
	v_min3_f32 v126, v38, v39, 0x7f800000
	v_add_f64 v[38:39], v[80:81], v[44:45]
	v_cvt_f32_f64_e32 v40, v[40:41]
	v_cvt_f32_f64_e32 v38, v[38:39]
	v_min3_f32 v125, v40, v38, 0x7f800000
	v_add_f64 v[38:39], v[12:13], v[44:45]
	v_add_f64 v[40:41], v[10:11], v[42:43]
	v_cvt_f32_f64_e32 v38, v[38:39]
	v_cvt_f32_f64_e32 v40, v[40:41]
	v_min3_f32 v124, v40, v38, 0x7f800000
	v_add_f64 v[38:39], v[16:17], v[44:45]
	;; [unrolled: 5-line block ×33, first 2 shown]
	v_add_f64 v[40:41], v[10:11], v[58:59]
	v_add_f64 v[12:13], v[12:13], v[64:65]
	;; [unrolled: 1-line block ×3, first 2 shown]
	v_cvt_f32_f64_e32 v38, v[38:39]
	v_cvt_f32_f64_e32 v40, v[40:41]
	;; [unrolled: 1-line block ×4, first 2 shown]
	v_add_f64 v[12:13], v[14:15], v[62:63]
	v_min3_f32 v92, v40, v38, 0x7f800000
	v_add_f64 v[38:39], v[16:17], v[60:61]
	v_add_f64 v[40:41], v[14:15], v[58:59]
	v_min3_f32 v84, v10, v11, 0x7f800000
	v_add_f64 v[10:11], v[16:17], v[64:65]
	v_cvt_f32_f64_e32 v12, v[12:13]
	v_cvt_f32_f64_e32 v38, v[38:39]
	v_cvt_f32_f64_e32 v40, v[40:41]
	v_cvt_f32_f64_e32 v10, v[10:11]
	v_min3_f32 v91, v40, v38, 0x7f800000
	v_add_f64 v[38:39], v[20:21], v[60:61]
	v_add_f64 v[40:41], v[18:19], v[58:59]
	v_min3_f32 v83, v12, v10, 0x7f800000
	v_add_f64 v[10:11], v[20:21], v[64:65]
	v_add_f64 v[12:13], v[18:19], v[62:63]
	v_cvt_f32_f64_e32 v38, v[38:39]
	v_cvt_f32_f64_e32 v40, v[40:41]
	;; [unrolled: 1-line block ×4, first 2 shown]
	v_min3_f32 v90, v40, v38, 0x7f800000
	v_add_f64 v[38:39], v[24:25], v[60:61]
	v_add_f64 v[40:41], v[22:23], v[58:59]
	v_min3_f32 v82, v12, v10, 0x7f800000
	v_add_f64 v[10:11], v[24:25], v[64:65]
	v_add_f64 v[12:13], v[22:23], v[62:63]
	v_cvt_f32_f64_e32 v38, v[38:39]
	v_cvt_f32_f64_e32 v40, v[40:41]
	v_cvt_f32_f64_e32 v10, v[10:11]
	v_cvt_f32_f64_e32 v12, v[12:13]
	v_min3_f32 v89, v40, v38, 0x7f800000
	v_add_f64 v[38:39], v[28:29], v[60:61]
	v_add_f64 v[40:41], v[26:27], v[58:59]
	v_cvt_f32_f64_e32 v38, v[38:39]
	v_cvt_f32_f64_e32 v40, v[40:41]
	v_min3_f32 v88, v40, v38, 0x7f800000
	v_add_f64 v[38:39], v[32:33], v[60:61]
	v_add_f64 v[40:41], v[30:31], v[58:59]
	v_cvt_f32_f64_e32 v38, v[38:39]
	v_cvt_f32_f64_e32 v40, v[40:41]
	;; [unrolled: 5-line block ×3, first 2 shown]
	v_min3_f32 v86, v40, v38, 0x7f800000
	v_add_f64 v[38:39], v[80:81], v[64:65]
	v_min3_f32 v81, v12, v10, 0x7f800000
	v_add_f64 v[10:11], v[28:29], v[64:65]
	v_add_f64 v[12:13], v[26:27], v[62:63]
	;; [unrolled: 1-line block ×3, first 2 shown]
	v_cvt_f32_f64_e32 v38, v[38:39]
	v_cvt_f32_f64_e32 v10, v[10:11]
	;; [unrolled: 1-line block ×4, first 2 shown]
	v_min3_f32 v80, v12, v10, 0x7f800000
	v_add_f64 v[10:11], v[32:33], v[64:65]
	v_add_f64 v[12:13], v[30:31], v[62:63]
	v_min3_f32 v85, v40, v38, 0x7f800000
	v_cvt_f32_f64_e32 v10, v[10:11]
	v_cvt_f32_f64_e32 v12, v[12:13]
	v_min3_f32 v79, v12, v10, 0x7f800000
	v_add_f64 v[10:11], v[36:37], v[64:65]
	v_add_f64 v[12:13], v[34:35], v[62:63]
	v_cvt_f32_f64_e32 v10, v[10:11]
	v_cvt_f32_f64_e32 v12, v[12:13]
	v_min3_f32 v78, v12, v10, 0x7f800000
	ds_read_b128 v[34:37], v149 offset:16656
	ds_read_b128 v[30:33], v149 offset:16912
	;; [unrolled: 1-line block ×14, first 2 shown]
	ds_write_b64 v150, v[70:71] offset:18432
	ds_write2st64_b64 v150, v[72:73], v[74:75] offset0:16 offset1:20
	ds_write2st64_b64 v150, v[66:67], v[68:69] offset0:24 offset1:28
	s_waitcnt lgkmcnt(0)
	s_barrier
	buffer_gl0_inv
	v_add_f64 v[141:142], v[36:37], v[8:9]
	v_add_f64 v[143:144], v[34:35], v[6:7]
	v_cvt_f32_f64_e32 v141, v[141:142]
	v_cvt_f32_f64_e32 v143, v[143:144]
	v_min3_f32 v225, v143, v141, v140
	v_add_f64 v[140:141], v[32:33], v[8:9]
	v_add_f64 v[142:143], v[30:31], v[6:7]
	v_cvt_f32_f64_e32 v140, v[140:141]
	v_cvt_f32_f64_e32 v142, v[142:143]
	v_min3_f32 v224, v142, v140, v139
	;; [unrolled: 5-line block ×5, first 2 shown]
	v_add_f64 v[136:137], v[16:17], v[8:9]
	v_add_f64 v[138:139], v[14:15], v[6:7]
	;; [unrolled: 1-line block ×4, first 2 shown]
	v_cvt_f32_f64_e32 v136, v[136:137]
	v_cvt_f32_f64_e32 v138, v[138:139]
	;; [unrolled: 1-line block ×4, first 2 shown]
	v_add_f64 v[8:9], v[2:3], v[62:63]
	v_min3_f32 v221, v138, v136, v135
	v_min3_f32 v218, v6, v7, v134
	v_add_f64 v[6:7], v[4:5], v[64:65]
	v_cvt_f32_f64_e32 v8, v[8:9]
	v_cvt_f32_f64_e32 v6, v[6:7]
	v_min3_f32 v219, v8, v6, v133
	v_add_f64 v[6:7], v[36:37], v[64:65]
	v_add_f64 v[8:9], v[34:35], v[62:63]
	v_cvt_f32_f64_e32 v6, v[6:7]
	v_cvt_f32_f64_e32 v8, v[8:9]
	v_min3_f32 v216, v8, v6, v132
	v_add_f64 v[6:7], v[32:33], v[64:65]
	;; [unrolled: 5-line block ×40, first 2 shown]
	v_add_f64 v[8:9], v[2:3], v[42:43]
	v_add_f64 v[4:5], v[4:5], v[40:41]
	;; [unrolled: 1-line block ×3, first 2 shown]
	v_cvt_f32_f64_e32 v6, v[6:7]
	v_cvt_f32_f64_e32 v8, v[8:9]
	;; [unrolled: 1-line block ×4, first 2 shown]
	v_add_f64 v[4:5], v[34:35], v[38:39]
	v_min3_f32 v172, v8, v6, v93
	v_add_f64 v[6:7], v[36:37], v[44:45]
	v_add_f64 v[8:9], v[34:35], v[42:43]
	v_min3_f32 v158, v2, v3, v85
	v_add_f64 v[2:3], v[36:37], v[40:41]
	v_cvt_f32_f64_e32 v4, v[4:5]
	v_cvt_f32_f64_e32 v6, v[6:7]
	v_cvt_f32_f64_e32 v8, v[8:9]
	v_cvt_f32_f64_e32 v2, v[2:3]
	v_min3_f32 v164, v8, v6, v92
	v_add_f64 v[6:7], v[32:33], v[44:45]
	v_add_f64 v[8:9], v[30:31], v[42:43]
	v_min3_f32 v157, v4, v2, v84
	v_add_f64 v[2:3], v[32:33], v[40:41]
	v_add_f64 v[4:5], v[30:31], v[38:39]
	v_cvt_f32_f64_e32 v6, v[6:7]
	v_cvt_f32_f64_e32 v8, v[8:9]
	v_cvt_f32_f64_e32 v2, v[2:3]
	v_cvt_f32_f64_e32 v4, v[4:5]
	v_min3_f32 v165, v8, v6, v91
	v_add_f64 v[6:7], v[28:29], v[44:45]
	v_add_f64 v[8:9], v[26:27], v[42:43]
	v_min3_f32 v156, v4, v2, v83
	v_add_f64 v[2:3], v[28:29], v[40:41]
	;; [unrolled: 10-line block ×6, first 2 shown]
	v_add_f64 v[4:5], v[10:11], v[38:39]
	v_cvt_f32_f64_e32 v6, v[6:7]
	v_cvt_f32_f64_e32 v8, v[8:9]
	v_cvt_f32_f64_e32 v2, v[2:3]
	v_cvt_f32_f64_e32 v4, v[4:5]
	v_min3_f32 v159, v8, v6, v86
	v_min3_f32 v151, v4, v2, v78
	s_cbranch_scc1 .LBB170_35
; %bb.21:
	v_lshl_or_b32 v4, s6, 6, v77
	v_add_nc_u32_e32 v5, 12, v76
	s_lshl_b32 s6, s24, 6
	v_add_nc_u32_e32 v10, 8, v76
	v_add_nc_u32_e32 v8, s23, v77
	v_subrev_nc_u32_e32 v4, s6, v4
	v_mad_i64_i32 v[2:3], null, v5, s8, 0
	v_mad_i64_i32 v[6:7], null, v5, s20, 0
	v_ashrrev_i32_e32 v5, 31, v4
	v_ashrrev_i32_e32 v9, 31, v8
	v_or_b32_e32 v166, 0x4000, v150
	v_or_b32_e32 v167, 0x4000, v149
	v_lshlrev_b64 v[130:131], 3, v[2:3]
	v_lshlrev_b64 v[2:3], 3, v[4:5]
	;; [unrolled: 1-line block ×3, first 2 shown]
	v_mad_i64_i32 v[6:7], null, v10, s20, 0
	v_mad_i64_i32 v[10:11], null, v10, s8, 0
	v_add_co_u32 v174, vcc_lo, s16, v2
	v_add_co_ci_u32_e64 v175, null, s17, v3, vcc_lo
	v_lshlrev_b64 v[2:3], 3, v[6:7]
	v_add_co_u32 v176, vcc_lo, s18, v4
	v_add_co_ci_u32_e64 v177, null, s19, v5, vcc_lo
	v_lshlrev_b64 v[132:133], 3, v[8:9]
	v_add_co_u32 v178, vcc_lo, s18, v2
	v_lshlrev_b64 v[134:135], 3, v[10:11]
	v_add_nc_u32_e32 v168, 0x4800, v150
	v_or_b32_e32 v169, 0x2000, v150
	v_lshl_add_u32 v171, v0, 5, 0x4800
	v_lshl_or_b32 v173, v1, 5, 0x2000
	v_add_co_ci_u32_e64 v179, null, s19, v3, vcc_lo
	s_add_i32 s6, s25, -8
	s_lshl_b64 s[8:9], s[8:9], 6
	s_lshl_b64 s[16:17], s[20:21], 6
	s_mov_b32 s18, 0
	s_branch .LBB170_23
.LBB170_22:                             ;   in Loop: Header=BB170_23 Depth=1
	v_add_f64 v[146:147], v[100:101], v[128:129]
	v_add_f64 v[227:228], v[98:99], v[126:127]
	;; [unrolled: 1-line block ×3, first 2 shown]
	v_add_co_u32 v174, vcc_lo, v174, s8
	v_add_co_ci_u32_e64 v175, null, s9, v175, vcc_lo
	v_add_co_u32 v176, vcc_lo, v176, s16
	v_add_co_ci_u32_e64 v177, null, s17, v177, vcc_lo
	;; [unrolled: 2-line block ×3, first 2 shown]
	s_add_i32 s18, s18, 8
	s_cmp_ge_i32 s18, s6
	v_cvt_f32_f64_e32 v146, v[146:147]
	v_cvt_f32_f64_e32 v227, v[227:228]
	v_min3_f32 v226, v227, v146, v226
	v_add_f64 v[146:147], v[96:97], v[128:129]
	v_add_f64 v[227:228], v[94:95], v[126:127]
	v_cvt_f32_f64_e32 v146, v[146:147]
	v_cvt_f32_f64_e32 v227, v[227:228]
	v_min3_f32 v225, v227, v146, v225
	v_add_f64 v[146:147], v[92:93], v[128:129]
	v_add_f64 v[227:228], v[90:91], v[126:127]
	;; [unrolled: 5-line block ×5, first 2 shown]
	v_add_f64 v[126:127], v[66:67], v[126:127]
	v_cvt_f32_f64_e32 v146, v[146:147]
	v_cvt_f32_f64_e32 v227, v[227:228]
	;; [unrolled: 1-line block ×4, first 2 shown]
	v_min3_f32 v146, v227, v146, v220
	v_add_f64 v[227:228], v[72:73], v[128:129]
	v_add_f64 v[128:129], v[68:69], v[128:129]
	v_cvt_f32_f64_e32 v220, v[227:228]
	v_cvt_f32_f64_e32 v127, v[128:129]
	v_min3_f32 v147, v147, v220, v221
	v_min3_f32 v126, v126, v127, v218
	v_add_f64 v[127:128], v[100:101], v[124:125]
	v_add_f64 v[220:221], v[98:99], v[122:123]
	v_cvt_f32_f64_e32 v127, v[127:128]
	v_cvt_f32_f64_e32 v129, v[220:221]
	v_min3_f32 v127, v129, v127, v219
	v_add_f64 v[128:129], v[96:97], v[124:125]
	v_add_f64 v[218:219], v[94:95], v[122:123]
	v_cvt_f32_f64_e32 v128, v[128:129]
	v_cvt_f32_f64_e32 v218, v[218:219]
	;; [unrolled: 5-line block ×6, first 2 shown]
	v_min3_f32 v212, v218, v128, v212
	v_add_f64 v[128:129], v[72:73], v[124:125]
	v_add_f64 v[218:219], v[70:71], v[122:123]
	;; [unrolled: 1-line block ×4, first 2 shown]
	v_cvt_f32_f64_e32 v128, v[128:129]
	v_cvt_f32_f64_e32 v218, v[218:219]
	;; [unrolled: 1-line block ×4, first 2 shown]
	v_add_f64 v[124:125], v[98:99], v[118:119]
	v_min3_f32 v213, v218, v128, v213
	v_add_f64 v[128:129], v[86:87], v[110:111]
	v_min3_f32 v218, v122, v123, v210
	v_add_f64 v[122:123], v[100:101], v[120:121]
	v_cvt_f32_f64_e32 v124, v[124:125]
	v_cvt_f32_f64_e32 v122, v[122:123]
	v_min3_f32 v210, v124, v122, v211
	v_add_f64 v[122:123], v[96:97], v[120:121]
	v_add_f64 v[124:125], v[94:95], v[118:119]
	v_cvt_f32_f64_e32 v122, v[122:123]
	v_cvt_f32_f64_e32 v124, v[124:125]
	v_min3_f32 v208, v124, v122, v208
	v_add_f64 v[122:123], v[92:93], v[120:121]
	v_add_f64 v[124:125], v[90:91], v[118:119]
	v_cvt_f32_f64_e32 v122, v[122:123]
	v_cvt_f32_f64_e32 v124, v[124:125]
	v_min3_f32 v209, v124, v122, v209
	v_add_f64 v[122:123], v[88:89], v[120:121]
	v_add_f64 v[124:125], v[86:87], v[118:119]
	v_cvt_f32_f64_e32 v122, v[122:123]
	v_cvt_f32_f64_e32 v124, v[124:125]
	v_min3_f32 v206, v124, v122, v206
	v_add_f64 v[122:123], v[84:85], v[120:121]
	v_add_f64 v[124:125], v[82:83], v[118:119]
	v_cvt_f32_f64_e32 v122, v[122:123]
	v_cvt_f32_f64_e32 v124, v[124:125]
	v_min3_f32 v207, v124, v122, v207
	v_add_f64 v[122:123], v[80:81], v[120:121]
	v_add_f64 v[124:125], v[78:79], v[118:119]
	v_cvt_f32_f64_e32 v122, v[122:123]
	v_cvt_f32_f64_e32 v124, v[124:125]
	v_min3_f32 v204, v124, v122, v204
	v_add_f64 v[122:123], v[72:73], v[120:121]
	v_add_f64 v[124:125], v[70:71], v[118:119]
	v_add_f64 v[120:121], v[68:69], v[120:121]
	;; [unrolled: 1-line block ×3, first 2 shown]
	v_cvt_f32_f64_e32 v122, v[122:123]
	v_cvt_f32_f64_e32 v124, v[124:125]
	v_cvt_f32_f64_e32 v118, v[118:119]
	v_cvt_f32_f64_e32 v119, v[120:121]
	v_add_f64 v[120:121], v[98:99], v[114:115]
	v_min3_f32 v205, v124, v122, v205
	v_min3_f32 v202, v118, v119, v202
	v_add_f64 v[118:119], v[100:101], v[116:117]
	v_cvt_f32_f64_e32 v120, v[120:121]
	v_cvt_f32_f64_e32 v118, v[118:119]
	v_min3_f32 v203, v120, v118, v203
	v_add_f64 v[118:119], v[96:97], v[116:117]
	v_add_f64 v[120:121], v[94:95], v[114:115]
	v_cvt_f32_f64_e32 v118, v[118:119]
	v_cvt_f32_f64_e32 v120, v[120:121]
	v_min3_f32 v200, v120, v118, v200
	v_add_f64 v[118:119], v[92:93], v[116:117]
	;; [unrolled: 5-line block ×3, first 2 shown]
	v_add_f64 v[120:121], v[86:87], v[114:115]
	v_cvt_f32_f64_e32 v118, v[118:119]
	v_cvt_f32_f64_e32 v120, v[120:121]
	v_add_f64 v[121:122], v[82:83], v[114:115]
	v_min3_f32 v118, v120, v118, v199
	v_add_f64 v[119:120], v[84:85], v[116:117]
	v_cvt_f32_f64_e32 v121, v[121:122]
	v_add_f64 v[122:123], v[78:79], v[114:115]
	v_cvt_f32_f64_e32 v119, v[119:120]
	v_cvt_f32_f64_e32 v122, v[122:123]
	v_add_f64 v[123:124], v[70:71], v[114:115]
	v_add_f64 v[114:115], v[66:67], v[114:115]
	v_min3_f32 v119, v121, v119, v198
	v_add_f64 v[120:121], v[80:81], v[116:117]
	v_cvt_f32_f64_e32 v123, v[123:124]
	v_cvt_f32_f64_e32 v114, v[114:115]
	v_add_f64 v[124:125], v[94:95], v[110:111]
	v_cvt_f32_f64_e32 v120, v[120:121]
	v_min3_f32 v120, v122, v120, v196
	v_add_f64 v[121:122], v[72:73], v[116:117]
	v_add_f64 v[116:117], v[68:69], v[116:117]
	v_cvt_f32_f64_e32 v121, v[121:122]
	v_cvt_f32_f64_e32 v115, v[116:117]
	v_add_f64 v[116:117], v[100:101], v[112:113]
	v_min3_f32 v121, v123, v121, v197
	v_add_f64 v[122:123], v[98:99], v[110:111]
	v_min3_f32 v115, v114, v115, v194
	v_cvt_f32_f64_e32 v116, v[116:117]
	v_cvt_f32_f64_e32 v114, v[122:123]
	v_add_f64 v[122:123], v[96:97], v[112:113]
	v_min3_f32 v116, v114, v116, v195
	v_cvt_f32_f64_e32 v114, v[124:125]
	v_cvt_f32_f64_e32 v117, v[122:123]
	v_add_f64 v[122:123], v[92:93], v[112:113]
	v_add_f64 v[124:125], v[90:91], v[110:111]
	v_min3_f32 v117, v114, v117, v192
	v_cvt_f32_f64_e32 v122, v[122:123]
	v_cvt_f32_f64_e32 v114, v[124:125]
	v_add_f64 v[123:124], v[88:89], v[112:113]
	v_min3_f32 v122, v114, v122, v193
	v_cvt_f32_f64_e32 v114, v[128:129]
	v_cvt_f32_f64_e32 v123, v[123:124]
	v_add_f64 v[124:125], v[84:85], v[112:113]
	v_add_f64 v[128:129], v[82:83], v[110:111]
	v_min3_f32 v123, v114, v123, v190
	v_cvt_f32_f64_e32 v124, v[124:125]
	v_cvt_f32_f64_e32 v114, v[128:129]
	v_add_f64 v[128:129], v[80:81], v[112:113]
	v_min3_f32 v124, v114, v124, v191
	v_add_f64 v[190:191], v[78:79], v[110:111]
	v_cvt_f32_f64_e32 v125, v[128:129]
	v_add_f64 v[128:129], v[72:73], v[112:113]
	v_add_f64 v[112:113], v[68:69], v[112:113]
	v_cvt_f32_f64_e32 v114, v[190:191]
	v_add_f64 v[190:191], v[70:71], v[110:111]
	v_add_f64 v[110:111], v[66:67], v[110:111]
	v_cvt_f32_f64_e32 v128, v[128:129]
	v_min3_f32 v125, v114, v125, v188
	v_cvt_f32_f64_e32 v114, v[190:191]
	v_cvt_f32_f64_e32 v110, v[110:111]
	;; [unrolled: 1-line block ×3, first 2 shown]
	v_min3_f32 v114, v114, v128, v189
	v_add_f64 v[128:129], v[98:99], v[106:107]
	v_min3_f32 v112, v110, v111, v186
	v_add_f64 v[110:111], v[100:101], v[108:109]
	v_cvt_f32_f64_e32 v113, v[128:129]
	v_add_f64 v[128:129], v[94:95], v[106:107]
	v_cvt_f32_f64_e32 v110, v[110:111]
	v_cvt_f32_f64_e32 v128, v[128:129]
	v_min3_f32 v113, v113, v110, v187
	v_add_f64 v[110:111], v[96:97], v[108:109]
	v_add_f64 v[186:187], v[90:91], v[106:107]
	v_cvt_f32_f64_e32 v110, v[110:111]
	v_cvt_f32_f64_e32 v129, v[186:187]
	v_min3_f32 v128, v128, v110, v184
	v_add_f64 v[110:111], v[92:93], v[108:109]
	v_cvt_f32_f64_e32 v110, v[110:111]
	v_min3_f32 v129, v129, v110, v185
	v_add_f64 v[110:111], v[88:89], v[108:109]
	v_add_f64 v[184:185], v[86:87], v[106:107]
	v_cvt_f32_f64_e32 v110, v[110:111]
	v_cvt_f32_f64_e32 v184, v[184:185]
	v_min3_f32 v182, v184, v110, v182
	v_add_f64 v[110:111], v[84:85], v[108:109]
	v_add_f64 v[184:185], v[82:83], v[106:107]
	v_cvt_f32_f64_e32 v110, v[110:111]
	;; [unrolled: 5-line block ×3, first 2 shown]
	v_cvt_f32_f64_e32 v184, v[184:185]
	v_min3_f32 v180, v184, v110, v180
	v_add_f64 v[110:111], v[72:73], v[108:109]
	v_add_f64 v[184:185], v[70:71], v[106:107]
	;; [unrolled: 1-line block ×4, first 2 shown]
	v_cvt_f32_f64_e32 v110, v[110:111]
	v_cvt_f32_f64_e32 v184, v[184:185]
	;; [unrolled: 1-line block ×4, first 2 shown]
	v_add_f64 v[108:109], v[98:99], v[102:103]
	v_add_f64 v[98:99], v[98:99], v[74:75]
	v_min3_f32 v181, v184, v110, v181
	v_min3_f32 v170, v106, v107, v170
	v_add_f64 v[106:107], v[100:101], v[104:105]
	v_cvt_f32_f64_e32 v108, v[108:109]
	v_add_f64 v[100:101], v[100:101], v[76:77]
	v_cvt_f32_f64_e32 v98, v[98:99]
	v_cvt_f32_f64_e32 v106, v[106:107]
	;; [unrolled: 1-line block ×3, first 2 shown]
	v_min3_f32 v172, v108, v106, v172
	v_add_f64 v[106:107], v[96:97], v[104:105]
	v_add_f64 v[108:109], v[94:95], v[102:103]
	;; [unrolled: 1-line block ×4, first 2 shown]
	v_min3_f32 v98, v98, v99, v158
	v_add_f64 v[99:100], v[10:11], v[46:47]
	v_cvt_f32_f64_e32 v106, v[106:107]
	v_cvt_f32_f64_e32 v108, v[108:109]
	v_add_f64 v[109:110], v[90:91], v[102:103]
	v_add_f64 v[90:91], v[90:91], v[74:75]
	v_cvt_f32_f64_e32 v94, v[94:95]
	v_cvt_f32_f64_e32 v95, v[96:97]
	v_min3_f32 v106, v108, v106, v164
	v_add_f64 v[107:108], v[92:93], v[104:105]
	v_cvt_f32_f64_e32 v109, v[109:110]
	v_add_f64 v[110:111], v[86:87], v[102:103]
	v_add_f64 v[86:87], v[86:87], v[74:75]
	;; [unrolled: 1-line block ×3, first 2 shown]
	v_cvt_f32_f64_e32 v90, v[90:91]
	v_min3_f32 v94, v94, v95, v157
	v_add_f64 v[95:96], v[6:7], v[50:51]
	v_cvt_f32_f64_e32 v107, v[107:108]
	v_cvt_f32_f64_e32 v110, v[110:111]
	;; [unrolled: 1-line block ×4, first 2 shown]
	v_min3_f32 v107, v109, v107, v165
	v_add_f64 v[108:109], v[88:89], v[104:105]
	v_add_f64 v[164:165], v[82:83], v[102:103]
	;; [unrolled: 1-line block ×4, first 2 shown]
	v_min3_f32 v90, v90, v91, v156
	v_add_f64 v[91:92], v[26:27], v[50:51]
	v_cvt_f32_f64_e32 v108, v[108:109]
	v_cvt_f32_f64_e32 v111, v[164:165]
	v_add_f64 v[164:165], v[70:71], v[102:103]
	v_add_f64 v[70:71], v[70:71], v[74:75]
	v_cvt_f32_f64_e32 v82, v[82:83]
	v_cvt_f32_f64_e32 v87, v[88:89]
	v_min3_f32 v108, v110, v108, v162
	v_add_f64 v[109:110], v[84:85], v[104:105]
	v_add_f64 v[84:85], v[84:85], v[76:77]
	v_cvt_f32_f64_e32 v70, v[70:71]
	v_min3_f32 v86, v86, v87, v154
	v_add_f64 v[87:88], v[14:15], v[54:55]
	v_cvt_f32_f64_e32 v109, v[109:110]
	v_cvt_f32_f64_e32 v83, v[84:85]
	v_min3_f32 v109, v111, v109, v163
	v_add_f64 v[110:111], v[80:81], v[104:105]
	v_add_f64 v[162:163], v[78:79], v[102:103]
	;; [unrolled: 1-line block ×7, first 2 shown]
	v_min3_f32 v82, v82, v83, v155
	v_add_f64 v[83:84], v[10:11], v[58:59]
	v_cvt_f32_f64_e32 v110, v[110:111]
	v_cvt_f32_f64_e32 v162, v[162:163]
	;; [unrolled: 1-line block ×7, first 2 shown]
	v_min3_f32 v110, v162, v110, v160
	v_add_f64 v[162:163], v[72:73], v[104:105]
	v_add_f64 v[104:105], v[68:69], v[104:105]
	;; [unrolled: 1-line block ×5, first 2 shown]
	v_min3_f32 v78, v78, v79, v152
	v_add_f64 v[79:80], v[26:27], v[58:59]
	v_cvt_f32_f64_e32 v160, v[162:163]
	v_cvt_f32_f64_e32 v103, v[104:105]
	;; [unrolled: 1-line block ×4, first 2 shown]
	v_add_f64 v[68:69], v[34:35], v[62:63]
	v_min3_f32 v111, v111, v160, v161
	v_min3_f32 v102, v102, v103, v159
	;; [unrolled: 1-line block ×3, first 2 shown]
	v_add_f64 v[66:67], v[36:37], v[64:65]
	v_cvt_f32_f64_e32 v68, v[68:69]
	v_min3_f32 v71, v70, v71, v153
	v_add_f64 v[69:70], v[30:31], v[62:63]
	v_cvt_f32_f64_e32 v66, v[66:67]
	v_cvt_f32_f64_e32 v69, v[69:70]
	;; [unrolled: 1-line block ×3, first 2 shown]
	v_add_f64 v[74:75], v[18:19], v[62:63]
	v_min3_f32 v66, v68, v66, v226
	v_add_f64 v[67:68], v[32:33], v[64:65]
	v_cvt_f32_f64_e32 v72, v[74:75]
	v_add_f64 v[74:75], v[16:17], v[64:65]
	v_cvt_f32_f64_e32 v67, v[67:68]
	v_min3_f32 v67, v69, v67, v225
	v_add_f64 v[68:69], v[28:29], v[64:65]
	v_cvt_f32_f64_e32 v68, v[68:69]
	v_min3_f32 v68, v70, v68, v224
	v_add_f64 v[69:70], v[20:21], v[64:65]
	v_cvt_f32_f64_e32 v69, v[69:70]
	v_cvt_f32_f64_e32 v70, v[76:77]
	v_add_f64 v[76:77], v[10:11], v[62:63]
	v_min3_f32 v69, v72, v69, v222
	v_cvt_f32_f64_e32 v72, v[74:75]
	v_add_f64 v[74:75], v[12:13], v[64:65]
	v_min3_f32 v70, v70, v72, v223
	v_cvt_f32_f64_e32 v72, v[76:77]
	v_cvt_f32_f64_e32 v74, v[74:75]
	v_add_f64 v[76:77], v[6:7], v[62:63]
	v_add_f64 v[62:63], v[2:3], v[62:63]
	v_min3_f32 v72, v72, v74, v146
	v_add_f64 v[74:75], v[8:9], v[64:65]
	v_add_f64 v[64:65], v[4:5], v[64:65]
	v_cvt_f32_f64_e32 v76, v[76:77]
	v_cvt_f32_f64_e32 v62, v[62:63]
	;; [unrolled: 1-line block ×4, first 2 shown]
	v_min3_f32 v74, v76, v74, v147
	v_min3_f32 v62, v62, v63, v126
	v_add_f64 v[63:64], v[36:37], v[60:61]
	v_add_f64 v[75:76], v[34:35], v[58:59]
	v_cvt_f32_f64_e32 v63, v[63:64]
	v_cvt_f32_f64_e32 v65, v[75:76]
	v_add_f64 v[75:76], v[30:31], v[58:59]
	v_min3_f32 v63, v65, v63, v127
	v_add_f64 v[64:65], v[32:33], v[60:61]
	v_cvt_f32_f64_e32 v75, v[75:76]
	v_cvt_f32_f64_e32 v64, v[64:65]
	;; [unrolled: 1-line block ×3, first 2 shown]
	v_add_f64 v[79:80], v[18:19], v[58:59]
	v_min3_f32 v64, v75, v64, v216
	v_add_f64 v[75:76], v[28:29], v[60:61]
	v_cvt_f32_f64_e32 v77, v[79:80]
	v_add_f64 v[79:80], v[14:15], v[58:59]
	v_cvt_f32_f64_e32 v75, v[75:76]
	v_cvt_f32_f64_e32 v79, v[79:80]
	v_min3_f32 v65, v65, v75, v217
	v_add_f64 v[75:76], v[20:21], v[60:61]
	v_cvt_f32_f64_e32 v75, v[75:76]
	v_min3_f32 v75, v77, v75, v214
	v_add_f64 v[76:77], v[16:17], v[60:61]
	v_cvt_f32_f64_e32 v76, v[76:77]
	v_cvt_f32_f64_e32 v77, v[83:84]
	v_add_f64 v[83:84], v[6:7], v[58:59]
	v_add_f64 v[58:59], v[2:3], v[58:59]
	v_min3_f32 v76, v79, v76, v215
	v_add_f64 v[79:80], v[12:13], v[60:61]
	v_cvt_f32_f64_e32 v81, v[83:84]
	v_cvt_f32_f64_e32 v58, v[58:59]
	v_add_f64 v[83:84], v[26:27], v[54:55]
	v_cvt_f32_f64_e32 v79, v[79:80]
	v_min3_f32 v77, v77, v79, v212
	v_add_f64 v[79:80], v[8:9], v[60:61]
	v_add_f64 v[60:61], v[4:5], v[60:61]
	v_cvt_f32_f64_e32 v79, v[79:80]
	v_cvt_f32_f64_e32 v59, v[60:61]
	v_min3_f32 v79, v81, v79, v213
	v_min3_f32 v58, v58, v59, v218
	v_add_f64 v[59:60], v[36:37], v[56:57]
	v_add_f64 v[80:81], v[34:35], v[54:55]
	v_cvt_f32_f64_e32 v59, v[59:60]
	v_cvt_f32_f64_e32 v61, v[80:81]
	v_add_f64 v[80:81], v[30:31], v[54:55]
	v_min3_f32 v59, v61, v59, v210
	v_add_f64 v[60:61], v[32:33], v[56:57]
	v_cvt_f32_f64_e32 v80, v[80:81]
	v_cvt_f32_f64_e32 v60, v[60:61]
	;; [unrolled: 1-line block ×3, first 2 shown]
	v_add_f64 v[83:84], v[18:19], v[54:55]
	v_min3_f32 v60, v80, v60, v208
	v_add_f64 v[80:81], v[28:29], v[56:57]
	v_cvt_f32_f64_e32 v83, v[83:84]
	v_cvt_f32_f64_e32 v80, v[80:81]
	v_min3_f32 v61, v61, v80, v209
	v_add_f64 v[80:81], v[20:21], v[56:57]
	v_cvt_f32_f64_e32 v80, v[80:81]
	v_cvt_f32_f64_e32 v81, v[87:88]
	v_add_f64 v[87:88], v[10:11], v[54:55]
	v_min3_f32 v80, v83, v80, v206
	v_add_f64 v[83:84], v[16:17], v[56:57]
	v_cvt_f32_f64_e32 v85, v[87:88]
	v_add_f64 v[87:88], v[6:7], v[54:55]
	v_add_f64 v[54:55], v[2:3], v[54:55]
	v_cvt_f32_f64_e32 v83, v[83:84]
	v_cvt_f32_f64_e32 v87, v[87:88]
	;; [unrolled: 1-line block ×3, first 2 shown]
	v_min3_f32 v81, v81, v83, v207
	v_add_f64 v[83:84], v[12:13], v[56:57]
	v_cvt_f32_f64_e32 v83, v[83:84]
	v_min3_f32 v83, v85, v83, v204
	v_add_f64 v[84:85], v[8:9], v[56:57]
	v_add_f64 v[56:57], v[4:5], v[56:57]
	v_cvt_f32_f64_e32 v84, v[84:85]
	v_cvt_f32_f64_e32 v55, v[56:57]
	v_min3_f32 v84, v87, v84, v205
	v_min3_f32 v54, v54, v55, v202
	v_add_f64 v[55:56], v[36:37], v[52:53]
	v_add_f64 v[87:88], v[34:35], v[50:51]
	v_cvt_f32_f64_e32 v55, v[55:56]
	v_cvt_f32_f64_e32 v57, v[87:88]
	v_add_f64 v[87:88], v[30:31], v[50:51]
	v_min3_f32 v55, v57, v55, v203
	v_add_f64 v[56:57], v[32:33], v[52:53]
	v_cvt_f32_f64_e32 v85, v[87:88]
	v_add_f64 v[87:88], v[28:29], v[52:53]
	v_cvt_f32_f64_e32 v56, v[56:57]
	v_cvt_f32_f64_e32 v57, v[91:92]
	v_add_f64 v[91:92], v[18:19], v[50:51]
	v_min3_f32 v56, v85, v56, v200
	v_cvt_f32_f64_e32 v85, v[87:88]
	v_add_f64 v[87:88], v[20:21], v[52:53]
	v_min3_f32 v57, v57, v85, v201
	v_cvt_f32_f64_e32 v85, v[91:92]
	v_cvt_f32_f64_e32 v87, v[87:88]
	v_add_f64 v[91:92], v[14:15], v[50:51]
	v_min3_f32 v85, v85, v87, v118
	v_add_f64 v[87:88], v[16:17], v[52:53]
	v_cvt_f32_f64_e32 v89, v[91:92]
	v_add_f64 v[91:92], v[10:11], v[50:51]
	v_add_f64 v[50:51], v[2:3], v[50:51]
	v_cvt_f32_f64_e32 v87, v[87:88]
	v_cvt_f32_f64_e32 v91, v[91:92]
	v_cvt_f32_f64_e32 v50, v[50:51]
	v_min3_f32 v87, v89, v87, v119
	v_add_f64 v[88:89], v[12:13], v[52:53]
	v_cvt_f32_f64_e32 v88, v[88:89]
	v_cvt_f32_f64_e32 v89, v[95:96]
	v_add_f64 v[95:96], v[26:27], v[46:47]
	v_min3_f32 v88, v91, v88, v120
	v_add_f64 v[91:92], v[8:9], v[52:53]
	v_add_f64 v[52:53], v[4:5], v[52:53]
	v_cvt_f32_f64_e32 v91, v[91:92]
	v_cvt_f32_f64_e32 v51, v[52:53]
	v_min3_f32 v89, v89, v91, v121
	v_min3_f32 v50, v50, v51, v115
	v_add_f64 v[51:52], v[36:37], v[48:49]
	v_add_f64 v[91:92], v[34:35], v[46:47]
	v_cvt_f32_f64_e32 v51, v[51:52]
	v_cvt_f32_f64_e32 v53, v[91:92]
	v_add_f64 v[91:92], v[30:31], v[46:47]
	v_min3_f32 v51, v53, v51, v116
	v_add_f64 v[52:53], v[32:33], v[48:49]
	v_cvt_f32_f64_e32 v91, v[91:92]
	v_cvt_f32_f64_e32 v52, v[52:53]
	;; [unrolled: 1-line block ×3, first 2 shown]
	v_add_f64 v[95:96], v[18:19], v[46:47]
	v_min3_f32 v52, v91, v52, v117
	v_add_f64 v[91:92], v[28:29], v[48:49]
	v_cvt_f32_f64_e32 v93, v[95:96]
	v_add_f64 v[95:96], v[14:15], v[46:47]
	v_cvt_f32_f64_e32 v91, v[91:92]
	v_cvt_f32_f64_e32 v95, v[95:96]
	v_min3_f32 v53, v53, v91, v122
	v_add_f64 v[91:92], v[20:21], v[48:49]
	v_cvt_f32_f64_e32 v91, v[91:92]
	v_min3_f32 v91, v93, v91, v123
	v_add_f64 v[92:93], v[16:17], v[48:49]
	v_cvt_f32_f64_e32 v92, v[92:93]
	v_cvt_f32_f64_e32 v93, v[99:100]
	v_add_f64 v[99:100], v[6:7], v[46:47]
	v_add_f64 v[46:47], v[2:3], v[46:47]
	v_min3_f32 v92, v95, v92, v124
	v_add_f64 v[95:96], v[12:13], v[48:49]
	v_cvt_f32_f64_e32 v46, v[46:47]
	v_cvt_f32_f64_e32 v95, v[95:96]
	v_min3_f32 v146, v93, v95, v125
	v_add_f64 v[95:96], v[8:9], v[48:49]
	v_add_f64 v[48:49], v[4:5], v[48:49]
	v_cvt_f32_f64_e32 v93, v[99:100]
	v_add_f64 v[99:100], v[26:27], v[42:43]
	v_cvt_f32_f64_e32 v95, v[95:96]
	v_cvt_f32_f64_e32 v47, v[48:49]
	v_min3_f32 v147, v93, v95, v114
	v_min3_f32 v46, v46, v47, v112
	v_add_f64 v[47:48], v[36:37], v[44:45]
	v_add_f64 v[95:96], v[34:35], v[42:43]
	v_cvt_f32_f64_e32 v47, v[47:48]
	v_cvt_f32_f64_e32 v49, v[95:96]
	v_add_f64 v[95:96], v[30:31], v[42:43]
	v_min3_f32 v47, v49, v47, v113
	v_add_f64 v[48:49], v[32:33], v[44:45]
	v_cvt_f32_f64_e32 v93, v[95:96]
	v_add_f64 v[95:96], v[28:29], v[44:45]
	v_cvt_f32_f64_e32 v48, v[48:49]
	v_cvt_f32_f64_e32 v49, v[99:100]
	v_add_f64 v[99:100], v[18:19], v[42:43]
	v_min3_f32 v48, v93, v48, v128
	v_cvt_f32_f64_e32 v93, v[95:96]
	v_add_f64 v[95:96], v[20:21], v[44:45]
	v_min3_f32 v49, v49, v93, v129
	v_cvt_f32_f64_e32 v93, v[99:100]
	v_cvt_f32_f64_e32 v95, v[95:96]
	v_add_f64 v[99:100], v[14:15], v[42:43]
	v_min3_f32 v151, v93, v95, v182
	v_add_f64 v[95:96], v[16:17], v[44:45]
	v_cvt_f32_f64_e32 v93, v[99:100]
	v_add_f64 v[99:100], v[10:11], v[42:43]
	v_cvt_f32_f64_e32 v95, v[95:96]
	v_min3_f32 v152, v93, v95, v183
	v_add_f64 v[95:96], v[12:13], v[44:45]
	v_cvt_f32_f64_e32 v93, v[99:100]
	v_add_f64 v[99:100], v[6:7], v[42:43]
	v_add_f64 v[42:43], v[2:3], v[42:43]
	v_cvt_f32_f64_e32 v95, v[95:96]
	v_cvt_f32_f64_e32 v42, v[42:43]
	v_min3_f32 v153, v93, v95, v180
	v_add_f64 v[95:96], v[8:9], v[44:45]
	v_add_f64 v[44:45], v[4:5], v[44:45]
	v_cvt_f32_f64_e32 v93, v[99:100]
	v_add_f64 v[99:100], v[26:27], v[38:39]
	v_add_f64 v[26:27], v[26:27], v[22:23]
	v_cvt_f32_f64_e32 v95, v[95:96]
	v_cvt_f32_f64_e32 v43, v[44:45]
	;; [unrolled: 1-line block ×3, first 2 shown]
	v_min3_f32 v154, v93, v95, v181
	v_min3_f32 v42, v42, v43, v170
	v_add_f64 v[43:44], v[36:37], v[40:41]
	v_add_f64 v[95:96], v[34:35], v[38:39]
	;; [unrolled: 1-line block ×4, first 2 shown]
	v_cvt_f32_f64_e32 v43, v[43:44]
	v_cvt_f32_f64_e32 v45, v[95:96]
	v_add_f64 v[95:96], v[30:31], v[38:39]
	v_add_f64 v[30:31], v[30:31], v[22:23]
	v_cvt_f32_f64_e32 v34, v[34:35]
	v_cvt_f32_f64_e32 v35, v[36:37]
	v_min3_f32 v43, v45, v43, v172
	v_add_f64 v[44:45], v[32:33], v[40:41]
	v_cvt_f32_f64_e32 v93, v[95:96]
	v_add_f64 v[95:96], v[28:29], v[40:41]
	v_add_f64 v[32:33], v[32:33], v[24:25]
	;; [unrolled: 1-line block ×3, first 2 shown]
	v_cvt_f32_f64_e32 v30, v[30:31]
	v_min3_f32 v196, v34, v35, v98
	v_cvt_f32_f64_e32 v44, v[44:45]
	v_cvt_f32_f64_e32 v45, v[99:100]
	v_add_f64 v[99:100], v[18:19], v[38:39]
	v_add_f64 v[18:19], v[18:19], v[22:23]
	v_cvt_f32_f64_e32 v31, v[32:33]
	v_cvt_f32_f64_e32 v27, v[28:29]
	v_min3_f32 v44, v93, v44, v106
	v_cvt_f32_f64_e32 v93, v[95:96]
	v_add_f64 v[95:96], v[20:21], v[40:41]
	v_add_f64 v[20:21], v[20:21], v[24:25]
	v_cvt_f32_f64_e32 v18, v[18:19]
	v_min3_f32 v197, v30, v31, v94
	v_min3_f32 v198, v26, v27, v90
	;; [unrolled: 1-line block ×3, first 2 shown]
	v_cvt_f32_f64_e32 v93, v[99:100]
	v_cvt_f32_f64_e32 v95, v[95:96]
	v_add_f64 v[99:100], v[14:15], v[38:39]
	v_add_f64 v[14:15], v[14:15], v[22:23]
	v_cvt_f32_f64_e32 v19, v[20:21]
	v_min3_f32 v155, v93, v95, v108
	v_add_f64 v[95:96], v[16:17], v[40:41]
	v_cvt_f32_f64_e32 v93, v[99:100]
	v_add_f64 v[99:100], v[10:11], v[38:39]
	v_add_f64 v[16:17], v[16:17], v[24:25]
	;; [unrolled: 1-line block ×3, first 2 shown]
	v_cvt_f32_f64_e32 v14, v[14:15]
	v_min3_f32 v199, v18, v19, v86
	v_cvt_f32_f64_e32 v95, v[95:96]
	v_cvt_f32_f64_e32 v15, v[16:17]
	;; [unrolled: 1-line block ×3, first 2 shown]
	v_min3_f32 v156, v93, v95, v109
	v_add_f64 v[95:96], v[12:13], v[40:41]
	v_cvt_f32_f64_e32 v93, v[99:100]
	v_add_f64 v[99:100], v[6:7], v[38:39]
	v_add_f64 v[38:39], v[2:3], v[38:39]
	;; [unrolled: 1-line block ×5, first 2 shown]
	v_min3_f32 v200, v14, v15, v82
	v_cvt_f32_f64_e32 v95, v[95:96]
	v_cvt_f32_f64_e32 v38, v[38:39]
	;; [unrolled: 1-line block ×5, first 2 shown]
	v_min3_f32 v157, v93, v95, v110
	v_add_f64 v[95:96], v[8:9], v[40:41]
	v_add_f64 v[40:41], v[4:5], v[40:41]
	;; [unrolled: 1-line block ×4, first 2 shown]
	v_cvt_f32_f64_e32 v93, v[99:100]
	v_min3_f32 v201, v10, v11, v78
	v_cvt_f32_f64_e32 v95, v[95:96]
	v_cvt_f32_f64_e32 v39, v[40:41]
	;; [unrolled: 1-line block ×4, first 2 shown]
	v_min3_f32 v170, v93, v95, v111
	v_min3_f32 v172, v38, v39, v102
	;; [unrolled: 1-line block ×4, first 2 shown]
	ds_read_b128 v[6:9], v167 offset:256
	ds_read_b128 v[10:13], v167 offset:512
	;; [unrolled: 1-line block ×14, first 2 shown]
	ds_read_b128 v[97:100], v148
	ds_read_b128 v[34:37], v148 offset:16
	ds_read_b128 v[192:195], v167
	ds_read_b128 v[2:5], v167 offset:16
	s_waitcnt lgkmcnt(1)
	v_add_f64 v[101:102], v[194:195], v[99:100]
	v_add_f64 v[103:104], v[192:193], v[97:98]
	v_cvt_f32_f64_e32 v73, v[101:102]
	v_cvt_f32_f64_e32 v71, v[103:104]
	v_add_f64 v[101:102], v[8:9], v[99:100]
	v_add_f64 v[103:104], v[6:7], v[97:98]
	v_min3_f32 v129, v71, v73, v66
	v_cvt_f32_f64_e32 v71, v[101:102]
	v_cvt_f32_f64_e32 v66, v[103:104]
	v_add_f64 v[101:102], v[10:11], v[97:98]
	v_min3_f32 v128, v66, v71, v67
	v_add_f64 v[66:67], v[12:13], v[99:100]
	v_cvt_f32_f64_e32 v71, v[101:102]
	v_add_f64 v[101:102], v[14:15], v[97:98]
	v_cvt_f32_f64_e32 v66, v[66:67]
	v_min3_f32 v127, v71, v66, v68
	v_add_f64 v[66:67], v[16:17], v[99:100]
	v_cvt_f32_f64_e32 v68, v[101:102]
	v_cvt_f32_f64_e32 v66, v[66:67]
	v_min3_f32 v126, v68, v66, v69
	v_add_f64 v[66:67], v[20:21], v[99:100]
	v_add_f64 v[68:69], v[18:19], v[97:98]
	v_cvt_f32_f64_e32 v66, v[66:67]
	v_cvt_f32_f64_e32 v68, v[68:69]
	v_min3_f32 v125, v68, v66, v70
	v_add_f64 v[66:67], v[24:25], v[99:100]
	;; [unrolled: 5-line block ×11, first 2 shown]
	v_add_f64 v[64:65], v[26:27], v[38:39]
	v_add_f64 v[40:41], v[32:33], v[40:41]
	;; [unrolled: 1-line block ×3, first 2 shown]
	v_cvt_f32_f64_e32 v62, v[62:63]
	v_cvt_f32_f64_e32 v64, v[64:65]
	v_cvt_f32_f64_e32 v38, v[38:39]
	v_cvt_f32_f64_e32 v39, v[40:41]
	v_add_f64 v[40:41], v[192:193], v[93:94]
	v_min3_f32 v115, v64, v62, v79
	v_min3_f32 v114, v38, v39, v58
	v_add_f64 v[38:39], v[194:195], v[95:96]
	v_cvt_f32_f64_e32 v40, v[40:41]
	v_cvt_f32_f64_e32 v38, v[38:39]
	v_min3_f32 v113, v40, v38, v59
	v_add_f64 v[38:39], v[8:9], v[95:96]
	v_add_f64 v[40:41], v[6:7], v[93:94]
	v_cvt_f32_f64_e32 v38, v[38:39]
	v_cvt_f32_f64_e32 v40, v[40:41]
	v_min3_f32 v112, v40, v38, v60
	v_add_f64 v[38:39], v[12:13], v[95:96]
	;; [unrolled: 5-line block ×23, first 2 shown]
	v_add_f64 v[40:41], v[30:31], v[162:163]
	s_waitcnt lgkmcnt(0)
	v_add_f64 v[146:147], v[4:5], v[36:37]
	v_cvt_f32_f64_e32 v38, v[38:39]
	v_cvt_f32_f64_e32 v40, v[40:41]
	;; [unrolled: 1-line block ×3, first 2 shown]
	v_min3_f32 v90, v40, v38, v46
	v_add_f64 v[38:39], v[194:195], v[182:183]
	v_add_f64 v[40:41], v[192:193], v[180:181]
	v_cvt_f32_f64_e32 v38, v[38:39]
	v_cvt_f32_f64_e32 v40, v[40:41]
	v_min3_f32 v89, v40, v38, v47
	v_add_f64 v[38:39], v[8:9], v[182:183]
	v_add_f64 v[40:41], v[6:7], v[180:181]
	v_cvt_f32_f64_e32 v38, v[38:39]
	v_cvt_f32_f64_e32 v40, v[40:41]
	v_min3_f32 v88, v40, v38, v48
	v_add_f64 v[38:39], v[12:13], v[182:183]
	v_add_f64 v[40:41], v[10:11], v[180:181]
	v_cvt_f32_f64_e32 v38, v[38:39]
	v_cvt_f32_f64_e32 v40, v[40:41]
	v_min3_f32 v87, v40, v38, v49
	v_add_f64 v[38:39], v[16:17], v[182:183]
	v_add_f64 v[40:41], v[14:15], v[180:181]
	v_cvt_f32_f64_e32 v38, v[38:39]
	v_cvt_f32_f64_e32 v40, v[40:41]
	v_min3_f32 v86, v40, v38, v151
	v_add_f64 v[38:39], v[20:21], v[182:183]
	v_add_f64 v[40:41], v[18:19], v[180:181]
	v_cvt_f32_f64_e32 v38, v[38:39]
	v_cvt_f32_f64_e32 v40, v[40:41]
	v_min3_f32 v85, v40, v38, v152
	v_add_f64 v[38:39], v[24:25], v[182:183]
	v_add_f64 v[40:41], v[22:23], v[180:181]
	;; [unrolled: 1-line block ×3, first 2 shown]
	v_cvt_f32_f64_e32 v38, v[38:39]
	v_cvt_f32_f64_e32 v40, v[40:41]
	;; [unrolled: 1-line block ×3, first 2 shown]
	v_min3_f32 v84, v40, v38, v153
	v_add_f64 v[38:39], v[28:29], v[182:183]
	v_add_f64 v[40:41], v[26:27], v[180:181]
	v_min3_f32 v226, v151, v146, v129
	v_cvt_f32_f64_e32 v38, v[38:39]
	v_cvt_f32_f64_e32 v40, v[40:41]
	v_min3_f32 v83, v40, v38, v154
	v_add_f64 v[38:39], v[32:33], v[182:183]
	v_add_f64 v[40:41], v[30:31], v[180:181]
	v_cvt_f32_f64_e32 v38, v[38:39]
	v_cvt_f32_f64_e32 v40, v[40:41]
	v_min3_f32 v82, v40, v38, v42
	v_add_f64 v[38:39], v[194:195], v[186:187]
	v_add_f64 v[40:41], v[192:193], v[184:185]
	;; [unrolled: 5-line block ×3, first 2 shown]
	v_add_f64 v[8:9], v[8:9], v[190:191]
	v_add_f64 v[6:7], v[6:7], v[188:189]
	v_cvt_f32_f64_e32 v38, v[38:39]
	v_cvt_f32_f64_e32 v40, v[40:41]
	;; [unrolled: 1-line block ×4, first 2 shown]
	v_add_f64 v[8:9], v[10:11], v[188:189]
	v_min3_f32 v80, v40, v38, v44
	v_add_f64 v[38:39], v[12:13], v[186:187]
	v_add_f64 v[40:41], v[10:11], v[184:185]
	v_min3_f32 v72, v6, v7, v197
	v_add_f64 v[6:7], v[12:13], v[190:191]
	v_cvt_f32_f64_e32 v8, v[8:9]
	v_cvt_f32_f64_e32 v38, v[38:39]
	v_cvt_f32_f64_e32 v40, v[40:41]
	v_cvt_f32_f64_e32 v6, v[6:7]
	v_min3_f32 v79, v40, v38, v45
	v_add_f64 v[38:39], v[16:17], v[186:187]
	v_add_f64 v[40:41], v[14:15], v[184:185]
	v_min3_f32 v71, v8, v6, v198
	v_add_f64 v[6:7], v[16:17], v[190:191]
	v_add_f64 v[8:9], v[14:15], v[188:189]
	v_cvt_f32_f64_e32 v38, v[38:39]
	v_cvt_f32_f64_e32 v40, v[40:41]
	v_cvt_f32_f64_e32 v6, v[6:7]
	v_cvt_f32_f64_e32 v8, v[8:9]
	v_min3_f32 v78, v40, v38, v155
	v_add_f64 v[38:39], v[20:21], v[186:187]
	v_add_f64 v[40:41], v[18:19], v[184:185]
	v_min3_f32 v70, v8, v6, v199
	v_add_f64 v[6:7], v[20:21], v[190:191]
	;; [unrolled: 10-line block ×5, first 2 shown]
	v_add_f64 v[8:9], v[30:31], v[188:189]
	v_cvt_f32_f64_e32 v38, v[38:39]
	v_cvt_f32_f64_e32 v40, v[40:41]
	;; [unrolled: 1-line block ×4, first 2 shown]
	v_min3_f32 v74, v40, v38, v172
	v_add_f64 v[38:39], v[194:195], v[190:191]
	v_add_f64 v[40:41], v[192:193], v[188:189]
	v_min3_f32 v66, v8, v6, v203
	v_cvt_f32_f64_e32 v38, v[38:39]
	v_cvt_f32_f64_e32 v40, v[40:41]
	v_min3_f32 v73, v40, v38, v196
	ds_read_b128 v[22:25], v167 offset:272
	ds_read_b128 v[18:21], v167 offset:528
	;; [unrolled: 1-line block ×14, first 2 shown]
	ds_write_b64 v168, v[136:137]
	ds_write2st64_b64 v169, v[140:141], v[142:143] offset1:4
	ds_write2st64_b64 v169, v[138:139], v[144:145] offset0:8 offset1:12
	s_waitcnt lgkmcnt(0)
	s_barrier
	buffer_gl0_inv
	v_add_f64 v[146:147], v[24:25], v[36:37]
	v_add_f64 v[151:152], v[22:23], v[34:35]
	v_cvt_f32_f64_e32 v146, v[146:147]
	v_cvt_f32_f64_e32 v129, v[151:152]
	v_min3_f32 v225, v129, v146, v128
	v_add_f64 v[128:129], v[20:21], v[36:37]
	v_add_f64 v[146:147], v[18:19], v[34:35]
	v_cvt_f32_f64_e32 v128, v[128:129]
	v_cvt_f32_f64_e32 v146, v[146:147]
	v_min3_f32 v224, v146, v128, v127
	;; [unrolled: 5-line block ×5, first 2 shown]
	v_add_f64 v[124:125], v[32:33], v[36:37]
	v_add_f64 v[126:127], v[30:31], v[34:35]
	v_add_f64 v[36:37], v[28:29], v[36:37]
	v_add_f64 v[34:35], v[26:27], v[34:35]
	v_cvt_f32_f64_e32 v124, v[124:125]
	v_cvt_f32_f64_e32 v126, v[126:127]
	v_cvt_f32_f64_e32 v34, v[34:35]
	v_cvt_f32_f64_e32 v35, v[36:37]
	v_add_f64 v[36:37], v[2:3], v[62:63]
	v_min3_f32 v221, v126, v124, v123
	v_min3_f32 v218, v34, v35, v122
	v_add_f64 v[34:35], v[4:5], v[64:65]
	v_cvt_f32_f64_e32 v36, v[36:37]
	v_cvt_f32_f64_e32 v34, v[34:35]
	v_min3_f32 v219, v36, v34, v121
	v_add_f64 v[34:35], v[24:25], v[64:65]
	v_add_f64 v[36:37], v[22:23], v[62:63]
	v_cvt_f32_f64_e32 v34, v[34:35]
	v_cvt_f32_f64_e32 v36, v[36:37]
	v_min3_f32 v216, v36, v34, v120
	v_add_f64 v[34:35], v[20:21], v[64:65]
	;; [unrolled: 5-line block ×40, first 2 shown]
	v_add_f64 v[36:37], v[2:3], v[42:43]
	v_add_f64 v[4:5], v[4:5], v[40:41]
	;; [unrolled: 1-line block ×3, first 2 shown]
	v_cvt_f32_f64_e32 v34, v[34:35]
	v_cvt_f32_f64_e32 v36, v[36:37]
	v_cvt_f32_f64_e32 v2, v[2:3]
	v_cvt_f32_f64_e32 v3, v[4:5]
	v_add_f64 v[4:5], v[22:23], v[38:39]
	v_min3_f32 v172, v36, v34, v81
	v_add_f64 v[34:35], v[24:25], v[44:45]
	v_add_f64 v[36:37], v[22:23], v[42:43]
	v_min3_f32 v158, v2, v3, v73
	v_add_f64 v[2:3], v[24:25], v[40:41]
	v_cvt_f32_f64_e32 v4, v[4:5]
	v_cvt_f32_f64_e32 v34, v[34:35]
	v_cvt_f32_f64_e32 v36, v[36:37]
	v_cvt_f32_f64_e32 v2, v[2:3]
	v_min3_f32 v164, v36, v34, v80
	v_add_f64 v[34:35], v[20:21], v[44:45]
	v_add_f64 v[36:37], v[18:19], v[42:43]
	v_min3_f32 v157, v4, v2, v72
	v_add_f64 v[2:3], v[20:21], v[40:41]
	v_add_f64 v[4:5], v[18:19], v[38:39]
	v_cvt_f32_f64_e32 v34, v[34:35]
	v_cvt_f32_f64_e32 v36, v[36:37]
	v_cvt_f32_f64_e32 v2, v[2:3]
	v_cvt_f32_f64_e32 v4, v[4:5]
	v_min3_f32 v165, v36, v34, v79
	v_add_f64 v[34:35], v[16:17], v[44:45]
	v_add_f64 v[36:37], v[14:15], v[42:43]
	v_min3_f32 v156, v4, v2, v71
	v_add_f64 v[2:3], v[16:17], v[40:41]
	;; [unrolled: 10-line block ×6, first 2 shown]
	v_add_f64 v[4:5], v[26:27], v[38:39]
	v_cvt_f32_f64_e32 v34, v[34:35]
	v_cvt_f32_f64_e32 v36, v[36:37]
	;; [unrolled: 1-line block ×4, first 2 shown]
	v_min3_f32 v159, v36, v34, v74
	v_min3_f32 v151, v4, v2, v66
	s_cbranch_scc1 .LBB170_35
.LBB170_23:                             ; =>This Inner Loop Header: Depth=1
	v_mov_b32_e32 v138, 0
	v_mov_b32_e32 v140, 0
	;; [unrolled: 1-line block ×4, first 2 shown]
	s_and_b32 vcc_lo, exec_lo, s1
	s_cbranch_vccnz .LBB170_25
; %bb.24:                               ;   in Loop: Header=BB170_23 Depth=1
	v_add_co_u32 v2, vcc_lo, v174, v134
	v_add_co_ci_u32_e64 v3, null, v175, v135, vcc_lo
	global_load_dwordx2 v[2:3], v[2:3], off
	s_waitcnt vmcnt(0)
	v_mul_f64 v[140:141], s[12:13], v[2:3]
.LBB170_25:                             ;   in Loop: Header=BB170_23 Depth=1
	v_mov_b32_e32 v142, 0
	v_mov_b32_e32 v143, 0
	s_and_b32 vcc_lo, exec_lo, s1
	s_cbranch_vccnz .LBB170_27
; %bb.26:                               ;   in Loop: Header=BB170_23 Depth=1
	v_add_co_u32 v2, vcc_lo, v178, v132
	v_add_co_ci_u32_e64 v3, null, v179, v133, vcc_lo
	s_clause 0x1
	global_load_dwordx2 v[4:5], v[2:3], off
	global_load_dwordx2 v[2:3], v[2:3], off offset:512
	s_waitcnt vmcnt(1)
	v_mul_f64 v[138:139], s[12:13], v[4:5]
	s_waitcnt vmcnt(0)
	v_mul_f64 v[142:143], s[12:13], v[2:3]
.LBB170_27:                             ;   in Loop: Header=BB170_23 Depth=1
	v_mov_b32_e32 v136, 0
	v_mov_b32_e32 v144, 0
	;; [unrolled: 1-line block ×6, first 2 shown]
	s_and_b32 vcc_lo, exec_lo, s1
	s_cbranch_vccnz .LBB170_29
; %bb.28:                               ;   in Loop: Header=BB170_23 Depth=1
	v_add_co_u32 v2, vcc_lo, v178, v132
	v_add_co_ci_u32_e64 v3, null, v179, v133, vcc_lo
	s_clause 0x1
	global_load_dwordx2 v[4:5], v[2:3], off offset:1024
	global_load_dwordx2 v[2:3], v[2:3], off offset:1536
	s_waitcnt vmcnt(1)
	v_mul_f64 v[144:145], s[12:13], v[4:5]
	s_waitcnt vmcnt(0)
	v_mul_f64 v[146:147], s[12:13], v[2:3]
.LBB170_29:                             ;   in Loop: Header=BB170_23 Depth=1
	ds_read_b128 v[126:129], v173
	ds_read_b128 v[62:65], v173 offset:16
	ds_read_b128 v[98:101], v171
	ds_read_b128 v[34:37], v171 offset:16
	ds_read_b128 v[94:97], v171 offset:256
	;; [unrolled: 1-line block ×29, first 2 shown]
	s_and_b32 vcc_lo, exec_lo, s1
	ds_write_b64 v166, v[140:141]
	ds_write2st64_b64 v150, v[138:139], v[142:143] offset1:4
	ds_write2st64_b64 v150, v[144:145], v[146:147] offset0:8 offset1:12
	s_waitcnt lgkmcnt(0)
	s_barrier
	buffer_gl0_inv
	s_cbranch_vccnz .LBB170_31
; %bb.30:                               ;   in Loop: Header=BB170_23 Depth=1
	v_add_co_u32 v136, vcc_lo, v174, v130
	v_add_co_ci_u32_e64 v137, null, v175, v131, vcc_lo
	global_load_dwordx2 v[136:137], v[136:137], off
	s_waitcnt vmcnt(0)
	v_mul_f64 v[136:137], s[12:13], v[136:137]
.LBB170_31:                             ;   in Loop: Header=BB170_23 Depth=1
	v_mov_b32_e32 v138, 0
	v_mov_b32_e32 v140, 0
	;; [unrolled: 1-line block ×6, first 2 shown]
	s_and_b32 vcc_lo, exec_lo, s1
	s_cbranch_vccnz .LBB170_33
; %bb.32:                               ;   in Loop: Header=BB170_23 Depth=1
	v_add_co_u32 v140, vcc_lo, v176, v132
	v_add_co_ci_u32_e64 v141, null, v177, v133, vcc_lo
	s_clause 0x1
	global_load_dwordx2 v[142:143], v[140:141], off
	global_load_dwordx2 v[144:145], v[140:141], off offset:512
	s_waitcnt vmcnt(1)
	v_mul_f64 v[140:141], s[12:13], v[142:143]
	s_waitcnt vmcnt(0)
	v_mul_f64 v[142:143], s[12:13], v[144:145]
.LBB170_33:                             ;   in Loop: Header=BB170_23 Depth=1
	v_mov_b32_e32 v144, 0
	v_mov_b32_e32 v145, 0
	s_and_b32 vcc_lo, exec_lo, s1
	s_cbranch_vccnz .LBB170_22
; %bb.34:                               ;   in Loop: Header=BB170_23 Depth=1
	v_add_co_u32 v138, vcc_lo, v176, v132
	v_add_co_ci_u32_e64 v139, null, v177, v133, vcc_lo
	s_clause 0x1
	global_load_dwordx2 v[144:145], v[138:139], off offset:1024
	global_load_dwordx2 v[146:147], v[138:139], off offset:1536
	s_waitcnt vmcnt(1)
	v_mul_f64 v[138:139], s[12:13], v[144:145]
	s_waitcnt vmcnt(0)
	v_mul_f64 v[144:145], s[12:13], v[146:147]
	s_branch .LBB170_22
.LBB170_35:
	ds_read_b128 v[124:127], v148 offset:8192
	ds_read_b128 v[68:71], v149 offset:18432
	;; [unrolled: 1-line block ×4, first 2 shown]
	s_clause 0x2
	s_load_dwordx2 s[8:9], s[4:5], 0x78
	s_load_dword s6, s[4:5], 0x70
	s_load_dword s1, s[4:5], 0x58
	v_add_nc_u32_e32 v144, s23, v1
	v_add_nc_u32_e32 v138, s22, v0
	v_ashrrev_i32_e32 v139, 31, v138
	v_add_nc_u32_e32 v0, 8, v138
	v_lshlrev_b64 v[130:131], 3, v[138:139]
	v_ashrrev_i32_e32 v1, 31, v0
	s_waitcnt lgkmcnt(0)
	v_add_f64 v[2:3], v[68:69], v[124:125]
	v_add_f64 v[4:5], v[70:71], v[126:127]
	v_add_f64 v[6:7], v[64:65], v[120:121]
	v_add_f64 v[8:9], v[66:67], v[122:123]
	s_mul_i32 s5, s9, s7
	s_mul_hi_u32 s9, s8, s7
	s_mul_i32 s4, s8, s7
	s_add_i32 s5, s9, s5
	s_mov_b32 s7, -1
	s_lshl_b64 s[4:5], s[4:5], 3
	s_add_u32 s4, s10, s4
	s_addc_u32 s5, s11, s5
	v_cvt_f32_f64_e32 v10, v[2:3]
	v_cvt_f32_f64_e32 v11, v[4:5]
	v_cvt_f32_f64_e32 v6, v[6:7]
	v_cvt_f32_f64_e32 v7, v[8:9]
	v_mad_i64_i32 v[2:3], null, v144, s6, 0
	v_mad_i64_i32 v[4:5], null, v144, s1, 0
	v_lshlrev_b64 v[2:3], 3, v[2:3]
	v_lshlrev_b64 v[4:5], 3, v[4:5]
	v_add_co_u32 v145, vcc_lo, s4, v2
	v_add_co_ci_u32_e64 v146, null, s5, v3, vcc_lo
	v_add_co_u32 v147, vcc_lo, s14, v4
	v_min3_f32 v8, v10, v11, v226
	v_add_co_ci_u32_e64 v150, null, s15, v5, vcc_lo
	s_mov_b32 vcc_lo, s0
	v_min3_f32 v2, v6, v7, v8
	v_max_f32_e32 v2, v2, v2
	s_cbranch_vccz .LBB170_37
; %bb.36:
	v_min_f32_e32 v3, 0, v2
	v_add_co_u32 v5, vcc_lo, v145, v130
	v_add_co_ci_u32_e64 v6, null, v146, v131, vcc_lo
	v_cvt_f64_f32_e32 v[3:4], v3
	s_mov_b32 s7, 0
	global_store_dwordx2 v[5:6], v[3:4], off
.LBB170_37:
	ds_read_b128 v[60:63], v149 offset:18688
	ds_read_b128 v[52:55], v149 offset:18704
	;; [unrolled: 1-line block ×4, first 2 shown]
	v_lshlrev_b64 v[128:129], 3, v[0:1]
	v_mov_b32_e32 v8, 0
	s_andn2_b32 vcc_lo, exec_lo, s7
	s_cbranch_vccnz .LBB170_39
; %bb.38:
	v_add_co_u32 v0, vcc_lo, v147, v130
	v_add_co_ci_u32_e64 v1, null, v150, v131, vcc_lo
	global_load_dwordx2 v[0:1], v[0:1], off
	s_waitcnt vmcnt(0)
	v_mul_f64 v[0:1], s[2:3], v[0:1]
	v_cvt_f32_f64_e32 v0, v[0:1]
	v_min_f32_e32 v0, v0, v2
	v_add_co_u32 v2, vcc_lo, v145, v130
	v_add_co_ci_u32_e64 v3, null, v146, v131, vcc_lo
	v_cvt_f64_f32_e32 v[0:1], v0
	v_add_co_u32 v4, vcc_lo, v147, v128
	v_add_co_ci_u32_e64 v5, null, v150, v129, vcc_lo
	global_store_dwordx2 v[2:3], v[0:1], off
	global_load_dwordx2 v[0:1], v[4:5], off
	s_waitcnt vmcnt(0)
	v_mul_f64 v[0:1], s[2:3], v[0:1]
	v_cvt_f32_f64_e32 v8, v[0:1]
.LBB170_39:
	s_waitcnt lgkmcnt(3)
	v_add_f64 v[0:1], v[60:61], v[124:125]
	v_add_f64 v[2:3], v[62:63], v[126:127]
	s_waitcnt lgkmcnt(2)
	v_add_f64 v[4:5], v[52:53], v[120:121]
	v_add_f64 v[6:7], v[54:55], v[122:123]
	;; [unrolled: 3-line block ×4, first 2 shown]
	v_add_nc_u32_e32 v134, 16, v138
	v_add_co_u32 v141, vcc_lo, v145, v128
	v_add_co_ci_u32_e64 v142, null, v146, v129, vcc_lo
	v_ashrrev_i32_e32 v135, 31, v134
	s_mov_b32 s7, -1
	s_mov_b32 vcc_lo, s0
	v_cvt_f32_f64_e32 v15, v[0:1]
	v_cvt_f32_f64_e32 v74, v[2:3]
	;; [unrolled: 1-line block ×8, first 2 shown]
	ds_read_b128 v[56:59], v149 offset:19200
	ds_read_b128 v[44:47], v149 offset:19216
	ds_read_b128 v[40:43], v149 offset:19456
	ds_read_b128 v[32:35], v149 offset:19472
	ds_read_b128 v[28:31], v149 offset:19712
	ds_read_b128 v[24:27], v149 offset:19728
	ds_read_b128 v[20:23], v149 offset:19968
	ds_read_b128 v[16:19], v149 offset:19984
	ds_read_b128 v[0:3], v149 offset:20224
	ds_read_b128 v[4:7], v149 offset:20240
	ds_read_b128 v[116:119], v148 offset:9216
	ds_read_b128 v[112:115], v148 offset:9232
	ds_read_b128 v[108:111], v148 offset:10240
	ds_read_b128 v[104:107], v148 offset:10256
	ds_read_b128 v[100:103], v148 offset:11264
	ds_read_b128 v[96:99], v148 offset:11280
	ds_read_b128 v[92:95], v148 offset:12288
	ds_read_b128 v[88:91], v148 offset:12304
	v_min3_f32 v9, v15, v74, v225
	v_min_f32_e32 v10, v75, v76
	v_min3_f32 v133, v132, v133, v224
	v_add_nc_u32_e32 v132, 24, v138
	v_min3_f32 v8, v8, v10, v9
	v_min3_f32 v143, v136, v137, v133
	v_lshlrev_b64 v[136:137], 3, v[134:135]
	v_ashrrev_i32_e32 v133, 31, v132
	v_cvt_f64_f32_e32 v[139:140], v8
	ds_read_b128 v[84:87], v148 offset:13312
	ds_read_b128 v[80:83], v148 offset:13328
	;; [unrolled: 1-line block ×6, first 2 shown]
	v_max_f32_e32 v135, v143, v143
	global_store_dwordx2 v[141:142], v[139:140], off
	s_cbranch_vccz .LBB170_41
; %bb.40:
	v_min_f32_e32 v134, 0, v135
	v_add_co_u32 v141, vcc_lo, v145, v136
	v_add_co_ci_u32_e64 v142, null, v146, v137, vcc_lo
	v_cvt_f64_f32_e32 v[139:140], v134
	s_mov_b32 s7, 0
	global_store_dwordx2 v[141:142], v[139:140], off
.LBB170_41:
	v_lshlrev_b64 v[132:133], 3, v[132:133]
	v_mov_b32_e32 v134, 0
	s_andn2_b32 vcc_lo, exec_lo, s7
	s_cbranch_vccnz .LBB170_43
; %bb.42:
	v_add_co_u32 v139, vcc_lo, v147, v136
	v_add_co_ci_u32_e64 v140, null, v150, v137, vcc_lo
	global_load_dwordx2 v[139:140], v[139:140], off
	s_waitcnt vmcnt(0)
	v_mul_f64 v[139:140], s[2:3], v[139:140]
	v_cvt_f32_f64_e32 v134, v[139:140]
	v_add_co_u32 v139, vcc_lo, v145, v136
	v_add_co_ci_u32_e64 v140, null, v146, v137, vcc_lo
	v_add_co_u32 v141, vcc_lo, v147, v132
	v_add_co_ci_u32_e64 v142, null, v150, v133, vcc_lo
	v_min_f32_e32 v134, v134, v135
	v_cvt_f64_f32_e32 v[134:135], v134
	global_store_dwordx2 v[139:140], v[134:135], off
	global_load_dwordx2 v[134:135], v[141:142], off
	s_waitcnt vmcnt(0)
	v_mul_f64 v[134:135], s[2:3], v[134:135]
	v_cvt_f32_f64_e32 v134, v[134:135]
.LBB170_43:
	s_waitcnt lgkmcnt(23)
	v_add_f64 v[139:140], v[56:57], v[124:125]
	v_add_f64 v[141:142], v[58:59], v[126:127]
	s_waitcnt lgkmcnt(22)
	v_add_f64 v[148:149], v[44:45], v[120:121]
	v_add_f64 v[166:167], v[46:47], v[122:123]
	;; [unrolled: 3-line block ×3, first 2 shown]
	s_waitcnt lgkmcnt(20)
	v_add_f64 v[175:176], v[32:33], v[120:121]
	s_mov_b32 s7, -1
	v_cvt_f32_f64_e32 v135, v[139:140]
	v_cvt_f32_f64_e32 v141, v[141:142]
	;; [unrolled: 1-line block ×4, first 2 shown]
	v_add_f64 v[139:140], v[34:35], v[122:123]
	v_cvt_f32_f64_e32 v166, v[173:174]
	v_cvt_f32_f64_e32 v167, v[168:169]
	;; [unrolled: 1-line block ×3, first 2 shown]
	v_min3_f32 v135, v135, v141, v222
	v_min_f32_e32 v141, v142, v143
	v_cvt_f32_f64_e32 v142, v[139:140]
	v_add_nc_u32_e32 v139, 32, v138
	v_min3_f32 v134, v134, v141, v135
	v_min3_f32 v135, v166, v167, v223
	v_ashrrev_i32_e32 v140, 31, v139
	v_add_co_u32 v166, vcc_lo, v145, v132
	v_cvt_f64_f32_e32 v[148:149], v134
	v_add_nc_u32_e32 v134, 40, v138
	v_lshlrev_b64 v[140:141], 3, v[139:140]
	v_add_co_ci_u32_e64 v167, null, v146, v133, vcc_lo
	s_mov_b32 vcc_lo, s0
	v_min3_f32 v142, v168, v142, v135
	v_ashrrev_i32_e32 v135, 31, v134
	v_max_f32_e32 v142, v142, v142
	global_store_dwordx2 v[166:167], v[148:149], off
	s_cbranch_vccz .LBB170_45
; %bb.44:
	v_min_f32_e32 v139, 0, v142
	v_add_co_u32 v166, vcc_lo, v145, v140
	v_add_co_ci_u32_e64 v167, null, v146, v141, vcc_lo
	v_cvt_f64_f32_e32 v[148:149], v139
	s_mov_b32 s7, 0
	global_store_dwordx2 v[166:167], v[148:149], off
.LBB170_45:
	v_lshlrev_b64 v[134:135], 3, v[134:135]
	v_mov_b32_e32 v139, 0
	s_andn2_b32 vcc_lo, exec_lo, s7
	s_cbranch_vccnz .LBB170_47
; %bb.46:
	v_add_co_u32 v148, vcc_lo, v147, v140
	v_add_co_ci_u32_e64 v149, null, v150, v141, vcc_lo
	global_load_dwordx2 v[148:149], v[148:149], off
	s_waitcnt vmcnt(0)
	v_mul_f64 v[148:149], s[2:3], v[148:149]
	v_cvt_f32_f64_e32 v139, v[148:149]
	v_add_co_u32 v148, vcc_lo, v145, v140
	v_add_co_ci_u32_e64 v149, null, v146, v141, vcc_lo
	v_add_co_u32 v166, vcc_lo, v147, v134
	v_add_co_ci_u32_e64 v167, null, v150, v135, vcc_lo
	v_min_f32_e32 v139, v139, v142
	v_cvt_f64_f32_e32 v[142:143], v139
	global_store_dwordx2 v[148:149], v[142:143], off
	global_load_dwordx2 v[142:143], v[166:167], off
	s_waitcnt vmcnt(0)
	v_mul_f64 v[142:143], s[2:3], v[142:143]
	v_cvt_f32_f64_e32 v139, v[142:143]
.LBB170_47:
	s_waitcnt lgkmcnt(19)
	v_add_f64 v[142:143], v[28:29], v[124:125]
	v_add_f64 v[148:149], v[30:31], v[126:127]
	s_waitcnt lgkmcnt(18)
	v_add_f64 v[166:167], v[24:25], v[120:121]
	v_add_f64 v[168:169], v[26:27], v[122:123]
	;; [unrolled: 3-line block ×3, first 2 shown]
	s_waitcnt lgkmcnt(16)
	v_add_f64 v[177:178], v[16:17], v[120:121]
	s_mov_b32 s7, -1
	v_cvt_f32_f64_e32 v171, v[142:143]
	v_cvt_f32_f64_e32 v148, v[148:149]
	;; [unrolled: 1-line block ×4, first 2 shown]
	v_add_f64 v[142:143], v[18:19], v[122:123]
	v_cvt_f32_f64_e32 v168, v[175:176]
	v_cvt_f32_f64_e32 v169, v[173:174]
	;; [unrolled: 1-line block ×3, first 2 shown]
	v_min3_f32 v148, v171, v148, v220
	v_min_f32_e32 v149, v149, v166
	v_cvt_f32_f64_e32 v171, v[142:143]
	v_add_nc_u32_e32 v142, 48, v138
	v_add_nc_u32_e32 v138, 56, v138
	v_min3_f32 v139, v139, v149, v148
	v_ashrrev_i32_e32 v143, 31, v142
	v_cvt_f64_f32_e32 v[166:167], v139
	v_min3_f32 v139, v168, v169, v221
	v_add_co_u32 v168, vcc_lo, v145, v134
	v_lshlrev_b64 v[142:143], 3, v[142:143]
	v_add_co_ci_u32_e64 v169, null, v146, v135, vcc_lo
	s_mov_b32 vcc_lo, s0
	v_min3_f32 v148, v173, v171, v139
	v_ashrrev_i32_e32 v139, 31, v138
	v_max_f32_e32 v149, v148, v148
	global_store_dwordx2 v[168:169], v[166:167], off
	s_cbranch_vccz .LBB170_49
; %bb.48:
	v_min_f32_e32 v148, 0, v149
	v_add_co_u32 v168, vcc_lo, v145, v142
	v_add_co_ci_u32_e64 v169, null, v146, v143, vcc_lo
	v_cvt_f64_f32_e32 v[166:167], v148
	s_mov_b32 s7, 0
	global_store_dwordx2 v[168:169], v[166:167], off
.LBB170_49:
	v_lshlrev_b64 v[138:139], 3, v[138:139]
	v_mov_b32_e32 v148, 0
	s_andn2_b32 vcc_lo, exec_lo, s7
	s_cbranch_vccnz .LBB170_51
; %bb.50:
	v_add_co_u32 v166, vcc_lo, v147, v142
	v_add_co_ci_u32_e64 v167, null, v150, v143, vcc_lo
	global_load_dwordx2 v[166:167], v[166:167], off
	s_waitcnt vmcnt(0)
	v_mul_f64 v[166:167], s[2:3], v[166:167]
	v_cvt_f32_f64_e32 v148, v[166:167]
	v_add_co_u32 v166, vcc_lo, v145, v142
	v_add_co_ci_u32_e64 v167, null, v146, v143, vcc_lo
	v_add_co_u32 v168, vcc_lo, v147, v138
	v_add_co_ci_u32_e64 v169, null, v150, v139, vcc_lo
	v_min_f32_e32 v148, v148, v149
	v_cvt_f64_f32_e32 v[148:149], v148
	global_store_dwordx2 v[166:167], v[148:149], off
	global_load_dwordx2 v[147:148], v[168:169], off
	s_waitcnt vmcnt(0)
	v_mul_f64 v[147:148], s[2:3], v[147:148]
	v_cvt_f32_f64_e32 v148, v[147:148]
.LBB170_51:
	s_waitcnt lgkmcnt(15)
	v_add_f64 v[124:125], v[0:1], v[124:125]
	v_add_f64 v[126:127], v[2:3], v[126:127]
	s_waitcnt lgkmcnt(14)
	v_add_f64 v[120:121], v[4:5], v[120:121]
	v_add_f64 v[122:123], v[6:7], v[122:123]
	;; [unrolled: 3-line block ×3, first 2 shown]
	v_add_co_u32 v145, vcc_lo, v145, v138
	v_add_co_ci_u32_e64 v146, null, v146, v139, vcc_lo
	s_mov_b32 s7, -1
	v_cvt_f32_f64_e32 v124, v[124:125]
	v_cvt_f32_f64_e32 v125, v[126:127]
	;; [unrolled: 1-line block ×4, first 2 shown]
	s_waitcnt lgkmcnt(12)
	v_add_f64 v[120:121], v[64:65], v[112:113]
	v_add_f64 v[122:123], v[66:67], v[114:115]
	v_cvt_f32_f64_e32 v147, v[166:167]
	v_cvt_f32_f64_e32 v149, v[149:150]
	v_add_nc_u32_e32 v150, 32, v144
	v_min3_f32 v124, v124, v125, v218
	v_min_f32_e32 v125, v126, v127
	v_cvt_f32_f64_e32 v166, v[120:121]
	v_cvt_f32_f64_e32 v167, v[122:123]
	v_mad_i64_i32 v[120:121], null, v150, s6, 0
	v_min3_f32 v122, v148, v125, v124
	v_min3_f32 v124, v147, v149, v219
	v_cvt_f64_f32_e32 v[126:127], v122
	v_mad_i64_i32 v[122:123], null, v150, s1, 0
	v_lshlrev_b64 v[120:121], 3, v[120:121]
	v_add_co_u32 v120, vcc_lo, s4, v120
	v_lshlrev_b64 v[122:123], 3, v[122:123]
	v_add_co_ci_u32_e64 v121, null, s5, v121, vcc_lo
	v_min3_f32 v124, v166, v167, v124
	v_add_co_u32 v122, vcc_lo, s14, v122
	v_add_co_ci_u32_e64 v123, null, s15, v123, vcc_lo
	v_max_f32_e32 v125, v124, v124
	s_mov_b32 vcc_lo, s0
	global_store_dwordx2 v[145:146], v[126:127], off
	s_cbranch_vccz .LBB170_53
; %bb.52:
	v_min_f32_e32 v124, 0, v125
	v_add_co_u32 v145, vcc_lo, v120, v130
	v_add_co_ci_u32_e64 v146, null, v121, v131, vcc_lo
	v_cvt_f64_f32_e32 v[126:127], v124
	s_mov_b32 s7, 0
	global_store_dwordx2 v[145:146], v[126:127], off
.LBB170_53:
	v_mov_b32_e32 v124, 0
	s_andn2_b32 vcc_lo, exec_lo, s7
	s_cbranch_vccnz .LBB170_55
; %bb.54:
	v_add_co_u32 v126, vcc_lo, v122, v130
	v_add_co_ci_u32_e64 v127, null, v123, v131, vcc_lo
	global_load_dwordx2 v[126:127], v[126:127], off
	s_waitcnt vmcnt(0)
	v_mul_f64 v[126:127], s[2:3], v[126:127]
	v_cvt_f32_f64_e32 v124, v[126:127]
	v_add_co_u32 v126, vcc_lo, v120, v130
	v_add_co_ci_u32_e64 v127, null, v121, v131, vcc_lo
	v_add_co_u32 v145, vcc_lo, v122, v128
	v_add_co_ci_u32_e64 v146, null, v123, v129, vcc_lo
	v_min_f32_e32 v124, v124, v125
	v_cvt_f64_f32_e32 v[124:125], v124
	global_store_dwordx2 v[126:127], v[124:125], off
	global_load_dwordx2 v[124:125], v[145:146], off
	s_waitcnt vmcnt(0)
	v_mul_f64 v[124:125], s[2:3], v[124:125]
	v_cvt_f32_f64_e32 v124, v[124:125]
.LBB170_55:
	v_add_f64 v[125:126], v[60:61], v[116:117]
	v_add_f64 v[145:146], v[62:63], v[118:119]
	v_add_f64 v[147:148], v[52:53], v[112:113]
	v_add_f64 v[149:150], v[54:55], v[114:115]
	v_add_f64 v[166:167], v[50:51], v[118:119]
	v_add_f64 v[168:169], v[48:49], v[116:117]
	v_add_f64 v[173:174], v[36:37], v[112:113]
	s_mov_b32 s7, -1
	v_cvt_f32_f64_e32 v127, v[125:126]
	v_cvt_f32_f64_e32 v145, v[145:146]
	v_cvt_f32_f64_e32 v146, v[147:148]
	v_cvt_f32_f64_e32 v147, v[149:150]
	v_add_f64 v[125:126], v[38:39], v[114:115]
	v_cvt_f32_f64_e32 v148, v[168:169]
	v_cvt_f32_f64_e32 v149, v[166:167]
	v_cvt_f32_f64_e32 v150, v[173:174]
	v_min3_f32 v127, v127, v145, v216
	v_min_f32_e32 v145, v146, v147
	v_cvt_f32_f64_e32 v125, v[125:126]
	v_min3_f32 v124, v124, v145, v127
	v_add_co_u32 v145, vcc_lo, v120, v128
	v_add_co_ci_u32_e64 v146, null, v121, v129, vcc_lo
	v_cvt_f64_f32_e32 v[126:127], v124
	v_min3_f32 v124, v148, v149, v217
	s_mov_b32 vcc_lo, s0
	v_min3_f32 v124, v150, v125, v124
	v_max_f32_e32 v125, v124, v124
	global_store_dwordx2 v[145:146], v[126:127], off
	s_cbranch_vccz .LBB170_57
; %bb.56:
	v_min_f32_e32 v124, 0, v125
	v_add_co_u32 v145, vcc_lo, v120, v136
	v_add_co_ci_u32_e64 v146, null, v121, v137, vcc_lo
	v_cvt_f64_f32_e32 v[126:127], v124
	s_mov_b32 s7, 0
	global_store_dwordx2 v[145:146], v[126:127], off
.LBB170_57:
	v_mov_b32_e32 v124, 0
	s_andn2_b32 vcc_lo, exec_lo, s7
	s_cbranch_vccnz .LBB170_59
; %bb.58:
	v_add_co_u32 v126, vcc_lo, v122, v136
	v_add_co_ci_u32_e64 v127, null, v123, v137, vcc_lo
	global_load_dwordx2 v[126:127], v[126:127], off
	s_waitcnt vmcnt(0)
	v_mul_f64 v[126:127], s[2:3], v[126:127]
	v_cvt_f32_f64_e32 v124, v[126:127]
	v_add_co_u32 v126, vcc_lo, v120, v136
	v_add_co_ci_u32_e64 v127, null, v121, v137, vcc_lo
	v_add_co_u32 v145, vcc_lo, v122, v132
	v_add_co_ci_u32_e64 v146, null, v123, v133, vcc_lo
	v_min_f32_e32 v124, v124, v125
	v_cvt_f64_f32_e32 v[124:125], v124
	global_store_dwordx2 v[126:127], v[124:125], off
	global_load_dwordx2 v[124:125], v[145:146], off
	s_waitcnt vmcnt(0)
	v_mul_f64 v[124:125], s[2:3], v[124:125]
	v_cvt_f32_f64_e32 v124, v[124:125]
.LBB170_59:
	v_add_f64 v[125:126], v[56:57], v[116:117]
	v_add_f64 v[145:146], v[58:59], v[118:119]
	v_add_f64 v[147:148], v[44:45], v[112:113]
	v_add_f64 v[149:150], v[46:47], v[114:115]
	v_add_f64 v[166:167], v[42:43], v[118:119]
	v_add_f64 v[168:169], v[40:41], v[116:117]
	v_add_f64 v[173:174], v[32:33], v[112:113]
	s_mov_b32 s7, -1
	v_cvt_f32_f64_e32 v127, v[125:126]
	v_cvt_f32_f64_e32 v145, v[145:146]
	v_cvt_f32_f64_e32 v146, v[147:148]
	v_cvt_f32_f64_e32 v147, v[149:150]
	v_add_f64 v[125:126], v[34:35], v[114:115]
	v_cvt_f32_f64_e32 v148, v[168:169]
	v_cvt_f32_f64_e32 v149, v[166:167]
	v_cvt_f32_f64_e32 v150, v[173:174]
	v_min3_f32 v127, v127, v145, v214
	v_min_f32_e32 v145, v146, v147
	v_cvt_f32_f64_e32 v125, v[125:126]
	v_min3_f32 v124, v124, v145, v127
	v_add_co_u32 v145, vcc_lo, v120, v132
	v_add_co_ci_u32_e64 v146, null, v121, v133, vcc_lo
	v_cvt_f64_f32_e32 v[126:127], v124
	v_min3_f32 v124, v148, v149, v215
	s_mov_b32 vcc_lo, s0
	v_min3_f32 v124, v150, v125, v124
	v_max_f32_e32 v125, v124, v124
	global_store_dwordx2 v[145:146], v[126:127], off
	s_cbranch_vccz .LBB170_61
; %bb.60:
	v_min_f32_e32 v124, 0, v125
	v_add_co_u32 v145, vcc_lo, v120, v140
	v_add_co_ci_u32_e64 v146, null, v121, v141, vcc_lo
	v_cvt_f64_f32_e32 v[126:127], v124
	s_mov_b32 s7, 0
	global_store_dwordx2 v[145:146], v[126:127], off
.LBB170_61:
	v_mov_b32_e32 v124, 0
	s_andn2_b32 vcc_lo, exec_lo, s7
	s_cbranch_vccnz .LBB170_63
; %bb.62:
	v_add_co_u32 v126, vcc_lo, v122, v140
	v_add_co_ci_u32_e64 v127, null, v123, v141, vcc_lo
	global_load_dwordx2 v[126:127], v[126:127], off
	s_waitcnt vmcnt(0)
	v_mul_f64 v[126:127], s[2:3], v[126:127]
	v_cvt_f32_f64_e32 v124, v[126:127]
	v_add_co_u32 v126, vcc_lo, v120, v140
	v_add_co_ci_u32_e64 v127, null, v121, v141, vcc_lo
	v_add_co_u32 v145, vcc_lo, v122, v134
	v_add_co_ci_u32_e64 v146, null, v123, v135, vcc_lo
	v_min_f32_e32 v124, v124, v125
	v_cvt_f64_f32_e32 v[124:125], v124
	global_store_dwordx2 v[126:127], v[124:125], off
	global_load_dwordx2 v[124:125], v[145:146], off
	s_waitcnt vmcnt(0)
	v_mul_f64 v[124:125], s[2:3], v[124:125]
	v_cvt_f32_f64_e32 v124, v[124:125]
.LBB170_63:
	v_add_f64 v[125:126], v[28:29], v[116:117]
	v_add_f64 v[145:146], v[30:31], v[118:119]
	v_add_f64 v[147:148], v[24:25], v[112:113]
	v_add_f64 v[149:150], v[26:27], v[114:115]
	v_add_f64 v[166:167], v[22:23], v[118:119]
	v_add_f64 v[168:169], v[20:21], v[116:117]
	v_add_f64 v[173:174], v[16:17], v[112:113]
	s_mov_b32 s7, -1
	v_cvt_f32_f64_e32 v127, v[125:126]
	v_cvt_f32_f64_e32 v145, v[145:146]
	v_cvt_f32_f64_e32 v146, v[147:148]
	v_cvt_f32_f64_e32 v147, v[149:150]
	v_add_f64 v[125:126], v[18:19], v[114:115]
	v_cvt_f32_f64_e32 v148, v[168:169]
	v_cvt_f32_f64_e32 v149, v[166:167]
	v_cvt_f32_f64_e32 v150, v[173:174]
	v_min3_f32 v127, v127, v145, v212
	v_min_f32_e32 v145, v146, v147
	v_cvt_f32_f64_e32 v125, v[125:126]
	v_min3_f32 v124, v124, v145, v127
	v_add_co_u32 v145, vcc_lo, v120, v134
	v_add_co_ci_u32_e64 v146, null, v121, v135, vcc_lo
	v_cvt_f64_f32_e32 v[126:127], v124
	v_min3_f32 v124, v148, v149, v213
	s_mov_b32 vcc_lo, s0
	v_min3_f32 v124, v150, v125, v124
	v_max_f32_e32 v125, v124, v124
	global_store_dwordx2 v[145:146], v[126:127], off
	s_cbranch_vccz .LBB170_65
; %bb.64:
	v_min_f32_e32 v124, 0, v125
	v_add_co_u32 v145, vcc_lo, v120, v142
	v_add_co_ci_u32_e64 v146, null, v121, v143, vcc_lo
	v_cvt_f64_f32_e32 v[126:127], v124
	s_mov_b32 s7, 0
	global_store_dwordx2 v[145:146], v[126:127], off
.LBB170_65:
	v_mov_b32_e32 v124, 0
	s_andn2_b32 vcc_lo, exec_lo, s7
	s_cbranch_vccnz .LBB170_67
; %bb.66:
	v_add_co_u32 v126, vcc_lo, v122, v142
	v_add_co_ci_u32_e64 v127, null, v123, v143, vcc_lo
	global_load_dwordx2 v[126:127], v[126:127], off
	s_waitcnt vmcnt(0)
	v_mul_f64 v[126:127], s[2:3], v[126:127]
	v_cvt_f32_f64_e32 v124, v[126:127]
	v_add_co_u32 v126, vcc_lo, v120, v142
	v_add_co_ci_u32_e64 v127, null, v121, v143, vcc_lo
	v_add_co_u32 v122, vcc_lo, v122, v138
	v_add_co_ci_u32_e64 v123, null, v123, v139, vcc_lo
	v_min_f32_e32 v124, v124, v125
	v_cvt_f64_f32_e32 v[124:125], v124
	global_store_dwordx2 v[126:127], v[124:125], off
	global_load_dwordx2 v[122:123], v[122:123], off
	s_waitcnt vmcnt(0)
	v_mul_f64 v[122:123], s[2:3], v[122:123]
	v_cvt_f32_f64_e32 v124, v[122:123]
.LBB170_67:
	v_add_f64 v[116:117], v[0:1], v[116:117]
	v_add_f64 v[118:119], v[2:3], v[118:119]
	;; [unrolled: 1-line block ×4, first 2 shown]
	s_waitcnt lgkmcnt(11)
	v_add_f64 v[122:123], v[70:71], v[110:111]
	v_add_f64 v[125:126], v[68:69], v[108:109]
	v_add_co_u32 v120, vcc_lo, v120, v138
	v_add_co_ci_u32_e64 v121, null, v121, v139, vcc_lo
	s_mov_b32 s7, -1
	v_cvt_f32_f64_e32 v116, v[116:117]
	v_cvt_f32_f64_e32 v117, v[118:119]
	;; [unrolled: 1-line block ×4, first 2 shown]
	s_waitcnt lgkmcnt(10)
	v_add_f64 v[112:113], v[64:65], v[104:105]
	v_add_f64 v[114:115], v[66:67], v[106:107]
	v_cvt_f32_f64_e32 v125, v[125:126]
	v_cvt_f32_f64_e32 v122, v[122:123]
	v_add_nc_u32_e32 v123, 64, v144
	v_min3_f32 v116, v116, v117, v210
	v_min_f32_e32 v117, v118, v119
	v_cvt_f32_f64_e32 v126, v[112:113]
	v_cvt_f32_f64_e32 v127, v[114:115]
	v_mad_i64_i32 v[112:113], null, v123, s6, 0
	v_min3_f32 v114, v124, v117, v116
	v_min3_f32 v116, v125, v122, v211
	v_cvt_f64_f32_e32 v[118:119], v114
	v_mad_i64_i32 v[114:115], null, v123, s1, 0
	v_lshlrev_b64 v[112:113], 3, v[112:113]
	v_add_co_u32 v112, vcc_lo, s4, v112
	v_lshlrev_b64 v[114:115], 3, v[114:115]
	v_add_co_ci_u32_e64 v113, null, s5, v113, vcc_lo
	v_min3_f32 v116, v126, v127, v116
	v_add_co_u32 v114, vcc_lo, s14, v114
	v_add_co_ci_u32_e64 v115, null, s15, v115, vcc_lo
	v_max_f32_e32 v117, v116, v116
	s_mov_b32 vcc_lo, s0
	global_store_dwordx2 v[120:121], v[118:119], off
	s_cbranch_vccz .LBB170_69
; %bb.68:
	v_min_f32_e32 v116, 0, v117
	v_add_co_u32 v120, vcc_lo, v112, v130
	v_add_co_ci_u32_e64 v121, null, v113, v131, vcc_lo
	v_cvt_f64_f32_e32 v[118:119], v116
	s_mov_b32 s7, 0
	global_store_dwordx2 v[120:121], v[118:119], off
.LBB170_69:
	v_mov_b32_e32 v116, 0
	s_andn2_b32 vcc_lo, exec_lo, s7
	s_cbranch_vccnz .LBB170_71
; %bb.70:
	v_add_co_u32 v118, vcc_lo, v114, v130
	v_add_co_ci_u32_e64 v119, null, v115, v131, vcc_lo
	global_load_dwordx2 v[118:119], v[118:119], off
	s_waitcnt vmcnt(0)
	v_mul_f64 v[118:119], s[2:3], v[118:119]
	v_cvt_f32_f64_e32 v116, v[118:119]
	v_add_co_u32 v118, vcc_lo, v112, v130
	v_add_co_ci_u32_e64 v119, null, v113, v131, vcc_lo
	v_add_co_u32 v120, vcc_lo, v114, v128
	v_add_co_ci_u32_e64 v121, null, v115, v129, vcc_lo
	v_min_f32_e32 v116, v116, v117
	v_cvt_f64_f32_e32 v[116:117], v116
	global_store_dwordx2 v[118:119], v[116:117], off
	global_load_dwordx2 v[116:117], v[120:121], off
	s_waitcnt vmcnt(0)
	v_mul_f64 v[116:117], s[2:3], v[116:117]
	v_cvt_f32_f64_e32 v116, v[116:117]
.LBB170_71:
	v_add_f64 v[117:118], v[60:61], v[108:109]
	v_add_f64 v[119:120], v[62:63], v[110:111]
	v_add_f64 v[121:122], v[52:53], v[104:105]
	v_add_f64 v[123:124], v[54:55], v[106:107]
	v_add_f64 v[125:126], v[50:51], v[110:111]
	v_add_f64 v[145:146], v[48:49], v[108:109]
	v_add_f64 v[147:148], v[36:37], v[104:105]
	s_mov_b32 s7, -1
	v_cvt_f32_f64_e32 v127, v[117:118]
	v_cvt_f32_f64_e32 v119, v[119:120]
	v_cvt_f32_f64_e32 v120, v[121:122]
	v_cvt_f32_f64_e32 v121, v[123:124]
	v_add_f64 v[117:118], v[38:39], v[106:107]
	v_cvt_f32_f64_e32 v122, v[145:146]
	v_cvt_f32_f64_e32 v123, v[125:126]
	v_cvt_f32_f64_e32 v124, v[147:148]
	v_min3_f32 v119, v127, v119, v208
	v_min_f32_e32 v120, v120, v121
	v_cvt_f32_f64_e32 v117, v[117:118]
	v_min3_f32 v116, v116, v120, v119
	v_add_co_u32 v120, vcc_lo, v112, v128
	v_add_co_ci_u32_e64 v121, null, v113, v129, vcc_lo
	v_cvt_f64_f32_e32 v[118:119], v116
	v_min3_f32 v116, v122, v123, v209
	s_mov_b32 vcc_lo, s0
	v_min3_f32 v116, v124, v117, v116
	v_max_f32_e32 v117, v116, v116
	global_store_dwordx2 v[120:121], v[118:119], off
	s_cbranch_vccz .LBB170_73
; %bb.72:
	v_min_f32_e32 v116, 0, v117
	v_add_co_u32 v120, vcc_lo, v112, v136
	v_add_co_ci_u32_e64 v121, null, v113, v137, vcc_lo
	v_cvt_f64_f32_e32 v[118:119], v116
	s_mov_b32 s7, 0
	global_store_dwordx2 v[120:121], v[118:119], off
.LBB170_73:
	v_mov_b32_e32 v116, 0
	s_andn2_b32 vcc_lo, exec_lo, s7
	s_cbranch_vccnz .LBB170_75
; %bb.74:
	v_add_co_u32 v118, vcc_lo, v114, v136
	v_add_co_ci_u32_e64 v119, null, v115, v137, vcc_lo
	global_load_dwordx2 v[118:119], v[118:119], off
	s_waitcnt vmcnt(0)
	v_mul_f64 v[118:119], s[2:3], v[118:119]
	v_cvt_f32_f64_e32 v116, v[118:119]
	v_add_co_u32 v118, vcc_lo, v112, v136
	v_add_co_ci_u32_e64 v119, null, v113, v137, vcc_lo
	v_add_co_u32 v120, vcc_lo, v114, v132
	v_add_co_ci_u32_e64 v121, null, v115, v133, vcc_lo
	v_min_f32_e32 v116, v116, v117
	v_cvt_f64_f32_e32 v[116:117], v116
	global_store_dwordx2 v[118:119], v[116:117], off
	global_load_dwordx2 v[116:117], v[120:121], off
	s_waitcnt vmcnt(0)
	v_mul_f64 v[116:117], s[2:3], v[116:117]
	v_cvt_f32_f64_e32 v116, v[116:117]
.LBB170_75:
	v_add_f64 v[117:118], v[56:57], v[108:109]
	v_add_f64 v[119:120], v[58:59], v[110:111]
	v_add_f64 v[121:122], v[44:45], v[104:105]
	v_add_f64 v[123:124], v[46:47], v[106:107]
	v_add_f64 v[125:126], v[42:43], v[110:111]
	v_add_f64 v[145:146], v[40:41], v[108:109]
	v_add_f64 v[147:148], v[32:33], v[104:105]
	s_mov_b32 s7, -1
	v_cvt_f32_f64_e32 v127, v[117:118]
	v_cvt_f32_f64_e32 v119, v[119:120]
	v_cvt_f32_f64_e32 v120, v[121:122]
	v_cvt_f32_f64_e32 v121, v[123:124]
	v_add_f64 v[117:118], v[34:35], v[106:107]
	v_cvt_f32_f64_e32 v122, v[145:146]
	v_cvt_f32_f64_e32 v123, v[125:126]
	v_cvt_f32_f64_e32 v124, v[147:148]
	v_min3_f32 v119, v127, v119, v206
	v_min_f32_e32 v120, v120, v121
	v_cvt_f32_f64_e32 v117, v[117:118]
	v_min3_f32 v116, v116, v120, v119
	v_add_co_u32 v120, vcc_lo, v112, v132
	v_add_co_ci_u32_e64 v121, null, v113, v133, vcc_lo
	v_cvt_f64_f32_e32 v[118:119], v116
	v_min3_f32 v116, v122, v123, v207
	s_mov_b32 vcc_lo, s0
	v_min3_f32 v116, v124, v117, v116
	v_max_f32_e32 v117, v116, v116
	;; [unrolled: 59-line block ×3, first 2 shown]
	global_store_dwordx2 v[120:121], v[118:119], off
	s_cbranch_vccz .LBB170_81
; %bb.80:
	v_min_f32_e32 v116, 0, v117
	v_add_co_u32 v120, vcc_lo, v112, v142
	v_add_co_ci_u32_e64 v121, null, v113, v143, vcc_lo
	v_cvt_f64_f32_e32 v[118:119], v116
	s_mov_b32 s7, 0
	global_store_dwordx2 v[120:121], v[118:119], off
.LBB170_81:
	v_mov_b32_e32 v116, 0
	s_andn2_b32 vcc_lo, exec_lo, s7
	s_cbranch_vccnz .LBB170_83
; %bb.82:
	v_add_co_u32 v118, vcc_lo, v114, v142
	v_add_co_ci_u32_e64 v119, null, v115, v143, vcc_lo
	global_load_dwordx2 v[118:119], v[118:119], off
	s_waitcnt vmcnt(0)
	v_mul_f64 v[118:119], s[2:3], v[118:119]
	v_cvt_f32_f64_e32 v116, v[118:119]
	v_add_co_u32 v118, vcc_lo, v112, v142
	v_add_co_ci_u32_e64 v119, null, v113, v143, vcc_lo
	v_add_co_u32 v114, vcc_lo, v114, v138
	v_add_co_ci_u32_e64 v115, null, v115, v139, vcc_lo
	v_min_f32_e32 v116, v116, v117
	v_cvt_f64_f32_e32 v[116:117], v116
	global_store_dwordx2 v[118:119], v[116:117], off
	global_load_dwordx2 v[114:115], v[114:115], off
	s_waitcnt vmcnt(0)
	v_mul_f64 v[114:115], s[2:3], v[114:115]
	v_cvt_f32_f64_e32 v116, v[114:115]
.LBB170_83:
	v_add_f64 v[108:109], v[0:1], v[108:109]
	v_add_f64 v[110:111], v[2:3], v[110:111]
	;; [unrolled: 1-line block ×4, first 2 shown]
	s_waitcnt lgkmcnt(9)
	v_add_f64 v[114:115], v[70:71], v[102:103]
	v_add_f64 v[117:118], v[68:69], v[100:101]
	v_add_co_u32 v112, vcc_lo, v112, v138
	v_add_co_ci_u32_e64 v113, null, v113, v139, vcc_lo
	s_mov_b32 s7, -1
	v_cvt_f32_f64_e32 v108, v[108:109]
	v_cvt_f32_f64_e32 v109, v[110:111]
	;; [unrolled: 1-line block ×4, first 2 shown]
	s_waitcnt lgkmcnt(8)
	v_add_f64 v[104:105], v[64:65], v[96:97]
	v_add_f64 v[106:107], v[66:67], v[98:99]
	v_cvt_f32_f64_e32 v117, v[117:118]
	v_cvt_f32_f64_e32 v114, v[114:115]
	v_add_nc_u32_e32 v115, 0x60, v144
	v_min3_f32 v108, v108, v109, v202
	v_min_f32_e32 v109, v110, v111
	v_cvt_f32_f64_e32 v118, v[104:105]
	v_cvt_f32_f64_e32 v119, v[106:107]
	v_mad_i64_i32 v[104:105], null, v115, s6, 0
	v_min3_f32 v106, v116, v109, v108
	v_min3_f32 v108, v117, v114, v203
	v_cvt_f64_f32_e32 v[110:111], v106
	v_mad_i64_i32 v[106:107], null, v115, s1, 0
	v_lshlrev_b64 v[104:105], 3, v[104:105]
	v_add_co_u32 v104, vcc_lo, s4, v104
	v_lshlrev_b64 v[106:107], 3, v[106:107]
	v_add_co_ci_u32_e64 v105, null, s5, v105, vcc_lo
	v_min3_f32 v108, v118, v119, v108
	v_add_co_u32 v106, vcc_lo, s14, v106
	v_add_co_ci_u32_e64 v107, null, s15, v107, vcc_lo
	v_max_f32_e32 v109, v108, v108
	s_mov_b32 vcc_lo, s0
	global_store_dwordx2 v[112:113], v[110:111], off
	s_cbranch_vccz .LBB170_85
; %bb.84:
	v_min_f32_e32 v108, 0, v109
	v_add_co_u32 v112, vcc_lo, v104, v130
	v_add_co_ci_u32_e64 v113, null, v105, v131, vcc_lo
	v_cvt_f64_f32_e32 v[110:111], v108
	s_mov_b32 s7, 0
	global_store_dwordx2 v[112:113], v[110:111], off
.LBB170_85:
	v_mov_b32_e32 v108, 0
	s_andn2_b32 vcc_lo, exec_lo, s7
	s_cbranch_vccnz .LBB170_87
; %bb.86:
	v_add_co_u32 v110, vcc_lo, v106, v130
	v_add_co_ci_u32_e64 v111, null, v107, v131, vcc_lo
	global_load_dwordx2 v[110:111], v[110:111], off
	s_waitcnt vmcnt(0)
	v_mul_f64 v[110:111], s[2:3], v[110:111]
	v_cvt_f32_f64_e32 v108, v[110:111]
	v_add_co_u32 v110, vcc_lo, v104, v130
	v_add_co_ci_u32_e64 v111, null, v105, v131, vcc_lo
	v_add_co_u32 v112, vcc_lo, v106, v128
	v_add_co_ci_u32_e64 v113, null, v107, v129, vcc_lo
	v_min_f32_e32 v108, v108, v109
	v_cvt_f64_f32_e32 v[108:109], v108
	global_store_dwordx2 v[110:111], v[108:109], off
	global_load_dwordx2 v[108:109], v[112:113], off
	s_waitcnt vmcnt(0)
	v_mul_f64 v[108:109], s[2:3], v[108:109]
	v_cvt_f32_f64_e32 v108, v[108:109]
.LBB170_87:
	v_add_f64 v[109:110], v[60:61], v[100:101]
	v_add_f64 v[111:112], v[62:63], v[102:103]
	v_add_f64 v[113:114], v[52:53], v[96:97]
	v_add_f64 v[115:116], v[54:55], v[98:99]
	v_add_f64 v[117:118], v[50:51], v[102:103]
	v_add_f64 v[119:120], v[48:49], v[100:101]
	v_add_f64 v[121:122], v[36:37], v[96:97]
	s_mov_b32 s7, -1
	v_cvt_f32_f64_e32 v123, v[109:110]
	v_cvt_f32_f64_e32 v111, v[111:112]
	v_cvt_f32_f64_e32 v112, v[113:114]
	v_cvt_f32_f64_e32 v113, v[115:116]
	v_add_f64 v[109:110], v[38:39], v[98:99]
	v_cvt_f32_f64_e32 v114, v[119:120]
	v_cvt_f32_f64_e32 v115, v[117:118]
	v_cvt_f32_f64_e32 v116, v[121:122]
	v_min3_f32 v111, v123, v111, v200
	v_min_f32_e32 v112, v112, v113
	v_cvt_f32_f64_e32 v109, v[109:110]
	v_min3_f32 v108, v108, v112, v111
	v_add_co_u32 v112, vcc_lo, v104, v128
	v_add_co_ci_u32_e64 v113, null, v105, v129, vcc_lo
	v_cvt_f64_f32_e32 v[110:111], v108
	v_min3_f32 v108, v114, v115, v201
	s_mov_b32 vcc_lo, s0
	v_min3_f32 v108, v116, v109, v108
	v_max_f32_e32 v109, v108, v108
	global_store_dwordx2 v[112:113], v[110:111], off
	s_cbranch_vccz .LBB170_89
; %bb.88:
	v_min_f32_e32 v108, 0, v109
	v_add_co_u32 v112, vcc_lo, v104, v136
	v_add_co_ci_u32_e64 v113, null, v105, v137, vcc_lo
	v_cvt_f64_f32_e32 v[110:111], v108
	s_mov_b32 s7, 0
	global_store_dwordx2 v[112:113], v[110:111], off
.LBB170_89:
	v_mov_b32_e32 v108, 0
	s_andn2_b32 vcc_lo, exec_lo, s7
	s_cbranch_vccnz .LBB170_91
; %bb.90:
	v_add_co_u32 v110, vcc_lo, v106, v136
	v_add_co_ci_u32_e64 v111, null, v107, v137, vcc_lo
	global_load_dwordx2 v[110:111], v[110:111], off
	s_waitcnt vmcnt(0)
	v_mul_f64 v[110:111], s[2:3], v[110:111]
	v_cvt_f32_f64_e32 v108, v[110:111]
	v_add_co_u32 v110, vcc_lo, v104, v136
	v_add_co_ci_u32_e64 v111, null, v105, v137, vcc_lo
	v_add_co_u32 v112, vcc_lo, v106, v132
	v_add_co_ci_u32_e64 v113, null, v107, v133, vcc_lo
	v_min_f32_e32 v108, v108, v109
	v_cvt_f64_f32_e32 v[108:109], v108
	global_store_dwordx2 v[110:111], v[108:109], off
	global_load_dwordx2 v[108:109], v[112:113], off
	s_waitcnt vmcnt(0)
	v_mul_f64 v[108:109], s[2:3], v[108:109]
	v_cvt_f32_f64_e32 v108, v[108:109]
.LBB170_91:
	v_add_f64 v[109:110], v[56:57], v[100:101]
	v_add_f64 v[111:112], v[58:59], v[102:103]
	v_add_f64 v[113:114], v[44:45], v[96:97]
	v_add_f64 v[115:116], v[46:47], v[98:99]
	v_add_f64 v[117:118], v[42:43], v[102:103]
	v_add_f64 v[119:120], v[40:41], v[100:101]
	v_add_f64 v[121:122], v[32:33], v[96:97]
	s_mov_b32 s7, -1
	v_cvt_f32_f64_e32 v123, v[109:110]
	v_cvt_f32_f64_e32 v111, v[111:112]
	v_cvt_f32_f64_e32 v112, v[113:114]
	v_cvt_f32_f64_e32 v113, v[115:116]
	v_add_f64 v[109:110], v[34:35], v[98:99]
	v_cvt_f32_f64_e32 v114, v[119:120]
	v_cvt_f32_f64_e32 v115, v[117:118]
	v_cvt_f32_f64_e32 v116, v[121:122]
	v_min3_f32 v111, v123, v111, v199
	v_min_f32_e32 v112, v112, v113
	v_cvt_f32_f64_e32 v109, v[109:110]
	v_min3_f32 v108, v108, v112, v111
	v_add_co_u32 v112, vcc_lo, v104, v132
	v_add_co_ci_u32_e64 v113, null, v105, v133, vcc_lo
	v_cvt_f64_f32_e32 v[110:111], v108
	v_min3_f32 v108, v114, v115, v198
	s_mov_b32 vcc_lo, s0
	v_min3_f32 v108, v116, v109, v108
	v_max_f32_e32 v109, v108, v108
	;; [unrolled: 59-line block ×3, first 2 shown]
	global_store_dwordx2 v[112:113], v[110:111], off
	s_cbranch_vccz .LBB170_97
; %bb.96:
	v_min_f32_e32 v108, 0, v109
	v_add_co_u32 v112, vcc_lo, v104, v142
	v_add_co_ci_u32_e64 v113, null, v105, v143, vcc_lo
	v_cvt_f64_f32_e32 v[110:111], v108
	s_mov_b32 s7, 0
	global_store_dwordx2 v[112:113], v[110:111], off
.LBB170_97:
	v_mov_b32_e32 v108, 0
	s_andn2_b32 vcc_lo, exec_lo, s7
	s_cbranch_vccnz .LBB170_99
; %bb.98:
	v_add_co_u32 v110, vcc_lo, v106, v142
	v_add_co_ci_u32_e64 v111, null, v107, v143, vcc_lo
	global_load_dwordx2 v[110:111], v[110:111], off
	s_waitcnt vmcnt(0)
	v_mul_f64 v[110:111], s[2:3], v[110:111]
	v_cvt_f32_f64_e32 v108, v[110:111]
	v_add_co_u32 v110, vcc_lo, v104, v142
	v_add_co_ci_u32_e64 v111, null, v105, v143, vcc_lo
	v_add_co_u32 v106, vcc_lo, v106, v138
	v_add_co_ci_u32_e64 v107, null, v107, v139, vcc_lo
	v_min_f32_e32 v108, v108, v109
	v_cvt_f64_f32_e32 v[108:109], v108
	global_store_dwordx2 v[110:111], v[108:109], off
	global_load_dwordx2 v[106:107], v[106:107], off
	s_waitcnt vmcnt(0)
	v_mul_f64 v[106:107], s[2:3], v[106:107]
	v_cvt_f32_f64_e32 v108, v[106:107]
.LBB170_99:
	v_add_f64 v[100:101], v[0:1], v[100:101]
	v_add_f64 v[102:103], v[2:3], v[102:103]
	;; [unrolled: 1-line block ×4, first 2 shown]
	s_waitcnt lgkmcnt(7)
	v_add_f64 v[106:107], v[70:71], v[94:95]
	v_add_f64 v[109:110], v[68:69], v[92:93]
	v_add_co_u32 v104, vcc_lo, v104, v138
	v_add_co_ci_u32_e64 v105, null, v105, v139, vcc_lo
	s_mov_b32 s7, -1
	v_cvt_f32_f64_e32 v100, v[100:101]
	v_cvt_f32_f64_e32 v101, v[102:103]
	;; [unrolled: 1-line block ×4, first 2 shown]
	s_waitcnt lgkmcnt(6)
	v_add_f64 v[96:97], v[64:65], v[88:89]
	v_add_f64 v[98:99], v[66:67], v[90:91]
	v_cvt_f32_f64_e32 v109, v[109:110]
	v_cvt_f32_f64_e32 v106, v[106:107]
	v_add_nc_u32_e32 v107, 0x80, v144
	v_min3_f32 v100, v100, v101, v194
	v_min_f32_e32 v101, v102, v103
	v_cvt_f32_f64_e32 v110, v[96:97]
	v_cvt_f32_f64_e32 v111, v[98:99]
	v_mad_i64_i32 v[96:97], null, v107, s6, 0
	v_min3_f32 v98, v108, v101, v100
	v_min3_f32 v100, v109, v106, v195
	v_cvt_f64_f32_e32 v[102:103], v98
	v_mad_i64_i32 v[98:99], null, v107, s1, 0
	v_lshlrev_b64 v[96:97], 3, v[96:97]
	v_add_co_u32 v96, vcc_lo, s4, v96
	v_lshlrev_b64 v[98:99], 3, v[98:99]
	v_add_co_ci_u32_e64 v97, null, s5, v97, vcc_lo
	v_min3_f32 v100, v110, v111, v100
	v_add_co_u32 v98, vcc_lo, s14, v98
	v_add_co_ci_u32_e64 v99, null, s15, v99, vcc_lo
	v_max_f32_e32 v101, v100, v100
	s_mov_b32 vcc_lo, s0
	global_store_dwordx2 v[104:105], v[102:103], off
	s_cbranch_vccz .LBB170_101
; %bb.100:
	v_min_f32_e32 v100, 0, v101
	v_add_co_u32 v104, vcc_lo, v96, v130
	v_add_co_ci_u32_e64 v105, null, v97, v131, vcc_lo
	v_cvt_f64_f32_e32 v[102:103], v100
	s_mov_b32 s7, 0
	global_store_dwordx2 v[104:105], v[102:103], off
.LBB170_101:
	v_mov_b32_e32 v100, 0
	s_andn2_b32 vcc_lo, exec_lo, s7
	s_cbranch_vccnz .LBB170_103
; %bb.102:
	v_add_co_u32 v102, vcc_lo, v98, v130
	v_add_co_ci_u32_e64 v103, null, v99, v131, vcc_lo
	global_load_dwordx2 v[102:103], v[102:103], off
	s_waitcnt vmcnt(0)
	v_mul_f64 v[102:103], s[2:3], v[102:103]
	v_cvt_f32_f64_e32 v100, v[102:103]
	v_add_co_u32 v102, vcc_lo, v96, v130
	v_add_co_ci_u32_e64 v103, null, v97, v131, vcc_lo
	v_add_co_u32 v104, vcc_lo, v98, v128
	v_add_co_ci_u32_e64 v105, null, v99, v129, vcc_lo
	v_min_f32_e32 v100, v100, v101
	v_cvt_f64_f32_e32 v[100:101], v100
	global_store_dwordx2 v[102:103], v[100:101], off
	global_load_dwordx2 v[100:101], v[104:105], off
	s_waitcnt vmcnt(0)
	v_mul_f64 v[100:101], s[2:3], v[100:101]
	v_cvt_f32_f64_e32 v100, v[100:101]
.LBB170_103:
	v_add_f64 v[101:102], v[60:61], v[92:93]
	v_add_f64 v[103:104], v[62:63], v[94:95]
	v_add_f64 v[105:106], v[52:53], v[88:89]
	v_add_f64 v[107:108], v[54:55], v[90:91]
	v_add_f64 v[109:110], v[50:51], v[94:95]
	v_add_f64 v[111:112], v[48:49], v[92:93]
	v_add_f64 v[113:114], v[36:37], v[88:89]
	s_mov_b32 s7, -1
	v_cvt_f32_f64_e32 v115, v[101:102]
	v_cvt_f32_f64_e32 v103, v[103:104]
	v_cvt_f32_f64_e32 v104, v[105:106]
	v_cvt_f32_f64_e32 v105, v[107:108]
	v_add_f64 v[101:102], v[38:39], v[90:91]
	v_cvt_f32_f64_e32 v106, v[111:112]
	v_cvt_f32_f64_e32 v107, v[109:110]
	v_cvt_f32_f64_e32 v108, v[113:114]
	v_min3_f32 v103, v115, v103, v192
	v_min_f32_e32 v104, v104, v105
	v_cvt_f32_f64_e32 v101, v[101:102]
	v_min3_f32 v100, v100, v104, v103
	v_add_co_u32 v104, vcc_lo, v96, v128
	v_add_co_ci_u32_e64 v105, null, v97, v129, vcc_lo
	v_cvt_f64_f32_e32 v[102:103], v100
	v_min3_f32 v100, v106, v107, v193
	s_mov_b32 vcc_lo, s0
	v_min3_f32 v100, v108, v101, v100
	v_max_f32_e32 v101, v100, v100
	global_store_dwordx2 v[104:105], v[102:103], off
	s_cbranch_vccz .LBB170_105
; %bb.104:
	v_min_f32_e32 v100, 0, v101
	v_add_co_u32 v104, vcc_lo, v96, v136
	v_add_co_ci_u32_e64 v105, null, v97, v137, vcc_lo
	v_cvt_f64_f32_e32 v[102:103], v100
	s_mov_b32 s7, 0
	global_store_dwordx2 v[104:105], v[102:103], off
.LBB170_105:
	v_mov_b32_e32 v100, 0
	s_andn2_b32 vcc_lo, exec_lo, s7
	s_cbranch_vccnz .LBB170_107
; %bb.106:
	v_add_co_u32 v102, vcc_lo, v98, v136
	v_add_co_ci_u32_e64 v103, null, v99, v137, vcc_lo
	global_load_dwordx2 v[102:103], v[102:103], off
	s_waitcnt vmcnt(0)
	v_mul_f64 v[102:103], s[2:3], v[102:103]
	v_cvt_f32_f64_e32 v100, v[102:103]
	v_add_co_u32 v102, vcc_lo, v96, v136
	v_add_co_ci_u32_e64 v103, null, v97, v137, vcc_lo
	v_add_co_u32 v104, vcc_lo, v98, v132
	v_add_co_ci_u32_e64 v105, null, v99, v133, vcc_lo
	v_min_f32_e32 v100, v100, v101
	v_cvt_f64_f32_e32 v[100:101], v100
	global_store_dwordx2 v[102:103], v[100:101], off
	global_load_dwordx2 v[100:101], v[104:105], off
	s_waitcnt vmcnt(0)
	v_mul_f64 v[100:101], s[2:3], v[100:101]
	v_cvt_f32_f64_e32 v100, v[100:101]
.LBB170_107:
	v_add_f64 v[101:102], v[56:57], v[92:93]
	v_add_f64 v[103:104], v[58:59], v[94:95]
	v_add_f64 v[105:106], v[44:45], v[88:89]
	v_add_f64 v[107:108], v[46:47], v[90:91]
	v_add_f64 v[109:110], v[42:43], v[94:95]
	v_add_f64 v[111:112], v[40:41], v[92:93]
	v_add_f64 v[113:114], v[32:33], v[88:89]
	s_mov_b32 s7, -1
	v_cvt_f32_f64_e32 v115, v[101:102]
	v_cvt_f32_f64_e32 v103, v[103:104]
	v_cvt_f32_f64_e32 v104, v[105:106]
	v_cvt_f32_f64_e32 v105, v[107:108]
	v_add_f64 v[101:102], v[34:35], v[90:91]
	v_cvt_f32_f64_e32 v106, v[111:112]
	v_cvt_f32_f64_e32 v107, v[109:110]
	v_cvt_f32_f64_e32 v108, v[113:114]
	v_min3_f32 v103, v115, v103, v190
	v_min_f32_e32 v104, v104, v105
	v_cvt_f32_f64_e32 v101, v[101:102]
	v_min3_f32 v100, v100, v104, v103
	v_add_co_u32 v104, vcc_lo, v96, v132
	v_add_co_ci_u32_e64 v105, null, v97, v133, vcc_lo
	v_cvt_f64_f32_e32 v[102:103], v100
	v_min3_f32 v100, v106, v107, v191
	s_mov_b32 vcc_lo, s0
	v_min3_f32 v100, v108, v101, v100
	v_max_f32_e32 v101, v100, v100
	;; [unrolled: 59-line block ×3, first 2 shown]
	global_store_dwordx2 v[104:105], v[102:103], off
	s_cbranch_vccz .LBB170_113
; %bb.112:
	v_min_f32_e32 v100, 0, v101
	v_add_co_u32 v104, vcc_lo, v96, v142
	v_add_co_ci_u32_e64 v105, null, v97, v143, vcc_lo
	v_cvt_f64_f32_e32 v[102:103], v100
	s_mov_b32 s7, 0
	global_store_dwordx2 v[104:105], v[102:103], off
.LBB170_113:
	v_mov_b32_e32 v100, 0
	s_andn2_b32 vcc_lo, exec_lo, s7
	s_cbranch_vccnz .LBB170_115
; %bb.114:
	v_add_co_u32 v102, vcc_lo, v98, v142
	v_add_co_ci_u32_e64 v103, null, v99, v143, vcc_lo
	global_load_dwordx2 v[102:103], v[102:103], off
	s_waitcnt vmcnt(0)
	v_mul_f64 v[102:103], s[2:3], v[102:103]
	v_cvt_f32_f64_e32 v100, v[102:103]
	v_add_co_u32 v102, vcc_lo, v96, v142
	v_add_co_ci_u32_e64 v103, null, v97, v143, vcc_lo
	v_add_co_u32 v98, vcc_lo, v98, v138
	v_add_co_ci_u32_e64 v99, null, v99, v139, vcc_lo
	v_min_f32_e32 v100, v100, v101
	v_cvt_f64_f32_e32 v[100:101], v100
	global_store_dwordx2 v[102:103], v[100:101], off
	global_load_dwordx2 v[98:99], v[98:99], off
	s_waitcnt vmcnt(0)
	v_mul_f64 v[98:99], s[2:3], v[98:99]
	v_cvt_f32_f64_e32 v100, v[98:99]
.LBB170_115:
	v_add_f64 v[92:93], v[0:1], v[92:93]
	v_add_f64 v[94:95], v[2:3], v[94:95]
	v_add_f64 v[88:89], v[4:5], v[88:89]
	v_add_f64 v[90:91], v[6:7], v[90:91]
	s_waitcnt lgkmcnt(5)
	v_add_f64 v[98:99], v[70:71], v[86:87]
	v_add_f64 v[101:102], v[68:69], v[84:85]
	v_add_co_u32 v96, vcc_lo, v96, v138
	v_add_co_ci_u32_e64 v97, null, v97, v139, vcc_lo
	s_mov_b32 s7, -1
	v_cvt_f32_f64_e32 v92, v[92:93]
	v_cvt_f32_f64_e32 v93, v[94:95]
	;; [unrolled: 1-line block ×4, first 2 shown]
	s_waitcnt lgkmcnt(4)
	v_add_f64 v[88:89], v[64:65], v[80:81]
	v_add_f64 v[90:91], v[66:67], v[82:83]
	v_cvt_f32_f64_e32 v101, v[101:102]
	v_cvt_f32_f64_e32 v98, v[98:99]
	v_add_nc_u32_e32 v99, 0xa0, v144
	v_min3_f32 v92, v92, v93, v186
	v_min_f32_e32 v93, v94, v95
	v_cvt_f32_f64_e32 v102, v[88:89]
	v_cvt_f32_f64_e32 v103, v[90:91]
	v_mad_i64_i32 v[88:89], null, v99, s6, 0
	v_min3_f32 v90, v100, v93, v92
	v_min3_f32 v92, v101, v98, v187
	v_cvt_f64_f32_e32 v[94:95], v90
	v_mad_i64_i32 v[90:91], null, v99, s1, 0
	v_lshlrev_b64 v[88:89], 3, v[88:89]
	v_add_co_u32 v88, vcc_lo, s4, v88
	v_lshlrev_b64 v[90:91], 3, v[90:91]
	v_add_co_ci_u32_e64 v89, null, s5, v89, vcc_lo
	v_min3_f32 v92, v102, v103, v92
	v_add_co_u32 v90, vcc_lo, s14, v90
	v_add_co_ci_u32_e64 v91, null, s15, v91, vcc_lo
	v_max_f32_e32 v93, v92, v92
	s_mov_b32 vcc_lo, s0
	global_store_dwordx2 v[96:97], v[94:95], off
	s_cbranch_vccz .LBB170_117
; %bb.116:
	v_min_f32_e32 v92, 0, v93
	v_add_co_u32 v96, vcc_lo, v88, v130
	v_add_co_ci_u32_e64 v97, null, v89, v131, vcc_lo
	v_cvt_f64_f32_e32 v[94:95], v92
	s_mov_b32 s7, 0
	global_store_dwordx2 v[96:97], v[94:95], off
.LBB170_117:
	v_mov_b32_e32 v92, 0
	s_andn2_b32 vcc_lo, exec_lo, s7
	s_cbranch_vccnz .LBB170_119
; %bb.118:
	v_add_co_u32 v94, vcc_lo, v90, v130
	v_add_co_ci_u32_e64 v95, null, v91, v131, vcc_lo
	global_load_dwordx2 v[94:95], v[94:95], off
	s_waitcnt vmcnt(0)
	v_mul_f64 v[94:95], s[2:3], v[94:95]
	v_cvt_f32_f64_e32 v92, v[94:95]
	v_add_co_u32 v94, vcc_lo, v88, v130
	v_add_co_ci_u32_e64 v95, null, v89, v131, vcc_lo
	v_add_co_u32 v96, vcc_lo, v90, v128
	v_add_co_ci_u32_e64 v97, null, v91, v129, vcc_lo
	v_min_f32_e32 v92, v92, v93
	v_cvt_f64_f32_e32 v[92:93], v92
	global_store_dwordx2 v[94:95], v[92:93], off
	global_load_dwordx2 v[92:93], v[96:97], off
	s_waitcnt vmcnt(0)
	v_mul_f64 v[92:93], s[2:3], v[92:93]
	v_cvt_f32_f64_e32 v92, v[92:93]
.LBB170_119:
	v_add_f64 v[93:94], v[60:61], v[84:85]
	v_add_f64 v[95:96], v[62:63], v[86:87]
	v_add_f64 v[97:98], v[52:53], v[80:81]
	v_add_f64 v[99:100], v[54:55], v[82:83]
	v_add_f64 v[101:102], v[50:51], v[86:87]
	v_add_f64 v[103:104], v[48:49], v[84:85]
	v_add_f64 v[105:106], v[36:37], v[80:81]
	s_mov_b32 s7, -1
	v_cvt_f32_f64_e32 v107, v[93:94]
	v_cvt_f32_f64_e32 v95, v[95:96]
	v_cvt_f32_f64_e32 v96, v[97:98]
	v_cvt_f32_f64_e32 v97, v[99:100]
	v_add_f64 v[93:94], v[38:39], v[82:83]
	v_cvt_f32_f64_e32 v98, v[103:104]
	v_cvt_f32_f64_e32 v99, v[101:102]
	v_cvt_f32_f64_e32 v100, v[105:106]
	v_min3_f32 v95, v107, v95, v184
	v_min_f32_e32 v96, v96, v97
	v_cvt_f32_f64_e32 v93, v[93:94]
	v_min3_f32 v92, v92, v96, v95
	v_add_co_u32 v96, vcc_lo, v88, v128
	v_add_co_ci_u32_e64 v97, null, v89, v129, vcc_lo
	v_cvt_f64_f32_e32 v[94:95], v92
	v_min3_f32 v92, v98, v99, v185
	s_mov_b32 vcc_lo, s0
	v_min3_f32 v92, v100, v93, v92
	v_max_f32_e32 v93, v92, v92
	global_store_dwordx2 v[96:97], v[94:95], off
	s_cbranch_vccz .LBB170_121
; %bb.120:
	v_min_f32_e32 v92, 0, v93
	v_add_co_u32 v96, vcc_lo, v88, v136
	v_add_co_ci_u32_e64 v97, null, v89, v137, vcc_lo
	v_cvt_f64_f32_e32 v[94:95], v92
	s_mov_b32 s7, 0
	global_store_dwordx2 v[96:97], v[94:95], off
.LBB170_121:
	v_mov_b32_e32 v92, 0
	s_andn2_b32 vcc_lo, exec_lo, s7
	s_cbranch_vccnz .LBB170_123
; %bb.122:
	v_add_co_u32 v94, vcc_lo, v90, v136
	v_add_co_ci_u32_e64 v95, null, v91, v137, vcc_lo
	global_load_dwordx2 v[94:95], v[94:95], off
	s_waitcnt vmcnt(0)
	v_mul_f64 v[94:95], s[2:3], v[94:95]
	v_cvt_f32_f64_e32 v92, v[94:95]
	v_add_co_u32 v94, vcc_lo, v88, v136
	v_add_co_ci_u32_e64 v95, null, v89, v137, vcc_lo
	v_add_co_u32 v96, vcc_lo, v90, v132
	v_add_co_ci_u32_e64 v97, null, v91, v133, vcc_lo
	v_min_f32_e32 v92, v92, v93
	v_cvt_f64_f32_e32 v[92:93], v92
	global_store_dwordx2 v[94:95], v[92:93], off
	global_load_dwordx2 v[92:93], v[96:97], off
	s_waitcnt vmcnt(0)
	v_mul_f64 v[92:93], s[2:3], v[92:93]
	v_cvt_f32_f64_e32 v92, v[92:93]
.LBB170_123:
	v_add_f64 v[93:94], v[56:57], v[84:85]
	v_add_f64 v[95:96], v[58:59], v[86:87]
	v_add_f64 v[97:98], v[44:45], v[80:81]
	v_add_f64 v[99:100], v[46:47], v[82:83]
	v_add_f64 v[101:102], v[42:43], v[86:87]
	v_add_f64 v[103:104], v[40:41], v[84:85]
	v_add_f64 v[105:106], v[32:33], v[80:81]
	s_mov_b32 s7, -1
	v_cvt_f32_f64_e32 v107, v[93:94]
	v_cvt_f32_f64_e32 v95, v[95:96]
	v_cvt_f32_f64_e32 v96, v[97:98]
	v_cvt_f32_f64_e32 v97, v[99:100]
	v_add_f64 v[93:94], v[34:35], v[82:83]
	v_cvt_f32_f64_e32 v98, v[103:104]
	v_cvt_f32_f64_e32 v99, v[101:102]
	v_cvt_f32_f64_e32 v100, v[105:106]
	v_min3_f32 v95, v107, v95, v182
	v_min_f32_e32 v96, v96, v97
	v_cvt_f32_f64_e32 v93, v[93:94]
	v_min3_f32 v92, v92, v96, v95
	v_add_co_u32 v96, vcc_lo, v88, v132
	v_add_co_ci_u32_e64 v97, null, v89, v133, vcc_lo
	v_cvt_f64_f32_e32 v[94:95], v92
	v_min3_f32 v92, v98, v99, v183
	s_mov_b32 vcc_lo, s0
	v_min3_f32 v92, v100, v93, v92
	v_max_f32_e32 v93, v92, v92
	;; [unrolled: 59-line block ×3, first 2 shown]
	global_store_dwordx2 v[96:97], v[94:95], off
	s_cbranch_vccz .LBB170_129
; %bb.128:
	v_min_f32_e32 v92, 0, v93
	v_add_co_u32 v96, vcc_lo, v88, v142
	v_add_co_ci_u32_e64 v97, null, v89, v143, vcc_lo
	v_cvt_f64_f32_e32 v[94:95], v92
	s_mov_b32 s7, 0
	global_store_dwordx2 v[96:97], v[94:95], off
.LBB170_129:
	v_mov_b32_e32 v92, 0
	s_andn2_b32 vcc_lo, exec_lo, s7
	s_cbranch_vccnz .LBB170_131
; %bb.130:
	v_add_co_u32 v94, vcc_lo, v90, v142
	v_add_co_ci_u32_e64 v95, null, v91, v143, vcc_lo
	global_load_dwordx2 v[94:95], v[94:95], off
	s_waitcnt vmcnt(0)
	v_mul_f64 v[94:95], s[2:3], v[94:95]
	v_cvt_f32_f64_e32 v92, v[94:95]
	v_add_co_u32 v94, vcc_lo, v88, v142
	v_add_co_ci_u32_e64 v95, null, v89, v143, vcc_lo
	v_add_co_u32 v90, vcc_lo, v90, v138
	v_add_co_ci_u32_e64 v91, null, v91, v139, vcc_lo
	v_min_f32_e32 v92, v92, v93
	v_cvt_f64_f32_e32 v[92:93], v92
	global_store_dwordx2 v[94:95], v[92:93], off
	global_load_dwordx2 v[90:91], v[90:91], off
	s_waitcnt vmcnt(0)
	v_mul_f64 v[90:91], s[2:3], v[90:91]
	v_cvt_f32_f64_e32 v92, v[90:91]
.LBB170_131:
	v_add_f64 v[84:85], v[0:1], v[84:85]
	v_add_f64 v[86:87], v[2:3], v[86:87]
	v_add_f64 v[80:81], v[4:5], v[80:81]
	v_add_f64 v[82:83], v[6:7], v[82:83]
	s_waitcnt lgkmcnt(3)
	v_add_f64 v[90:91], v[70:71], v[78:79]
	v_add_f64 v[93:94], v[68:69], v[76:77]
	v_add_co_u32 v88, vcc_lo, v88, v138
	v_add_co_ci_u32_e64 v89, null, v89, v139, vcc_lo
	s_mov_b32 s7, -1
	v_cvt_f32_f64_e32 v84, v[84:85]
	v_cvt_f32_f64_e32 v85, v[86:87]
	;; [unrolled: 1-line block ×4, first 2 shown]
	s_waitcnt lgkmcnt(2)
	v_add_f64 v[80:81], v[64:65], v[72:73]
	v_add_f64 v[82:83], v[66:67], v[74:75]
	v_cvt_f32_f64_e32 v93, v[93:94]
	v_cvt_f32_f64_e32 v90, v[90:91]
	v_add_nc_u32_e32 v91, 0xc0, v144
	v_min3_f32 v84, v84, v85, v170
	v_min_f32_e32 v85, v86, v87
	v_cvt_f32_f64_e32 v94, v[80:81]
	v_cvt_f32_f64_e32 v95, v[82:83]
	v_mad_i64_i32 v[80:81], null, v91, s6, 0
	v_min3_f32 v82, v92, v85, v84
	v_min3_f32 v84, v93, v90, v172
	v_cvt_f64_f32_e32 v[86:87], v82
	v_mad_i64_i32 v[82:83], null, v91, s1, 0
	v_lshlrev_b64 v[80:81], 3, v[80:81]
	v_add_co_u32 v80, vcc_lo, s4, v80
	v_lshlrev_b64 v[82:83], 3, v[82:83]
	v_add_co_ci_u32_e64 v81, null, s5, v81, vcc_lo
	v_min3_f32 v84, v94, v95, v84
	v_add_co_u32 v82, vcc_lo, s14, v82
	v_add_co_ci_u32_e64 v83, null, s15, v83, vcc_lo
	v_max_f32_e32 v85, v84, v84
	s_mov_b32 vcc_lo, s0
	global_store_dwordx2 v[88:89], v[86:87], off
	s_cbranch_vccz .LBB170_133
; %bb.132:
	v_min_f32_e32 v84, 0, v85
	v_add_co_u32 v88, vcc_lo, v80, v130
	v_add_co_ci_u32_e64 v89, null, v81, v131, vcc_lo
	v_cvt_f64_f32_e32 v[86:87], v84
	s_mov_b32 s7, 0
	global_store_dwordx2 v[88:89], v[86:87], off
.LBB170_133:
	v_mov_b32_e32 v84, 0
	s_andn2_b32 vcc_lo, exec_lo, s7
	s_cbranch_vccnz .LBB170_135
; %bb.134:
	v_add_co_u32 v86, vcc_lo, v82, v130
	v_add_co_ci_u32_e64 v87, null, v83, v131, vcc_lo
	global_load_dwordx2 v[86:87], v[86:87], off
	s_waitcnt vmcnt(0)
	v_mul_f64 v[86:87], s[2:3], v[86:87]
	v_cvt_f32_f64_e32 v84, v[86:87]
	v_add_co_u32 v86, vcc_lo, v80, v130
	v_add_co_ci_u32_e64 v87, null, v81, v131, vcc_lo
	v_add_co_u32 v88, vcc_lo, v82, v128
	v_add_co_ci_u32_e64 v89, null, v83, v129, vcc_lo
	v_min_f32_e32 v84, v84, v85
	v_cvt_f64_f32_e32 v[84:85], v84
	global_store_dwordx2 v[86:87], v[84:85], off
	global_load_dwordx2 v[84:85], v[88:89], off
	s_waitcnt vmcnt(0)
	v_mul_f64 v[84:85], s[2:3], v[84:85]
	v_cvt_f32_f64_e32 v84, v[84:85]
.LBB170_135:
	v_add_f64 v[85:86], v[60:61], v[76:77]
	v_add_f64 v[87:88], v[62:63], v[78:79]
	v_add_f64 v[89:90], v[52:53], v[72:73]
	v_add_f64 v[91:92], v[54:55], v[74:75]
	v_add_f64 v[93:94], v[50:51], v[78:79]
	v_add_f64 v[95:96], v[48:49], v[76:77]
	v_add_f64 v[97:98], v[36:37], v[72:73]
	s_mov_b32 s7, -1
	v_cvt_f32_f64_e32 v99, v[85:86]
	v_cvt_f32_f64_e32 v87, v[87:88]
	v_cvt_f32_f64_e32 v88, v[89:90]
	v_cvt_f32_f64_e32 v89, v[91:92]
	v_add_f64 v[85:86], v[38:39], v[74:75]
	v_cvt_f32_f64_e32 v90, v[95:96]
	v_cvt_f32_f64_e32 v91, v[93:94]
	v_cvt_f32_f64_e32 v92, v[97:98]
	v_min3_f32 v87, v99, v87, v164
	v_min_f32_e32 v88, v88, v89
	v_cvt_f32_f64_e32 v85, v[85:86]
	v_min3_f32 v84, v84, v88, v87
	v_add_co_u32 v88, vcc_lo, v80, v128
	v_add_co_ci_u32_e64 v89, null, v81, v129, vcc_lo
	v_cvt_f64_f32_e32 v[86:87], v84
	v_min3_f32 v84, v90, v91, v165
	s_mov_b32 vcc_lo, s0
	v_min3_f32 v84, v92, v85, v84
	v_max_f32_e32 v85, v84, v84
	global_store_dwordx2 v[88:89], v[86:87], off
	s_cbranch_vccz .LBB170_137
; %bb.136:
	v_min_f32_e32 v84, 0, v85
	v_add_co_u32 v88, vcc_lo, v80, v136
	v_add_co_ci_u32_e64 v89, null, v81, v137, vcc_lo
	v_cvt_f64_f32_e32 v[86:87], v84
	s_mov_b32 s7, 0
	global_store_dwordx2 v[88:89], v[86:87], off
.LBB170_137:
	v_mov_b32_e32 v84, 0
	s_andn2_b32 vcc_lo, exec_lo, s7
	s_cbranch_vccnz .LBB170_139
; %bb.138:
	v_add_co_u32 v86, vcc_lo, v82, v136
	v_add_co_ci_u32_e64 v87, null, v83, v137, vcc_lo
	global_load_dwordx2 v[86:87], v[86:87], off
	s_waitcnt vmcnt(0)
	v_mul_f64 v[86:87], s[2:3], v[86:87]
	v_cvt_f32_f64_e32 v84, v[86:87]
	v_add_co_u32 v86, vcc_lo, v80, v136
	v_add_co_ci_u32_e64 v87, null, v81, v137, vcc_lo
	v_add_co_u32 v88, vcc_lo, v82, v132
	v_add_co_ci_u32_e64 v89, null, v83, v133, vcc_lo
	v_min_f32_e32 v84, v84, v85
	v_cvt_f64_f32_e32 v[84:85], v84
	global_store_dwordx2 v[86:87], v[84:85], off
	global_load_dwordx2 v[84:85], v[88:89], off
	s_waitcnt vmcnt(0)
	v_mul_f64 v[84:85], s[2:3], v[84:85]
	v_cvt_f32_f64_e32 v84, v[84:85]
.LBB170_139:
	v_add_f64 v[85:86], v[56:57], v[76:77]
	v_add_f64 v[87:88], v[58:59], v[78:79]
	v_add_f64 v[89:90], v[44:45], v[72:73]
	v_add_f64 v[91:92], v[46:47], v[74:75]
	v_add_f64 v[93:94], v[42:43], v[78:79]
	v_add_f64 v[95:96], v[40:41], v[76:77]
	v_add_f64 v[97:98], v[32:33], v[72:73]
	s_mov_b32 s7, -1
	v_cvt_f32_f64_e32 v99, v[85:86]
	v_cvt_f32_f64_e32 v87, v[87:88]
	v_cvt_f32_f64_e32 v88, v[89:90]
	v_cvt_f32_f64_e32 v89, v[91:92]
	v_add_f64 v[85:86], v[34:35], v[74:75]
	v_cvt_f32_f64_e32 v90, v[95:96]
	v_cvt_f32_f64_e32 v91, v[93:94]
	v_cvt_f32_f64_e32 v92, v[97:98]
	v_min3_f32 v87, v99, v87, v162
	v_min_f32_e32 v88, v88, v89
	v_cvt_f32_f64_e32 v85, v[85:86]
	v_min3_f32 v84, v84, v88, v87
	v_add_co_u32 v88, vcc_lo, v80, v132
	v_add_co_ci_u32_e64 v89, null, v81, v133, vcc_lo
	v_cvt_f64_f32_e32 v[86:87], v84
	v_min3_f32 v84, v90, v91, v163
	s_mov_b32 vcc_lo, s0
	v_min3_f32 v84, v92, v85, v84
	v_max_f32_e32 v85, v84, v84
	;; [unrolled: 59-line block ×3, first 2 shown]
	global_store_dwordx2 v[88:89], v[86:87], off
	s_cbranch_vccz .LBB170_145
; %bb.144:
	v_min_f32_e32 v84, 0, v85
	v_add_co_u32 v88, vcc_lo, v80, v142
	v_add_co_ci_u32_e64 v89, null, v81, v143, vcc_lo
	v_cvt_f64_f32_e32 v[86:87], v84
	s_mov_b32 s7, 0
	global_store_dwordx2 v[88:89], v[86:87], off
.LBB170_145:
	v_mov_b32_e32 v84, 0
	s_andn2_b32 vcc_lo, exec_lo, s7
	s_cbranch_vccnz .LBB170_147
; %bb.146:
	v_add_co_u32 v86, vcc_lo, v82, v142
	v_add_co_ci_u32_e64 v87, null, v83, v143, vcc_lo
	global_load_dwordx2 v[86:87], v[86:87], off
	s_waitcnt vmcnt(0)
	v_mul_f64 v[86:87], s[2:3], v[86:87]
	v_cvt_f32_f64_e32 v84, v[86:87]
	v_add_co_u32 v86, vcc_lo, v80, v142
	v_add_co_ci_u32_e64 v87, null, v81, v143, vcc_lo
	v_add_co_u32 v82, vcc_lo, v82, v138
	v_add_co_ci_u32_e64 v83, null, v83, v139, vcc_lo
	v_min_f32_e32 v84, v84, v85
	v_cvt_f64_f32_e32 v[84:85], v84
	global_store_dwordx2 v[86:87], v[84:85], off
	global_load_dwordx2 v[82:83], v[82:83], off
	s_waitcnt vmcnt(0)
	v_mul_f64 v[82:83], s[2:3], v[82:83]
	v_cvt_f32_f64_e32 v84, v[82:83]
.LBB170_147:
	v_add_f64 v[76:77], v[0:1], v[76:77]
	v_add_f64 v[78:79], v[2:3], v[78:79]
	;; [unrolled: 1-line block ×4, first 2 shown]
	s_waitcnt lgkmcnt(1)
	v_add_f64 v[70:71], v[70:71], v[10:11]
	v_add_f64 v[68:69], v[68:69], v[8:9]
	s_waitcnt lgkmcnt(0)
	v_add_f64 v[64:65], v[64:65], v[12:13]
	v_add_f64 v[66:67], v[66:67], v[14:15]
	v_cvt_f32_f64_e32 v76, v[76:77]
	v_cvt_f32_f64_e32 v77, v[78:79]
	;; [unrolled: 1-line block ×8, first 2 shown]
	v_min3_f32 v70, v76, v77, v159
	v_min_f32_e32 v71, v72, v73
	v_add_nc_u32_e32 v72, 0xe0, v144
	v_min3_f32 v68, v68, v69, v158
	v_min3_f32 v66, v84, v71, v70
	v_mad_i64_i32 v[64:65], null, v72, s6, 0
	v_min3_f32 v68, v74, v75, v68
	v_cvt_f64_f32_e32 v[70:71], v66
	v_mad_i64_i32 v[66:67], null, v72, s1, 0
	v_add_co_u32 v72, vcc_lo, v80, v138
	v_lshlrev_b64 v[64:65], 3, v[64:65]
	v_add_co_ci_u32_e64 v73, null, v81, v139, vcc_lo
	v_max_f32_e32 v69, v68, v68
	v_lshlrev_b64 v[66:67], 3, v[66:67]
	s_mov_b32 s1, -1
	v_add_co_u32 v64, vcc_lo, s4, v64
	v_add_co_ci_u32_e64 v65, null, s5, v65, vcc_lo
	v_add_co_u32 v66, vcc_lo, s14, v66
	v_add_co_ci_u32_e64 v67, null, s15, v67, vcc_lo
	s_mov_b32 vcc_lo, s0
	global_store_dwordx2 v[72:73], v[70:71], off
	s_cbranch_vccz .LBB170_149
; %bb.148:
	v_min_f32_e32 v68, 0, v69
	v_add_co_u32 v72, vcc_lo, v64, v130
	v_add_co_ci_u32_e64 v73, null, v65, v131, vcc_lo
	v_cvt_f64_f32_e32 v[70:71], v68
	s_mov_b32 s1, 0
	global_store_dwordx2 v[72:73], v[70:71], off
.LBB170_149:
	v_mov_b32_e32 v68, 0
	s_andn2_b32 vcc_lo, exec_lo, s1
	s_cbranch_vccnz .LBB170_151
; %bb.150:
	v_add_co_u32 v70, vcc_lo, v66, v130
	v_add_co_ci_u32_e64 v71, null, v67, v131, vcc_lo
	global_load_dwordx2 v[70:71], v[70:71], off
	s_waitcnt vmcnt(0)
	v_mul_f64 v[70:71], s[2:3], v[70:71]
	v_cvt_f32_f64_e32 v68, v[70:71]
	v_add_co_u32 v70, vcc_lo, v64, v130
	v_add_co_ci_u32_e64 v71, null, v65, v131, vcc_lo
	v_add_co_u32 v72, vcc_lo, v66, v128
	v_add_co_ci_u32_e64 v73, null, v67, v129, vcc_lo
	v_min_f32_e32 v68, v68, v69
	v_cvt_f64_f32_e32 v[68:69], v68
	global_store_dwordx2 v[70:71], v[68:69], off
	global_load_dwordx2 v[68:69], v[72:73], off
	s_waitcnt vmcnt(0)
	v_mul_f64 v[68:69], s[2:3], v[68:69]
	v_cvt_f32_f64_e32 v68, v[68:69]
.LBB170_151:
	v_add_f64 v[60:61], v[60:61], v[8:9]
	v_add_f64 v[62:63], v[62:63], v[10:11]
	;; [unrolled: 1-line block ×8, first 2 shown]
	s_mov_b32 s1, -1
	v_cvt_f32_f64_e32 v60, v[60:61]
	v_cvt_f32_f64_e32 v61, v[62:63]
	;; [unrolled: 1-line block ×8, first 2 shown]
	v_min3_f32 v37, v60, v61, v157
	v_min_f32_e32 v50, v52, v53
	v_min3_f32 v37, v68, v50, v37
	v_cvt_f64_f32_e32 v[38:39], v37
	v_min3_f32 v37, v48, v49, v156
	v_add_co_u32 v48, vcc_lo, v64, v128
	v_add_co_ci_u32_e64 v49, null, v65, v129, vcc_lo
	v_min3_f32 v36, v36, v51, v37
	s_mov_b32 vcc_lo, s0
	v_max_f32_e32 v37, v36, v36
	global_store_dwordx2 v[48:49], v[38:39], off
	s_cbranch_vccz .LBB170_153
; %bb.152:
	v_min_f32_e32 v36, 0, v37
	v_add_co_u32 v48, vcc_lo, v64, v136
	v_add_co_ci_u32_e64 v49, null, v65, v137, vcc_lo
	v_cvt_f64_f32_e32 v[38:39], v36
	s_mov_b32 s1, 0
	global_store_dwordx2 v[48:49], v[38:39], off
.LBB170_153:
	v_mov_b32_e32 v36, 0
	s_andn2_b32 vcc_lo, exec_lo, s1
	s_cbranch_vccnz .LBB170_155
; %bb.154:
	v_add_co_u32 v38, vcc_lo, v66, v136
	v_add_co_ci_u32_e64 v39, null, v67, v137, vcc_lo
	global_load_dwordx2 v[38:39], v[38:39], off
	s_waitcnt vmcnt(0)
	v_mul_f64 v[38:39], s[2:3], v[38:39]
	v_cvt_f32_f64_e32 v36, v[38:39]
	v_add_co_u32 v38, vcc_lo, v64, v136
	v_add_co_ci_u32_e64 v39, null, v65, v137, vcc_lo
	v_add_co_u32 v48, vcc_lo, v66, v132
	v_add_co_ci_u32_e64 v49, null, v67, v133, vcc_lo
	v_min_f32_e32 v36, v36, v37
	v_cvt_f64_f32_e32 v[36:37], v36
	global_store_dwordx2 v[38:39], v[36:37], off
	global_load_dwordx2 v[36:37], v[48:49], off
	s_waitcnt vmcnt(0)
	v_mul_f64 v[36:37], s[2:3], v[36:37]
	v_cvt_f32_f64_e32 v36, v[36:37]
.LBB170_155:
	v_add_f64 v[37:38], v[56:57], v[8:9]
	v_add_f64 v[48:49], v[58:59], v[10:11]
	;; [unrolled: 1-line block ×8, first 2 shown]
	s_mov_b32 s1, -1
	v_cvt_f32_f64_e32 v37, v[37:38]
	v_cvt_f32_f64_e32 v38, v[48:49]
	;; [unrolled: 1-line block ×7, first 2 shown]
	v_min3_f32 v33, v37, v38, v154
	v_cvt_f32_f64_e32 v38, v[34:35]
	v_min_f32_e32 v37, v41, v44
	v_min3_f32 v33, v36, v37, v33
	v_add_co_u32 v36, vcc_lo, v64, v132
	v_add_co_ci_u32_e64 v37, null, v65, v133, vcc_lo
	v_cvt_f64_f32_e32 v[34:35], v33
	v_min3_f32 v33, v39, v40, v155
	s_mov_b32 vcc_lo, s0
	v_min3_f32 v32, v32, v38, v33
	v_max_f32_e32 v33, v32, v32
	global_store_dwordx2 v[36:37], v[34:35], off
	s_cbranch_vccz .LBB170_157
; %bb.156:
	v_min_f32_e32 v32, 0, v33
	v_add_co_u32 v36, vcc_lo, v64, v140
	v_add_co_ci_u32_e64 v37, null, v65, v141, vcc_lo
	v_cvt_f64_f32_e32 v[34:35], v32
	s_mov_b32 s1, 0
	global_store_dwordx2 v[36:37], v[34:35], off
.LBB170_157:
	v_mov_b32_e32 v32, 0
	s_andn2_b32 vcc_lo, exec_lo, s1
	s_cbranch_vccnz .LBB170_159
; %bb.158:
	v_add_co_u32 v34, vcc_lo, v66, v140
	v_add_co_ci_u32_e64 v35, null, v67, v141, vcc_lo
	global_load_dwordx2 v[34:35], v[34:35], off
	s_waitcnt vmcnt(0)
	v_mul_f64 v[34:35], s[2:3], v[34:35]
	v_cvt_f32_f64_e32 v32, v[34:35]
	v_add_co_u32 v34, vcc_lo, v64, v140
	v_add_co_ci_u32_e64 v35, null, v65, v141, vcc_lo
	v_add_co_u32 v36, vcc_lo, v66, v134
	v_add_co_ci_u32_e64 v37, null, v67, v135, vcc_lo
	v_min_f32_e32 v32, v32, v33
	v_cvt_f64_f32_e32 v[32:33], v32
	global_store_dwordx2 v[34:35], v[32:33], off
	global_load_dwordx2 v[32:33], v[36:37], off
	s_waitcnt vmcnt(0)
	v_mul_f64 v[32:33], s[2:3], v[32:33]
	v_cvt_f32_f64_e32 v32, v[32:33]
.LBB170_159:
	v_add_f64 v[28:29], v[28:29], v[8:9]
	v_add_f64 v[30:31], v[30:31], v[10:11]
	;; [unrolled: 1-line block ×8, first 2 shown]
	s_mov_b32 s1, -1
	v_cvt_f32_f64_e32 v28, v[28:29]
	v_cvt_f32_f64_e32 v29, v[30:31]
	;; [unrolled: 1-line block ×8, first 2 shown]
	v_min3_f32 v17, v28, v29, v152
	v_min_f32_e32 v22, v24, v25
	v_min3_f32 v17, v32, v22, v17
	v_cvt_f64_f32_e32 v[18:19], v17
	v_min3_f32 v17, v20, v21, v153
	v_add_co_u32 v20, vcc_lo, v64, v134
	v_add_co_ci_u32_e64 v21, null, v65, v135, vcc_lo
	v_min3_f32 v16, v16, v23, v17
	s_mov_b32 vcc_lo, s0
	v_max_f32_e32 v17, v16, v16
	global_store_dwordx2 v[20:21], v[18:19], off
	s_cbranch_vccz .LBB170_161
; %bb.160:
	v_min_f32_e32 v16, 0, v17
	v_add_co_u32 v20, vcc_lo, v64, v142
	v_add_co_ci_u32_e64 v21, null, v65, v143, vcc_lo
	v_cvt_f64_f32_e32 v[18:19], v16
	s_mov_b32 s1, 0
	global_store_dwordx2 v[20:21], v[18:19], off
.LBB170_161:
	v_mov_b32_e32 v16, 0
	s_andn2_b32 vcc_lo, exec_lo, s1
	s_cbranch_vccnz .LBB170_163
; %bb.162:
	v_add_co_u32 v18, vcc_lo, v66, v142
	v_add_co_ci_u32_e64 v19, null, v67, v143, vcc_lo
	global_load_dwordx2 v[18:19], v[18:19], off
	s_waitcnt vmcnt(0)
	v_mul_f64 v[18:19], s[2:3], v[18:19]
	v_cvt_f32_f64_e32 v16, v[18:19]
	v_add_co_u32 v18, vcc_lo, v64, v142
	v_add_co_ci_u32_e64 v19, null, v65, v143, vcc_lo
	v_add_co_u32 v20, vcc_lo, v66, v138
	v_add_co_ci_u32_e64 v21, null, v67, v139, vcc_lo
	v_min_f32_e32 v16, v16, v17
	v_cvt_f64_f32_e32 v[16:17], v16
	global_store_dwordx2 v[18:19], v[16:17], off
	global_load_dwordx2 v[16:17], v[20:21], off
	s_waitcnt vmcnt(0)
	v_mul_f64 v[16:17], s[2:3], v[16:17]
	v_cvt_f32_f64_e32 v16, v[16:17]
.LBB170_163:
	v_add_f64 v[4:5], v[4:5], v[12:13]
	v_add_f64 v[6:7], v[6:7], v[14:15]
	;; [unrolled: 1-line block ×4, first 2 shown]
	v_cvt_f32_f64_e32 v4, v[4:5]
	v_cvt_f32_f64_e32 v5, v[6:7]
	v_cvt_f32_f64_e32 v0, v[0:1]
	v_cvt_f32_f64_e32 v1, v[2:3]
	v_min_f32_e32 v2, v4, v5
	v_min3_f32 v0, v0, v1, v151
	v_min3_f32 v0, v16, v2, v0
	v_add_co_u32 v2, vcc_lo, v64, v138
	v_add_co_ci_u32_e64 v3, null, v65, v139, vcc_lo
	v_cvt_f64_f32_e32 v[0:1], v0
	global_store_dwordx2 v[2:3], v[0:1], off
	s_endpgm
	.section	.rodata,"a",@progbits
	.p2align	6, 0x0
	.amdhsa_kernel _ZN12_GLOBAL__N_120geam_min_plus_kernelId15HIP_vector_typeIdLj2EEdLi8ELi32ELi64ELi256ELi4ELi64ELi4ELi64ELi4ELc78ELc84ELb0ELb0ELb1EdKddEEviiiT16_PT17_ilS6_ilS4_S6_ilPT18_ili26rocblas_geam_ex_operation_
		.amdhsa_group_segment_fixed_size 20480
		.amdhsa_private_segment_fixed_size 0
		.amdhsa_kernarg_size 136
		.amdhsa_user_sgpr_count 6
		.amdhsa_user_sgpr_private_segment_buffer 1
		.amdhsa_user_sgpr_dispatch_ptr 0
		.amdhsa_user_sgpr_queue_ptr 0
		.amdhsa_user_sgpr_kernarg_segment_ptr 1
		.amdhsa_user_sgpr_dispatch_id 0
		.amdhsa_user_sgpr_flat_scratch_init 0
		.amdhsa_user_sgpr_private_segment_size 0
		.amdhsa_wavefront_size32 1
		.amdhsa_uses_dynamic_stack 0
		.amdhsa_system_sgpr_private_segment_wavefront_offset 0
		.amdhsa_system_sgpr_workgroup_id_x 1
		.amdhsa_system_sgpr_workgroup_id_y 0
		.amdhsa_system_sgpr_workgroup_id_z 1
		.amdhsa_system_sgpr_workgroup_info 0
		.amdhsa_system_vgpr_workitem_id 1
		.amdhsa_next_free_vgpr 231
		.amdhsa_next_free_sgpr 26
		.amdhsa_reserve_vcc 1
		.amdhsa_reserve_flat_scratch 0
		.amdhsa_float_round_mode_32 0
		.amdhsa_float_round_mode_16_64 0
		.amdhsa_float_denorm_mode_32 3
		.amdhsa_float_denorm_mode_16_64 3
		.amdhsa_dx10_clamp 1
		.amdhsa_ieee_mode 1
		.amdhsa_fp16_overflow 0
		.amdhsa_workgroup_processor_mode 1
		.amdhsa_memory_ordered 1
		.amdhsa_forward_progress 1
		.amdhsa_shared_vgpr_count 0
		.amdhsa_exception_fp_ieee_invalid_op 0
		.amdhsa_exception_fp_denorm_src 0
		.amdhsa_exception_fp_ieee_div_zero 0
		.amdhsa_exception_fp_ieee_overflow 0
		.amdhsa_exception_fp_ieee_underflow 0
		.amdhsa_exception_fp_ieee_inexact 0
		.amdhsa_exception_int_div_zero 0
	.end_amdhsa_kernel
	.section	.text._ZN12_GLOBAL__N_120geam_min_plus_kernelId15HIP_vector_typeIdLj2EEdLi8ELi32ELi64ELi256ELi4ELi64ELi4ELi64ELi4ELc78ELc84ELb0ELb0ELb1EdKddEEviiiT16_PT17_ilS6_ilS4_S6_ilPT18_ili26rocblas_geam_ex_operation_,"axG",@progbits,_ZN12_GLOBAL__N_120geam_min_plus_kernelId15HIP_vector_typeIdLj2EEdLi8ELi32ELi64ELi256ELi4ELi64ELi4ELi64ELi4ELc78ELc84ELb0ELb0ELb1EdKddEEviiiT16_PT17_ilS6_ilS4_S6_ilPT18_ili26rocblas_geam_ex_operation_,comdat
.Lfunc_end170:
	.size	_ZN12_GLOBAL__N_120geam_min_plus_kernelId15HIP_vector_typeIdLj2EEdLi8ELi32ELi64ELi256ELi4ELi64ELi4ELi64ELi4ELc78ELc84ELb0ELb0ELb1EdKddEEviiiT16_PT17_ilS6_ilS4_S6_ilPT18_ili26rocblas_geam_ex_operation_, .Lfunc_end170-_ZN12_GLOBAL__N_120geam_min_plus_kernelId15HIP_vector_typeIdLj2EEdLi8ELi32ELi64ELi256ELi4ELi64ELi4ELi64ELi4ELc78ELc84ELb0ELb0ELb1EdKddEEviiiT16_PT17_ilS6_ilS4_S6_ilPT18_ili26rocblas_geam_ex_operation_
                                        ; -- End function
	.set _ZN12_GLOBAL__N_120geam_min_plus_kernelId15HIP_vector_typeIdLj2EEdLi8ELi32ELi64ELi256ELi4ELi64ELi4ELi64ELi4ELc78ELc84ELb0ELb0ELb1EdKddEEviiiT16_PT17_ilS6_ilS4_S6_ilPT18_ili26rocblas_geam_ex_operation_.num_vgpr, 231
	.set _ZN12_GLOBAL__N_120geam_min_plus_kernelId15HIP_vector_typeIdLj2EEdLi8ELi32ELi64ELi256ELi4ELi64ELi4ELi64ELi4ELc78ELc84ELb0ELb0ELb1EdKddEEviiiT16_PT17_ilS6_ilS4_S6_ilPT18_ili26rocblas_geam_ex_operation_.num_agpr, 0
	.set _ZN12_GLOBAL__N_120geam_min_plus_kernelId15HIP_vector_typeIdLj2EEdLi8ELi32ELi64ELi256ELi4ELi64ELi4ELi64ELi4ELc78ELc84ELb0ELb0ELb1EdKddEEviiiT16_PT17_ilS6_ilS4_S6_ilPT18_ili26rocblas_geam_ex_operation_.numbered_sgpr, 26
	.set _ZN12_GLOBAL__N_120geam_min_plus_kernelId15HIP_vector_typeIdLj2EEdLi8ELi32ELi64ELi256ELi4ELi64ELi4ELi64ELi4ELc78ELc84ELb0ELb0ELb1EdKddEEviiiT16_PT17_ilS6_ilS4_S6_ilPT18_ili26rocblas_geam_ex_operation_.num_named_barrier, 0
	.set _ZN12_GLOBAL__N_120geam_min_plus_kernelId15HIP_vector_typeIdLj2EEdLi8ELi32ELi64ELi256ELi4ELi64ELi4ELi64ELi4ELc78ELc84ELb0ELb0ELb1EdKddEEviiiT16_PT17_ilS6_ilS4_S6_ilPT18_ili26rocblas_geam_ex_operation_.private_seg_size, 0
	.set _ZN12_GLOBAL__N_120geam_min_plus_kernelId15HIP_vector_typeIdLj2EEdLi8ELi32ELi64ELi256ELi4ELi64ELi4ELi64ELi4ELc78ELc84ELb0ELb0ELb1EdKddEEviiiT16_PT17_ilS6_ilS4_S6_ilPT18_ili26rocblas_geam_ex_operation_.uses_vcc, 1
	.set _ZN12_GLOBAL__N_120geam_min_plus_kernelId15HIP_vector_typeIdLj2EEdLi8ELi32ELi64ELi256ELi4ELi64ELi4ELi64ELi4ELc78ELc84ELb0ELb0ELb1EdKddEEviiiT16_PT17_ilS6_ilS4_S6_ilPT18_ili26rocblas_geam_ex_operation_.uses_flat_scratch, 0
	.set _ZN12_GLOBAL__N_120geam_min_plus_kernelId15HIP_vector_typeIdLj2EEdLi8ELi32ELi64ELi256ELi4ELi64ELi4ELi64ELi4ELc78ELc84ELb0ELb0ELb1EdKddEEviiiT16_PT17_ilS6_ilS4_S6_ilPT18_ili26rocblas_geam_ex_operation_.has_dyn_sized_stack, 0
	.set _ZN12_GLOBAL__N_120geam_min_plus_kernelId15HIP_vector_typeIdLj2EEdLi8ELi32ELi64ELi256ELi4ELi64ELi4ELi64ELi4ELc78ELc84ELb0ELb0ELb1EdKddEEviiiT16_PT17_ilS6_ilS4_S6_ilPT18_ili26rocblas_geam_ex_operation_.has_recursion, 0
	.set _ZN12_GLOBAL__N_120geam_min_plus_kernelId15HIP_vector_typeIdLj2EEdLi8ELi32ELi64ELi256ELi4ELi64ELi4ELi64ELi4ELc78ELc84ELb0ELb0ELb1EdKddEEviiiT16_PT17_ilS6_ilS4_S6_ilPT18_ili26rocblas_geam_ex_operation_.has_indirect_call, 0
	.section	.AMDGPU.csdata,"",@progbits
; Kernel info:
; codeLenInByte = 27208
; TotalNumSgprs: 28
; NumVgprs: 231
; ScratchSize: 0
; MemoryBound: 1
; FloatMode: 240
; IeeeMode: 1
; LDSByteSize: 20480 bytes/workgroup (compile time only)
; SGPRBlocks: 0
; VGPRBlocks: 28
; NumSGPRsForWavesPerEU: 28
; NumVGPRsForWavesPerEU: 231
; Occupancy: 4
; WaveLimiterHint : 1
; COMPUTE_PGM_RSRC2:SCRATCH_EN: 0
; COMPUTE_PGM_RSRC2:USER_SGPR: 6
; COMPUTE_PGM_RSRC2:TRAP_HANDLER: 0
; COMPUTE_PGM_RSRC2:TGID_X_EN: 1
; COMPUTE_PGM_RSRC2:TGID_Y_EN: 0
; COMPUTE_PGM_RSRC2:TGID_Z_EN: 1
; COMPUTE_PGM_RSRC2:TIDIG_COMP_CNT: 1
	.section	.text._ZN12_GLOBAL__N_120geam_min_plus_kernelId15HIP_vector_typeIdLj2EEdLi8ELi32ELi64ELi256ELi4ELi64ELi4ELi64ELi4ELc78ELc84ELb0ELb1ELb1EPKdS3_dEEviiiT16_PT17_ilS7_ilS5_S7_ilPT18_ili26rocblas_geam_ex_operation_,"axG",@progbits,_ZN12_GLOBAL__N_120geam_min_plus_kernelId15HIP_vector_typeIdLj2EEdLi8ELi32ELi64ELi256ELi4ELi64ELi4ELi64ELi4ELc78ELc84ELb0ELb1ELb1EPKdS3_dEEviiiT16_PT17_ilS7_ilS5_S7_ilPT18_ili26rocblas_geam_ex_operation_,comdat
	.globl	_ZN12_GLOBAL__N_120geam_min_plus_kernelId15HIP_vector_typeIdLj2EEdLi8ELi32ELi64ELi256ELi4ELi64ELi4ELi64ELi4ELc78ELc84ELb0ELb1ELb1EPKdS3_dEEviiiT16_PT17_ilS7_ilS5_S7_ilPT18_ili26rocblas_geam_ex_operation_ ; -- Begin function _ZN12_GLOBAL__N_120geam_min_plus_kernelId15HIP_vector_typeIdLj2EEdLi8ELi32ELi64ELi256ELi4ELi64ELi4ELi64ELi4ELc78ELc84ELb0ELb1ELb1EPKdS3_dEEviiiT16_PT17_ilS7_ilS5_S7_ilPT18_ili26rocblas_geam_ex_operation_
	.p2align	8
	.type	_ZN12_GLOBAL__N_120geam_min_plus_kernelId15HIP_vector_typeIdLj2EEdLi8ELi32ELi64ELi256ELi4ELi64ELi4ELi64ELi4ELc78ELc84ELb0ELb1ELb1EPKdS3_dEEviiiT16_PT17_ilS7_ilS5_S7_ilPT18_ili26rocblas_geam_ex_operation_,@function
_ZN12_GLOBAL__N_120geam_min_plus_kernelId15HIP_vector_typeIdLj2EEdLi8ELi32ELi64ELi256ELi4ELi64ELi4ELi64ELi4ELc78ELc84ELb0ELb1ELb1EPKdS3_dEEviiiT16_PT17_ilS7_ilS5_S7_ilPT18_ili26rocblas_geam_ex_operation_: ; @_ZN12_GLOBAL__N_120geam_min_plus_kernelId15HIP_vector_typeIdLj2EEdLi8ELi32ELi64ELi256ELi4ELi64ELi4ELi64ELi4ELc78ELc84ELb0ELb1ELb1EPKdS3_dEEviiiT16_PT17_ilS7_ilS5_S7_ilPT18_ili26rocblas_geam_ex_operation_
; %bb.0:
	s_clause 0x1
	s_load_dwordx4 s[12:15], s[4:5], 0x10
	s_load_dwordx4 s[0:3], s[4:5], 0x28
	s_mov_b32 s20, s7
	s_mov_b32 s21, 0
	s_mov_b64 s[24:25], 0
	s_lshl_b64 s[16:17], s[20:21], 3
	s_mov_b64 s[26:27], 0
	s_waitcnt lgkmcnt(0)
	s_add_u32 s8, s12, s16
	s_addc_u32 s9, s13, s17
	s_load_dwordx2 s[12:13], s[4:5], 0x50
	s_load_dwordx2 s[22:23], s[8:9], 0x0
	s_load_dwordx4 s[8:11], s[4:5], 0x40
	s_waitcnt lgkmcnt(0)
	v_cmp_eq_f64_e64 s18, s[22:23], 0
	v_cmp_neq_f64_e64 s7, s[22:23], 0
	s_add_u32 s10, s10, s16
	s_addc_u32 s11, s11, s17
	s_and_b32 vcc_lo, exec_lo, s18
	s_cbranch_vccnz .LBB171_2
; %bb.1:
	s_mul_i32 s1, s1, s20
	s_mul_hi_u32 s16, s0, s20
	s_mul_i32 s0, s0, s20
	s_add_i32 s1, s16, s1
	s_lshl_b64 s[0:1], s[0:1], 3
	s_add_u32 s26, s14, s0
	s_addc_u32 s27, s15, s1
.LBB171_2:
	s_load_dwordx2 s[16:17], s[10:11], 0x0
	s_andn2_b32 vcc_lo, exec_lo, s7
	s_cbranch_vccnz .LBB171_4
; %bb.3:
	s_mul_i32 s0, s9, s20
	s_mul_hi_u32 s1, s8, s20
	s_add_i32 s1, s1, s0
	s_mul_i32 s0, s8, s20
	s_lshl_b64 s[0:1], s[0:1], 3
	s_add_u32 s24, s2, s0
	s_addc_u32 s25, s3, s1
.LBB171_4:
	s_waitcnt lgkmcnt(0)
	v_cmp_eq_f64_e64 s0, s[16:17], 0
	v_cmp_neq_f64_e64 s21, s[16:17], 0
	s_load_dwordx4 s[8:11], s[4:5], 0x60
	s_mov_b64 s[18:19], 0
	s_and_b32 vcc_lo, exec_lo, s0
	s_cbranch_vccnz .LBB171_6
; %bb.5:
	s_waitcnt lgkmcnt(0)
	s_mul_i32 s0, s9, s20
	s_mul_hi_u32 s1, s8, s20
	s_add_i32 s1, s1, s0
	s_mul_i32 s0, s8, s20
	s_lshl_b64 s[0:1], s[0:1], 3
	s_add_u32 s18, s12, s0
	s_addc_u32 s19, s13, s1
.LBB171_6:
	s_load_dwordx4 s[12:15], s[4:5], 0x0
	s_waitcnt lgkmcnt(0)
	s_load_dword s8, s[4:5], 0x20
	v_cmp_eq_f64_e64 s29, s[22:23], 0
	s_add_i32 s0, s12, -1
	s_waitcnt lgkmcnt(0)
	s_ashr_i32 s9, s8, 31
	s_ashr_i32 s1, s0, 31
	s_lshr_b32 s1, s1, 26
	s_add_i32 s0, s0, s1
	s_ashr_i32 s0, s0, 6
	s_add_i32 s2, s0, 1
	s_not_b32 s0, s0
	v_cvt_f32_u32_e32 v2, s2
	v_rcp_iflag_f32_e32 v2, v2
	v_mul_f32_e32 v2, 0x4f7ffffe, v2
	v_cvt_u32_f32_e32 v2, v2
	v_readfirstlane_b32 s1, v2
	v_lshl_add_u32 v2, v1, 3, v0
	s_mul_i32 s0, s0, s1
	v_and_b32_e32 v12, 63, v2
	s_mul_hi_u32 s0, s1, s0
	v_lshrrev_b32_e32 v146, 6, v2
	s_add_i32 s1, s1, s0
                                        ; implicit-def: $vgpr2_vgpr3
	s_mul_hi_u32 s0, s6, s1
	s_mul_i32 s1, s0, s2
	s_add_i32 s3, s0, 1
	s_sub_i32 s1, s6, s1
	s_sub_i32 s7, s1, s2
	s_cmp_ge_u32 s1, s2
	s_cselect_b32 s0, s3, s0
	s_cselect_b32 s1, s7, s1
	s_add_i32 s3, s0, 1
	s_cmp_ge_u32 s1, s2
	s_cselect_b32 s1, s3, s0
                                        ; implicit-def: $sgpr3
	s_mul_i32 s0, s1, s2
	s_sub_i32 s0, s6, s0
	v_cmp_le_i32_e64 s6, s14, v146
	s_lshl_b32 s15, s0, 6
	v_or_b32_e32 v66, s15, v12
	v_cmp_le_i32_e32 vcc_lo, s12, v66
	v_ashrrev_i32_e32 v67, 31, v66
	s_or_b32 s2, vcc_lo, s6
	s_nor_b32 s0, s29, s2
	s_and_saveexec_b32 s7, s0
	s_xor_b32 s7, exec_lo, s7
	s_cbranch_execz .LBB171_8
; %bb.7:
	s_add_i32 s3, s14, -1
	v_lshlrev_b64 v[4:5], 3, v[66:67]
	v_min_u32_e32 v2, s3, v146
	v_mad_i64_i32 v[2:3], null, s8, v2, 0
	v_lshlrev_b64 v[2:3], 3, v[2:3]
	v_add_co_u32 v2, s0, s26, v2
	v_add_co_ci_u32_e64 v3, null, s27, v3, s0
	v_add_co_u32 v2, s0, v2, v4
	v_add_co_ci_u32_e64 v3, null, v3, v5, s0
	global_load_dwordx2 v[2:3], v[2:3], off
	s_waitcnt vmcnt(0)
	v_mul_f64 v[2:3], s[22:23], v[2:3]
.LBB171_8:
	s_or_saveexec_b32 s0, s7
	v_mov_b32_e32 v4, s3
	s_xor_b32 exec_lo, exec_lo, s0
; %bb.9:
	s_add_i32 s3, s14, -1
	v_cndmask_b32_e64 v3, 0, 0x7fefffff, s2
	v_cndmask_b32_e64 v2, 0, -1, s2
	v_mov_b32_e32 v4, s3
; %bb.10:
	s_or_b32 exec_lo, exec_lo, s0
	s_load_dword s30, s[4:5], 0x38
	v_min_i32_e32 v4, v146, v4
	s_lshl_b32 s28, s1, 8
	v_or_b32_e32 v68, s28, v12
	v_cmp_le_i32_e64 s0, s13, v68
	v_ashrrev_i32_e32 v69, 31, v68
	s_or_b32 s2, s0, s6
	s_waitcnt lgkmcnt(0)
	v_mad_i64_i32 v[4:5], null, v4, s30, 0
	v_lshlrev_b64 v[6:7], 3, v[4:5]
	v_cndmask_b32_e64 v5, 0, 0x7fefffff, s2
	v_cndmask_b32_e64 v4, 0, -1, s2
	v_add_co_u32 v13, s1, s24, v6
	v_add_co_ci_u32_e64 v14, null, s25, v7, s1
	s_nor_b32 s1, s29, s2
	s_and_saveexec_b32 s2, s1
	s_cbranch_execz .LBB171_12
; %bb.11:
	v_lshlrev_b64 v[4:5], 3, v[68:69]
	v_add_co_u32 v4, s1, v13, v4
	v_add_co_ci_u32_e64 v5, null, v14, v5, s1
	global_load_dwordx2 v[4:5], v[4:5], off
	s_waitcnt vmcnt(0)
	v_mul_f64 v[4:5], s[22:23], v[4:5]
.LBB171_12:
	s_or_b32 exec_lo, exec_lo, s2
	v_or_b32_e32 v6, 64, v68
	v_cmp_le_i32_e64 s1, s13, v6
	s_or_b32 s2, s1, s6
	v_cndmask_b32_e64 v7, 0, 0x7fefffff, s2
	v_cndmask_b32_e64 v6, 0, -1, s2
	s_nor_b32 s2, s29, s2
	s_and_saveexec_b32 s3, s2
	s_cbranch_execz .LBB171_14
; %bb.13:
	v_lshlrev_b64 v[6:7], 3, v[68:69]
	v_add_co_u32 v6, s2, v13, v6
	v_add_co_ci_u32_e64 v7, null, v14, v7, s2
	global_load_dwordx2 v[6:7], v[6:7], off offset:512
	s_waitcnt vmcnt(0)
	v_mul_f64 v[6:7], s[22:23], v[6:7]
.LBB171_14:
	s_or_b32 exec_lo, exec_lo, s3
	v_or_b32_e32 v8, 0x80, v68
	v_cmp_le_i32_e64 s2, s13, v8
	s_or_b32 s3, s2, s6
	v_cndmask_b32_e64 v9, 0, 0x7fefffff, s3
	v_cndmask_b32_e64 v8, 0, -1, s3
	s_nor_b32 s3, s29, s3
	s_and_saveexec_b32 s7, s3
	s_cbranch_execz .LBB171_16
; %bb.15:
	v_lshlrev_b64 v[8:9], 3, v[68:69]
	v_add_co_u32 v8, s3, v13, v8
	v_add_co_ci_u32_e64 v9, null, v14, v9, s3
	global_load_dwordx2 v[8:9], v[8:9], off offset:1024
	s_waitcnt vmcnt(0)
	v_mul_f64 v[8:9], s[22:23], v[8:9]
.LBB171_16:
	;; [unrolled: 17-line block ×3, first 2 shown]
	s_or_b32 exec_lo, exec_lo, s7
	v_add_nc_u32_e32 v13, 4, v146
                                        ; implicit-def: $vgpr74_vgpr75
                                        ; implicit-def: $sgpr33
	v_cmp_le_i32_e64 s6, s14, v13
	s_or_b32 s31, vcc_lo, s6
	s_nor_b32 s7, s29, s31
	s_and_saveexec_b32 s34, s7
	s_xor_b32 s34, exec_lo, s34
	s_cbranch_execz .LBB171_20
; %bb.19:
	s_add_i32 s33, s14, -1
	v_min_u32_e32 v16, s33, v13
	v_mad_u64_u32 v[14:15], null, s8, v16, 0
	v_mad_u64_u32 v[15:16], null, s9, v16, v[15:16]
	v_lshlrev_b64 v[16:17], 3, v[66:67]
	v_lshlrev_b64 v[14:15], 3, v[14:15]
	v_add_co_u32 v14, s7, s26, v14
	v_add_co_ci_u32_e64 v15, null, s27, v15, s7
	v_add_co_u32 v14, s7, v14, v16
	v_add_co_ci_u32_e64 v15, null, v15, v17, s7
	global_load_dwordx2 v[14:15], v[14:15], off
	s_waitcnt vmcnt(0)
	v_mul_f64 v[74:75], s[22:23], v[14:15]
.LBB171_20:
	s_or_saveexec_b32 s7, s34
	v_mov_b32_e32 v14, s33
	s_xor_b32 exec_lo, exec_lo, s7
; %bb.21:
	s_add_i32 s33, s14, -1
	v_cndmask_b32_e64 v75, 0, 0x7fefffff, s31
	v_cndmask_b32_e64 v74, 0, -1, s31
	v_mov_b32_e32 v14, s33
; %bb.22:
	s_or_b32 exec_lo, exec_lo, s7
	v_min_i32_e32 v13, v13, v14
	s_or_b32 s31, s0, s6
	v_cndmask_b32_e64 v77, 0, 0x7fefffff, s31
	v_cndmask_b32_e64 v76, 0, -1, s31
	v_mad_i64_i32 v[13:14], null, v13, s30, 0
	v_lshlrev_b64 v[13:14], 3, v[13:14]
	v_add_co_u32 v13, s7, s24, v13
	v_add_co_ci_u32_e64 v14, null, s25, v14, s7
	s_nor_b32 s7, s29, s31
	s_and_saveexec_b32 s31, s7
	s_cbranch_execz .LBB171_24
; %bb.23:
	v_lshlrev_b64 v[15:16], 3, v[68:69]
	v_add_co_u32 v15, s7, v13, v15
	v_add_co_ci_u32_e64 v16, null, v14, v16, s7
	global_load_dwordx2 v[15:16], v[15:16], off
	s_waitcnt vmcnt(0)
	v_mul_f64 v[76:77], s[22:23], v[15:16]
.LBB171_24:
	s_or_b32 exec_lo, exec_lo, s31
	s_or_b32 s7, s1, s6
	v_cndmask_b32_e64 v79, 0, 0x7fefffff, s7
	v_cndmask_b32_e64 v78, 0, -1, s7
	s_nor_b32 s7, s29, s7
	s_and_saveexec_b32 s31, s7
	s_cbranch_execz .LBB171_26
; %bb.25:
	v_lshlrev_b64 v[15:16], 3, v[68:69]
	v_add_co_u32 v15, s7, v13, v15
	v_add_co_ci_u32_e64 v16, null, v14, v16, s7
	global_load_dwordx2 v[15:16], v[15:16], off offset:512
	s_waitcnt vmcnt(0)
	v_mul_f64 v[78:79], s[22:23], v[15:16]
.LBB171_26:
	s_or_b32 exec_lo, exec_lo, s31
	s_or_b32 s7, s2, s6
	v_cndmask_b32_e64 v71, 0, 0x7fefffff, s7
	v_cndmask_b32_e64 v70, 0, -1, s7
	s_nor_b32 s7, s29, s7
	s_and_saveexec_b32 s31, s7
	s_cbranch_execz .LBB171_28
; %bb.27:
	v_lshlrev_b64 v[15:16], 3, v[68:69]
	v_add_co_u32 v15, s7, v13, v15
	v_add_co_ci_u32_e64 v16, null, v14, v16, s7
	global_load_dwordx2 v[15:16], v[15:16], off offset:1024
	s_waitcnt vmcnt(0)
	v_mul_f64 v[70:71], s[22:23], v[15:16]
.LBB171_28:
	;; [unrolled: 15-line block ×3, first 2 shown]
	s_or_b32 exec_lo, exec_lo, s7
	v_lshlrev_b32_e32 v12, 5, v12
	v_lshlrev_b32_e32 v148, 5, v0
	;; [unrolled: 1-line block ×3, first 2 shown]
	s_cmp_lt_i32 s14, 9
	v_lshl_add_u32 v149, v146, 3, v12
	ds_write_b64 v149, v[2:3] offset:16384
	ds_write2st64_b64 v149, v[4:5], v[6:7] offset1:4
	ds_write2st64_b64 v149, v[8:9], v[10:11] offset0:8 offset1:12
	s_waitcnt lgkmcnt(0)
	s_barrier
	buffer_gl0_inv
	ds_read_b128 v[10:13], v148 offset:16640
	ds_read_b128 v[14:17], v148 offset:16896
	;; [unrolled: 1-line block ×16, first 2 shown]
	ds_read_b128 v[84:87], v147
	ds_read_b128 v[6:9], v147 offset:16
	s_waitcnt lgkmcnt(1)
	v_add_f64 v[88:89], v[82:83], v[86:87]
	v_add_f64 v[90:91], v[80:81], v[84:85]
	s_waitcnt lgkmcnt(0)
	v_add_f64 v[144:145], v[4:5], v[8:9]
	v_add_f64 v[150:151], v[2:3], v[6:7]
	v_cvt_f32_f64_e32 v88, v[88:89]
	v_cvt_f32_f64_e32 v90, v[90:91]
	;; [unrolled: 1-line block ×4, first 2 shown]
	v_min3_f32 v143, v90, v88, 0x7f800000
	v_add_f64 v[88:89], v[12:13], v[86:87]
	v_add_f64 v[90:91], v[10:11], v[84:85]
	v_min3_f32 v221, v150, v144, v143
	v_cvt_f32_f64_e32 v88, v[88:89]
	v_cvt_f32_f64_e32 v90, v[90:91]
	v_min3_f32 v142, v90, v88, 0x7f800000
	v_add_f64 v[88:89], v[16:17], v[86:87]
	v_add_f64 v[90:91], v[14:15], v[84:85]
	v_cvt_f32_f64_e32 v88, v[88:89]
	v_cvt_f32_f64_e32 v90, v[90:91]
	v_min3_f32 v141, v90, v88, 0x7f800000
	v_add_f64 v[88:89], v[20:21], v[86:87]
	v_add_f64 v[90:91], v[18:19], v[84:85]
	;; [unrolled: 5-line block ×5, first 2 shown]
	v_add_f64 v[86:87], v[36:37], v[86:87]
	v_add_f64 v[84:85], v[34:35], v[84:85]
	v_cvt_f32_f64_e32 v88, v[88:89]
	v_cvt_f32_f64_e32 v90, v[90:91]
	;; [unrolled: 1-line block ×4, first 2 shown]
	v_add_f64 v[86:87], v[80:81], v[38:39]
	v_min3_f32 v137, v90, v88, 0x7f800000
	v_min3_f32 v136, v84, v85, 0x7f800000
	v_add_f64 v[84:85], v[82:83], v[40:41]
	v_cvt_f32_f64_e32 v86, v[86:87]
	v_cvt_f32_f64_e32 v84, v[84:85]
	v_min3_f32 v135, v86, v84, 0x7f800000
	v_add_f64 v[84:85], v[12:13], v[40:41]
	v_add_f64 v[86:87], v[10:11], v[38:39]
	v_cvt_f32_f64_e32 v84, v[84:85]
	v_cvt_f32_f64_e32 v86, v[86:87]
	v_min3_f32 v134, v86, v84, 0x7f800000
	v_add_f64 v[84:85], v[16:17], v[40:41]
	;; [unrolled: 5-line block ×6, first 2 shown]
	v_add_f64 v[86:87], v[30:31], v[38:39]
	v_add_f64 v[40:41], v[36:37], v[40:41]
	;; [unrolled: 1-line block ×3, first 2 shown]
	v_cvt_f32_f64_e32 v84, v[84:85]
	v_cvt_f32_f64_e32 v86, v[86:87]
	;; [unrolled: 1-line block ×4, first 2 shown]
	v_add_f64 v[40:41], v[80:81], v[42:43]
	v_min3_f32 v129, v86, v84, 0x7f800000
	v_min3_f32 v128, v38, v39, 0x7f800000
	v_add_f64 v[38:39], v[82:83], v[44:45]
	v_cvt_f32_f64_e32 v40, v[40:41]
	v_cvt_f32_f64_e32 v38, v[38:39]
	v_min3_f32 v127, v40, v38, 0x7f800000
	v_add_f64 v[38:39], v[12:13], v[44:45]
	v_add_f64 v[40:41], v[10:11], v[42:43]
	v_cvt_f32_f64_e32 v38, v[38:39]
	v_cvt_f32_f64_e32 v40, v[40:41]
	v_min3_f32 v126, v40, v38, 0x7f800000
	v_add_f64 v[38:39], v[16:17], v[44:45]
	;; [unrolled: 5-line block ×33, first 2 shown]
	v_add_f64 v[40:41], v[10:11], v[58:59]
	v_add_f64 v[12:13], v[12:13], v[64:65]
	;; [unrolled: 1-line block ×3, first 2 shown]
	v_cvt_f32_f64_e32 v38, v[38:39]
	v_cvt_f32_f64_e32 v40, v[40:41]
	;; [unrolled: 1-line block ×4, first 2 shown]
	v_add_f64 v[12:13], v[14:15], v[62:63]
	v_min3_f32 v94, v40, v38, 0x7f800000
	v_add_f64 v[38:39], v[16:17], v[60:61]
	v_add_f64 v[40:41], v[14:15], v[58:59]
	v_min3_f32 v86, v10, v11, 0x7f800000
	v_add_f64 v[10:11], v[16:17], v[64:65]
	v_cvt_f32_f64_e32 v12, v[12:13]
	v_cvt_f32_f64_e32 v38, v[38:39]
	;; [unrolled: 1-line block ×4, first 2 shown]
	v_min3_f32 v93, v40, v38, 0x7f800000
	v_add_f64 v[38:39], v[20:21], v[60:61]
	v_add_f64 v[40:41], v[18:19], v[58:59]
	v_min3_f32 v85, v12, v10, 0x7f800000
	v_add_f64 v[10:11], v[20:21], v[64:65]
	v_add_f64 v[12:13], v[18:19], v[62:63]
	v_cvt_f32_f64_e32 v38, v[38:39]
	v_cvt_f32_f64_e32 v40, v[40:41]
	;; [unrolled: 1-line block ×4, first 2 shown]
	v_min3_f32 v92, v40, v38, 0x7f800000
	v_add_f64 v[38:39], v[24:25], v[60:61]
	v_add_f64 v[40:41], v[22:23], v[58:59]
	v_min3_f32 v84, v12, v10, 0x7f800000
	v_add_f64 v[10:11], v[24:25], v[64:65]
	v_add_f64 v[12:13], v[22:23], v[62:63]
	v_cvt_f32_f64_e32 v38, v[38:39]
	v_cvt_f32_f64_e32 v40, v[40:41]
	;; [unrolled: 1-line block ×4, first 2 shown]
	v_min3_f32 v91, v40, v38, 0x7f800000
	v_add_f64 v[38:39], v[28:29], v[60:61]
	v_add_f64 v[40:41], v[26:27], v[58:59]
	v_cvt_f32_f64_e32 v38, v[38:39]
	v_cvt_f32_f64_e32 v40, v[40:41]
	v_min3_f32 v90, v40, v38, 0x7f800000
	v_add_f64 v[38:39], v[32:33], v[60:61]
	v_add_f64 v[40:41], v[30:31], v[58:59]
	v_cvt_f32_f64_e32 v38, v[38:39]
	v_cvt_f32_f64_e32 v40, v[40:41]
	;; [unrolled: 5-line block ×3, first 2 shown]
	v_min3_f32 v88, v40, v38, 0x7f800000
	v_add_f64 v[38:39], v[82:83], v[64:65]
	v_min3_f32 v83, v12, v10, 0x7f800000
	v_add_f64 v[10:11], v[28:29], v[64:65]
	v_add_f64 v[12:13], v[26:27], v[62:63]
	;; [unrolled: 1-line block ×3, first 2 shown]
	v_cvt_f32_f64_e32 v38, v[38:39]
	v_cvt_f32_f64_e32 v10, v[10:11]
	;; [unrolled: 1-line block ×4, first 2 shown]
	v_min3_f32 v82, v12, v10, 0x7f800000
	v_add_f64 v[10:11], v[32:33], v[64:65]
	v_add_f64 v[12:13], v[30:31], v[62:63]
	v_min3_f32 v87, v40, v38, 0x7f800000
	v_cvt_f32_f64_e32 v10, v[10:11]
	v_cvt_f32_f64_e32 v12, v[12:13]
	v_min3_f32 v81, v12, v10, 0x7f800000
	v_add_f64 v[10:11], v[36:37], v[64:65]
	v_add_f64 v[12:13], v[34:35], v[62:63]
	v_cvt_f32_f64_e32 v10, v[10:11]
	v_cvt_f32_f64_e32 v12, v[12:13]
	v_min3_f32 v80, v12, v10, 0x7f800000
	ds_read_b128 v[34:37], v148 offset:16656
	ds_read_b128 v[30:33], v148 offset:16912
	;; [unrolled: 1-line block ×14, first 2 shown]
	ds_write_b64 v149, v[74:75] offset:18432
	ds_write2st64_b64 v149, v[76:77], v[78:79] offset0:16 offset1:20
	ds_write2st64_b64 v149, v[70:71], v[72:73] offset0:24 offset1:28
	s_waitcnt lgkmcnt(0)
	s_barrier
	buffer_gl0_inv
	v_add_f64 v[143:144], v[36:37], v[8:9]
	v_add_f64 v[150:151], v[34:35], v[6:7]
	v_cvt_f32_f64_e32 v143, v[143:144]
	v_cvt_f32_f64_e32 v145, v[150:151]
	v_min3_f32 v220, v145, v143, v142
	v_add_f64 v[142:143], v[32:33], v[8:9]
	v_add_f64 v[144:145], v[30:31], v[6:7]
	v_cvt_f32_f64_e32 v142, v[142:143]
	v_cvt_f32_f64_e32 v144, v[144:145]
	v_min3_f32 v219, v144, v142, v141
	;; [unrolled: 5-line block ×5, first 2 shown]
	v_add_f64 v[138:139], v[16:17], v[8:9]
	v_add_f64 v[140:141], v[14:15], v[6:7]
	;; [unrolled: 1-line block ×4, first 2 shown]
	v_cvt_f32_f64_e32 v138, v[138:139]
	v_cvt_f32_f64_e32 v140, v[140:141]
	v_cvt_f32_f64_e32 v6, v[6:7]
	v_cvt_f32_f64_e32 v7, v[8:9]
	v_add_f64 v[8:9], v[2:3], v[62:63]
	v_min3_f32 v215, v140, v138, v137
	v_min3_f32 v214, v6, v7, v136
	v_add_f64 v[6:7], v[4:5], v[64:65]
	v_cvt_f32_f64_e32 v8, v[8:9]
	v_cvt_f32_f64_e32 v6, v[6:7]
	v_min3_f32 v213, v8, v6, v135
	v_add_f64 v[6:7], v[36:37], v[64:65]
	v_add_f64 v[8:9], v[34:35], v[62:63]
	v_cvt_f32_f64_e32 v6, v[6:7]
	v_cvt_f32_f64_e32 v8, v[8:9]
	v_min3_f32 v212, v8, v6, v134
	v_add_f64 v[6:7], v[32:33], v[64:65]
	;; [unrolled: 5-line block ×40, first 2 shown]
	v_add_f64 v[8:9], v[2:3], v[42:43]
	v_add_f64 v[4:5], v[4:5], v[40:41]
	;; [unrolled: 1-line block ×3, first 2 shown]
	v_cvt_f32_f64_e32 v6, v[6:7]
	v_cvt_f32_f64_e32 v8, v[8:9]
	;; [unrolled: 1-line block ×4, first 2 shown]
	v_add_f64 v[4:5], v[34:35], v[38:39]
	v_min3_f32 v165, v8, v6, v95
	v_add_f64 v[6:7], v[36:37], v[44:45]
	v_add_f64 v[8:9], v[34:35], v[42:43]
	v_min3_f32 v157, v2, v3, v87
	v_add_f64 v[2:3], v[36:37], v[40:41]
	v_cvt_f32_f64_e32 v4, v[4:5]
	v_cvt_f32_f64_e32 v6, v[6:7]
	v_cvt_f32_f64_e32 v8, v[8:9]
	v_cvt_f32_f64_e32 v2, v[2:3]
	v_min3_f32 v164, v8, v6, v94
	v_add_f64 v[6:7], v[32:33], v[44:45]
	v_add_f64 v[8:9], v[30:31], v[42:43]
	v_min3_f32 v156, v4, v2, v86
	v_add_f64 v[2:3], v[32:33], v[40:41]
	v_add_f64 v[4:5], v[30:31], v[38:39]
	v_cvt_f32_f64_e32 v6, v[6:7]
	v_cvt_f32_f64_e32 v8, v[8:9]
	v_cvt_f32_f64_e32 v2, v[2:3]
	v_cvt_f32_f64_e32 v4, v[4:5]
	v_min3_f32 v163, v8, v6, v93
	v_add_f64 v[6:7], v[28:29], v[44:45]
	v_add_f64 v[8:9], v[26:27], v[42:43]
	v_min3_f32 v155, v4, v2, v85
	v_add_f64 v[2:3], v[28:29], v[40:41]
	v_add_f64 v[4:5], v[26:27], v[38:39]
	v_cvt_f32_f64_e32 v6, v[6:7]
	v_cvt_f32_f64_e32 v8, v[8:9]
	v_cvt_f32_f64_e32 v2, v[2:3]
	v_cvt_f32_f64_e32 v4, v[4:5]
	v_min3_f32 v162, v8, v6, v92
	v_add_f64 v[6:7], v[24:25], v[44:45]
	v_add_f64 v[8:9], v[22:23], v[42:43]
	v_min3_f32 v154, v4, v2, v84
	v_add_f64 v[2:3], v[24:25], v[40:41]
	v_add_f64 v[4:5], v[22:23], v[38:39]
	v_cvt_f32_f64_e32 v6, v[6:7]
	v_cvt_f32_f64_e32 v8, v[8:9]
	v_cvt_f32_f64_e32 v2, v[2:3]
	v_cvt_f32_f64_e32 v4, v[4:5]
	v_min3_f32 v161, v8, v6, v91
	v_add_f64 v[6:7], v[20:21], v[44:45]
	v_add_f64 v[8:9], v[18:19], v[42:43]
	v_min3_f32 v153, v4, v2, v83
	v_add_f64 v[2:3], v[20:21], v[40:41]
	v_add_f64 v[4:5], v[18:19], v[38:39]
	v_cvt_f32_f64_e32 v6, v[6:7]
	v_cvt_f32_f64_e32 v8, v[8:9]
	v_cvt_f32_f64_e32 v2, v[2:3]
	v_cvt_f32_f64_e32 v4, v[4:5]
	v_min3_f32 v160, v8, v6, v90
	v_add_f64 v[6:7], v[16:17], v[44:45]
	v_add_f64 v[8:9], v[14:15], v[42:43]
	v_min3_f32 v152, v4, v2, v82
	v_add_f64 v[2:3], v[16:17], v[40:41]
	v_add_f64 v[4:5], v[14:15], v[38:39]
	v_cvt_f32_f64_e32 v6, v[6:7]
	v_cvt_f32_f64_e32 v8, v[8:9]
	v_cvt_f32_f64_e32 v2, v[2:3]
	v_cvt_f32_f64_e32 v4, v[4:5]
	v_min3_f32 v159, v8, v6, v89
	v_add_f64 v[6:7], v[12:13], v[44:45]
	v_add_f64 v[8:9], v[10:11], v[42:43]
	v_min3_f32 v151, v4, v2, v81
	v_add_f64 v[2:3], v[12:13], v[40:41]
	v_add_f64 v[4:5], v[10:11], v[38:39]
	v_cvt_f32_f64_e32 v6, v[6:7]
	v_cvt_f32_f64_e32 v8, v[8:9]
	;; [unrolled: 1-line block ×4, first 2 shown]
	v_min3_f32 v158, v8, v6, v88
	v_min3_f32 v150, v4, v2, v80
	s_cbranch_scc1 .LBB171_57
; %bb.31:
	v_add_nc_u32_e32 v4, 12, v146
	v_add_nc_u32_e32 v6, 8, v146
	v_lshlrev_b64 v[2:3], 3, v[66:67]
	v_lshlrev_b64 v[134:135], 3, v[68:69]
	v_or_b32_e32 v171, 0x4000, v149
	v_mad_i64_i32 v[4:5], null, v4, s8, 0
	v_mad_i64_i32 v[6:7], null, v6, s8, 0
	v_add_co_u32 v177, s6, s26, v2
	v_or_b32_e32 v172, 0x4000, v148
	v_add_nc_u32_e32 v173, 0x4800, v149
	v_lshlrev_b64 v[130:131], 3, v[4:5]
	v_or_b32_e32 v175, 0x2000, v149
	v_lshlrev_b64 v[132:133], 3, v[6:7]
	v_add_co_ci_u32_e64 v178, null, s27, v3, s6
	v_lshl_add_u32 v179, v0, 5, 0x4800
	v_lshl_or_b32 v180, v1, 5, 0x2000
	s_add_i32 s31, s14, -8
	s_add_i32 s26, s14, -1
	s_lshl_b64 s[8:9], s[8:9], 6
	s_mov_b32 s27, 0
	s_branch .LBB171_33
.LBB171_32:                             ;   in Loop: Header=BB171_33 Depth=1
	s_or_b32 exec_lo, exec_lo, s7
	v_add_f64 v[222:223], v[100:101], v[128:129]
	v_add_f64 v[224:225], v[98:99], v[126:127]
	v_add_co_u32 v177, s6, v177, s8
	v_add_co_ci_u32_e64 v178, null, s9, v178, s6
	s_add_i32 s27, s27, 8
	s_cmp_ge_i32 s27, s31
	v_cvt_f32_f64_e32 v222, v[222:223]
	v_cvt_f32_f64_e32 v224, v[224:225]
	v_min3_f32 v221, v224, v222, v221
	v_add_f64 v[222:223], v[96:97], v[128:129]
	v_add_f64 v[224:225], v[94:95], v[126:127]
	v_cvt_f32_f64_e32 v222, v[222:223]
	v_cvt_f32_f64_e32 v224, v[224:225]
	v_min3_f32 v220, v224, v222, v220
	v_add_f64 v[222:223], v[92:93], v[128:129]
	v_add_f64 v[224:225], v[90:91], v[126:127]
	;; [unrolled: 5-line block ×6, first 2 shown]
	v_add_f64 v[128:129], v[68:69], v[128:129]
	v_add_f64 v[126:127], v[66:67], v[126:127]
	v_cvt_f32_f64_e32 v222, v[222:223]
	v_cvt_f32_f64_e32 v224, v[224:225]
	;; [unrolled: 1-line block ×4, first 2 shown]
	v_add_f64 v[128:129], v[98:99], v[122:123]
	v_min3_f32 v215, v224, v222, v215
	v_min3_f32 v214, v126, v127, v214
	v_add_f64 v[126:127], v[100:101], v[124:125]
	v_cvt_f32_f64_e32 v128, v[128:129]
	v_cvt_f32_f64_e32 v126, v[126:127]
	v_min3_f32 v213, v128, v126, v213
	v_add_f64 v[126:127], v[96:97], v[124:125]
	v_add_f64 v[128:129], v[94:95], v[122:123]
	v_cvt_f32_f64_e32 v126, v[126:127]
	v_cvt_f32_f64_e32 v128, v[128:129]
	v_min3_f32 v212, v128, v126, v212
	v_add_f64 v[126:127], v[92:93], v[124:125]
	;; [unrolled: 5-line block ×6, first 2 shown]
	v_add_f64 v[128:129], v[70:71], v[122:123]
	v_add_f64 v[124:125], v[68:69], v[124:125]
	;; [unrolled: 1-line block ×3, first 2 shown]
	v_cvt_f32_f64_e32 v126, v[126:127]
	v_cvt_f32_f64_e32 v128, v[128:129]
	;; [unrolled: 1-line block ×4, first 2 shown]
	v_add_f64 v[124:125], v[98:99], v[118:119]
	v_min3_f32 v207, v128, v126, v207
	v_min3_f32 v206, v122, v123, v206
	v_add_f64 v[122:123], v[100:101], v[120:121]
	v_cvt_f32_f64_e32 v124, v[124:125]
	v_add_f64 v[125:126], v[94:95], v[118:119]
	v_cvt_f32_f64_e32 v122, v[122:123]
	v_cvt_f32_f64_e32 v125, v[125:126]
	v_min3_f32 v122, v124, v122, v205
	v_add_f64 v[123:124], v[96:97], v[120:121]
	v_cvt_f32_f64_e32 v123, v[123:124]
	v_min3_f32 v204, v125, v123, v204
	v_add_f64 v[123:124], v[92:93], v[120:121]
	v_add_f64 v[125:126], v[90:91], v[118:119]
	v_cvt_f32_f64_e32 v123, v[123:124]
	v_cvt_f32_f64_e32 v125, v[125:126]
	v_min3_f32 v203, v125, v123, v203
	v_add_f64 v[123:124], v[88:89], v[120:121]
	v_add_f64 v[125:126], v[86:87], v[118:119]
	v_cvt_f32_f64_e32 v123, v[123:124]
	;; [unrolled: 5-line block ×4, first 2 shown]
	v_cvt_f32_f64_e32 v125, v[125:126]
	v_min3_f32 v200, v125, v123, v200
	v_add_f64 v[123:124], v[72:73], v[120:121]
	v_add_f64 v[125:126], v[70:71], v[118:119]
	;; [unrolled: 1-line block ×4, first 2 shown]
	v_cvt_f32_f64_e32 v123, v[123:124]
	v_cvt_f32_f64_e32 v125, v[125:126]
	v_cvt_f32_f64_e32 v118, v[118:119]
	v_cvt_f32_f64_e32 v119, v[120:121]
	v_add_f64 v[120:121], v[98:99], v[114:115]
	v_min3_f32 v199, v125, v123, v199
	v_add_f64 v[123:124], v[82:83], v[114:115]
	v_add_f64 v[125:126], v[70:71], v[114:115]
	v_min3_f32 v198, v118, v119, v198
	v_add_f64 v[118:119], v[100:101], v[116:117]
	v_cvt_f32_f64_e32 v120, v[120:121]
	v_cvt_f32_f64_e32 v118, v[118:119]
	v_min3_f32 v197, v120, v118, v197
	v_add_f64 v[118:119], v[96:97], v[116:117]
	v_add_f64 v[120:121], v[94:95], v[114:115]
	v_cvt_f32_f64_e32 v118, v[118:119]
	v_cvt_f32_f64_e32 v120, v[120:121]
	v_min3_f32 v196, v120, v118, v196
	v_add_f64 v[118:119], v[92:93], v[116:117]
	;; [unrolled: 5-line block ×3, first 2 shown]
	v_add_f64 v[120:121], v[86:87], v[114:115]
	v_cvt_f32_f64_e32 v118, v[118:119]
	v_cvt_f32_f64_e32 v120, v[120:121]
	;; [unrolled: 1-line block ×3, first 2 shown]
	v_add_f64 v[123:124], v[78:79], v[114:115]
	v_add_f64 v[114:115], v[66:67], v[114:115]
	v_min3_f32 v118, v120, v118, v194
	v_add_f64 v[119:120], v[84:85], v[116:117]
	v_cvt_f32_f64_e32 v123, v[123:124]
	v_cvt_f32_f64_e32 v114, v[114:115]
	;; [unrolled: 1-line block ×3, first 2 shown]
	v_min3_f32 v119, v121, v119, v193
	v_add_f64 v[120:121], v[80:81], v[116:117]
	v_cvt_f32_f64_e32 v120, v[120:121]
	v_cvt_f32_f64_e32 v121, v[125:126]
	v_add_f64 v[125:126], v[90:91], v[110:111]
	v_min3_f32 v120, v123, v120, v192
	v_add_f64 v[123:124], v[72:73], v[116:117]
	v_add_f64 v[116:117], v[68:69], v[116:117]
	v_cvt_f32_f64_e32 v123, v[123:124]
	v_cvt_f32_f64_e32 v115, v[116:117]
	v_min3_f32 v121, v121, v123, v191
	v_min3_f32 v114, v114, v115, v190
	v_add_f64 v[115:116], v[100:101], v[112:113]
	v_add_f64 v[123:124], v[98:99], v[110:111]
	v_cvt_f32_f64_e32 v115, v[115:116]
	v_cvt_f32_f64_e32 v117, v[123:124]
	v_add_f64 v[123:124], v[94:95], v[110:111]
	v_min3_f32 v115, v117, v115, v189
	v_add_f64 v[116:117], v[96:97], v[112:113]
	v_cvt_f32_f64_e32 v123, v[123:124]
	v_cvt_f32_f64_e32 v116, v[116:117]
	;; [unrolled: 1-line block ×3, first 2 shown]
	v_add_f64 v[125:126], v[86:87], v[110:111]
	v_min3_f32 v116, v123, v116, v188
	v_add_f64 v[123:124], v[92:93], v[112:113]
	v_cvt_f32_f64_e32 v125, v[125:126]
	v_add_f64 v[126:127], v[82:83], v[110:111]
	v_cvt_f32_f64_e32 v123, v[123:124]
	v_cvt_f32_f64_e32 v126, v[126:127]
	v_add_f64 v[127:128], v[78:79], v[110:111]
	v_min3_f32 v117, v117, v123, v187
	v_add_f64 v[123:124], v[88:89], v[112:113]
	v_cvt_f32_f64_e32 v127, v[127:128]
	v_cvt_f32_f64_e32 v123, v[123:124]
	v_min3_f32 v123, v125, v123, v186
	v_add_f64 v[124:125], v[84:85], v[112:113]
	v_cvt_f32_f64_e32 v124, v[124:125]
	v_min3_f32 v124, v126, v124, v185
	v_add_f64 v[125:126], v[80:81], v[112:113]
	;; [unrolled: 3-line block ×3, first 2 shown]
	v_add_f64 v[127:128], v[70:71], v[110:111]
	v_add_f64 v[112:113], v[68:69], v[112:113]
	;; [unrolled: 1-line block ×3, first 2 shown]
	v_cvt_f32_f64_e32 v125, v[125:126]
	v_cvt_f32_f64_e32 v127, v[127:128]
	;; [unrolled: 1-line block ×4, first 2 shown]
	v_min3_f32 v125, v127, v125, v183
	v_add_f64 v[126:127], v[98:99], v[106:107]
	v_min3_f32 v112, v110, v111, v182
	v_add_f64 v[110:111], v[100:101], v[108:109]
	v_cvt_f32_f64_e32 v113, v[126:127]
	v_add_f64 v[126:127], v[94:95], v[106:107]
	v_cvt_f32_f64_e32 v110, v[110:111]
	v_cvt_f32_f64_e32 v126, v[126:127]
	v_add_f64 v[127:128], v[90:91], v[106:107]
	v_min3_f32 v113, v113, v110, v181
	v_add_f64 v[110:111], v[96:97], v[108:109]
	v_add_f64 v[181:182], v[82:83], v[106:107]
	v_cvt_f32_f64_e32 v127, v[127:128]
	v_add_f64 v[128:129], v[86:87], v[106:107]
	v_cvt_f32_f64_e32 v110, v[110:111]
	v_cvt_f32_f64_e32 v128, v[128:129]
	v_min3_f32 v126, v126, v110, v176
	v_add_f64 v[110:111], v[92:93], v[108:109]
	v_cvt_f32_f64_e32 v129, v[181:182]
	v_cvt_f32_f64_e32 v110, v[110:111]
	v_min3_f32 v127, v127, v110, v174
	v_add_f64 v[110:111], v[88:89], v[108:109]
	v_cvt_f32_f64_e32 v110, v[110:111]
	v_min3_f32 v128, v128, v110, v170
	v_add_f64 v[110:111], v[84:85], v[108:109]
	;; [unrolled: 3-line block ×3, first 2 shown]
	v_add_f64 v[169:170], v[78:79], v[106:107]
	v_cvt_f32_f64_e32 v110, v[110:111]
	v_cvt_f32_f64_e32 v169, v[169:170]
	v_min3_f32 v168, v169, v110, v168
	v_add_f64 v[110:111], v[72:73], v[108:109]
	v_add_f64 v[169:170], v[70:71], v[106:107]
	;; [unrolled: 1-line block ×4, first 2 shown]
	v_cvt_f32_f64_e32 v110, v[110:111]
	v_cvt_f32_f64_e32 v169, v[169:170]
	;; [unrolled: 1-line block ×4, first 2 shown]
	v_add_f64 v[108:109], v[98:99], v[102:103]
	v_add_f64 v[98:99], v[98:99], v[74:75]
	v_min3_f32 v167, v169, v110, v167
	v_min3_f32 v166, v106, v107, v166
	v_add_f64 v[106:107], v[100:101], v[104:105]
	v_cvt_f32_f64_e32 v108, v[108:109]
	v_add_f64 v[100:101], v[100:101], v[76:77]
	v_cvt_f32_f64_e32 v98, v[98:99]
	v_cvt_f32_f64_e32 v106, v[106:107]
	;; [unrolled: 1-line block ×3, first 2 shown]
	v_min3_f32 v165, v108, v106, v165
	v_add_f64 v[106:107], v[96:97], v[104:105]
	v_add_f64 v[108:109], v[94:95], v[102:103]
	;; [unrolled: 1-line block ×4, first 2 shown]
	v_min3_f32 v98, v98, v99, v157
	v_add_f64 v[99:100], v[10:11], v[46:47]
	v_cvt_f32_f64_e32 v106, v[106:107]
	v_cvt_f32_f64_e32 v108, v[108:109]
	v_add_f64 v[109:110], v[90:91], v[102:103]
	v_add_f64 v[90:91], v[90:91], v[74:75]
	v_cvt_f32_f64_e32 v94, v[94:95]
	v_cvt_f32_f64_e32 v95, v[96:97]
	v_min3_f32 v106, v108, v106, v164
	v_add_f64 v[107:108], v[92:93], v[104:105]
	v_cvt_f32_f64_e32 v109, v[109:110]
	v_add_f64 v[110:111], v[86:87], v[102:103]
	v_add_f64 v[86:87], v[86:87], v[74:75]
	v_add_f64 v[92:93], v[92:93], v[76:77]
	v_cvt_f32_f64_e32 v90, v[90:91]
	v_min3_f32 v94, v94, v95, v156
	v_add_f64 v[95:96], v[6:7], v[50:51]
	v_cvt_f32_f64_e32 v107, v[107:108]
	v_cvt_f32_f64_e32 v110, v[110:111]
	;; [unrolled: 1-line block ×4, first 2 shown]
	v_min3_f32 v107, v109, v107, v163
	v_add_f64 v[108:109], v[88:89], v[104:105]
	v_add_f64 v[88:89], v[88:89], v[76:77]
	v_min3_f32 v90, v90, v91, v155
	v_add_f64 v[91:92], v[26:27], v[50:51]
	v_cvt_f32_f64_e32 v108, v[108:109]
	v_cvt_f32_f64_e32 v87, v[88:89]
	v_min3_f32 v108, v110, v108, v162
	v_add_f64 v[109:110], v[84:85], v[104:105]
	v_add_f64 v[162:163], v[82:83], v[102:103]
	;; [unrolled: 1-line block ×4, first 2 shown]
	v_min3_f32 v86, v86, v87, v154
	v_add_f64 v[87:88], v[14:15], v[54:55]
	v_cvt_f32_f64_e32 v109, v[109:110]
	v_cvt_f32_f64_e32 v111, v[162:163]
	;; [unrolled: 1-line block ×4, first 2 shown]
	v_min3_f32 v109, v111, v109, v161
	v_add_f64 v[110:111], v[80:81], v[104:105]
	v_add_f64 v[161:162], v[78:79], v[102:103]
	;; [unrolled: 1-line block ×4, first 2 shown]
	v_min3_f32 v82, v82, v83, v153
	v_add_f64 v[83:84], v[10:11], v[58:59]
	v_cvt_f32_f64_e32 v110, v[110:111]
	v_cvt_f32_f64_e32 v161, v[161:162]
	v_add_f64 v[162:163], v[70:71], v[102:103]
	v_add_f64 v[102:103], v[66:67], v[102:103]
	;; [unrolled: 1-line block ×5, first 2 shown]
	v_cvt_f32_f64_e32 v78, v[78:79]
	v_cvt_f32_f64_e32 v79, v[80:81]
	v_min3_f32 v110, v161, v110, v160
	v_add_f64 v[160:161], v[72:73], v[104:105]
	v_add_f64 v[104:105], v[68:69], v[104:105]
	;; [unrolled: 1-line block ×4, first 2 shown]
	v_cvt_f32_f64_e32 v66, v[66:67]
	v_cvt_f32_f64_e32 v70, v[70:71]
	v_add_f64 v[76:77], v[14:15], v[62:63]
	v_min3_f32 v78, v78, v79, v152
	v_add_f64 v[79:80], v[26:27], v[58:59]
	v_cvt_f32_f64_e32 v102, v[102:103]
	v_cvt_f32_f64_e32 v111, v[162:163]
	;; [unrolled: 1-line block ×6, first 2 shown]
	v_add_f64 v[68:69], v[34:35], v[62:63]
	v_min3_f32 v111, v111, v160, v159
	v_min3_f32 v102, v102, v103, v158
	;; [unrolled: 1-line block ×3, first 2 shown]
	v_add_f64 v[66:67], v[36:37], v[64:65]
	v_cvt_f32_f64_e32 v68, v[68:69]
	v_min3_f32 v71, v70, v71, v151
	v_add_f64 v[69:70], v[30:31], v[62:63]
	v_cvt_f32_f64_e32 v66, v[66:67]
	v_cvt_f32_f64_e32 v69, v[69:70]
	;; [unrolled: 1-line block ×3, first 2 shown]
	v_add_f64 v[74:75], v[18:19], v[62:63]
	v_min3_f32 v66, v68, v66, v221
	v_add_f64 v[67:68], v[32:33], v[64:65]
	v_cvt_f32_f64_e32 v72, v[74:75]
	v_add_f64 v[74:75], v[16:17], v[64:65]
	v_cvt_f32_f64_e32 v67, v[67:68]
	v_min3_f32 v67, v69, v67, v220
	v_add_f64 v[68:69], v[28:29], v[64:65]
	v_cvt_f32_f64_e32 v68, v[68:69]
	v_min3_f32 v68, v70, v68, v219
	v_add_f64 v[69:70], v[20:21], v[64:65]
	v_cvt_f32_f64_e32 v69, v[69:70]
	v_cvt_f32_f64_e32 v70, v[76:77]
	v_add_f64 v[76:77], v[10:11], v[62:63]
	v_min3_f32 v69, v72, v69, v218
	v_cvt_f32_f64_e32 v72, v[74:75]
	v_add_f64 v[74:75], v[12:13], v[64:65]
	v_min3_f32 v70, v70, v72, v217
	v_cvt_f32_f64_e32 v72, v[76:77]
	v_cvt_f32_f64_e32 v74, v[74:75]
	v_add_f64 v[76:77], v[6:7], v[62:63]
	v_add_f64 v[62:63], v[2:3], v[62:63]
	v_min3_f32 v72, v72, v74, v216
	v_add_f64 v[74:75], v[8:9], v[64:65]
	v_add_f64 v[64:65], v[4:5], v[64:65]
	v_cvt_f32_f64_e32 v76, v[76:77]
	v_cvt_f32_f64_e32 v62, v[62:63]
	;; [unrolled: 1-line block ×4, first 2 shown]
	v_min3_f32 v74, v76, v74, v215
	v_min3_f32 v62, v62, v63, v214
	v_add_f64 v[63:64], v[36:37], v[60:61]
	v_add_f64 v[75:76], v[34:35], v[58:59]
	v_cvt_f32_f64_e32 v63, v[63:64]
	v_cvt_f32_f64_e32 v65, v[75:76]
	v_add_f64 v[75:76], v[30:31], v[58:59]
	v_min3_f32 v63, v65, v63, v213
	v_add_f64 v[64:65], v[32:33], v[60:61]
	v_cvt_f32_f64_e32 v75, v[75:76]
	v_cvt_f32_f64_e32 v64, v[64:65]
	;; [unrolled: 1-line block ×3, first 2 shown]
	v_add_f64 v[79:80], v[18:19], v[58:59]
	v_min3_f32 v64, v75, v64, v212
	v_add_f64 v[75:76], v[28:29], v[60:61]
	v_cvt_f32_f64_e32 v77, v[79:80]
	v_add_f64 v[79:80], v[14:15], v[58:59]
	v_cvt_f32_f64_e32 v75, v[75:76]
	v_cvt_f32_f64_e32 v79, v[79:80]
	v_min3_f32 v65, v65, v75, v211
	v_add_f64 v[75:76], v[20:21], v[60:61]
	v_cvt_f32_f64_e32 v75, v[75:76]
	v_min3_f32 v75, v77, v75, v210
	v_add_f64 v[76:77], v[16:17], v[60:61]
	v_cvt_f32_f64_e32 v76, v[76:77]
	v_cvt_f32_f64_e32 v77, v[83:84]
	v_add_f64 v[83:84], v[6:7], v[58:59]
	v_add_f64 v[58:59], v[2:3], v[58:59]
	v_min3_f32 v76, v79, v76, v209
	v_add_f64 v[79:80], v[12:13], v[60:61]
	v_cvt_f32_f64_e32 v81, v[83:84]
	v_cvt_f32_f64_e32 v58, v[58:59]
	v_add_f64 v[83:84], v[26:27], v[54:55]
	v_cvt_f32_f64_e32 v79, v[79:80]
	v_min3_f32 v77, v77, v79, v208
	v_add_f64 v[79:80], v[8:9], v[60:61]
	v_add_f64 v[60:61], v[4:5], v[60:61]
	v_cvt_f32_f64_e32 v79, v[79:80]
	v_cvt_f32_f64_e32 v59, v[60:61]
	v_min3_f32 v79, v81, v79, v207
	v_min3_f32 v58, v58, v59, v206
	v_add_f64 v[59:60], v[36:37], v[56:57]
	v_add_f64 v[80:81], v[34:35], v[54:55]
	v_cvt_f32_f64_e32 v59, v[59:60]
	v_cvt_f32_f64_e32 v61, v[80:81]
	v_add_f64 v[80:81], v[30:31], v[54:55]
	v_min3_f32 v59, v61, v59, v122
	v_add_f64 v[60:61], v[32:33], v[56:57]
	v_cvt_f32_f64_e32 v80, v[80:81]
	v_cvt_f32_f64_e32 v60, v[60:61]
	;; [unrolled: 1-line block ×3, first 2 shown]
	v_add_f64 v[83:84], v[18:19], v[54:55]
	v_min3_f32 v60, v80, v60, v204
	v_add_f64 v[80:81], v[28:29], v[56:57]
	v_cvt_f32_f64_e32 v83, v[83:84]
	v_cvt_f32_f64_e32 v80, v[80:81]
	v_min3_f32 v61, v61, v80, v203
	v_add_f64 v[80:81], v[20:21], v[56:57]
	v_cvt_f32_f64_e32 v80, v[80:81]
	v_cvt_f32_f64_e32 v81, v[87:88]
	v_add_f64 v[87:88], v[10:11], v[54:55]
	v_min3_f32 v80, v83, v80, v202
	v_add_f64 v[83:84], v[16:17], v[56:57]
	v_cvt_f32_f64_e32 v85, v[87:88]
	v_add_f64 v[87:88], v[6:7], v[54:55]
	v_add_f64 v[54:55], v[2:3], v[54:55]
	v_cvt_f32_f64_e32 v83, v[83:84]
	v_cvt_f32_f64_e32 v87, v[87:88]
	;; [unrolled: 1-line block ×3, first 2 shown]
	v_min3_f32 v81, v81, v83, v201
	v_add_f64 v[83:84], v[12:13], v[56:57]
	v_cvt_f32_f64_e32 v83, v[83:84]
	v_min3_f32 v83, v85, v83, v200
	v_add_f64 v[84:85], v[8:9], v[56:57]
	v_add_f64 v[56:57], v[4:5], v[56:57]
	v_cvt_f32_f64_e32 v84, v[84:85]
	v_cvt_f32_f64_e32 v55, v[56:57]
	v_min3_f32 v84, v87, v84, v199
	v_min3_f32 v54, v54, v55, v198
	v_add_f64 v[55:56], v[36:37], v[52:53]
	v_add_f64 v[87:88], v[34:35], v[50:51]
	v_cvt_f32_f64_e32 v55, v[55:56]
	v_cvt_f32_f64_e32 v57, v[87:88]
	v_add_f64 v[87:88], v[30:31], v[50:51]
	v_min3_f32 v55, v57, v55, v197
	v_add_f64 v[56:57], v[32:33], v[52:53]
	v_cvt_f32_f64_e32 v85, v[87:88]
	v_add_f64 v[87:88], v[28:29], v[52:53]
	v_cvt_f32_f64_e32 v56, v[56:57]
	v_cvt_f32_f64_e32 v57, v[91:92]
	v_add_f64 v[91:92], v[18:19], v[50:51]
	v_min3_f32 v56, v85, v56, v196
	v_cvt_f32_f64_e32 v85, v[87:88]
	v_add_f64 v[87:88], v[20:21], v[52:53]
	v_min3_f32 v57, v57, v85, v195
	v_cvt_f32_f64_e32 v85, v[91:92]
	v_cvt_f32_f64_e32 v87, v[87:88]
	v_add_f64 v[91:92], v[14:15], v[50:51]
	v_min3_f32 v85, v85, v87, v118
	v_add_f64 v[87:88], v[16:17], v[52:53]
	v_cvt_f32_f64_e32 v89, v[91:92]
	v_add_f64 v[91:92], v[10:11], v[50:51]
	v_add_f64 v[50:51], v[2:3], v[50:51]
	v_cvt_f32_f64_e32 v87, v[87:88]
	v_cvt_f32_f64_e32 v91, v[91:92]
	;; [unrolled: 1-line block ×3, first 2 shown]
	v_min3_f32 v87, v89, v87, v119
	v_add_f64 v[88:89], v[12:13], v[52:53]
	v_cvt_f32_f64_e32 v88, v[88:89]
	v_cvt_f32_f64_e32 v89, v[95:96]
	v_add_f64 v[95:96], v[26:27], v[46:47]
	v_min3_f32 v88, v91, v88, v120
	v_add_f64 v[91:92], v[8:9], v[52:53]
	v_add_f64 v[52:53], v[4:5], v[52:53]
	v_cvt_f32_f64_e32 v91, v[91:92]
	v_cvt_f32_f64_e32 v51, v[52:53]
	v_min3_f32 v89, v89, v91, v121
	v_min3_f32 v50, v50, v51, v114
	v_add_f64 v[51:52], v[36:37], v[48:49]
	v_add_f64 v[91:92], v[34:35], v[46:47]
	v_cvt_f32_f64_e32 v51, v[51:52]
	v_cvt_f32_f64_e32 v53, v[91:92]
	v_add_f64 v[91:92], v[30:31], v[46:47]
	v_min3_f32 v51, v53, v51, v115
	v_add_f64 v[52:53], v[32:33], v[48:49]
	v_cvt_f32_f64_e32 v91, v[91:92]
	v_cvt_f32_f64_e32 v52, v[52:53]
	;; [unrolled: 1-line block ×3, first 2 shown]
	v_add_f64 v[95:96], v[18:19], v[46:47]
	v_min3_f32 v52, v91, v52, v116
	v_add_f64 v[91:92], v[28:29], v[48:49]
	v_cvt_f32_f64_e32 v93, v[95:96]
	v_add_f64 v[95:96], v[14:15], v[46:47]
	v_cvt_f32_f64_e32 v91, v[91:92]
	v_cvt_f32_f64_e32 v95, v[95:96]
	v_min3_f32 v53, v53, v91, v117
	v_add_f64 v[91:92], v[20:21], v[48:49]
	v_cvt_f32_f64_e32 v91, v[91:92]
	v_min3_f32 v91, v93, v91, v123
	v_add_f64 v[92:93], v[16:17], v[48:49]
	v_cvt_f32_f64_e32 v92, v[92:93]
	v_cvt_f32_f64_e32 v93, v[99:100]
	v_add_f64 v[99:100], v[6:7], v[46:47]
	v_add_f64 v[46:47], v[2:3], v[46:47]
	v_min3_f32 v92, v95, v92, v124
	v_add_f64 v[95:96], v[12:13], v[48:49]
	v_cvt_f32_f64_e32 v46, v[46:47]
	v_cvt_f32_f64_e32 v95, v[95:96]
	v_min3_f32 v150, v93, v95, v184
	v_add_f64 v[95:96], v[8:9], v[48:49]
	v_add_f64 v[48:49], v[4:5], v[48:49]
	v_cvt_f32_f64_e32 v93, v[99:100]
	v_add_f64 v[99:100], v[26:27], v[42:43]
	v_cvt_f32_f64_e32 v95, v[95:96]
	v_cvt_f32_f64_e32 v47, v[48:49]
	v_min3_f32 v151, v93, v95, v125
	v_min3_f32 v46, v46, v47, v112
	v_add_f64 v[47:48], v[36:37], v[44:45]
	v_add_f64 v[95:96], v[34:35], v[42:43]
	v_cvt_f32_f64_e32 v47, v[47:48]
	v_cvt_f32_f64_e32 v49, v[95:96]
	v_add_f64 v[95:96], v[30:31], v[42:43]
	v_min3_f32 v47, v49, v47, v113
	v_add_f64 v[48:49], v[32:33], v[44:45]
	v_cvt_f32_f64_e32 v93, v[95:96]
	v_add_f64 v[95:96], v[28:29], v[44:45]
	v_cvt_f32_f64_e32 v48, v[48:49]
	v_cvt_f32_f64_e32 v49, v[99:100]
	v_add_f64 v[99:100], v[18:19], v[42:43]
	v_min3_f32 v48, v93, v48, v126
	v_cvt_f32_f64_e32 v93, v[95:96]
	v_add_f64 v[95:96], v[20:21], v[44:45]
	v_min3_f32 v49, v49, v93, v127
	v_cvt_f32_f64_e32 v93, v[99:100]
	v_cvt_f32_f64_e32 v95, v[95:96]
	v_add_f64 v[99:100], v[14:15], v[42:43]
	v_min3_f32 v152, v93, v95, v128
	v_add_f64 v[95:96], v[16:17], v[44:45]
	v_cvt_f32_f64_e32 v93, v[99:100]
	v_add_f64 v[99:100], v[10:11], v[42:43]
	v_cvt_f32_f64_e32 v95, v[95:96]
	v_min3_f32 v153, v93, v95, v129
	v_add_f64 v[95:96], v[12:13], v[44:45]
	v_cvt_f32_f64_e32 v93, v[99:100]
	v_add_f64 v[99:100], v[6:7], v[42:43]
	v_add_f64 v[42:43], v[2:3], v[42:43]
	v_cvt_f32_f64_e32 v95, v[95:96]
	v_cvt_f32_f64_e32 v42, v[42:43]
	v_min3_f32 v154, v93, v95, v168
	v_add_f64 v[95:96], v[8:9], v[44:45]
	v_add_f64 v[44:45], v[4:5], v[44:45]
	v_cvt_f32_f64_e32 v93, v[99:100]
	v_add_f64 v[99:100], v[26:27], v[38:39]
	v_add_f64 v[26:27], v[26:27], v[22:23]
	v_cvt_f32_f64_e32 v95, v[95:96]
	v_cvt_f32_f64_e32 v43, v[44:45]
	;; [unrolled: 1-line block ×3, first 2 shown]
	v_min3_f32 v155, v93, v95, v167
	v_min3_f32 v42, v42, v43, v166
	v_add_f64 v[43:44], v[36:37], v[40:41]
	v_add_f64 v[95:96], v[34:35], v[38:39]
	;; [unrolled: 1-line block ×4, first 2 shown]
	v_cvt_f32_f64_e32 v43, v[43:44]
	v_cvt_f32_f64_e32 v45, v[95:96]
	v_add_f64 v[95:96], v[30:31], v[38:39]
	v_add_f64 v[30:31], v[30:31], v[22:23]
	v_cvt_f32_f64_e32 v34, v[34:35]
	v_cvt_f32_f64_e32 v35, v[36:37]
	v_min3_f32 v43, v45, v43, v165
	v_add_f64 v[44:45], v[32:33], v[40:41]
	v_cvt_f32_f64_e32 v93, v[95:96]
	v_add_f64 v[95:96], v[28:29], v[40:41]
	v_add_f64 v[32:33], v[32:33], v[24:25]
	;; [unrolled: 1-line block ×3, first 2 shown]
	v_cvt_f32_f64_e32 v30, v[30:31]
	v_min3_f32 v193, v34, v35, v98
	v_cvt_f32_f64_e32 v44, v[44:45]
	v_cvt_f32_f64_e32 v45, v[99:100]
	v_add_f64 v[99:100], v[18:19], v[38:39]
	v_add_f64 v[18:19], v[18:19], v[22:23]
	v_cvt_f32_f64_e32 v31, v[32:33]
	v_cvt_f32_f64_e32 v27, v[28:29]
	v_min3_f32 v44, v93, v44, v106
	v_cvt_f32_f64_e32 v93, v[95:96]
	v_add_f64 v[95:96], v[20:21], v[40:41]
	v_add_f64 v[20:21], v[20:21], v[24:25]
	v_cvt_f32_f64_e32 v18, v[18:19]
	v_min3_f32 v194, v30, v31, v94
	v_min3_f32 v195, v26, v27, v90
	;; [unrolled: 1-line block ×3, first 2 shown]
	v_cvt_f32_f64_e32 v93, v[99:100]
	v_cvt_f32_f64_e32 v95, v[95:96]
	v_add_f64 v[99:100], v[14:15], v[38:39]
	v_add_f64 v[14:15], v[14:15], v[22:23]
	v_cvt_f32_f64_e32 v19, v[20:21]
	v_min3_f32 v156, v93, v95, v108
	v_add_f64 v[95:96], v[16:17], v[40:41]
	v_cvt_f32_f64_e32 v93, v[99:100]
	v_add_f64 v[99:100], v[10:11], v[38:39]
	v_add_f64 v[16:17], v[16:17], v[24:25]
	;; [unrolled: 1-line block ×3, first 2 shown]
	v_cvt_f32_f64_e32 v14, v[14:15]
	v_min3_f32 v196, v18, v19, v86
	v_cvt_f32_f64_e32 v95, v[95:96]
	v_cvt_f32_f64_e32 v15, v[16:17]
	;; [unrolled: 1-line block ×3, first 2 shown]
	v_min3_f32 v157, v93, v95, v109
	v_add_f64 v[95:96], v[12:13], v[40:41]
	v_cvt_f32_f64_e32 v93, v[99:100]
	v_add_f64 v[99:100], v[6:7], v[38:39]
	v_add_f64 v[38:39], v[2:3], v[38:39]
	;; [unrolled: 1-line block ×5, first 2 shown]
	v_min3_f32 v197, v14, v15, v82
	v_cvt_f32_f64_e32 v95, v[95:96]
	v_cvt_f32_f64_e32 v38, v[38:39]
	;; [unrolled: 1-line block ×5, first 2 shown]
	v_min3_f32 v158, v93, v95, v110
	v_add_f64 v[95:96], v[8:9], v[40:41]
	v_add_f64 v[40:41], v[4:5], v[40:41]
	;; [unrolled: 1-line block ×4, first 2 shown]
	v_cvt_f32_f64_e32 v93, v[99:100]
	v_min3_f32 v198, v10, v11, v78
	v_cvt_f32_f64_e32 v95, v[95:96]
	v_cvt_f32_f64_e32 v39, v[40:41]
	;; [unrolled: 1-line block ×4, first 2 shown]
	v_min3_f32 v174, v93, v95, v111
	v_min3_f32 v176, v38, v39, v102
	;; [unrolled: 1-line block ×4, first 2 shown]
	ds_read_b128 v[6:9], v172 offset:256
	ds_read_b128 v[10:13], v172 offset:512
	;; [unrolled: 1-line block ×14, first 2 shown]
	ds_read_b128 v[97:100], v147
	ds_read_b128 v[34:37], v147 offset:16
	ds_read_b128 v[189:192], v172
	ds_read_b128 v[2:5], v172 offset:16
	s_waitcnt lgkmcnt(1)
	v_add_f64 v[101:102], v[191:192], v[99:100]
	v_add_f64 v[103:104], v[189:190], v[97:98]
	v_cvt_f32_f64_e32 v73, v[101:102]
	v_cvt_f32_f64_e32 v71, v[103:104]
	v_add_f64 v[101:102], v[8:9], v[99:100]
	v_add_f64 v[103:104], v[6:7], v[97:98]
	v_min3_f32 v129, v71, v73, v66
	v_cvt_f32_f64_e32 v71, v[101:102]
	v_cvt_f32_f64_e32 v66, v[103:104]
	v_add_f64 v[101:102], v[10:11], v[97:98]
	v_min3_f32 v128, v66, v71, v67
	v_add_f64 v[66:67], v[12:13], v[99:100]
	v_cvt_f32_f64_e32 v71, v[101:102]
	v_add_f64 v[101:102], v[14:15], v[97:98]
	v_cvt_f32_f64_e32 v66, v[66:67]
	v_min3_f32 v127, v71, v66, v68
	v_add_f64 v[66:67], v[16:17], v[99:100]
	v_cvt_f32_f64_e32 v68, v[101:102]
	v_cvt_f32_f64_e32 v66, v[66:67]
	v_min3_f32 v126, v68, v66, v69
	v_add_f64 v[66:67], v[20:21], v[99:100]
	v_add_f64 v[68:69], v[18:19], v[97:98]
	v_cvt_f32_f64_e32 v66, v[66:67]
	v_cvt_f32_f64_e32 v68, v[68:69]
	v_min3_f32 v125, v68, v66, v70
	v_add_f64 v[66:67], v[24:25], v[99:100]
	;; [unrolled: 5-line block ×11, first 2 shown]
	v_add_f64 v[64:65], v[26:27], v[38:39]
	v_add_f64 v[40:41], v[32:33], v[40:41]
	;; [unrolled: 1-line block ×3, first 2 shown]
	v_cvt_f32_f64_e32 v62, v[62:63]
	v_cvt_f32_f64_e32 v64, v[64:65]
	;; [unrolled: 1-line block ×4, first 2 shown]
	v_add_f64 v[40:41], v[189:190], v[93:94]
	v_min3_f32 v115, v64, v62, v79
	v_min3_f32 v114, v38, v39, v58
	v_add_f64 v[38:39], v[191:192], v[95:96]
	v_cvt_f32_f64_e32 v40, v[40:41]
	v_cvt_f32_f64_e32 v38, v[38:39]
	v_min3_f32 v113, v40, v38, v59
	v_add_f64 v[38:39], v[8:9], v[95:96]
	v_add_f64 v[40:41], v[6:7], v[93:94]
	v_cvt_f32_f64_e32 v38, v[38:39]
	v_cvt_f32_f64_e32 v40, v[40:41]
	v_min3_f32 v112, v40, v38, v60
	v_add_f64 v[38:39], v[12:13], v[95:96]
	;; [unrolled: 5-line block ×23, first 2 shown]
	v_add_f64 v[40:41], v[30:31], v[163:164]
	s_waitcnt lgkmcnt(0)
	v_add_f64 v[150:151], v[4:5], v[36:37]
	v_cvt_f32_f64_e32 v38, v[38:39]
	v_cvt_f32_f64_e32 v40, v[40:41]
	;; [unrolled: 1-line block ×3, first 2 shown]
	v_min3_f32 v90, v40, v38, v46
	v_add_f64 v[38:39], v[191:192], v[169:170]
	v_add_f64 v[40:41], v[189:190], v[167:168]
	v_cvt_f32_f64_e32 v38, v[38:39]
	v_cvt_f32_f64_e32 v40, v[40:41]
	v_min3_f32 v89, v40, v38, v47
	v_add_f64 v[38:39], v[8:9], v[169:170]
	v_add_f64 v[40:41], v[6:7], v[167:168]
	v_cvt_f32_f64_e32 v38, v[38:39]
	v_cvt_f32_f64_e32 v40, v[40:41]
	;; [unrolled: 5-line block ×5, first 2 shown]
	v_min3_f32 v85, v40, v38, v153
	v_add_f64 v[38:39], v[24:25], v[169:170]
	v_add_f64 v[40:41], v[22:23], v[167:168]
	;; [unrolled: 1-line block ×3, first 2 shown]
	v_cvt_f32_f64_e32 v38, v[38:39]
	v_cvt_f32_f64_e32 v40, v[40:41]
	;; [unrolled: 1-line block ×3, first 2 shown]
	v_min3_f32 v84, v40, v38, v154
	v_add_f64 v[38:39], v[28:29], v[169:170]
	v_add_f64 v[40:41], v[26:27], v[167:168]
	v_min3_f32 v221, v152, v150, v129
	v_cvt_f32_f64_e32 v38, v[38:39]
	v_cvt_f32_f64_e32 v40, v[40:41]
	v_min3_f32 v83, v40, v38, v155
	v_add_f64 v[38:39], v[32:33], v[169:170]
	v_add_f64 v[40:41], v[30:31], v[167:168]
	v_cvt_f32_f64_e32 v38, v[38:39]
	v_cvt_f32_f64_e32 v40, v[40:41]
	v_min3_f32 v82, v40, v38, v42
	v_add_f64 v[38:39], v[191:192], v[183:184]
	v_add_f64 v[40:41], v[189:190], v[181:182]
	v_cvt_f32_f64_e32 v38, v[38:39]
	v_cvt_f32_f64_e32 v40, v[40:41]
	v_min3_f32 v81, v40, v38, v43
	v_add_f64 v[38:39], v[8:9], v[183:184]
	v_add_f64 v[40:41], v[6:7], v[181:182]
	v_add_f64 v[8:9], v[8:9], v[187:188]
	v_add_f64 v[6:7], v[6:7], v[185:186]
	v_cvt_f32_f64_e32 v38, v[38:39]
	v_cvt_f32_f64_e32 v40, v[40:41]
	;; [unrolled: 1-line block ×4, first 2 shown]
	v_add_f64 v[8:9], v[10:11], v[185:186]
	v_min3_f32 v80, v40, v38, v44
	v_add_f64 v[38:39], v[12:13], v[183:184]
	v_add_f64 v[40:41], v[10:11], v[181:182]
	v_min3_f32 v72, v6, v7, v194
	v_add_f64 v[6:7], v[12:13], v[187:188]
	v_cvt_f32_f64_e32 v8, v[8:9]
	v_cvt_f32_f64_e32 v38, v[38:39]
	v_cvt_f32_f64_e32 v40, v[40:41]
	v_cvt_f32_f64_e32 v6, v[6:7]
	v_min3_f32 v79, v40, v38, v45
	v_add_f64 v[38:39], v[16:17], v[183:184]
	v_add_f64 v[40:41], v[14:15], v[181:182]
	v_min3_f32 v71, v8, v6, v195
	v_add_f64 v[6:7], v[16:17], v[187:188]
	v_add_f64 v[8:9], v[14:15], v[185:186]
	v_cvt_f32_f64_e32 v38, v[38:39]
	v_cvt_f32_f64_e32 v40, v[40:41]
	v_cvt_f32_f64_e32 v6, v[6:7]
	v_cvt_f32_f64_e32 v8, v[8:9]
	v_min3_f32 v78, v40, v38, v156
	v_add_f64 v[38:39], v[20:21], v[183:184]
	v_add_f64 v[40:41], v[18:19], v[181:182]
	v_min3_f32 v70, v8, v6, v196
	v_add_f64 v[6:7], v[20:21], v[187:188]
	;; [unrolled: 10-line block ×5, first 2 shown]
	v_add_f64 v[8:9], v[30:31], v[185:186]
	v_cvt_f32_f64_e32 v38, v[38:39]
	v_cvt_f32_f64_e32 v40, v[40:41]
	;; [unrolled: 1-line block ×4, first 2 shown]
	v_min3_f32 v74, v40, v38, v176
	v_add_f64 v[38:39], v[191:192], v[187:188]
	v_add_f64 v[40:41], v[189:190], v[185:186]
	v_min3_f32 v66, v8, v6, v200
	v_cvt_f32_f64_e32 v38, v[38:39]
	v_cvt_f32_f64_e32 v40, v[40:41]
	v_min3_f32 v73, v40, v38, v193
	ds_read_b128 v[22:25], v172 offset:272
	ds_read_b128 v[18:21], v172 offset:528
	;; [unrolled: 1-line block ×14, first 2 shown]
	ds_write_b64 v173, v[138:139]
	ds_write2st64_b64 v175, v[136:137], v[140:141] offset1:4
	ds_write2st64_b64 v175, v[142:143], v[144:145] offset0:8 offset1:12
	s_waitcnt lgkmcnt(0)
	s_barrier
	buffer_gl0_inv
	v_add_f64 v[150:151], v[24:25], v[36:37]
	v_add_f64 v[152:153], v[22:23], v[34:35]
	v_cvt_f32_f64_e32 v150, v[150:151]
	v_cvt_f32_f64_e32 v129, v[152:153]
	v_min3_f32 v220, v129, v150, v128
	v_add_f64 v[128:129], v[20:21], v[36:37]
	v_add_f64 v[150:151], v[18:19], v[34:35]
	v_cvt_f32_f64_e32 v128, v[128:129]
	v_cvt_f32_f64_e32 v150, v[150:151]
	v_min3_f32 v219, v150, v128, v127
	;; [unrolled: 5-line block ×5, first 2 shown]
	v_add_f64 v[124:125], v[32:33], v[36:37]
	v_add_f64 v[126:127], v[30:31], v[34:35]
	;; [unrolled: 1-line block ×4, first 2 shown]
	v_cvt_f32_f64_e32 v124, v[124:125]
	v_cvt_f32_f64_e32 v126, v[126:127]
	;; [unrolled: 1-line block ×4, first 2 shown]
	v_add_f64 v[36:37], v[2:3], v[62:63]
	v_min3_f32 v215, v126, v124, v123
	v_min3_f32 v214, v34, v35, v122
	v_add_f64 v[34:35], v[4:5], v[64:65]
	v_cvt_f32_f64_e32 v36, v[36:37]
	v_cvt_f32_f64_e32 v34, v[34:35]
	v_min3_f32 v213, v36, v34, v121
	v_add_f64 v[34:35], v[24:25], v[64:65]
	v_add_f64 v[36:37], v[22:23], v[62:63]
	v_cvt_f32_f64_e32 v34, v[34:35]
	v_cvt_f32_f64_e32 v36, v[36:37]
	v_min3_f32 v212, v36, v34, v120
	v_add_f64 v[34:35], v[20:21], v[64:65]
	;; [unrolled: 5-line block ×40, first 2 shown]
	v_add_f64 v[36:37], v[2:3], v[42:43]
	v_add_f64 v[4:5], v[4:5], v[40:41]
	;; [unrolled: 1-line block ×3, first 2 shown]
	v_cvt_f32_f64_e32 v34, v[34:35]
	v_cvt_f32_f64_e32 v36, v[36:37]
	;; [unrolled: 1-line block ×4, first 2 shown]
	v_add_f64 v[4:5], v[22:23], v[38:39]
	v_min3_f32 v165, v36, v34, v81
	v_add_f64 v[34:35], v[24:25], v[44:45]
	v_add_f64 v[36:37], v[22:23], v[42:43]
	v_min3_f32 v157, v2, v3, v73
	v_add_f64 v[2:3], v[24:25], v[40:41]
	v_cvt_f32_f64_e32 v4, v[4:5]
	v_cvt_f32_f64_e32 v34, v[34:35]
	v_cvt_f32_f64_e32 v36, v[36:37]
	v_cvt_f32_f64_e32 v2, v[2:3]
	v_min3_f32 v164, v36, v34, v80
	v_add_f64 v[34:35], v[20:21], v[44:45]
	v_add_f64 v[36:37], v[18:19], v[42:43]
	v_min3_f32 v156, v4, v2, v72
	v_add_f64 v[2:3], v[20:21], v[40:41]
	v_add_f64 v[4:5], v[18:19], v[38:39]
	v_cvt_f32_f64_e32 v34, v[34:35]
	v_cvt_f32_f64_e32 v36, v[36:37]
	v_cvt_f32_f64_e32 v2, v[2:3]
	v_cvt_f32_f64_e32 v4, v[4:5]
	v_min3_f32 v163, v36, v34, v79
	v_add_f64 v[34:35], v[16:17], v[44:45]
	v_add_f64 v[36:37], v[14:15], v[42:43]
	v_min3_f32 v155, v4, v2, v71
	v_add_f64 v[2:3], v[16:17], v[40:41]
	;; [unrolled: 10-line block ×6, first 2 shown]
	v_add_f64 v[4:5], v[26:27], v[38:39]
	v_cvt_f32_f64_e32 v34, v[34:35]
	v_cvt_f32_f64_e32 v36, v[36:37]
	;; [unrolled: 1-line block ×4, first 2 shown]
	v_min3_f32 v158, v36, v34, v74
	v_min3_f32 v150, v4, v2, v66
	s_cbranch_scc1 .LBB171_57
.LBB171_33:                             ; =>This Inner Loop Header: Depth=1
	v_add_nc_u32_e32 v222, s27, v146
                                        ; implicit-def: $vgpr136_vgpr137
	v_add_nc_u32_e32 v2, 8, v222
	v_cmp_le_i32_e64 s6, s14, v2
	s_or_b32 s33, vcc_lo, s6
	s_nor_b32 s7, s29, s33
	s_and_saveexec_b32 s34, s7
	s_xor_b32 s34, exec_lo, s34
	s_cbranch_execz .LBB171_35
; %bb.34:                               ;   in Loop: Header=BB171_33 Depth=1
	v_add_co_u32 v3, s7, v177, v132
	v_add_co_ci_u32_e64 v4, null, v178, v133, s7
	global_load_dwordx2 v[3:4], v[3:4], off
	s_waitcnt vmcnt(0)
	v_mul_f64 v[136:137], s[22:23], v[3:4]
.LBB171_35:                             ;   in Loop: Header=BB171_33 Depth=1
	s_andn2_saveexec_b32 s7, s34
; %bb.36:                               ;   in Loop: Header=BB171_33 Depth=1
	v_cndmask_b32_e64 v137, 0, 0x7fefffff, s33
	v_cndmask_b32_e64 v136, 0, -1, s33
; %bb.37:                               ;   in Loop: Header=BB171_33 Depth=1
	s_or_b32 exec_lo, exec_lo, s7
	v_min_i32_e32 v2, s26, v2
	s_or_b32 s33, s0, s6
	v_cndmask_b32_e64 v139, 0, 0x7fefffff, s33
	v_cndmask_b32_e64 v138, 0, -1, s33
	v_mad_i64_i32 v[2:3], null, v2, s30, 0
	v_lshlrev_b64 v[2:3], 3, v[2:3]
	v_add_co_u32 v2, s7, s24, v2
	v_add_co_ci_u32_e64 v3, null, s25, v3, s7
	s_nor_b32 s7, s29, s33
	s_and_saveexec_b32 s33, s7
	s_cbranch_execz .LBB171_39
; %bb.38:                               ;   in Loop: Header=BB171_33 Depth=1
	v_add_co_u32 v4, s7, v2, v134
	v_add_co_ci_u32_e64 v5, null, v3, v135, s7
	global_load_dwordx2 v[4:5], v[4:5], off
	s_waitcnt vmcnt(0)
	v_mul_f64 v[138:139], s[22:23], v[4:5]
.LBB171_39:                             ;   in Loop: Header=BB171_33 Depth=1
	s_or_b32 exec_lo, exec_lo, s33
	s_or_b32 s7, s1, s6
	v_cndmask_b32_e64 v141, 0, 0x7fefffff, s7
	v_cndmask_b32_e64 v140, 0, -1, s7
	s_nor_b32 s7, s29, s7
	s_and_saveexec_b32 s33, s7
	s_cbranch_execz .LBB171_41
; %bb.40:                               ;   in Loop: Header=BB171_33 Depth=1
	v_add_co_u32 v4, s7, v2, v134
	v_add_co_ci_u32_e64 v5, null, v3, v135, s7
	global_load_dwordx2 v[4:5], v[4:5], off offset:512
	s_waitcnt vmcnt(0)
	v_mul_f64 v[140:141], s[22:23], v[4:5]
.LBB171_41:                             ;   in Loop: Header=BB171_33 Depth=1
	s_or_b32 exec_lo, exec_lo, s33
	s_or_b32 s7, s2, s6
	v_cndmask_b32_e64 v143, 0, 0x7fefffff, s7
	v_cndmask_b32_e64 v142, 0, -1, s7
	s_nor_b32 s7, s29, s7
	s_and_saveexec_b32 s33, s7
	s_cbranch_execz .LBB171_43
; %bb.42:                               ;   in Loop: Header=BB171_33 Depth=1
	v_add_co_u32 v4, s7, v2, v134
	v_add_co_ci_u32_e64 v5, null, v3, v135, s7
	global_load_dwordx2 v[4:5], v[4:5], off offset:1024
	s_waitcnt vmcnt(0)
	v_mul_f64 v[142:143], s[22:23], v[4:5]
.LBB171_43:                             ;   in Loop: Header=BB171_33 Depth=1
	;; [unrolled: 14-line block ×3, first 2 shown]
	s_or_b32 exec_lo, exec_lo, s7
	ds_read_b128 v[126:129], v180
	ds_read_b128 v[62:65], v180 offset:16
	ds_read_b128 v[98:101], v179
	ds_read_b128 v[34:37], v179 offset:16
	ds_read_b128 v[94:97], v179 offset:256
	;; [unrolled: 1-line block ×29, first 2 shown]
	v_add_nc_u32_e32 v222, 12, v222
	ds_write_b64 v171, v[136:137]
	ds_write2st64_b64 v149, v[138:139], v[140:141] offset1:4
	ds_write2st64_b64 v149, v[142:143], v[144:145] offset0:8 offset1:12
	s_waitcnt lgkmcnt(0)
	s_barrier
	buffer_gl0_inv
	v_cmp_le_i32_e64 s6, s14, v222
                                        ; implicit-def: $vgpr138_vgpr139
	s_or_b32 s33, vcc_lo, s6
	s_nor_b32 s7, s29, s33
	s_and_saveexec_b32 s34, s7
	s_xor_b32 s34, exec_lo, s34
	s_cbranch_execz .LBB171_47
; %bb.46:                               ;   in Loop: Header=BB171_33 Depth=1
	v_add_co_u32 v136, s7, v177, v130
	v_add_co_ci_u32_e64 v137, null, v178, v131, s7
	global_load_dwordx2 v[136:137], v[136:137], off
	s_waitcnt vmcnt(0)
	v_mul_f64 v[138:139], s[22:23], v[136:137]
.LBB171_47:                             ;   in Loop: Header=BB171_33 Depth=1
	s_andn2_saveexec_b32 s7, s34
; %bb.48:                               ;   in Loop: Header=BB171_33 Depth=1
	v_cndmask_b32_e64 v139, 0, 0x7fefffff, s33
	v_cndmask_b32_e64 v138, 0, -1, s33
; %bb.49:                               ;   in Loop: Header=BB171_33 Depth=1
	s_or_b32 exec_lo, exec_lo, s7
	v_min_i32_e32 v136, s26, v222
	s_or_b32 s33, s0, s6
	v_mad_i64_i32 v[136:137], null, v136, s30, 0
	v_lshlrev_b64 v[140:141], 3, v[136:137]
	v_cndmask_b32_e64 v137, 0, 0x7fefffff, s33
	v_cndmask_b32_e64 v136, 0, -1, s33
	v_add_co_u32 v222, s7, s24, v140
	v_add_co_ci_u32_e64 v223, null, s25, v141, s7
	s_nor_b32 s7, s29, s33
	s_and_saveexec_b32 s33, s7
	s_cbranch_execz .LBB171_51
; %bb.50:                               ;   in Loop: Header=BB171_33 Depth=1
	v_add_co_u32 v136, s7, v222, v134
	v_add_co_ci_u32_e64 v137, null, v223, v135, s7
	global_load_dwordx2 v[136:137], v[136:137], off
	s_waitcnt vmcnt(0)
	v_mul_f64 v[136:137], s[22:23], v[136:137]
.LBB171_51:                             ;   in Loop: Header=BB171_33 Depth=1
	s_or_b32 exec_lo, exec_lo, s33
	s_or_b32 s7, s1, s6
	v_cndmask_b32_e64 v141, 0, 0x7fefffff, s7
	v_cndmask_b32_e64 v140, 0, -1, s7
	s_nor_b32 s7, s29, s7
	s_and_saveexec_b32 s33, s7
	s_cbranch_execz .LBB171_53
; %bb.52:                               ;   in Loop: Header=BB171_33 Depth=1
	v_add_co_u32 v140, s7, v222, v134
	v_add_co_ci_u32_e64 v141, null, v223, v135, s7
	global_load_dwordx2 v[140:141], v[140:141], off offset:512
	s_waitcnt vmcnt(0)
	v_mul_f64 v[140:141], s[22:23], v[140:141]
.LBB171_53:                             ;   in Loop: Header=BB171_33 Depth=1
	s_or_b32 exec_lo, exec_lo, s33
	s_or_b32 s7, s2, s6
	v_cndmask_b32_e64 v143, 0, 0x7fefffff, s7
	v_cndmask_b32_e64 v142, 0, -1, s7
	s_nor_b32 s7, s29, s7
	s_and_saveexec_b32 s33, s7
	s_cbranch_execz .LBB171_55
; %bb.54:                               ;   in Loop: Header=BB171_33 Depth=1
	v_add_co_u32 v142, s7, v222, v134
	v_add_co_ci_u32_e64 v143, null, v223, v135, s7
	global_load_dwordx2 v[142:143], v[142:143], off offset:1024
	s_waitcnt vmcnt(0)
	v_mul_f64 v[142:143], s[22:23], v[142:143]
.LBB171_55:                             ;   in Loop: Header=BB171_33 Depth=1
	s_or_b32 exec_lo, exec_lo, s33
	s_or_b32 s6, s3, s6
	v_cndmask_b32_e64 v145, 0, 0x7fefffff, s6
	v_cndmask_b32_e64 v144, 0, -1, s6
	s_nor_b32 s6, s29, s6
	s_and_saveexec_b32 s7, s6
	s_cbranch_execz .LBB171_32
; %bb.56:                               ;   in Loop: Header=BB171_33 Depth=1
	v_add_co_u32 v144, s6, v222, v134
	v_add_co_ci_u32_e64 v145, null, v223, v135, s6
	global_load_dwordx2 v[144:145], v[144:145], off offset:1536
	s_waitcnt vmcnt(0)
	v_mul_f64 v[144:145], s[22:23], v[144:145]
	s_branch .LBB171_32
.LBB171_57:
	s_clause 0x2
	s_load_dwordx2 s[0:1], s[4:5], 0x78
	s_load_dword s14, s[4:5], 0x58
	s_load_dword s9, s[4:5], 0x70
	ds_read_b128 v[70:73], v148 offset:18432
	ds_read_b128 v[66:69], v148 offset:18448
	;; [unrolled: 1-line block ×16, first 2 shown]
	v_add_nc_u32_e32 v145, s28, v1
	ds_read_b128 v[6:9], v148 offset:20224
	ds_read_b128 v[2:5], v148 offset:20240
	;; [unrolled: 1-line block ×16, first 2 shown]
	v_add_nc_u32_e32 v0, s15, v0
	v_cmp_gt_i32_e64 s8, s13, v145
	v_cndmask_b32_e64 v144, 0, 1, s21
	v_ashrrev_i32_e32 v1, 31, v0
	s_waitcnt lgkmcnt(0)
	s_mul_i32 s1, s1, s20
	v_mad_i64_i32 v[130:131], null, v145, s14, 0
	v_mad_i64_i32 v[132:133], null, v145, s9, 0
	s_mul_hi_u32 s2, s0, s20
	s_mul_i32 s0, s0, s20
	s_add_i32 s1, s2, s1
	s_lshl_b64 s[0:1], s[0:1], 3
	v_lshlrev_b64 v[130:131], 3, v[130:131]
	v_lshlrev_b64 v[132:133], 3, v[132:133]
	s_add_u32 s10, s10, s0
	s_addc_u32 s11, s11, s1
	v_cmp_gt_i32_e64 s0, s12, v0
	v_add_co_u32 v148, vcc_lo, s18, v130
	v_add_co_ci_u32_e64 v149, null, s19, v131, vcc_lo
	v_add_co_u32 v146, vcc_lo, s10, v132
	v_add_co_ci_u32_e64 v147, null, s11, v133, vcc_lo
	s_and_b32 s2, s0, s8
	s_and_saveexec_b32 s1, s2
	s_cbranch_execz .LBB171_62
; %bb.58:
	s_andn2_b32 vcc_lo, exec_lo, s21
	s_cbranch_vccnz .LBB171_60
; %bb.59:
	v_lshlrev_b64 v[130:131], 3, v[0:1]
	v_add_co_u32 v130, vcc_lo, v148, v130
	v_add_co_ci_u32_e64 v131, null, v149, v131, vcc_lo
	global_load_dwordx2 v[130:131], v[130:131], off
	s_waitcnt vmcnt(0)
	v_mul_f64 v[130:131], s[16:17], v[130:131]
	v_cvt_f32_f64_e32 v130, v[130:131]
	s_branch .LBB171_61
.LBB171_60:
	v_mov_b32_e32 v130, 0
.LBB171_61:
	v_add_f64 v[131:132], v[70:71], v[126:127]
	v_add_f64 v[133:134], v[72:73], v[128:129]
	;; [unrolled: 1-line block ×4, first 2 shown]
	v_cvt_f32_f64_e32 v131, v[131:132]
	v_cvt_f32_f64_e32 v132, v[133:134]
	;; [unrolled: 1-line block ×4, first 2 shown]
	v_min3_f32 v131, v131, v132, v221
	v_min_f32_e32 v132, v133, v134
	v_min3_f32 v130, v130, v132, v131
	v_lshlrev_b64 v[132:133], 3, v[0:1]
	v_cvt_f64_f32_e32 v[130:131], v130
	v_add_co_u32 v132, vcc_lo, v146, v132
	v_add_co_ci_u32_e64 v133, null, v147, v133, vcc_lo
	global_store_dwordx2 v[132:133], v[130:131], off
.LBB171_62:
	s_or_b32 exec_lo, exec_lo, s1
	v_add_nc_u32_e32 v130, 8, v0
	v_cmp_gt_i32_e64 s1, s12, v130
	v_ashrrev_i32_e32 v131, 31, v130
	s_and_b32 s3, s1, s8
	s_and_saveexec_b32 s2, s3
	s_cbranch_execz .LBB171_67
; %bb.63:
	v_cmp_ne_u32_e32 vcc_lo, 1, v144
	s_cbranch_vccnz .LBB171_65
; %bb.64:
	v_lshlrev_b64 v[132:133], 3, v[130:131]
	v_add_co_u32 v132, vcc_lo, v148, v132
	v_add_co_ci_u32_e64 v133, null, v149, v133, vcc_lo
	global_load_dwordx2 v[132:133], v[132:133], off
	s_waitcnt vmcnt(0)
	v_mul_f64 v[132:133], s[16:17], v[132:133]
	v_cvt_f32_f64_e32 v132, v[132:133]
	s_branch .LBB171_66
.LBB171_65:
	v_mov_b32_e32 v132, 0
.LBB171_66:
	v_add_f64 v[133:134], v[62:63], v[126:127]
	v_add_f64 v[135:136], v[64:65], v[128:129]
	v_add_f64 v[137:138], v[58:59], v[122:123]
	v_add_f64 v[139:140], v[60:61], v[124:125]
	v_cvt_f32_f64_e32 v133, v[133:134]
	v_cvt_f32_f64_e32 v134, v[135:136]
	v_cvt_f32_f64_e32 v135, v[137:138]
	v_cvt_f32_f64_e32 v136, v[139:140]
	v_min3_f32 v133, v133, v134, v220
	v_min_f32_e32 v134, v135, v136
	v_min3_f32 v132, v132, v134, v133
	v_lshlrev_b64 v[134:135], 3, v[130:131]
	v_cvt_f64_f32_e32 v[132:133], v132
	v_add_co_u32 v134, vcc_lo, v146, v134
	v_add_co_ci_u32_e64 v135, null, v147, v135, vcc_lo
	global_store_dwordx2 v[134:135], v[132:133], off
.LBB171_67:
	s_or_b32 exec_lo, exec_lo, s2
	v_add_nc_u32_e32 v132, 16, v0
	v_cmp_gt_i32_e64 s2, s12, v132
	v_ashrrev_i32_e32 v133, 31, v132
	s_and_b32 s4, s2, s8
	s_and_saveexec_b32 s3, s4
	s_cbranch_execz .LBB171_72
; %bb.68:
	v_cmp_ne_u32_e32 vcc_lo, 1, v144
	s_cbranch_vccnz .LBB171_70
; %bb.69:
	v_lshlrev_b64 v[134:135], 3, v[132:133]
	v_add_co_u32 v134, vcc_lo, v148, v134
	v_add_co_ci_u32_e64 v135, null, v149, v135, vcc_lo
	global_load_dwordx2 v[134:135], v[134:135], off
	s_waitcnt vmcnt(0)
	v_mul_f64 v[134:135], s[16:17], v[134:135]
	v_cvt_f32_f64_e32 v134, v[134:135]
	s_branch .LBB171_71
.LBB171_70:
	v_mov_b32_e32 v134, 0
.LBB171_71:
	v_add_f64 v[135:136], v[54:55], v[126:127]
	v_add_f64 v[137:138], v[56:57], v[128:129]
	v_add_f64 v[139:140], v[50:51], v[122:123]
	v_add_f64 v[141:142], v[52:53], v[124:125]
	v_cvt_f32_f64_e32 v135, v[135:136]
	v_cvt_f32_f64_e32 v136, v[137:138]
	v_cvt_f32_f64_e32 v137, v[139:140]
	v_cvt_f32_f64_e32 v138, v[141:142]
	v_min3_f32 v135, v135, v136, v219
	v_min_f32_e32 v136, v137, v138
	v_min3_f32 v134, v134, v136, v135
	v_lshlrev_b64 v[136:137], 3, v[132:133]
	v_cvt_f64_f32_e32 v[134:135], v134
	v_add_co_u32 v136, vcc_lo, v146, v136
	v_add_co_ci_u32_e64 v137, null, v147, v137, vcc_lo
	global_store_dwordx2 v[136:137], v[134:135], off
.LBB171_72:
	s_or_b32 exec_lo, exec_lo, s3
	v_add_nc_u32_e32 v134, 24, v0
	v_cmp_gt_i32_e64 s3, s12, v134
	v_ashrrev_i32_e32 v135, 31, v134
	s_and_b32 s5, s3, s8
	s_and_saveexec_b32 s4, s5
	s_cbranch_execz .LBB171_77
; %bb.73:
	v_cmp_ne_u32_e32 vcc_lo, 1, v144
	s_cbranch_vccnz .LBB171_75
; %bb.74:
	v_lshlrev_b64 v[136:137], 3, v[134:135]
	v_add_co_u32 v136, vcc_lo, v148, v136
	v_add_co_ci_u32_e64 v137, null, v149, v137, vcc_lo
	global_load_dwordx2 v[136:137], v[136:137], off
	s_waitcnt vmcnt(0)
	v_mul_f64 v[136:137], s[16:17], v[136:137]
	v_cvt_f32_f64_e32 v136, v[136:137]
	s_branch .LBB171_76
.LBB171_75:
	v_mov_b32_e32 v136, 0
.LBB171_76:
	v_add_f64 v[137:138], v[46:47], v[126:127]
	v_add_f64 v[139:140], v[48:49], v[128:129]
	v_add_f64 v[141:142], v[42:43], v[122:123]
	v_add_f64 v[171:172], v[44:45], v[124:125]
	v_cvt_f32_f64_e32 v137, v[137:138]
	v_cvt_f32_f64_e32 v138, v[139:140]
	v_cvt_f32_f64_e32 v139, v[141:142]
	v_cvt_f32_f64_e32 v140, v[171:172]
	v_min3_f32 v137, v137, v138, v218
	v_min_f32_e32 v138, v139, v140
	v_min3_f32 v136, v136, v138, v137
	v_lshlrev_b64 v[138:139], 3, v[134:135]
	v_cvt_f64_f32_e32 v[136:137], v136
	v_add_co_u32 v138, vcc_lo, v146, v138
	v_add_co_ci_u32_e64 v139, null, v147, v139, vcc_lo
	global_store_dwordx2 v[138:139], v[136:137], off
.LBB171_77:
	s_or_b32 exec_lo, exec_lo, s4
	v_add_nc_u32_e32 v136, 32, v0
	v_cmp_gt_i32_e64 s4, s12, v136
	v_ashrrev_i32_e32 v137, 31, v136
	s_and_b32 s6, s4, s8
	s_and_saveexec_b32 s5, s6
	s_cbranch_execz .LBB171_82
; %bb.78:
	v_cmp_ne_u32_e32 vcc_lo, 1, v144
	s_cbranch_vccnz .LBB171_80
; %bb.79:
	v_lshlrev_b64 v[138:139], 3, v[136:137]
	v_add_co_u32 v138, vcc_lo, v148, v138
	v_add_co_ci_u32_e64 v139, null, v149, v139, vcc_lo
	global_load_dwordx2 v[138:139], v[138:139], off
	s_waitcnt vmcnt(0)
	v_mul_f64 v[138:139], s[16:17], v[138:139]
	v_cvt_f32_f64_e32 v138, v[138:139]
	s_branch .LBB171_81
.LBB171_80:
	v_mov_b32_e32 v138, 0
.LBB171_81:
	v_add_f64 v[139:140], v[38:39], v[126:127]
	v_add_f64 v[141:142], v[40:41], v[128:129]
	v_add_f64 v[171:172], v[34:35], v[122:123]
	v_add_f64 v[177:178], v[36:37], v[124:125]
	v_cvt_f32_f64_e32 v139, v[139:140]
	v_cvt_f32_f64_e32 v140, v[141:142]
	v_cvt_f32_f64_e32 v141, v[171:172]
	v_cvt_f32_f64_e32 v142, v[177:178]
	v_min3_f32 v139, v139, v140, v217
	v_min_f32_e32 v140, v141, v142
	v_min3_f32 v138, v138, v140, v139
	v_lshlrev_b64 v[140:141], 3, v[136:137]
	v_cvt_f64_f32_e32 v[138:139], v138
	v_add_co_u32 v140, vcc_lo, v146, v140
	v_add_co_ci_u32_e64 v141, null, v147, v141, vcc_lo
	global_store_dwordx2 v[140:141], v[138:139], off
.LBB171_82:
	s_or_b32 exec_lo, exec_lo, s5
	v_add_nc_u32_e32 v138, 40, v0
	v_cmp_gt_i32_e64 s5, s12, v138
	v_ashrrev_i32_e32 v139, 31, v138
	s_and_b32 s7, s5, s8
	s_and_saveexec_b32 s6, s7
	s_cbranch_execz .LBB171_87
; %bb.83:
	v_cmp_ne_u32_e32 vcc_lo, 1, v144
	s_cbranch_vccnz .LBB171_85
; %bb.84:
	v_lshlrev_b64 v[140:141], 3, v[138:139]
	v_add_co_u32 v140, vcc_lo, v148, v140
	v_add_co_ci_u32_e64 v141, null, v149, v141, vcc_lo
	global_load_dwordx2 v[140:141], v[140:141], off
	s_waitcnt vmcnt(0)
	v_mul_f64 v[140:141], s[16:17], v[140:141]
	v_cvt_f32_f64_e32 v140, v[140:141]
	s_branch .LBB171_86
.LBB171_85:
	v_mov_b32_e32 v140, 0
.LBB171_86:
	v_add_f64 v[141:142], v[30:31], v[126:127]
	v_add_f64 v[171:172], v[32:33], v[128:129]
	v_add_f64 v[177:178], v[26:27], v[122:123]
	v_add_f64 v[179:180], v[28:29], v[124:125]
	v_cvt_f32_f64_e32 v141, v[141:142]
	v_cvt_f32_f64_e32 v142, v[171:172]
	v_cvt_f32_f64_e32 v143, v[177:178]
	v_cvt_f32_f64_e32 v171, v[179:180]
	v_min3_f32 v141, v141, v142, v216
	v_min_f32_e32 v142, v143, v171
	v_min3_f32 v140, v140, v142, v141
	v_lshlrev_b64 v[142:143], 3, v[138:139]
	v_cvt_f64_f32_e32 v[140:141], v140
	v_add_co_u32 v142, vcc_lo, v146, v142
	v_add_co_ci_u32_e64 v143, null, v147, v143, vcc_lo
	global_store_dwordx2 v[142:143], v[140:141], off
.LBB171_87:
	s_or_b32 exec_lo, exec_lo, s6
	v_add_nc_u32_e32 v140, 48, v0
	v_cmp_gt_i32_e64 s6, s12, v140
	v_ashrrev_i32_e32 v141, 31, v140
	s_and_b32 s15, s6, s8
	s_and_saveexec_b32 s7, s15
	s_cbranch_execz .LBB171_92
; %bb.88:
	v_cmp_ne_u32_e32 vcc_lo, 1, v144
	s_cbranch_vccnz .LBB171_90
; %bb.89:
	v_lshlrev_b64 v[142:143], 3, v[140:141]
	v_add_co_u32 v142, vcc_lo, v148, v142
	v_add_co_ci_u32_e64 v143, null, v149, v143, vcc_lo
	global_load_dwordx2 v[142:143], v[142:143], off
	s_waitcnt vmcnt(0)
	v_mul_f64 v[142:143], s[16:17], v[142:143]
	v_cvt_f32_f64_e32 v142, v[142:143]
	s_branch .LBB171_91
.LBB171_90:
	v_mov_b32_e32 v142, 0
.LBB171_91:
	v_add_f64 v[171:172], v[22:23], v[126:127]
	v_add_f64 v[177:178], v[24:25], v[128:129]
	v_add_f64 v[179:180], v[18:19], v[122:123]
	v_add_f64 v[216:217], v[20:21], v[124:125]
	v_cvt_f32_f64_e32 v143, v[171:172]
	v_cvt_f32_f64_e32 v171, v[177:178]
	v_cvt_f32_f64_e32 v172, v[179:180]
	v_cvt_f32_f64_e32 v173, v[216:217]
	v_min3_f32 v143, v143, v171, v215
	v_min_f32_e32 v171, v172, v173
	v_min3_f32 v142, v142, v171, v143
	v_lshlrev_b64 v[171:172], 3, v[140:141]
	v_cvt_f64_f32_e32 v[142:143], v142
	v_add_co_u32 v171, vcc_lo, v146, v171
	v_add_co_ci_u32_e64 v172, null, v147, v172, vcc_lo
	global_store_dwordx2 v[171:172], v[142:143], off
.LBB171_92:
	s_or_b32 exec_lo, exec_lo, s7
	v_add_nc_u32_e32 v142, 56, v0
	v_cmp_gt_i32_e64 s7, s12, v142
	v_ashrrev_i32_e32 v143, 31, v142
	s_and_b32 s12, s7, s8
	s_and_saveexec_b32 s8, s12
	s_cbranch_execz .LBB171_97
; %bb.93:
	v_cmp_ne_u32_e32 vcc_lo, 1, v144
	s_cbranch_vccnz .LBB171_95
; %bb.94:
	v_lshlrev_b64 v[171:172], 3, v[142:143]
	v_add_co_u32 v148, vcc_lo, v148, v171
	v_add_co_ci_u32_e64 v149, null, v149, v172, vcc_lo
	global_load_dwordx2 v[148:149], v[148:149], off
	s_waitcnt vmcnt(0)
	v_mul_f64 v[148:149], s[16:17], v[148:149]
	v_cvt_f32_f64_e32 v148, v[148:149]
	s_branch .LBB171_96
.LBB171_95:
	v_mov_b32_e32 v148, 0
.LBB171_96:
	v_add_f64 v[126:127], v[6:7], v[126:127]
	v_add_f64 v[128:129], v[8:9], v[128:129]
	v_add_f64 v[122:123], v[2:3], v[122:123]
	v_add_f64 v[124:125], v[4:5], v[124:125]
	v_cvt_f32_f64_e32 v126, v[126:127]
	v_cvt_f32_f64_e32 v127, v[128:129]
	v_cvt_f32_f64_e32 v122, v[122:123]
	v_cvt_f32_f64_e32 v123, v[124:125]
	v_min3_f32 v124, v126, v127, v214
	v_min_f32_e32 v122, v122, v123
	v_min3_f32 v122, v148, v122, v124
	v_lshlrev_b64 v[124:125], 3, v[142:143]
	v_cvt_f64_f32_e32 v[122:123], v122
	v_add_co_u32 v124, vcc_lo, v146, v124
	v_add_co_ci_u32_e64 v125, null, v147, v125, vcc_lo
	global_store_dwordx2 v[124:125], v[122:123], off
.LBB171_97:
	s_or_b32 exec_lo, exec_lo, s8
	v_add_nc_u32_e32 v126, 32, v145
	v_mad_i64_i32 v[122:123], null, v126, s14, 0
	v_mad_i64_i32 v[124:125], null, v126, s9, 0
	v_cmp_gt_i32_e64 s8, s13, v126
	v_lshlrev_b64 v[122:123], 3, v[122:123]
	s_and_b32 s15, s0, s8
	v_lshlrev_b64 v[126:127], 3, v[124:125]
	v_add_co_u32 v124, vcc_lo, s18, v122
	v_add_co_ci_u32_e64 v125, null, s19, v123, vcc_lo
	v_add_co_u32 v122, vcc_lo, s10, v126
	v_add_co_ci_u32_e64 v123, null, s11, v127, vcc_lo
	s_and_saveexec_b32 s12, s15
	s_cbranch_execnz .LBB171_105
; %bb.98:
	s_or_b32 exec_lo, exec_lo, s12
	s_and_b32 s15, s1, s8
	s_and_saveexec_b32 s12, s15
	s_cbranch_execnz .LBB171_109
.LBB171_99:
	s_or_b32 exec_lo, exec_lo, s12
	s_and_b32 s15, s2, s8
	s_and_saveexec_b32 s12, s15
	s_cbranch_execnz .LBB171_113
.LBB171_100:
	s_or_b32 exec_lo, exec_lo, s12
	s_and_b32 s15, s3, s8
	s_and_saveexec_b32 s12, s15
	s_cbranch_execnz .LBB171_117
.LBB171_101:
	s_or_b32 exec_lo, exec_lo, s12
	s_and_b32 s15, s4, s8
	s_and_saveexec_b32 s12, s15
	s_cbranch_execnz .LBB171_121
.LBB171_102:
	s_or_b32 exec_lo, exec_lo, s12
	s_and_b32 s15, s5, s8
	s_and_saveexec_b32 s12, s15
	s_cbranch_execnz .LBB171_125
.LBB171_103:
	s_or_b32 exec_lo, exec_lo, s12
	s_and_b32 s15, s6, s8
	s_and_saveexec_b32 s12, s15
	s_cbranch_execnz .LBB171_129
.LBB171_104:
	s_or_b32 exec_lo, exec_lo, s12
	s_and_b32 s12, s7, s8
	s_and_saveexec_b32 s8, s12
	s_cbranch_execnz .LBB171_133
	s_branch .LBB171_137
.LBB171_105:
	v_cmp_ne_u32_e32 vcc_lo, 1, v144
	s_cbranch_vccnz .LBB171_107
; %bb.106:
	v_lshlrev_b64 v[126:127], 3, v[0:1]
	v_add_co_u32 v126, vcc_lo, v124, v126
	v_add_co_ci_u32_e64 v127, null, v125, v127, vcc_lo
	global_load_dwordx2 v[126:127], v[126:127], off
	s_waitcnt vmcnt(0)
	v_mul_f64 v[126:127], s[16:17], v[126:127]
	v_cvt_f32_f64_e32 v126, v[126:127]
	s_branch .LBB171_108
.LBB171_107:
	v_mov_b32_e32 v126, 0
.LBB171_108:
	v_add_f64 v[127:128], v[70:71], v[118:119]
	v_add_f64 v[146:147], v[72:73], v[120:121]
	;; [unrolled: 1-line block ×4, first 2 shown]
	v_cvt_f32_f64_e32 v127, v[127:128]
	v_cvt_f32_f64_e32 v128, v[146:147]
	;; [unrolled: 1-line block ×4, first 2 shown]
	v_min3_f32 v127, v127, v128, v213
	v_min_f32_e32 v128, v129, v146
	v_min3_f32 v126, v126, v128, v127
	v_lshlrev_b64 v[128:129], 3, v[0:1]
	v_cvt_f64_f32_e32 v[126:127], v126
	v_add_co_u32 v128, vcc_lo, v122, v128
	v_add_co_ci_u32_e64 v129, null, v123, v129, vcc_lo
	global_store_dwordx2 v[128:129], v[126:127], off
	s_or_b32 exec_lo, exec_lo, s12
	s_and_b32 s15, s1, s8
	s_and_saveexec_b32 s12, s15
	s_cbranch_execz .LBB171_99
.LBB171_109:
	v_cmp_ne_u32_e32 vcc_lo, 1, v144
	s_cbranch_vccnz .LBB171_111
; %bb.110:
	v_lshlrev_b64 v[126:127], 3, v[130:131]
	v_add_co_u32 v126, vcc_lo, v124, v126
	v_add_co_ci_u32_e64 v127, null, v125, v127, vcc_lo
	global_load_dwordx2 v[126:127], v[126:127], off
	s_waitcnt vmcnt(0)
	v_mul_f64 v[126:127], s[16:17], v[126:127]
	v_cvt_f32_f64_e32 v126, v[126:127]
	s_branch .LBB171_112
.LBB171_111:
	v_mov_b32_e32 v126, 0
.LBB171_112:
	v_add_f64 v[127:128], v[62:63], v[118:119]
	v_add_f64 v[146:147], v[64:65], v[120:121]
	;; [unrolled: 1-line block ×4, first 2 shown]
	v_cvt_f32_f64_e32 v127, v[127:128]
	v_cvt_f32_f64_e32 v128, v[146:147]
	;; [unrolled: 1-line block ×4, first 2 shown]
	v_min3_f32 v127, v127, v128, v212
	v_min_f32_e32 v128, v129, v146
	v_min3_f32 v126, v126, v128, v127
	v_lshlrev_b64 v[128:129], 3, v[130:131]
	v_cvt_f64_f32_e32 v[126:127], v126
	v_add_co_u32 v128, vcc_lo, v122, v128
	v_add_co_ci_u32_e64 v129, null, v123, v129, vcc_lo
	global_store_dwordx2 v[128:129], v[126:127], off
	s_or_b32 exec_lo, exec_lo, s12
	s_and_b32 s15, s2, s8
	s_and_saveexec_b32 s12, s15
	s_cbranch_execz .LBB171_100
.LBB171_113:
	v_cmp_ne_u32_e32 vcc_lo, 1, v144
	s_cbranch_vccnz .LBB171_115
; %bb.114:
	v_lshlrev_b64 v[126:127], 3, v[132:133]
	v_add_co_u32 v126, vcc_lo, v124, v126
	v_add_co_ci_u32_e64 v127, null, v125, v127, vcc_lo
	global_load_dwordx2 v[126:127], v[126:127], off
	s_waitcnt vmcnt(0)
	v_mul_f64 v[126:127], s[16:17], v[126:127]
	v_cvt_f32_f64_e32 v126, v[126:127]
	s_branch .LBB171_116
.LBB171_115:
	v_mov_b32_e32 v126, 0
.LBB171_116:
	v_add_f64 v[127:128], v[54:55], v[118:119]
	v_add_f64 v[146:147], v[56:57], v[120:121]
	;; [unrolled: 1-line block ×4, first 2 shown]
	v_cvt_f32_f64_e32 v127, v[127:128]
	v_cvt_f32_f64_e32 v128, v[146:147]
	;; [unrolled: 1-line block ×4, first 2 shown]
	v_min3_f32 v127, v127, v128, v211
	v_min_f32_e32 v128, v129, v146
	v_min3_f32 v126, v126, v128, v127
	v_lshlrev_b64 v[128:129], 3, v[132:133]
	v_cvt_f64_f32_e32 v[126:127], v126
	v_add_co_u32 v128, vcc_lo, v122, v128
	v_add_co_ci_u32_e64 v129, null, v123, v129, vcc_lo
	global_store_dwordx2 v[128:129], v[126:127], off
	s_or_b32 exec_lo, exec_lo, s12
	s_and_b32 s15, s3, s8
	s_and_saveexec_b32 s12, s15
	s_cbranch_execz .LBB171_101
.LBB171_117:
	v_cmp_ne_u32_e32 vcc_lo, 1, v144
	s_cbranch_vccnz .LBB171_119
; %bb.118:
	v_lshlrev_b64 v[126:127], 3, v[134:135]
	v_add_co_u32 v126, vcc_lo, v124, v126
	v_add_co_ci_u32_e64 v127, null, v125, v127, vcc_lo
	global_load_dwordx2 v[126:127], v[126:127], off
	s_waitcnt vmcnt(0)
	v_mul_f64 v[126:127], s[16:17], v[126:127]
	v_cvt_f32_f64_e32 v126, v[126:127]
	s_branch .LBB171_120
.LBB171_119:
	v_mov_b32_e32 v126, 0
.LBB171_120:
	v_add_f64 v[127:128], v[46:47], v[118:119]
	v_add_f64 v[146:147], v[48:49], v[120:121]
	;; [unrolled: 1-line block ×4, first 2 shown]
	v_cvt_f32_f64_e32 v127, v[127:128]
	v_cvt_f32_f64_e32 v128, v[146:147]
	;; [unrolled: 1-line block ×4, first 2 shown]
	v_min3_f32 v127, v127, v128, v210
	v_min_f32_e32 v128, v129, v146
	v_min3_f32 v126, v126, v128, v127
	v_lshlrev_b64 v[128:129], 3, v[134:135]
	v_cvt_f64_f32_e32 v[126:127], v126
	v_add_co_u32 v128, vcc_lo, v122, v128
	v_add_co_ci_u32_e64 v129, null, v123, v129, vcc_lo
	global_store_dwordx2 v[128:129], v[126:127], off
	s_or_b32 exec_lo, exec_lo, s12
	s_and_b32 s15, s4, s8
	s_and_saveexec_b32 s12, s15
	s_cbranch_execz .LBB171_102
.LBB171_121:
	v_cmp_ne_u32_e32 vcc_lo, 1, v144
	s_cbranch_vccnz .LBB171_123
; %bb.122:
	v_lshlrev_b64 v[126:127], 3, v[136:137]
	v_add_co_u32 v126, vcc_lo, v124, v126
	v_add_co_ci_u32_e64 v127, null, v125, v127, vcc_lo
	global_load_dwordx2 v[126:127], v[126:127], off
	s_waitcnt vmcnt(0)
	v_mul_f64 v[126:127], s[16:17], v[126:127]
	v_cvt_f32_f64_e32 v126, v[126:127]
	s_branch .LBB171_124
.LBB171_123:
	v_mov_b32_e32 v126, 0
.LBB171_124:
	v_add_f64 v[127:128], v[38:39], v[118:119]
	v_add_f64 v[146:147], v[40:41], v[120:121]
	;; [unrolled: 1-line block ×4, first 2 shown]
	v_cvt_f32_f64_e32 v127, v[127:128]
	v_cvt_f32_f64_e32 v128, v[146:147]
	;; [unrolled: 1-line block ×4, first 2 shown]
	v_min3_f32 v127, v127, v128, v209
	v_min_f32_e32 v128, v129, v146
	v_min3_f32 v126, v126, v128, v127
	v_lshlrev_b64 v[128:129], 3, v[136:137]
	v_cvt_f64_f32_e32 v[126:127], v126
	v_add_co_u32 v128, vcc_lo, v122, v128
	v_add_co_ci_u32_e64 v129, null, v123, v129, vcc_lo
	global_store_dwordx2 v[128:129], v[126:127], off
	s_or_b32 exec_lo, exec_lo, s12
	s_and_b32 s15, s5, s8
	s_and_saveexec_b32 s12, s15
	s_cbranch_execz .LBB171_103
.LBB171_125:
	v_cmp_ne_u32_e32 vcc_lo, 1, v144
	s_cbranch_vccnz .LBB171_127
; %bb.126:
	v_lshlrev_b64 v[126:127], 3, v[138:139]
	v_add_co_u32 v126, vcc_lo, v124, v126
	v_add_co_ci_u32_e64 v127, null, v125, v127, vcc_lo
	global_load_dwordx2 v[126:127], v[126:127], off
	s_waitcnt vmcnt(0)
	v_mul_f64 v[126:127], s[16:17], v[126:127]
	v_cvt_f32_f64_e32 v126, v[126:127]
	s_branch .LBB171_128
.LBB171_127:
	v_mov_b32_e32 v126, 0
.LBB171_128:
	v_add_f64 v[127:128], v[30:31], v[118:119]
	v_add_f64 v[146:147], v[32:33], v[120:121]
	;; [unrolled: 1-line block ×4, first 2 shown]
	v_cvt_f32_f64_e32 v127, v[127:128]
	v_cvt_f32_f64_e32 v128, v[146:147]
	;; [unrolled: 1-line block ×4, first 2 shown]
	v_min3_f32 v127, v127, v128, v208
	v_min_f32_e32 v128, v129, v146
	v_min3_f32 v126, v126, v128, v127
	v_lshlrev_b64 v[128:129], 3, v[138:139]
	v_cvt_f64_f32_e32 v[126:127], v126
	v_add_co_u32 v128, vcc_lo, v122, v128
	v_add_co_ci_u32_e64 v129, null, v123, v129, vcc_lo
	global_store_dwordx2 v[128:129], v[126:127], off
	s_or_b32 exec_lo, exec_lo, s12
	s_and_b32 s15, s6, s8
	s_and_saveexec_b32 s12, s15
	s_cbranch_execz .LBB171_104
.LBB171_129:
	v_cmp_ne_u32_e32 vcc_lo, 1, v144
	s_cbranch_vccnz .LBB171_131
; %bb.130:
	v_lshlrev_b64 v[126:127], 3, v[140:141]
	v_add_co_u32 v126, vcc_lo, v124, v126
	v_add_co_ci_u32_e64 v127, null, v125, v127, vcc_lo
	global_load_dwordx2 v[126:127], v[126:127], off
	s_waitcnt vmcnt(0)
	v_mul_f64 v[126:127], s[16:17], v[126:127]
	v_cvt_f32_f64_e32 v126, v[126:127]
	s_branch .LBB171_132
.LBB171_131:
	v_mov_b32_e32 v126, 0
.LBB171_132:
	v_add_f64 v[127:128], v[22:23], v[118:119]
	v_add_f64 v[146:147], v[24:25], v[120:121]
	;; [unrolled: 1-line block ×4, first 2 shown]
	v_cvt_f32_f64_e32 v127, v[127:128]
	v_cvt_f32_f64_e32 v128, v[146:147]
	;; [unrolled: 1-line block ×4, first 2 shown]
	v_min3_f32 v127, v127, v128, v207
	v_min_f32_e32 v128, v129, v146
	v_min3_f32 v126, v126, v128, v127
	v_lshlrev_b64 v[128:129], 3, v[140:141]
	v_cvt_f64_f32_e32 v[126:127], v126
	v_add_co_u32 v128, vcc_lo, v122, v128
	v_add_co_ci_u32_e64 v129, null, v123, v129, vcc_lo
	global_store_dwordx2 v[128:129], v[126:127], off
	s_or_b32 exec_lo, exec_lo, s12
	s_and_b32 s12, s7, s8
	s_and_saveexec_b32 s8, s12
	s_cbranch_execz .LBB171_137
.LBB171_133:
	v_cmp_ne_u32_e32 vcc_lo, 1, v144
	s_cbranch_vccnz .LBB171_135
; %bb.134:
	v_lshlrev_b64 v[126:127], 3, v[142:143]
	v_add_co_u32 v124, vcc_lo, v124, v126
	v_add_co_ci_u32_e64 v125, null, v125, v127, vcc_lo
	global_load_dwordx2 v[124:125], v[124:125], off
	s_waitcnt vmcnt(0)
	v_mul_f64 v[124:125], s[16:17], v[124:125]
	v_cvt_f32_f64_e32 v124, v[124:125]
	s_branch .LBB171_136
.LBB171_135:
	v_mov_b32_e32 v124, 0
.LBB171_136:
	v_add_f64 v[118:119], v[6:7], v[118:119]
	v_add_f64 v[120:121], v[8:9], v[120:121]
	;; [unrolled: 1-line block ×4, first 2 shown]
	v_cvt_f32_f64_e32 v118, v[118:119]
	v_cvt_f32_f64_e32 v119, v[120:121]
	;; [unrolled: 1-line block ×4, first 2 shown]
	v_min3_f32 v116, v118, v119, v206
	v_min_f32_e32 v114, v114, v115
	v_min3_f32 v114, v124, v114, v116
	v_lshlrev_b64 v[116:117], 3, v[142:143]
	v_cvt_f64_f32_e32 v[114:115], v114
	v_add_co_u32 v116, vcc_lo, v122, v116
	v_add_co_ci_u32_e64 v117, null, v123, v117, vcc_lo
	global_store_dwordx2 v[116:117], v[114:115], off
.LBB171_137:
	s_or_b32 exec_lo, exec_lo, s8
	v_add_nc_u32_e32 v118, 64, v145
	v_mad_i64_i32 v[114:115], null, v118, s14, 0
	v_mad_i64_i32 v[116:117], null, v118, s9, 0
	v_cmp_gt_i32_e64 s8, s13, v118
	v_lshlrev_b64 v[114:115], 3, v[114:115]
	s_and_b32 s15, s0, s8
	v_lshlrev_b64 v[118:119], 3, v[116:117]
	v_add_co_u32 v116, vcc_lo, s18, v114
	v_add_co_ci_u32_e64 v117, null, s19, v115, vcc_lo
	v_add_co_u32 v114, vcc_lo, s10, v118
	v_add_co_ci_u32_e64 v115, null, s11, v119, vcc_lo
	s_and_saveexec_b32 s12, s15
	s_cbranch_execnz .LBB171_145
; %bb.138:
	s_or_b32 exec_lo, exec_lo, s12
	s_and_b32 s15, s1, s8
	s_and_saveexec_b32 s12, s15
	s_cbranch_execnz .LBB171_149
.LBB171_139:
	s_or_b32 exec_lo, exec_lo, s12
	s_and_b32 s15, s2, s8
	s_and_saveexec_b32 s12, s15
	s_cbranch_execnz .LBB171_153
.LBB171_140:
	s_or_b32 exec_lo, exec_lo, s12
	s_and_b32 s15, s3, s8
	s_and_saveexec_b32 s12, s15
	s_cbranch_execnz .LBB171_157
.LBB171_141:
	s_or_b32 exec_lo, exec_lo, s12
	s_and_b32 s15, s4, s8
	s_and_saveexec_b32 s12, s15
	s_cbranch_execnz .LBB171_161
.LBB171_142:
	s_or_b32 exec_lo, exec_lo, s12
	s_and_b32 s15, s5, s8
	s_and_saveexec_b32 s12, s15
	s_cbranch_execnz .LBB171_165
.LBB171_143:
	s_or_b32 exec_lo, exec_lo, s12
	s_and_b32 s15, s6, s8
	s_and_saveexec_b32 s12, s15
	s_cbranch_execnz .LBB171_169
.LBB171_144:
	s_or_b32 exec_lo, exec_lo, s12
	s_and_b32 s12, s7, s8
	s_and_saveexec_b32 s8, s12
	s_cbranch_execnz .LBB171_173
	s_branch .LBB171_177
.LBB171_145:
	v_cmp_ne_u32_e32 vcc_lo, 1, v144
	s_cbranch_vccnz .LBB171_147
; %bb.146:
	v_lshlrev_b64 v[118:119], 3, v[0:1]
	v_add_co_u32 v118, vcc_lo, v116, v118
	v_add_co_ci_u32_e64 v119, null, v117, v119, vcc_lo
	global_load_dwordx2 v[118:119], v[118:119], off
	s_waitcnt vmcnt(0)
	v_mul_f64 v[118:119], s[16:17], v[118:119]
	v_cvt_f32_f64_e32 v118, v[118:119]
	s_branch .LBB171_148
.LBB171_147:
	v_mov_b32_e32 v118, 0
.LBB171_148:
	v_add_f64 v[119:120], v[70:71], v[110:111]
	v_add_f64 v[121:122], v[72:73], v[112:113]
	;; [unrolled: 1-line block ×4, first 2 shown]
	v_cvt_f32_f64_e32 v119, v[119:120]
	v_cvt_f32_f64_e32 v120, v[121:122]
	;; [unrolled: 1-line block ×4, first 2 shown]
	v_min3_f32 v119, v119, v120, v205
	v_min_f32_e32 v120, v121, v122
	v_min3_f32 v118, v118, v120, v119
	v_lshlrev_b64 v[120:121], 3, v[0:1]
	v_cvt_f64_f32_e32 v[118:119], v118
	v_add_co_u32 v120, vcc_lo, v114, v120
	v_add_co_ci_u32_e64 v121, null, v115, v121, vcc_lo
	global_store_dwordx2 v[120:121], v[118:119], off
	s_or_b32 exec_lo, exec_lo, s12
	s_and_b32 s15, s1, s8
	s_and_saveexec_b32 s12, s15
	s_cbranch_execz .LBB171_139
.LBB171_149:
	v_cmp_ne_u32_e32 vcc_lo, 1, v144
	s_cbranch_vccnz .LBB171_151
; %bb.150:
	v_lshlrev_b64 v[118:119], 3, v[130:131]
	v_add_co_u32 v118, vcc_lo, v116, v118
	v_add_co_ci_u32_e64 v119, null, v117, v119, vcc_lo
	global_load_dwordx2 v[118:119], v[118:119], off
	s_waitcnt vmcnt(0)
	v_mul_f64 v[118:119], s[16:17], v[118:119]
	v_cvt_f32_f64_e32 v118, v[118:119]
	s_branch .LBB171_152
.LBB171_151:
	v_mov_b32_e32 v118, 0
.LBB171_152:
	v_add_f64 v[119:120], v[62:63], v[110:111]
	v_add_f64 v[121:122], v[64:65], v[112:113]
	v_add_f64 v[123:124], v[58:59], v[106:107]
	v_add_f64 v[125:126], v[60:61], v[108:109]
	v_cvt_f32_f64_e32 v119, v[119:120]
	v_cvt_f32_f64_e32 v120, v[121:122]
	;; [unrolled: 1-line block ×4, first 2 shown]
	v_min3_f32 v119, v119, v120, v204
	v_min_f32_e32 v120, v121, v122
	v_min3_f32 v118, v118, v120, v119
	v_lshlrev_b64 v[120:121], 3, v[130:131]
	v_cvt_f64_f32_e32 v[118:119], v118
	v_add_co_u32 v120, vcc_lo, v114, v120
	v_add_co_ci_u32_e64 v121, null, v115, v121, vcc_lo
	global_store_dwordx2 v[120:121], v[118:119], off
	s_or_b32 exec_lo, exec_lo, s12
	s_and_b32 s15, s2, s8
	s_and_saveexec_b32 s12, s15
	s_cbranch_execz .LBB171_140
.LBB171_153:
	v_cmp_ne_u32_e32 vcc_lo, 1, v144
	s_cbranch_vccnz .LBB171_155
; %bb.154:
	v_lshlrev_b64 v[118:119], 3, v[132:133]
	v_add_co_u32 v118, vcc_lo, v116, v118
	v_add_co_ci_u32_e64 v119, null, v117, v119, vcc_lo
	global_load_dwordx2 v[118:119], v[118:119], off
	s_waitcnt vmcnt(0)
	v_mul_f64 v[118:119], s[16:17], v[118:119]
	v_cvt_f32_f64_e32 v118, v[118:119]
	s_branch .LBB171_156
.LBB171_155:
	v_mov_b32_e32 v118, 0
.LBB171_156:
	v_add_f64 v[119:120], v[54:55], v[110:111]
	v_add_f64 v[121:122], v[56:57], v[112:113]
	;; [unrolled: 1-line block ×4, first 2 shown]
	v_cvt_f32_f64_e32 v119, v[119:120]
	v_cvt_f32_f64_e32 v120, v[121:122]
	;; [unrolled: 1-line block ×4, first 2 shown]
	v_min3_f32 v119, v119, v120, v203
	v_min_f32_e32 v120, v121, v122
	v_min3_f32 v118, v118, v120, v119
	v_lshlrev_b64 v[120:121], 3, v[132:133]
	v_cvt_f64_f32_e32 v[118:119], v118
	v_add_co_u32 v120, vcc_lo, v114, v120
	v_add_co_ci_u32_e64 v121, null, v115, v121, vcc_lo
	global_store_dwordx2 v[120:121], v[118:119], off
	s_or_b32 exec_lo, exec_lo, s12
	s_and_b32 s15, s3, s8
	s_and_saveexec_b32 s12, s15
	s_cbranch_execz .LBB171_141
.LBB171_157:
	v_cmp_ne_u32_e32 vcc_lo, 1, v144
	s_cbranch_vccnz .LBB171_159
; %bb.158:
	v_lshlrev_b64 v[118:119], 3, v[134:135]
	v_add_co_u32 v118, vcc_lo, v116, v118
	v_add_co_ci_u32_e64 v119, null, v117, v119, vcc_lo
	global_load_dwordx2 v[118:119], v[118:119], off
	s_waitcnt vmcnt(0)
	v_mul_f64 v[118:119], s[16:17], v[118:119]
	v_cvt_f32_f64_e32 v118, v[118:119]
	s_branch .LBB171_160
.LBB171_159:
	v_mov_b32_e32 v118, 0
.LBB171_160:
	v_add_f64 v[119:120], v[46:47], v[110:111]
	v_add_f64 v[121:122], v[48:49], v[112:113]
	;; [unrolled: 1-line block ×4, first 2 shown]
	v_cvt_f32_f64_e32 v119, v[119:120]
	v_cvt_f32_f64_e32 v120, v[121:122]
	;; [unrolled: 1-line block ×4, first 2 shown]
	v_min3_f32 v119, v119, v120, v202
	v_min_f32_e32 v120, v121, v122
	v_min3_f32 v118, v118, v120, v119
	v_lshlrev_b64 v[120:121], 3, v[134:135]
	v_cvt_f64_f32_e32 v[118:119], v118
	v_add_co_u32 v120, vcc_lo, v114, v120
	v_add_co_ci_u32_e64 v121, null, v115, v121, vcc_lo
	global_store_dwordx2 v[120:121], v[118:119], off
	s_or_b32 exec_lo, exec_lo, s12
	s_and_b32 s15, s4, s8
	s_and_saveexec_b32 s12, s15
	s_cbranch_execz .LBB171_142
.LBB171_161:
	v_cmp_ne_u32_e32 vcc_lo, 1, v144
	s_cbranch_vccnz .LBB171_163
; %bb.162:
	v_lshlrev_b64 v[118:119], 3, v[136:137]
	v_add_co_u32 v118, vcc_lo, v116, v118
	v_add_co_ci_u32_e64 v119, null, v117, v119, vcc_lo
	global_load_dwordx2 v[118:119], v[118:119], off
	s_waitcnt vmcnt(0)
	v_mul_f64 v[118:119], s[16:17], v[118:119]
	v_cvt_f32_f64_e32 v118, v[118:119]
	s_branch .LBB171_164
.LBB171_163:
	v_mov_b32_e32 v118, 0
.LBB171_164:
	v_add_f64 v[119:120], v[38:39], v[110:111]
	v_add_f64 v[121:122], v[40:41], v[112:113]
	;; [unrolled: 1-line block ×4, first 2 shown]
	v_cvt_f32_f64_e32 v119, v[119:120]
	v_cvt_f32_f64_e32 v120, v[121:122]
	;; [unrolled: 1-line block ×4, first 2 shown]
	v_min3_f32 v119, v119, v120, v201
	v_min_f32_e32 v120, v121, v122
	v_min3_f32 v118, v118, v120, v119
	v_lshlrev_b64 v[120:121], 3, v[136:137]
	v_cvt_f64_f32_e32 v[118:119], v118
	v_add_co_u32 v120, vcc_lo, v114, v120
	v_add_co_ci_u32_e64 v121, null, v115, v121, vcc_lo
	global_store_dwordx2 v[120:121], v[118:119], off
	s_or_b32 exec_lo, exec_lo, s12
	s_and_b32 s15, s5, s8
	s_and_saveexec_b32 s12, s15
	s_cbranch_execz .LBB171_143
.LBB171_165:
	v_cmp_ne_u32_e32 vcc_lo, 1, v144
	s_cbranch_vccnz .LBB171_167
; %bb.166:
	v_lshlrev_b64 v[118:119], 3, v[138:139]
	v_add_co_u32 v118, vcc_lo, v116, v118
	v_add_co_ci_u32_e64 v119, null, v117, v119, vcc_lo
	global_load_dwordx2 v[118:119], v[118:119], off
	s_waitcnt vmcnt(0)
	v_mul_f64 v[118:119], s[16:17], v[118:119]
	v_cvt_f32_f64_e32 v118, v[118:119]
	s_branch .LBB171_168
.LBB171_167:
	v_mov_b32_e32 v118, 0
.LBB171_168:
	v_add_f64 v[119:120], v[30:31], v[110:111]
	v_add_f64 v[121:122], v[32:33], v[112:113]
	;; [unrolled: 1-line block ×4, first 2 shown]
	v_cvt_f32_f64_e32 v119, v[119:120]
	v_cvt_f32_f64_e32 v120, v[121:122]
	v_cvt_f32_f64_e32 v121, v[123:124]
	v_cvt_f32_f64_e32 v122, v[125:126]
	v_min3_f32 v119, v119, v120, v200
	v_min_f32_e32 v120, v121, v122
	v_min3_f32 v118, v118, v120, v119
	v_lshlrev_b64 v[120:121], 3, v[138:139]
	v_cvt_f64_f32_e32 v[118:119], v118
	v_add_co_u32 v120, vcc_lo, v114, v120
	v_add_co_ci_u32_e64 v121, null, v115, v121, vcc_lo
	global_store_dwordx2 v[120:121], v[118:119], off
	s_or_b32 exec_lo, exec_lo, s12
	s_and_b32 s15, s6, s8
	s_and_saveexec_b32 s12, s15
	s_cbranch_execz .LBB171_144
.LBB171_169:
	v_cmp_ne_u32_e32 vcc_lo, 1, v144
	s_cbranch_vccnz .LBB171_171
; %bb.170:
	v_lshlrev_b64 v[118:119], 3, v[140:141]
	v_add_co_u32 v118, vcc_lo, v116, v118
	v_add_co_ci_u32_e64 v119, null, v117, v119, vcc_lo
	global_load_dwordx2 v[118:119], v[118:119], off
	s_waitcnt vmcnt(0)
	v_mul_f64 v[118:119], s[16:17], v[118:119]
	v_cvt_f32_f64_e32 v118, v[118:119]
	s_branch .LBB171_172
.LBB171_171:
	v_mov_b32_e32 v118, 0
.LBB171_172:
	v_add_f64 v[119:120], v[22:23], v[110:111]
	v_add_f64 v[121:122], v[24:25], v[112:113]
	;; [unrolled: 1-line block ×4, first 2 shown]
	v_cvt_f32_f64_e32 v119, v[119:120]
	v_cvt_f32_f64_e32 v120, v[121:122]
	;; [unrolled: 1-line block ×4, first 2 shown]
	v_min3_f32 v119, v119, v120, v199
	v_min_f32_e32 v120, v121, v122
	v_min3_f32 v118, v118, v120, v119
	v_lshlrev_b64 v[120:121], 3, v[140:141]
	v_cvt_f64_f32_e32 v[118:119], v118
	v_add_co_u32 v120, vcc_lo, v114, v120
	v_add_co_ci_u32_e64 v121, null, v115, v121, vcc_lo
	global_store_dwordx2 v[120:121], v[118:119], off
	s_or_b32 exec_lo, exec_lo, s12
	s_and_b32 s12, s7, s8
	s_and_saveexec_b32 s8, s12
	s_cbranch_execz .LBB171_177
.LBB171_173:
	v_cmp_ne_u32_e32 vcc_lo, 1, v144
	s_cbranch_vccnz .LBB171_175
; %bb.174:
	v_lshlrev_b64 v[118:119], 3, v[142:143]
	v_add_co_u32 v116, vcc_lo, v116, v118
	v_add_co_ci_u32_e64 v117, null, v117, v119, vcc_lo
	global_load_dwordx2 v[116:117], v[116:117], off
	s_waitcnt vmcnt(0)
	v_mul_f64 v[116:117], s[16:17], v[116:117]
	v_cvt_f32_f64_e32 v116, v[116:117]
	s_branch .LBB171_176
.LBB171_175:
	v_mov_b32_e32 v116, 0
.LBB171_176:
	v_add_f64 v[110:111], v[6:7], v[110:111]
	v_add_f64 v[112:113], v[8:9], v[112:113]
	;; [unrolled: 1-line block ×4, first 2 shown]
	v_cvt_f32_f64_e32 v110, v[110:111]
	v_cvt_f32_f64_e32 v111, v[112:113]
	;; [unrolled: 1-line block ×4, first 2 shown]
	v_min3_f32 v108, v110, v111, v198
	v_min_f32_e32 v106, v106, v107
	v_min3_f32 v106, v116, v106, v108
	v_lshlrev_b64 v[108:109], 3, v[142:143]
	v_cvt_f64_f32_e32 v[106:107], v106
	v_add_co_u32 v108, vcc_lo, v114, v108
	v_add_co_ci_u32_e64 v109, null, v115, v109, vcc_lo
	global_store_dwordx2 v[108:109], v[106:107], off
.LBB171_177:
	s_or_b32 exec_lo, exec_lo, s8
	v_add_nc_u32_e32 v110, 0x60, v145
	v_mad_i64_i32 v[106:107], null, v110, s14, 0
	v_mad_i64_i32 v[108:109], null, v110, s9, 0
	v_cmp_gt_i32_e64 s8, s13, v110
	v_lshlrev_b64 v[106:107], 3, v[106:107]
	s_and_b32 s15, s0, s8
	v_lshlrev_b64 v[110:111], 3, v[108:109]
	v_add_co_u32 v108, vcc_lo, s18, v106
	v_add_co_ci_u32_e64 v109, null, s19, v107, vcc_lo
	v_add_co_u32 v106, vcc_lo, s10, v110
	v_add_co_ci_u32_e64 v107, null, s11, v111, vcc_lo
	s_and_saveexec_b32 s12, s15
	s_cbranch_execnz .LBB171_185
; %bb.178:
	s_or_b32 exec_lo, exec_lo, s12
	s_and_b32 s15, s1, s8
	s_and_saveexec_b32 s12, s15
	s_cbranch_execnz .LBB171_189
.LBB171_179:
	s_or_b32 exec_lo, exec_lo, s12
	s_and_b32 s15, s2, s8
	s_and_saveexec_b32 s12, s15
	s_cbranch_execnz .LBB171_193
.LBB171_180:
	s_or_b32 exec_lo, exec_lo, s12
	s_and_b32 s15, s3, s8
	s_and_saveexec_b32 s12, s15
	s_cbranch_execnz .LBB171_197
.LBB171_181:
	s_or_b32 exec_lo, exec_lo, s12
	s_and_b32 s15, s4, s8
	s_and_saveexec_b32 s12, s15
	s_cbranch_execnz .LBB171_201
.LBB171_182:
	s_or_b32 exec_lo, exec_lo, s12
	s_and_b32 s15, s5, s8
	s_and_saveexec_b32 s12, s15
	s_cbranch_execnz .LBB171_205
.LBB171_183:
	s_or_b32 exec_lo, exec_lo, s12
	s_and_b32 s15, s6, s8
	s_and_saveexec_b32 s12, s15
	s_cbranch_execnz .LBB171_209
.LBB171_184:
	s_or_b32 exec_lo, exec_lo, s12
	s_and_b32 s12, s7, s8
	s_and_saveexec_b32 s8, s12
	s_cbranch_execnz .LBB171_213
	s_branch .LBB171_217
.LBB171_185:
	v_cmp_ne_u32_e32 vcc_lo, 1, v144
	s_cbranch_vccnz .LBB171_187
; %bb.186:
	v_lshlrev_b64 v[110:111], 3, v[0:1]
	v_add_co_u32 v110, vcc_lo, v108, v110
	v_add_co_ci_u32_e64 v111, null, v109, v111, vcc_lo
	global_load_dwordx2 v[110:111], v[110:111], off
	s_waitcnt vmcnt(0)
	v_mul_f64 v[110:111], s[16:17], v[110:111]
	v_cvt_f32_f64_e32 v110, v[110:111]
	s_branch .LBB171_188
.LBB171_187:
	v_mov_b32_e32 v110, 0
.LBB171_188:
	v_add_f64 v[111:112], v[70:71], v[102:103]
	v_add_f64 v[113:114], v[72:73], v[104:105]
	;; [unrolled: 1-line block ×4, first 2 shown]
	v_cvt_f32_f64_e32 v111, v[111:112]
	v_cvt_f32_f64_e32 v112, v[113:114]
	;; [unrolled: 1-line block ×4, first 2 shown]
	v_min3_f32 v111, v111, v112, v197
	v_min_f32_e32 v112, v113, v114
	v_min3_f32 v110, v110, v112, v111
	v_lshlrev_b64 v[112:113], 3, v[0:1]
	v_cvt_f64_f32_e32 v[110:111], v110
	v_add_co_u32 v112, vcc_lo, v106, v112
	v_add_co_ci_u32_e64 v113, null, v107, v113, vcc_lo
	global_store_dwordx2 v[112:113], v[110:111], off
	s_or_b32 exec_lo, exec_lo, s12
	s_and_b32 s15, s1, s8
	s_and_saveexec_b32 s12, s15
	s_cbranch_execz .LBB171_179
.LBB171_189:
	v_cmp_ne_u32_e32 vcc_lo, 1, v144
	s_cbranch_vccnz .LBB171_191
; %bb.190:
	v_lshlrev_b64 v[110:111], 3, v[130:131]
	v_add_co_u32 v110, vcc_lo, v108, v110
	v_add_co_ci_u32_e64 v111, null, v109, v111, vcc_lo
	global_load_dwordx2 v[110:111], v[110:111], off
	s_waitcnt vmcnt(0)
	v_mul_f64 v[110:111], s[16:17], v[110:111]
	v_cvt_f32_f64_e32 v110, v[110:111]
	s_branch .LBB171_192
.LBB171_191:
	v_mov_b32_e32 v110, 0
.LBB171_192:
	v_add_f64 v[111:112], v[62:63], v[102:103]
	v_add_f64 v[113:114], v[64:65], v[104:105]
	;; [unrolled: 1-line block ×4, first 2 shown]
	v_cvt_f32_f64_e32 v111, v[111:112]
	v_cvt_f32_f64_e32 v112, v[113:114]
	;; [unrolled: 1-line block ×4, first 2 shown]
	v_min3_f32 v111, v111, v112, v196
	v_min_f32_e32 v112, v113, v114
	v_min3_f32 v110, v110, v112, v111
	v_lshlrev_b64 v[112:113], 3, v[130:131]
	v_cvt_f64_f32_e32 v[110:111], v110
	v_add_co_u32 v112, vcc_lo, v106, v112
	v_add_co_ci_u32_e64 v113, null, v107, v113, vcc_lo
	global_store_dwordx2 v[112:113], v[110:111], off
	s_or_b32 exec_lo, exec_lo, s12
	s_and_b32 s15, s2, s8
	s_and_saveexec_b32 s12, s15
	s_cbranch_execz .LBB171_180
.LBB171_193:
	v_cmp_ne_u32_e32 vcc_lo, 1, v144
	s_cbranch_vccnz .LBB171_195
; %bb.194:
	v_lshlrev_b64 v[110:111], 3, v[132:133]
	v_add_co_u32 v110, vcc_lo, v108, v110
	v_add_co_ci_u32_e64 v111, null, v109, v111, vcc_lo
	global_load_dwordx2 v[110:111], v[110:111], off
	s_waitcnt vmcnt(0)
	v_mul_f64 v[110:111], s[16:17], v[110:111]
	v_cvt_f32_f64_e32 v110, v[110:111]
	s_branch .LBB171_196
.LBB171_195:
	v_mov_b32_e32 v110, 0
.LBB171_196:
	v_add_f64 v[111:112], v[54:55], v[102:103]
	v_add_f64 v[113:114], v[56:57], v[104:105]
	;; [unrolled: 1-line block ×4, first 2 shown]
	v_cvt_f32_f64_e32 v111, v[111:112]
	v_cvt_f32_f64_e32 v112, v[113:114]
	;; [unrolled: 1-line block ×4, first 2 shown]
	v_min3_f32 v111, v111, v112, v195
	v_min_f32_e32 v112, v113, v114
	v_min3_f32 v110, v110, v112, v111
	v_lshlrev_b64 v[112:113], 3, v[132:133]
	v_cvt_f64_f32_e32 v[110:111], v110
	v_add_co_u32 v112, vcc_lo, v106, v112
	v_add_co_ci_u32_e64 v113, null, v107, v113, vcc_lo
	global_store_dwordx2 v[112:113], v[110:111], off
	s_or_b32 exec_lo, exec_lo, s12
	s_and_b32 s15, s3, s8
	s_and_saveexec_b32 s12, s15
	s_cbranch_execz .LBB171_181
.LBB171_197:
	v_cmp_ne_u32_e32 vcc_lo, 1, v144
	s_cbranch_vccnz .LBB171_199
; %bb.198:
	v_lshlrev_b64 v[110:111], 3, v[134:135]
	v_add_co_u32 v110, vcc_lo, v108, v110
	v_add_co_ci_u32_e64 v111, null, v109, v111, vcc_lo
	global_load_dwordx2 v[110:111], v[110:111], off
	s_waitcnt vmcnt(0)
	v_mul_f64 v[110:111], s[16:17], v[110:111]
	v_cvt_f32_f64_e32 v110, v[110:111]
	s_branch .LBB171_200
.LBB171_199:
	v_mov_b32_e32 v110, 0
.LBB171_200:
	v_add_f64 v[111:112], v[46:47], v[102:103]
	v_add_f64 v[113:114], v[48:49], v[104:105]
	v_add_f64 v[115:116], v[42:43], v[98:99]
	v_add_f64 v[117:118], v[44:45], v[100:101]
	v_cvt_f32_f64_e32 v111, v[111:112]
	v_cvt_f32_f64_e32 v112, v[113:114]
	;; [unrolled: 1-line block ×4, first 2 shown]
	v_min3_f32 v111, v111, v112, v194
	v_min_f32_e32 v112, v113, v114
	v_min3_f32 v110, v110, v112, v111
	v_lshlrev_b64 v[112:113], 3, v[134:135]
	v_cvt_f64_f32_e32 v[110:111], v110
	v_add_co_u32 v112, vcc_lo, v106, v112
	v_add_co_ci_u32_e64 v113, null, v107, v113, vcc_lo
	global_store_dwordx2 v[112:113], v[110:111], off
	s_or_b32 exec_lo, exec_lo, s12
	s_and_b32 s15, s4, s8
	s_and_saveexec_b32 s12, s15
	s_cbranch_execz .LBB171_182
.LBB171_201:
	v_cmp_ne_u32_e32 vcc_lo, 1, v144
	s_cbranch_vccnz .LBB171_203
; %bb.202:
	v_lshlrev_b64 v[110:111], 3, v[136:137]
	v_add_co_u32 v110, vcc_lo, v108, v110
	v_add_co_ci_u32_e64 v111, null, v109, v111, vcc_lo
	global_load_dwordx2 v[110:111], v[110:111], off
	s_waitcnt vmcnt(0)
	v_mul_f64 v[110:111], s[16:17], v[110:111]
	v_cvt_f32_f64_e32 v110, v[110:111]
	s_branch .LBB171_204
.LBB171_203:
	v_mov_b32_e32 v110, 0
.LBB171_204:
	v_add_f64 v[111:112], v[38:39], v[102:103]
	v_add_f64 v[113:114], v[40:41], v[104:105]
	;; [unrolled: 1-line block ×4, first 2 shown]
	v_cvt_f32_f64_e32 v111, v[111:112]
	v_cvt_f32_f64_e32 v112, v[113:114]
	;; [unrolled: 1-line block ×4, first 2 shown]
	v_min3_f32 v111, v111, v112, v193
	v_min_f32_e32 v112, v113, v114
	v_min3_f32 v110, v110, v112, v111
	v_lshlrev_b64 v[112:113], 3, v[136:137]
	v_cvt_f64_f32_e32 v[110:111], v110
	v_add_co_u32 v112, vcc_lo, v106, v112
	v_add_co_ci_u32_e64 v113, null, v107, v113, vcc_lo
	global_store_dwordx2 v[112:113], v[110:111], off
	s_or_b32 exec_lo, exec_lo, s12
	s_and_b32 s15, s5, s8
	s_and_saveexec_b32 s12, s15
	s_cbranch_execz .LBB171_183
.LBB171_205:
	v_cmp_ne_u32_e32 vcc_lo, 1, v144
	s_cbranch_vccnz .LBB171_207
; %bb.206:
	v_lshlrev_b64 v[110:111], 3, v[138:139]
	v_add_co_u32 v110, vcc_lo, v108, v110
	v_add_co_ci_u32_e64 v111, null, v109, v111, vcc_lo
	global_load_dwordx2 v[110:111], v[110:111], off
	s_waitcnt vmcnt(0)
	v_mul_f64 v[110:111], s[16:17], v[110:111]
	v_cvt_f32_f64_e32 v110, v[110:111]
	s_branch .LBB171_208
.LBB171_207:
	v_mov_b32_e32 v110, 0
.LBB171_208:
	v_add_f64 v[111:112], v[30:31], v[102:103]
	v_add_f64 v[113:114], v[32:33], v[104:105]
	;; [unrolled: 1-line block ×4, first 2 shown]
	v_cvt_f32_f64_e32 v111, v[111:112]
	v_cvt_f32_f64_e32 v112, v[113:114]
	;; [unrolled: 1-line block ×4, first 2 shown]
	v_min3_f32 v111, v111, v112, v192
	v_min_f32_e32 v112, v113, v114
	v_min3_f32 v110, v110, v112, v111
	v_lshlrev_b64 v[112:113], 3, v[138:139]
	v_cvt_f64_f32_e32 v[110:111], v110
	v_add_co_u32 v112, vcc_lo, v106, v112
	v_add_co_ci_u32_e64 v113, null, v107, v113, vcc_lo
	global_store_dwordx2 v[112:113], v[110:111], off
	s_or_b32 exec_lo, exec_lo, s12
	s_and_b32 s15, s6, s8
	s_and_saveexec_b32 s12, s15
	s_cbranch_execz .LBB171_184
.LBB171_209:
	v_cmp_ne_u32_e32 vcc_lo, 1, v144
	s_cbranch_vccnz .LBB171_211
; %bb.210:
	v_lshlrev_b64 v[110:111], 3, v[140:141]
	v_add_co_u32 v110, vcc_lo, v108, v110
	v_add_co_ci_u32_e64 v111, null, v109, v111, vcc_lo
	global_load_dwordx2 v[110:111], v[110:111], off
	s_waitcnt vmcnt(0)
	v_mul_f64 v[110:111], s[16:17], v[110:111]
	v_cvt_f32_f64_e32 v110, v[110:111]
	s_branch .LBB171_212
.LBB171_211:
	v_mov_b32_e32 v110, 0
.LBB171_212:
	v_add_f64 v[111:112], v[22:23], v[102:103]
	v_add_f64 v[113:114], v[24:25], v[104:105]
	;; [unrolled: 1-line block ×4, first 2 shown]
	v_cvt_f32_f64_e32 v111, v[111:112]
	v_cvt_f32_f64_e32 v112, v[113:114]
	;; [unrolled: 1-line block ×4, first 2 shown]
	v_min3_f32 v111, v111, v112, v191
	v_min_f32_e32 v112, v113, v114
	v_min3_f32 v110, v110, v112, v111
	v_lshlrev_b64 v[112:113], 3, v[140:141]
	v_cvt_f64_f32_e32 v[110:111], v110
	v_add_co_u32 v112, vcc_lo, v106, v112
	v_add_co_ci_u32_e64 v113, null, v107, v113, vcc_lo
	global_store_dwordx2 v[112:113], v[110:111], off
	s_or_b32 exec_lo, exec_lo, s12
	s_and_b32 s12, s7, s8
	s_and_saveexec_b32 s8, s12
	s_cbranch_execz .LBB171_217
.LBB171_213:
	v_cmp_ne_u32_e32 vcc_lo, 1, v144
	s_cbranch_vccnz .LBB171_215
; %bb.214:
	v_lshlrev_b64 v[110:111], 3, v[142:143]
	v_add_co_u32 v108, vcc_lo, v108, v110
	v_add_co_ci_u32_e64 v109, null, v109, v111, vcc_lo
	global_load_dwordx2 v[108:109], v[108:109], off
	s_waitcnt vmcnt(0)
	v_mul_f64 v[108:109], s[16:17], v[108:109]
	v_cvt_f32_f64_e32 v108, v[108:109]
	s_branch .LBB171_216
.LBB171_215:
	v_mov_b32_e32 v108, 0
.LBB171_216:
	v_add_f64 v[102:103], v[6:7], v[102:103]
	v_add_f64 v[104:105], v[8:9], v[104:105]
	v_add_f64 v[98:99], v[2:3], v[98:99]
	v_add_f64 v[100:101], v[4:5], v[100:101]
	v_cvt_f32_f64_e32 v102, v[102:103]
	v_cvt_f32_f64_e32 v103, v[104:105]
	;; [unrolled: 1-line block ×4, first 2 shown]
	v_min3_f32 v100, v102, v103, v190
	v_min_f32_e32 v98, v98, v99
	v_min3_f32 v98, v108, v98, v100
	v_lshlrev_b64 v[100:101], 3, v[142:143]
	v_cvt_f64_f32_e32 v[98:99], v98
	v_add_co_u32 v100, vcc_lo, v106, v100
	v_add_co_ci_u32_e64 v101, null, v107, v101, vcc_lo
	global_store_dwordx2 v[100:101], v[98:99], off
.LBB171_217:
	s_or_b32 exec_lo, exec_lo, s8
	v_add_nc_u32_e32 v102, 0x80, v145
	v_mad_i64_i32 v[98:99], null, v102, s14, 0
	v_mad_i64_i32 v[100:101], null, v102, s9, 0
	v_cmp_gt_i32_e64 s8, s13, v102
	v_lshlrev_b64 v[98:99], 3, v[98:99]
	s_and_b32 s15, s0, s8
	v_lshlrev_b64 v[102:103], 3, v[100:101]
	v_add_co_u32 v100, vcc_lo, s18, v98
	v_add_co_ci_u32_e64 v101, null, s19, v99, vcc_lo
	v_add_co_u32 v98, vcc_lo, s10, v102
	v_add_co_ci_u32_e64 v99, null, s11, v103, vcc_lo
	s_and_saveexec_b32 s12, s15
	s_cbranch_execnz .LBB171_225
; %bb.218:
	s_or_b32 exec_lo, exec_lo, s12
	s_and_b32 s15, s1, s8
	s_and_saveexec_b32 s12, s15
	s_cbranch_execnz .LBB171_229
.LBB171_219:
	s_or_b32 exec_lo, exec_lo, s12
	s_and_b32 s15, s2, s8
	s_and_saveexec_b32 s12, s15
	s_cbranch_execnz .LBB171_233
.LBB171_220:
	s_or_b32 exec_lo, exec_lo, s12
	s_and_b32 s15, s3, s8
	s_and_saveexec_b32 s12, s15
	s_cbranch_execnz .LBB171_237
.LBB171_221:
	s_or_b32 exec_lo, exec_lo, s12
	s_and_b32 s15, s4, s8
	s_and_saveexec_b32 s12, s15
	s_cbranch_execnz .LBB171_241
.LBB171_222:
	s_or_b32 exec_lo, exec_lo, s12
	s_and_b32 s15, s5, s8
	s_and_saveexec_b32 s12, s15
	s_cbranch_execnz .LBB171_245
.LBB171_223:
	s_or_b32 exec_lo, exec_lo, s12
	s_and_b32 s15, s6, s8
	s_and_saveexec_b32 s12, s15
	s_cbranch_execnz .LBB171_249
.LBB171_224:
	s_or_b32 exec_lo, exec_lo, s12
	s_and_b32 s12, s7, s8
	s_and_saveexec_b32 s8, s12
	s_cbranch_execnz .LBB171_253
	s_branch .LBB171_257
.LBB171_225:
	v_cmp_ne_u32_e32 vcc_lo, 1, v144
	s_cbranch_vccnz .LBB171_227
; %bb.226:
	v_lshlrev_b64 v[102:103], 3, v[0:1]
	v_add_co_u32 v102, vcc_lo, v100, v102
	v_add_co_ci_u32_e64 v103, null, v101, v103, vcc_lo
	global_load_dwordx2 v[102:103], v[102:103], off
	s_waitcnt vmcnt(0)
	v_mul_f64 v[102:103], s[16:17], v[102:103]
	v_cvt_f32_f64_e32 v102, v[102:103]
	s_branch .LBB171_228
.LBB171_227:
	v_mov_b32_e32 v102, 0
.LBB171_228:
	v_add_f64 v[103:104], v[70:71], v[94:95]
	v_add_f64 v[105:106], v[72:73], v[96:97]
	;; [unrolled: 1-line block ×4, first 2 shown]
	v_cvt_f32_f64_e32 v103, v[103:104]
	v_cvt_f32_f64_e32 v104, v[105:106]
	;; [unrolled: 1-line block ×4, first 2 shown]
	v_min3_f32 v103, v103, v104, v189
	v_min_f32_e32 v104, v105, v106
	v_min3_f32 v102, v102, v104, v103
	v_lshlrev_b64 v[104:105], 3, v[0:1]
	v_cvt_f64_f32_e32 v[102:103], v102
	v_add_co_u32 v104, vcc_lo, v98, v104
	v_add_co_ci_u32_e64 v105, null, v99, v105, vcc_lo
	global_store_dwordx2 v[104:105], v[102:103], off
	s_or_b32 exec_lo, exec_lo, s12
	s_and_b32 s15, s1, s8
	s_and_saveexec_b32 s12, s15
	s_cbranch_execz .LBB171_219
.LBB171_229:
	v_cmp_ne_u32_e32 vcc_lo, 1, v144
	s_cbranch_vccnz .LBB171_231
; %bb.230:
	v_lshlrev_b64 v[102:103], 3, v[130:131]
	v_add_co_u32 v102, vcc_lo, v100, v102
	v_add_co_ci_u32_e64 v103, null, v101, v103, vcc_lo
	global_load_dwordx2 v[102:103], v[102:103], off
	s_waitcnt vmcnt(0)
	v_mul_f64 v[102:103], s[16:17], v[102:103]
	v_cvt_f32_f64_e32 v102, v[102:103]
	s_branch .LBB171_232
.LBB171_231:
	v_mov_b32_e32 v102, 0
.LBB171_232:
	v_add_f64 v[103:104], v[62:63], v[94:95]
	v_add_f64 v[105:106], v[64:65], v[96:97]
	;; [unrolled: 1-line block ×4, first 2 shown]
	v_cvt_f32_f64_e32 v103, v[103:104]
	v_cvt_f32_f64_e32 v104, v[105:106]
	;; [unrolled: 1-line block ×4, first 2 shown]
	v_min3_f32 v103, v103, v104, v188
	v_min_f32_e32 v104, v105, v106
	v_min3_f32 v102, v102, v104, v103
	v_lshlrev_b64 v[104:105], 3, v[130:131]
	v_cvt_f64_f32_e32 v[102:103], v102
	v_add_co_u32 v104, vcc_lo, v98, v104
	v_add_co_ci_u32_e64 v105, null, v99, v105, vcc_lo
	global_store_dwordx2 v[104:105], v[102:103], off
	s_or_b32 exec_lo, exec_lo, s12
	s_and_b32 s15, s2, s8
	s_and_saveexec_b32 s12, s15
	s_cbranch_execz .LBB171_220
.LBB171_233:
	v_cmp_ne_u32_e32 vcc_lo, 1, v144
	s_cbranch_vccnz .LBB171_235
; %bb.234:
	v_lshlrev_b64 v[102:103], 3, v[132:133]
	v_add_co_u32 v102, vcc_lo, v100, v102
	v_add_co_ci_u32_e64 v103, null, v101, v103, vcc_lo
	global_load_dwordx2 v[102:103], v[102:103], off
	s_waitcnt vmcnt(0)
	v_mul_f64 v[102:103], s[16:17], v[102:103]
	v_cvt_f32_f64_e32 v102, v[102:103]
	s_branch .LBB171_236
.LBB171_235:
	v_mov_b32_e32 v102, 0
.LBB171_236:
	v_add_f64 v[103:104], v[54:55], v[94:95]
	v_add_f64 v[105:106], v[56:57], v[96:97]
	;; [unrolled: 1-line block ×4, first 2 shown]
	v_cvt_f32_f64_e32 v103, v[103:104]
	v_cvt_f32_f64_e32 v104, v[105:106]
	;; [unrolled: 1-line block ×4, first 2 shown]
	v_min3_f32 v103, v103, v104, v187
	v_min_f32_e32 v104, v105, v106
	v_min3_f32 v102, v102, v104, v103
	v_lshlrev_b64 v[104:105], 3, v[132:133]
	v_cvt_f64_f32_e32 v[102:103], v102
	v_add_co_u32 v104, vcc_lo, v98, v104
	v_add_co_ci_u32_e64 v105, null, v99, v105, vcc_lo
	global_store_dwordx2 v[104:105], v[102:103], off
	s_or_b32 exec_lo, exec_lo, s12
	s_and_b32 s15, s3, s8
	s_and_saveexec_b32 s12, s15
	s_cbranch_execz .LBB171_221
.LBB171_237:
	v_cmp_ne_u32_e32 vcc_lo, 1, v144
	s_cbranch_vccnz .LBB171_239
; %bb.238:
	v_lshlrev_b64 v[102:103], 3, v[134:135]
	v_add_co_u32 v102, vcc_lo, v100, v102
	v_add_co_ci_u32_e64 v103, null, v101, v103, vcc_lo
	global_load_dwordx2 v[102:103], v[102:103], off
	s_waitcnt vmcnt(0)
	v_mul_f64 v[102:103], s[16:17], v[102:103]
	v_cvt_f32_f64_e32 v102, v[102:103]
	s_branch .LBB171_240
.LBB171_239:
	v_mov_b32_e32 v102, 0
.LBB171_240:
	v_add_f64 v[103:104], v[46:47], v[94:95]
	v_add_f64 v[105:106], v[48:49], v[96:97]
	v_add_f64 v[107:108], v[42:43], v[90:91]
	v_add_f64 v[109:110], v[44:45], v[92:93]
	v_cvt_f32_f64_e32 v103, v[103:104]
	v_cvt_f32_f64_e32 v104, v[105:106]
	;; [unrolled: 1-line block ×4, first 2 shown]
	v_min3_f32 v103, v103, v104, v186
	v_min_f32_e32 v104, v105, v106
	v_min3_f32 v102, v102, v104, v103
	v_lshlrev_b64 v[104:105], 3, v[134:135]
	v_cvt_f64_f32_e32 v[102:103], v102
	v_add_co_u32 v104, vcc_lo, v98, v104
	v_add_co_ci_u32_e64 v105, null, v99, v105, vcc_lo
	global_store_dwordx2 v[104:105], v[102:103], off
	s_or_b32 exec_lo, exec_lo, s12
	s_and_b32 s15, s4, s8
	s_and_saveexec_b32 s12, s15
	s_cbranch_execz .LBB171_222
.LBB171_241:
	v_cmp_ne_u32_e32 vcc_lo, 1, v144
	s_cbranch_vccnz .LBB171_243
; %bb.242:
	v_lshlrev_b64 v[102:103], 3, v[136:137]
	v_add_co_u32 v102, vcc_lo, v100, v102
	v_add_co_ci_u32_e64 v103, null, v101, v103, vcc_lo
	global_load_dwordx2 v[102:103], v[102:103], off
	s_waitcnt vmcnt(0)
	v_mul_f64 v[102:103], s[16:17], v[102:103]
	v_cvt_f32_f64_e32 v102, v[102:103]
	s_branch .LBB171_244
.LBB171_243:
	v_mov_b32_e32 v102, 0
.LBB171_244:
	v_add_f64 v[103:104], v[38:39], v[94:95]
	v_add_f64 v[105:106], v[40:41], v[96:97]
	;; [unrolled: 1-line block ×4, first 2 shown]
	v_cvt_f32_f64_e32 v103, v[103:104]
	v_cvt_f32_f64_e32 v104, v[105:106]
	;; [unrolled: 1-line block ×4, first 2 shown]
	v_min3_f32 v103, v103, v104, v185
	v_min_f32_e32 v104, v105, v106
	v_min3_f32 v102, v102, v104, v103
	v_lshlrev_b64 v[104:105], 3, v[136:137]
	v_cvt_f64_f32_e32 v[102:103], v102
	v_add_co_u32 v104, vcc_lo, v98, v104
	v_add_co_ci_u32_e64 v105, null, v99, v105, vcc_lo
	global_store_dwordx2 v[104:105], v[102:103], off
	s_or_b32 exec_lo, exec_lo, s12
	s_and_b32 s15, s5, s8
	s_and_saveexec_b32 s12, s15
	s_cbranch_execz .LBB171_223
.LBB171_245:
	v_cmp_ne_u32_e32 vcc_lo, 1, v144
	s_cbranch_vccnz .LBB171_247
; %bb.246:
	v_lshlrev_b64 v[102:103], 3, v[138:139]
	v_add_co_u32 v102, vcc_lo, v100, v102
	v_add_co_ci_u32_e64 v103, null, v101, v103, vcc_lo
	global_load_dwordx2 v[102:103], v[102:103], off
	s_waitcnt vmcnt(0)
	v_mul_f64 v[102:103], s[16:17], v[102:103]
	v_cvt_f32_f64_e32 v102, v[102:103]
	s_branch .LBB171_248
.LBB171_247:
	v_mov_b32_e32 v102, 0
.LBB171_248:
	v_add_f64 v[103:104], v[30:31], v[94:95]
	v_add_f64 v[105:106], v[32:33], v[96:97]
	;; [unrolled: 1-line block ×4, first 2 shown]
	v_cvt_f32_f64_e32 v103, v[103:104]
	v_cvt_f32_f64_e32 v104, v[105:106]
	;; [unrolled: 1-line block ×4, first 2 shown]
	v_min3_f32 v103, v103, v104, v184
	v_min_f32_e32 v104, v105, v106
	v_min3_f32 v102, v102, v104, v103
	v_lshlrev_b64 v[104:105], 3, v[138:139]
	v_cvt_f64_f32_e32 v[102:103], v102
	v_add_co_u32 v104, vcc_lo, v98, v104
	v_add_co_ci_u32_e64 v105, null, v99, v105, vcc_lo
	global_store_dwordx2 v[104:105], v[102:103], off
	s_or_b32 exec_lo, exec_lo, s12
	s_and_b32 s15, s6, s8
	s_and_saveexec_b32 s12, s15
	s_cbranch_execz .LBB171_224
.LBB171_249:
	v_cmp_ne_u32_e32 vcc_lo, 1, v144
	s_cbranch_vccnz .LBB171_251
; %bb.250:
	v_lshlrev_b64 v[102:103], 3, v[140:141]
	v_add_co_u32 v102, vcc_lo, v100, v102
	v_add_co_ci_u32_e64 v103, null, v101, v103, vcc_lo
	global_load_dwordx2 v[102:103], v[102:103], off
	s_waitcnt vmcnt(0)
	v_mul_f64 v[102:103], s[16:17], v[102:103]
	v_cvt_f32_f64_e32 v102, v[102:103]
	s_branch .LBB171_252
.LBB171_251:
	v_mov_b32_e32 v102, 0
.LBB171_252:
	v_add_f64 v[103:104], v[22:23], v[94:95]
	v_add_f64 v[105:106], v[24:25], v[96:97]
	;; [unrolled: 1-line block ×4, first 2 shown]
	v_cvt_f32_f64_e32 v103, v[103:104]
	v_cvt_f32_f64_e32 v104, v[105:106]
	;; [unrolled: 1-line block ×4, first 2 shown]
	v_min3_f32 v103, v103, v104, v183
	v_min_f32_e32 v104, v105, v106
	v_min3_f32 v102, v102, v104, v103
	v_lshlrev_b64 v[104:105], 3, v[140:141]
	v_cvt_f64_f32_e32 v[102:103], v102
	v_add_co_u32 v104, vcc_lo, v98, v104
	v_add_co_ci_u32_e64 v105, null, v99, v105, vcc_lo
	global_store_dwordx2 v[104:105], v[102:103], off
	s_or_b32 exec_lo, exec_lo, s12
	s_and_b32 s12, s7, s8
	s_and_saveexec_b32 s8, s12
	s_cbranch_execz .LBB171_257
.LBB171_253:
	v_cmp_ne_u32_e32 vcc_lo, 1, v144
	s_cbranch_vccnz .LBB171_255
; %bb.254:
	v_lshlrev_b64 v[102:103], 3, v[142:143]
	v_add_co_u32 v100, vcc_lo, v100, v102
	v_add_co_ci_u32_e64 v101, null, v101, v103, vcc_lo
	global_load_dwordx2 v[100:101], v[100:101], off
	s_waitcnt vmcnt(0)
	v_mul_f64 v[100:101], s[16:17], v[100:101]
	v_cvt_f32_f64_e32 v100, v[100:101]
	s_branch .LBB171_256
.LBB171_255:
	v_mov_b32_e32 v100, 0
.LBB171_256:
	v_add_f64 v[94:95], v[6:7], v[94:95]
	v_add_f64 v[96:97], v[8:9], v[96:97]
	;; [unrolled: 1-line block ×4, first 2 shown]
	v_cvt_f32_f64_e32 v94, v[94:95]
	v_cvt_f32_f64_e32 v95, v[96:97]
	;; [unrolled: 1-line block ×4, first 2 shown]
	v_min3_f32 v92, v94, v95, v182
	v_min_f32_e32 v90, v90, v91
	v_min3_f32 v90, v100, v90, v92
	v_lshlrev_b64 v[92:93], 3, v[142:143]
	v_cvt_f64_f32_e32 v[90:91], v90
	v_add_co_u32 v92, vcc_lo, v98, v92
	v_add_co_ci_u32_e64 v93, null, v99, v93, vcc_lo
	global_store_dwordx2 v[92:93], v[90:91], off
.LBB171_257:
	s_or_b32 exec_lo, exec_lo, s8
	v_add_nc_u32_e32 v94, 0xa0, v145
	v_mad_i64_i32 v[90:91], null, v94, s14, 0
	v_mad_i64_i32 v[92:93], null, v94, s9, 0
	v_cmp_gt_i32_e64 s8, s13, v94
	v_lshlrev_b64 v[90:91], 3, v[90:91]
	s_and_b32 s15, s0, s8
	v_lshlrev_b64 v[94:95], 3, v[92:93]
	v_add_co_u32 v92, vcc_lo, s18, v90
	v_add_co_ci_u32_e64 v93, null, s19, v91, vcc_lo
	v_add_co_u32 v90, vcc_lo, s10, v94
	v_add_co_ci_u32_e64 v91, null, s11, v95, vcc_lo
	s_and_saveexec_b32 s12, s15
	s_cbranch_execnz .LBB171_265
; %bb.258:
	s_or_b32 exec_lo, exec_lo, s12
	s_and_b32 s15, s1, s8
	s_and_saveexec_b32 s12, s15
	s_cbranch_execnz .LBB171_269
.LBB171_259:
	s_or_b32 exec_lo, exec_lo, s12
	s_and_b32 s15, s2, s8
	s_and_saveexec_b32 s12, s15
	s_cbranch_execnz .LBB171_273
.LBB171_260:
	s_or_b32 exec_lo, exec_lo, s12
	s_and_b32 s15, s3, s8
	s_and_saveexec_b32 s12, s15
	s_cbranch_execnz .LBB171_277
.LBB171_261:
	s_or_b32 exec_lo, exec_lo, s12
	s_and_b32 s15, s4, s8
	s_and_saveexec_b32 s12, s15
	s_cbranch_execnz .LBB171_281
.LBB171_262:
	s_or_b32 exec_lo, exec_lo, s12
	s_and_b32 s15, s5, s8
	s_and_saveexec_b32 s12, s15
	s_cbranch_execnz .LBB171_285
.LBB171_263:
	s_or_b32 exec_lo, exec_lo, s12
	s_and_b32 s15, s6, s8
	s_and_saveexec_b32 s12, s15
	s_cbranch_execnz .LBB171_289
.LBB171_264:
	s_or_b32 exec_lo, exec_lo, s12
	s_and_b32 s12, s7, s8
	s_and_saveexec_b32 s8, s12
	s_cbranch_execnz .LBB171_293
	s_branch .LBB171_297
.LBB171_265:
	v_cmp_ne_u32_e32 vcc_lo, 1, v144
	s_cbranch_vccnz .LBB171_267
; %bb.266:
	v_lshlrev_b64 v[94:95], 3, v[0:1]
	v_add_co_u32 v94, vcc_lo, v92, v94
	v_add_co_ci_u32_e64 v95, null, v93, v95, vcc_lo
	global_load_dwordx2 v[94:95], v[94:95], off
	s_waitcnt vmcnt(0)
	v_mul_f64 v[94:95], s[16:17], v[94:95]
	v_cvt_f32_f64_e32 v94, v[94:95]
	s_branch .LBB171_268
.LBB171_267:
	v_mov_b32_e32 v94, 0
.LBB171_268:
	v_add_f64 v[95:96], v[70:71], v[86:87]
	v_add_f64 v[97:98], v[72:73], v[88:89]
	;; [unrolled: 1-line block ×4, first 2 shown]
	v_cvt_f32_f64_e32 v95, v[95:96]
	v_cvt_f32_f64_e32 v96, v[97:98]
	;; [unrolled: 1-line block ×4, first 2 shown]
	v_min3_f32 v95, v95, v96, v181
	v_min_f32_e32 v96, v97, v98
	v_min3_f32 v94, v94, v96, v95
	v_lshlrev_b64 v[96:97], 3, v[0:1]
	v_cvt_f64_f32_e32 v[94:95], v94
	v_add_co_u32 v96, vcc_lo, v90, v96
	v_add_co_ci_u32_e64 v97, null, v91, v97, vcc_lo
	global_store_dwordx2 v[96:97], v[94:95], off
	s_or_b32 exec_lo, exec_lo, s12
	s_and_b32 s15, s1, s8
	s_and_saveexec_b32 s12, s15
	s_cbranch_execz .LBB171_259
.LBB171_269:
	v_cmp_ne_u32_e32 vcc_lo, 1, v144
	s_cbranch_vccnz .LBB171_271
; %bb.270:
	v_lshlrev_b64 v[94:95], 3, v[130:131]
	v_add_co_u32 v94, vcc_lo, v92, v94
	v_add_co_ci_u32_e64 v95, null, v93, v95, vcc_lo
	global_load_dwordx2 v[94:95], v[94:95], off
	s_waitcnt vmcnt(0)
	v_mul_f64 v[94:95], s[16:17], v[94:95]
	v_cvt_f32_f64_e32 v94, v[94:95]
	s_branch .LBB171_272
.LBB171_271:
	v_mov_b32_e32 v94, 0
.LBB171_272:
	v_add_f64 v[95:96], v[62:63], v[86:87]
	v_add_f64 v[97:98], v[64:65], v[88:89]
	;; [unrolled: 1-line block ×4, first 2 shown]
	v_cvt_f32_f64_e32 v95, v[95:96]
	v_cvt_f32_f64_e32 v96, v[97:98]
	;; [unrolled: 1-line block ×4, first 2 shown]
	v_min3_f32 v95, v95, v96, v176
	v_min_f32_e32 v96, v97, v98
	v_min3_f32 v94, v94, v96, v95
	v_lshlrev_b64 v[96:97], 3, v[130:131]
	v_cvt_f64_f32_e32 v[94:95], v94
	v_add_co_u32 v96, vcc_lo, v90, v96
	v_add_co_ci_u32_e64 v97, null, v91, v97, vcc_lo
	global_store_dwordx2 v[96:97], v[94:95], off
	s_or_b32 exec_lo, exec_lo, s12
	s_and_b32 s15, s2, s8
	s_and_saveexec_b32 s12, s15
	s_cbranch_execz .LBB171_260
.LBB171_273:
	v_cmp_ne_u32_e32 vcc_lo, 1, v144
	s_cbranch_vccnz .LBB171_275
; %bb.274:
	v_lshlrev_b64 v[94:95], 3, v[132:133]
	v_add_co_u32 v94, vcc_lo, v92, v94
	v_add_co_ci_u32_e64 v95, null, v93, v95, vcc_lo
	global_load_dwordx2 v[94:95], v[94:95], off
	s_waitcnt vmcnt(0)
	v_mul_f64 v[94:95], s[16:17], v[94:95]
	v_cvt_f32_f64_e32 v94, v[94:95]
	s_branch .LBB171_276
.LBB171_275:
	v_mov_b32_e32 v94, 0
.LBB171_276:
	v_add_f64 v[95:96], v[54:55], v[86:87]
	v_add_f64 v[97:98], v[56:57], v[88:89]
	;; [unrolled: 1-line block ×4, first 2 shown]
	v_cvt_f32_f64_e32 v95, v[95:96]
	v_cvt_f32_f64_e32 v96, v[97:98]
	v_cvt_f32_f64_e32 v97, v[99:100]
	v_cvt_f32_f64_e32 v98, v[101:102]
	v_min3_f32 v95, v95, v96, v174
	v_min_f32_e32 v96, v97, v98
	v_min3_f32 v94, v94, v96, v95
	v_lshlrev_b64 v[96:97], 3, v[132:133]
	v_cvt_f64_f32_e32 v[94:95], v94
	v_add_co_u32 v96, vcc_lo, v90, v96
	v_add_co_ci_u32_e64 v97, null, v91, v97, vcc_lo
	global_store_dwordx2 v[96:97], v[94:95], off
	s_or_b32 exec_lo, exec_lo, s12
	s_and_b32 s15, s3, s8
	s_and_saveexec_b32 s12, s15
	s_cbranch_execz .LBB171_261
.LBB171_277:
	v_cmp_ne_u32_e32 vcc_lo, 1, v144
	s_cbranch_vccnz .LBB171_279
; %bb.278:
	v_lshlrev_b64 v[94:95], 3, v[134:135]
	v_add_co_u32 v94, vcc_lo, v92, v94
	v_add_co_ci_u32_e64 v95, null, v93, v95, vcc_lo
	global_load_dwordx2 v[94:95], v[94:95], off
	s_waitcnt vmcnt(0)
	v_mul_f64 v[94:95], s[16:17], v[94:95]
	v_cvt_f32_f64_e32 v94, v[94:95]
	s_branch .LBB171_280
.LBB171_279:
	v_mov_b32_e32 v94, 0
.LBB171_280:
	v_add_f64 v[95:96], v[46:47], v[86:87]
	v_add_f64 v[97:98], v[48:49], v[88:89]
	;; [unrolled: 1-line block ×4, first 2 shown]
	v_cvt_f32_f64_e32 v95, v[95:96]
	v_cvt_f32_f64_e32 v96, v[97:98]
	;; [unrolled: 1-line block ×4, first 2 shown]
	v_min3_f32 v95, v95, v96, v170
	v_min_f32_e32 v96, v97, v98
	v_min3_f32 v94, v94, v96, v95
	v_lshlrev_b64 v[96:97], 3, v[134:135]
	v_cvt_f64_f32_e32 v[94:95], v94
	v_add_co_u32 v96, vcc_lo, v90, v96
	v_add_co_ci_u32_e64 v97, null, v91, v97, vcc_lo
	global_store_dwordx2 v[96:97], v[94:95], off
	s_or_b32 exec_lo, exec_lo, s12
	s_and_b32 s15, s4, s8
	s_and_saveexec_b32 s12, s15
	s_cbranch_execz .LBB171_262
.LBB171_281:
	v_cmp_ne_u32_e32 vcc_lo, 1, v144
	s_cbranch_vccnz .LBB171_283
; %bb.282:
	v_lshlrev_b64 v[94:95], 3, v[136:137]
	v_add_co_u32 v94, vcc_lo, v92, v94
	v_add_co_ci_u32_e64 v95, null, v93, v95, vcc_lo
	global_load_dwordx2 v[94:95], v[94:95], off
	s_waitcnt vmcnt(0)
	v_mul_f64 v[94:95], s[16:17], v[94:95]
	v_cvt_f32_f64_e32 v94, v[94:95]
	s_branch .LBB171_284
.LBB171_283:
	v_mov_b32_e32 v94, 0
.LBB171_284:
	v_add_f64 v[95:96], v[38:39], v[86:87]
	v_add_f64 v[97:98], v[40:41], v[88:89]
	;; [unrolled: 1-line block ×4, first 2 shown]
	v_cvt_f32_f64_e32 v95, v[95:96]
	v_cvt_f32_f64_e32 v96, v[97:98]
	;; [unrolled: 1-line block ×4, first 2 shown]
	v_min3_f32 v95, v95, v96, v169
	v_min_f32_e32 v96, v97, v98
	v_min3_f32 v94, v94, v96, v95
	v_lshlrev_b64 v[96:97], 3, v[136:137]
	v_cvt_f64_f32_e32 v[94:95], v94
	v_add_co_u32 v96, vcc_lo, v90, v96
	v_add_co_ci_u32_e64 v97, null, v91, v97, vcc_lo
	global_store_dwordx2 v[96:97], v[94:95], off
	s_or_b32 exec_lo, exec_lo, s12
	s_and_b32 s15, s5, s8
	s_and_saveexec_b32 s12, s15
	s_cbranch_execz .LBB171_263
.LBB171_285:
	v_cmp_ne_u32_e32 vcc_lo, 1, v144
	s_cbranch_vccnz .LBB171_287
; %bb.286:
	v_lshlrev_b64 v[94:95], 3, v[138:139]
	v_add_co_u32 v94, vcc_lo, v92, v94
	v_add_co_ci_u32_e64 v95, null, v93, v95, vcc_lo
	global_load_dwordx2 v[94:95], v[94:95], off
	s_waitcnt vmcnt(0)
	v_mul_f64 v[94:95], s[16:17], v[94:95]
	v_cvt_f32_f64_e32 v94, v[94:95]
	s_branch .LBB171_288
.LBB171_287:
	v_mov_b32_e32 v94, 0
.LBB171_288:
	v_add_f64 v[95:96], v[30:31], v[86:87]
	v_add_f64 v[97:98], v[32:33], v[88:89]
	;; [unrolled: 1-line block ×4, first 2 shown]
	v_cvt_f32_f64_e32 v95, v[95:96]
	v_cvt_f32_f64_e32 v96, v[97:98]
	;; [unrolled: 1-line block ×4, first 2 shown]
	v_min3_f32 v95, v95, v96, v168
	v_min_f32_e32 v96, v97, v98
	v_min3_f32 v94, v94, v96, v95
	v_lshlrev_b64 v[96:97], 3, v[138:139]
	v_cvt_f64_f32_e32 v[94:95], v94
	v_add_co_u32 v96, vcc_lo, v90, v96
	v_add_co_ci_u32_e64 v97, null, v91, v97, vcc_lo
	global_store_dwordx2 v[96:97], v[94:95], off
	s_or_b32 exec_lo, exec_lo, s12
	s_and_b32 s15, s6, s8
	s_and_saveexec_b32 s12, s15
	s_cbranch_execz .LBB171_264
.LBB171_289:
	v_cmp_ne_u32_e32 vcc_lo, 1, v144
	s_cbranch_vccnz .LBB171_291
; %bb.290:
	v_lshlrev_b64 v[94:95], 3, v[140:141]
	v_add_co_u32 v94, vcc_lo, v92, v94
	v_add_co_ci_u32_e64 v95, null, v93, v95, vcc_lo
	global_load_dwordx2 v[94:95], v[94:95], off
	s_waitcnt vmcnt(0)
	v_mul_f64 v[94:95], s[16:17], v[94:95]
	v_cvt_f32_f64_e32 v94, v[94:95]
	s_branch .LBB171_292
.LBB171_291:
	v_mov_b32_e32 v94, 0
.LBB171_292:
	v_add_f64 v[95:96], v[22:23], v[86:87]
	v_add_f64 v[97:98], v[24:25], v[88:89]
	;; [unrolled: 1-line block ×4, first 2 shown]
	v_cvt_f32_f64_e32 v95, v[95:96]
	v_cvt_f32_f64_e32 v96, v[97:98]
	;; [unrolled: 1-line block ×4, first 2 shown]
	v_min3_f32 v95, v95, v96, v167
	v_min_f32_e32 v96, v97, v98
	v_min3_f32 v94, v94, v96, v95
	v_lshlrev_b64 v[96:97], 3, v[140:141]
	v_cvt_f64_f32_e32 v[94:95], v94
	v_add_co_u32 v96, vcc_lo, v90, v96
	v_add_co_ci_u32_e64 v97, null, v91, v97, vcc_lo
	global_store_dwordx2 v[96:97], v[94:95], off
	s_or_b32 exec_lo, exec_lo, s12
	s_and_b32 s12, s7, s8
	s_and_saveexec_b32 s8, s12
	s_cbranch_execz .LBB171_297
.LBB171_293:
	v_cmp_ne_u32_e32 vcc_lo, 1, v144
	s_cbranch_vccnz .LBB171_295
; %bb.294:
	v_lshlrev_b64 v[94:95], 3, v[142:143]
	v_add_co_u32 v92, vcc_lo, v92, v94
	v_add_co_ci_u32_e64 v93, null, v93, v95, vcc_lo
	global_load_dwordx2 v[92:93], v[92:93], off
	s_waitcnt vmcnt(0)
	v_mul_f64 v[92:93], s[16:17], v[92:93]
	v_cvt_f32_f64_e32 v92, v[92:93]
	s_branch .LBB171_296
.LBB171_295:
	v_mov_b32_e32 v92, 0
.LBB171_296:
	v_add_f64 v[86:87], v[6:7], v[86:87]
	v_add_f64 v[88:89], v[8:9], v[88:89]
	v_add_f64 v[82:83], v[2:3], v[82:83]
	v_add_f64 v[84:85], v[4:5], v[84:85]
	v_cvt_f32_f64_e32 v86, v[86:87]
	v_cvt_f32_f64_e32 v87, v[88:89]
	;; [unrolled: 1-line block ×4, first 2 shown]
	v_min3_f32 v84, v86, v87, v166
	v_min_f32_e32 v82, v82, v83
	v_min3_f32 v82, v92, v82, v84
	v_lshlrev_b64 v[84:85], 3, v[142:143]
	v_cvt_f64_f32_e32 v[82:83], v82
	v_add_co_u32 v84, vcc_lo, v90, v84
	v_add_co_ci_u32_e64 v85, null, v91, v85, vcc_lo
	global_store_dwordx2 v[84:85], v[82:83], off
.LBB171_297:
	s_or_b32 exec_lo, exec_lo, s8
	v_add_nc_u32_e32 v86, 0xc0, v145
	v_mad_i64_i32 v[82:83], null, v86, s14, 0
	v_mad_i64_i32 v[84:85], null, v86, s9, 0
	v_cmp_gt_i32_e64 s8, s13, v86
	v_lshlrev_b64 v[82:83], 3, v[82:83]
	s_and_b32 s15, s0, s8
	v_lshlrev_b64 v[86:87], 3, v[84:85]
	v_add_co_u32 v84, vcc_lo, s18, v82
	v_add_co_ci_u32_e64 v85, null, s19, v83, vcc_lo
	v_add_co_u32 v82, vcc_lo, s10, v86
	v_add_co_ci_u32_e64 v83, null, s11, v87, vcc_lo
	s_and_saveexec_b32 s12, s15
	s_cbranch_execnz .LBB171_305
; %bb.298:
	s_or_b32 exec_lo, exec_lo, s12
	s_and_b32 s15, s1, s8
	s_and_saveexec_b32 s12, s15
	s_cbranch_execnz .LBB171_309
.LBB171_299:
	s_or_b32 exec_lo, exec_lo, s12
	s_and_b32 s15, s2, s8
	s_and_saveexec_b32 s12, s15
	s_cbranch_execnz .LBB171_313
.LBB171_300:
	s_or_b32 exec_lo, exec_lo, s12
	s_and_b32 s15, s3, s8
	s_and_saveexec_b32 s12, s15
	s_cbranch_execnz .LBB171_317
.LBB171_301:
	s_or_b32 exec_lo, exec_lo, s12
	s_and_b32 s15, s4, s8
	s_and_saveexec_b32 s12, s15
	s_cbranch_execnz .LBB171_321
.LBB171_302:
	s_or_b32 exec_lo, exec_lo, s12
	s_and_b32 s15, s5, s8
	s_and_saveexec_b32 s12, s15
	s_cbranch_execnz .LBB171_325
.LBB171_303:
	s_or_b32 exec_lo, exec_lo, s12
	s_and_b32 s15, s6, s8
	s_and_saveexec_b32 s12, s15
	s_cbranch_execnz .LBB171_329
.LBB171_304:
	s_or_b32 exec_lo, exec_lo, s12
	s_and_b32 s12, s7, s8
	s_and_saveexec_b32 s8, s12
	s_cbranch_execnz .LBB171_333
	s_branch .LBB171_337
.LBB171_305:
	v_cmp_ne_u32_e32 vcc_lo, 1, v144
	s_cbranch_vccnz .LBB171_307
; %bb.306:
	v_lshlrev_b64 v[86:87], 3, v[0:1]
	v_add_co_u32 v86, vcc_lo, v84, v86
	v_add_co_ci_u32_e64 v87, null, v85, v87, vcc_lo
	global_load_dwordx2 v[86:87], v[86:87], off
	s_waitcnt vmcnt(0)
	v_mul_f64 v[86:87], s[16:17], v[86:87]
	v_cvt_f32_f64_e32 v86, v[86:87]
	s_branch .LBB171_308
.LBB171_307:
	v_mov_b32_e32 v86, 0
.LBB171_308:
	v_add_f64 v[87:88], v[70:71], v[78:79]
	v_add_f64 v[89:90], v[72:73], v[80:81]
	;; [unrolled: 1-line block ×4, first 2 shown]
	v_cvt_f32_f64_e32 v87, v[87:88]
	v_cvt_f32_f64_e32 v88, v[89:90]
	;; [unrolled: 1-line block ×4, first 2 shown]
	v_min3_f32 v87, v87, v88, v165
	v_min_f32_e32 v88, v89, v90
	v_min3_f32 v86, v86, v88, v87
	v_lshlrev_b64 v[88:89], 3, v[0:1]
	v_cvt_f64_f32_e32 v[86:87], v86
	v_add_co_u32 v88, vcc_lo, v82, v88
	v_add_co_ci_u32_e64 v89, null, v83, v89, vcc_lo
	global_store_dwordx2 v[88:89], v[86:87], off
	s_or_b32 exec_lo, exec_lo, s12
	s_and_b32 s15, s1, s8
	s_and_saveexec_b32 s12, s15
	s_cbranch_execz .LBB171_299
.LBB171_309:
	v_cmp_ne_u32_e32 vcc_lo, 1, v144
	s_cbranch_vccnz .LBB171_311
; %bb.310:
	v_lshlrev_b64 v[86:87], 3, v[130:131]
	v_add_co_u32 v86, vcc_lo, v84, v86
	v_add_co_ci_u32_e64 v87, null, v85, v87, vcc_lo
	global_load_dwordx2 v[86:87], v[86:87], off
	s_waitcnt vmcnt(0)
	v_mul_f64 v[86:87], s[16:17], v[86:87]
	v_cvt_f32_f64_e32 v86, v[86:87]
	s_branch .LBB171_312
.LBB171_311:
	v_mov_b32_e32 v86, 0
.LBB171_312:
	v_add_f64 v[87:88], v[62:63], v[78:79]
	v_add_f64 v[89:90], v[64:65], v[80:81]
	;; [unrolled: 1-line block ×4, first 2 shown]
	v_cvt_f32_f64_e32 v87, v[87:88]
	v_cvt_f32_f64_e32 v88, v[89:90]
	;; [unrolled: 1-line block ×4, first 2 shown]
	v_min3_f32 v87, v87, v88, v164
	v_min_f32_e32 v88, v89, v90
	v_min3_f32 v86, v86, v88, v87
	v_lshlrev_b64 v[88:89], 3, v[130:131]
	v_cvt_f64_f32_e32 v[86:87], v86
	v_add_co_u32 v88, vcc_lo, v82, v88
	v_add_co_ci_u32_e64 v89, null, v83, v89, vcc_lo
	global_store_dwordx2 v[88:89], v[86:87], off
	s_or_b32 exec_lo, exec_lo, s12
	s_and_b32 s15, s2, s8
	s_and_saveexec_b32 s12, s15
	s_cbranch_execz .LBB171_300
.LBB171_313:
	v_cmp_ne_u32_e32 vcc_lo, 1, v144
	s_cbranch_vccnz .LBB171_315
; %bb.314:
	v_lshlrev_b64 v[86:87], 3, v[132:133]
	v_add_co_u32 v86, vcc_lo, v84, v86
	v_add_co_ci_u32_e64 v87, null, v85, v87, vcc_lo
	global_load_dwordx2 v[86:87], v[86:87], off
	s_waitcnt vmcnt(0)
	v_mul_f64 v[86:87], s[16:17], v[86:87]
	v_cvt_f32_f64_e32 v86, v[86:87]
	s_branch .LBB171_316
.LBB171_315:
	v_mov_b32_e32 v86, 0
.LBB171_316:
	v_add_f64 v[87:88], v[54:55], v[78:79]
	v_add_f64 v[89:90], v[56:57], v[80:81]
	;; [unrolled: 1-line block ×4, first 2 shown]
	v_cvt_f32_f64_e32 v87, v[87:88]
	v_cvt_f32_f64_e32 v88, v[89:90]
	;; [unrolled: 1-line block ×4, first 2 shown]
	v_min3_f32 v87, v87, v88, v163
	v_min_f32_e32 v88, v89, v90
	v_min3_f32 v86, v86, v88, v87
	v_lshlrev_b64 v[88:89], 3, v[132:133]
	v_cvt_f64_f32_e32 v[86:87], v86
	v_add_co_u32 v88, vcc_lo, v82, v88
	v_add_co_ci_u32_e64 v89, null, v83, v89, vcc_lo
	global_store_dwordx2 v[88:89], v[86:87], off
	s_or_b32 exec_lo, exec_lo, s12
	s_and_b32 s15, s3, s8
	s_and_saveexec_b32 s12, s15
	s_cbranch_execz .LBB171_301
.LBB171_317:
	v_cmp_ne_u32_e32 vcc_lo, 1, v144
	s_cbranch_vccnz .LBB171_319
; %bb.318:
	v_lshlrev_b64 v[86:87], 3, v[134:135]
	v_add_co_u32 v86, vcc_lo, v84, v86
	v_add_co_ci_u32_e64 v87, null, v85, v87, vcc_lo
	global_load_dwordx2 v[86:87], v[86:87], off
	s_waitcnt vmcnt(0)
	v_mul_f64 v[86:87], s[16:17], v[86:87]
	v_cvt_f32_f64_e32 v86, v[86:87]
	s_branch .LBB171_320
.LBB171_319:
	v_mov_b32_e32 v86, 0
.LBB171_320:
	v_add_f64 v[87:88], v[46:47], v[78:79]
	v_add_f64 v[89:90], v[48:49], v[80:81]
	;; [unrolled: 1-line block ×4, first 2 shown]
	v_cvt_f32_f64_e32 v87, v[87:88]
	v_cvt_f32_f64_e32 v88, v[89:90]
	;; [unrolled: 1-line block ×4, first 2 shown]
	v_min3_f32 v87, v87, v88, v162
	v_min_f32_e32 v88, v89, v90
	v_min3_f32 v86, v86, v88, v87
	v_lshlrev_b64 v[88:89], 3, v[134:135]
	v_cvt_f64_f32_e32 v[86:87], v86
	v_add_co_u32 v88, vcc_lo, v82, v88
	v_add_co_ci_u32_e64 v89, null, v83, v89, vcc_lo
	global_store_dwordx2 v[88:89], v[86:87], off
	s_or_b32 exec_lo, exec_lo, s12
	s_and_b32 s15, s4, s8
	s_and_saveexec_b32 s12, s15
	s_cbranch_execz .LBB171_302
.LBB171_321:
	v_cmp_ne_u32_e32 vcc_lo, 1, v144
	s_cbranch_vccnz .LBB171_323
; %bb.322:
	v_lshlrev_b64 v[86:87], 3, v[136:137]
	v_add_co_u32 v86, vcc_lo, v84, v86
	v_add_co_ci_u32_e64 v87, null, v85, v87, vcc_lo
	global_load_dwordx2 v[86:87], v[86:87], off
	s_waitcnt vmcnt(0)
	v_mul_f64 v[86:87], s[16:17], v[86:87]
	v_cvt_f32_f64_e32 v86, v[86:87]
	s_branch .LBB171_324
.LBB171_323:
	v_mov_b32_e32 v86, 0
.LBB171_324:
	v_add_f64 v[87:88], v[38:39], v[78:79]
	v_add_f64 v[89:90], v[40:41], v[80:81]
	;; [unrolled: 1-line block ×4, first 2 shown]
	v_cvt_f32_f64_e32 v87, v[87:88]
	v_cvt_f32_f64_e32 v88, v[89:90]
	;; [unrolled: 1-line block ×4, first 2 shown]
	v_min3_f32 v87, v87, v88, v161
	v_min_f32_e32 v88, v89, v90
	v_min3_f32 v86, v86, v88, v87
	v_lshlrev_b64 v[88:89], 3, v[136:137]
	v_cvt_f64_f32_e32 v[86:87], v86
	v_add_co_u32 v88, vcc_lo, v82, v88
	v_add_co_ci_u32_e64 v89, null, v83, v89, vcc_lo
	global_store_dwordx2 v[88:89], v[86:87], off
	s_or_b32 exec_lo, exec_lo, s12
	s_and_b32 s15, s5, s8
	s_and_saveexec_b32 s12, s15
	s_cbranch_execz .LBB171_303
.LBB171_325:
	v_cmp_ne_u32_e32 vcc_lo, 1, v144
	s_cbranch_vccnz .LBB171_327
; %bb.326:
	v_lshlrev_b64 v[86:87], 3, v[138:139]
	v_add_co_u32 v86, vcc_lo, v84, v86
	v_add_co_ci_u32_e64 v87, null, v85, v87, vcc_lo
	global_load_dwordx2 v[86:87], v[86:87], off
	s_waitcnt vmcnt(0)
	v_mul_f64 v[86:87], s[16:17], v[86:87]
	v_cvt_f32_f64_e32 v86, v[86:87]
	s_branch .LBB171_328
.LBB171_327:
	v_mov_b32_e32 v86, 0
.LBB171_328:
	v_add_f64 v[87:88], v[30:31], v[78:79]
	v_add_f64 v[89:90], v[32:33], v[80:81]
	v_add_f64 v[91:92], v[26:27], v[74:75]
	v_add_f64 v[93:94], v[28:29], v[76:77]
	v_cvt_f32_f64_e32 v87, v[87:88]
	v_cvt_f32_f64_e32 v88, v[89:90]
	;; [unrolled: 1-line block ×4, first 2 shown]
	v_min3_f32 v87, v87, v88, v160
	v_min_f32_e32 v88, v89, v90
	v_min3_f32 v86, v86, v88, v87
	v_lshlrev_b64 v[88:89], 3, v[138:139]
	v_cvt_f64_f32_e32 v[86:87], v86
	v_add_co_u32 v88, vcc_lo, v82, v88
	v_add_co_ci_u32_e64 v89, null, v83, v89, vcc_lo
	global_store_dwordx2 v[88:89], v[86:87], off
	s_or_b32 exec_lo, exec_lo, s12
	s_and_b32 s15, s6, s8
	s_and_saveexec_b32 s12, s15
	s_cbranch_execz .LBB171_304
.LBB171_329:
	v_cmp_ne_u32_e32 vcc_lo, 1, v144
	s_cbranch_vccnz .LBB171_331
; %bb.330:
	v_lshlrev_b64 v[86:87], 3, v[140:141]
	v_add_co_u32 v86, vcc_lo, v84, v86
	v_add_co_ci_u32_e64 v87, null, v85, v87, vcc_lo
	global_load_dwordx2 v[86:87], v[86:87], off
	s_waitcnt vmcnt(0)
	v_mul_f64 v[86:87], s[16:17], v[86:87]
	v_cvt_f32_f64_e32 v86, v[86:87]
	s_branch .LBB171_332
.LBB171_331:
	v_mov_b32_e32 v86, 0
.LBB171_332:
	v_add_f64 v[87:88], v[22:23], v[78:79]
	v_add_f64 v[89:90], v[24:25], v[80:81]
	;; [unrolled: 1-line block ×4, first 2 shown]
	v_cvt_f32_f64_e32 v87, v[87:88]
	v_cvt_f32_f64_e32 v88, v[89:90]
	;; [unrolled: 1-line block ×4, first 2 shown]
	v_min3_f32 v87, v87, v88, v159
	v_min_f32_e32 v88, v89, v90
	v_min3_f32 v86, v86, v88, v87
	v_lshlrev_b64 v[88:89], 3, v[140:141]
	v_cvt_f64_f32_e32 v[86:87], v86
	v_add_co_u32 v88, vcc_lo, v82, v88
	v_add_co_ci_u32_e64 v89, null, v83, v89, vcc_lo
	global_store_dwordx2 v[88:89], v[86:87], off
	s_or_b32 exec_lo, exec_lo, s12
	s_and_b32 s12, s7, s8
	s_and_saveexec_b32 s8, s12
	s_cbranch_execz .LBB171_337
.LBB171_333:
	v_cmp_ne_u32_e32 vcc_lo, 1, v144
	s_cbranch_vccnz .LBB171_335
; %bb.334:
	v_lshlrev_b64 v[86:87], 3, v[142:143]
	v_add_co_u32 v84, vcc_lo, v84, v86
	v_add_co_ci_u32_e64 v85, null, v85, v87, vcc_lo
	global_load_dwordx2 v[84:85], v[84:85], off
	s_waitcnt vmcnt(0)
	v_mul_f64 v[84:85], s[16:17], v[84:85]
	v_cvt_f32_f64_e32 v84, v[84:85]
	s_branch .LBB171_336
.LBB171_335:
	v_mov_b32_e32 v84, 0
.LBB171_336:
	v_add_f64 v[78:79], v[6:7], v[78:79]
	v_add_f64 v[80:81], v[8:9], v[80:81]
	v_add_f64 v[74:75], v[2:3], v[74:75]
	v_add_f64 v[76:77], v[4:5], v[76:77]
	v_cvt_f32_f64_e32 v78, v[78:79]
	v_cvt_f32_f64_e32 v79, v[80:81]
	;; [unrolled: 1-line block ×4, first 2 shown]
	v_min3_f32 v76, v78, v79, v158
	v_min_f32_e32 v74, v74, v75
	v_min3_f32 v74, v84, v74, v76
	v_lshlrev_b64 v[76:77], 3, v[142:143]
	v_cvt_f64_f32_e32 v[74:75], v74
	v_add_co_u32 v76, vcc_lo, v82, v76
	v_add_co_ci_u32_e64 v77, null, v83, v77, vcc_lo
	global_store_dwordx2 v[76:77], v[74:75], off
.LBB171_337:
	s_or_b32 exec_lo, exec_lo, s8
	v_add_nc_u32_e32 v78, 0xe0, v145
	v_mad_i64_i32 v[74:75], null, v78, s14, 0
	v_mad_i64_i32 v[76:77], null, v78, s9, 0
	v_cmp_gt_i32_e64 s8, s13, v78
	v_lshlrev_b64 v[74:75], 3, v[74:75]
	s_and_b32 s9, s0, s8
	v_lshlrev_b64 v[78:79], 3, v[76:77]
	v_add_co_u32 v76, vcc_lo, s18, v74
	v_add_co_ci_u32_e64 v77, null, s19, v75, vcc_lo
	v_add_co_u32 v74, vcc_lo, s10, v78
	v_add_co_ci_u32_e64 v75, null, s11, v79, vcc_lo
	s_and_saveexec_b32 s0, s9
	s_cbranch_execnz .LBB171_346
; %bb.338:
	s_or_b32 exec_lo, exec_lo, s0
	s_and_b32 s1, s1, s8
	s_and_saveexec_b32 s0, s1
	s_cbranch_execnz .LBB171_350
.LBB171_339:
	s_or_b32 exec_lo, exec_lo, s0
	s_and_b32 s1, s2, s8
	s_and_saveexec_b32 s0, s1
	s_cbranch_execnz .LBB171_354
.LBB171_340:
	s_or_b32 exec_lo, exec_lo, s0
	s_and_b32 s1, s3, s8
	s_and_saveexec_b32 s0, s1
	s_cbranch_execnz .LBB171_358
.LBB171_341:
	s_or_b32 exec_lo, exec_lo, s0
	s_and_b32 s1, s4, s8
	s_and_saveexec_b32 s0, s1
	s_cbranch_execnz .LBB171_362
.LBB171_342:
	s_or_b32 exec_lo, exec_lo, s0
	s_and_b32 s1, s5, s8
	s_and_saveexec_b32 s0, s1
	s_cbranch_execnz .LBB171_366
.LBB171_343:
	s_or_b32 exec_lo, exec_lo, s0
	s_and_b32 s1, s6, s8
	s_and_saveexec_b32 s0, s1
	s_cbranch_execnz .LBB171_370
.LBB171_344:
	s_or_b32 exec_lo, exec_lo, s0
	s_and_b32 s0, s7, s8
	s_and_saveexec_b32 s1, s0
	s_cbranch_execnz .LBB171_374
.LBB171_345:
	s_endpgm
.LBB171_346:
	v_cmp_ne_u32_e32 vcc_lo, 1, v144
	v_lshlrev_b64 v[0:1], 3, v[0:1]
	s_cbranch_vccnz .LBB171_348
; %bb.347:
	v_add_co_u32 v78, vcc_lo, v76, v0
	v_add_co_ci_u32_e64 v79, null, v77, v1, vcc_lo
	global_load_dwordx2 v[78:79], v[78:79], off
	s_waitcnt vmcnt(0)
	v_mul_f64 v[78:79], s[16:17], v[78:79]
	v_cvt_f32_f64_e32 v78, v[78:79]
	s_branch .LBB171_349
.LBB171_348:
	v_mov_b32_e32 v78, 0
.LBB171_349:
	v_add_f64 v[70:71], v[70:71], v[14:15]
	v_add_f64 v[72:73], v[72:73], v[16:17]
	;; [unrolled: 1-line block ×4, first 2 shown]
	v_add_co_u32 v0, vcc_lo, v74, v0
	v_add_co_ci_u32_e64 v1, null, v75, v1, vcc_lo
	v_cvt_f32_f64_e32 v70, v[70:71]
	v_cvt_f32_f64_e32 v71, v[72:73]
	v_cvt_f32_f64_e32 v66, v[66:67]
	v_cvt_f32_f64_e32 v67, v[68:69]
	v_min3_f32 v68, v70, v71, v157
	v_min_f32_e32 v66, v66, v67
	v_min3_f32 v66, v78, v66, v68
	v_cvt_f64_f32_e32 v[66:67], v66
	global_store_dwordx2 v[0:1], v[66:67], off
	s_or_b32 exec_lo, exec_lo, s0
	s_and_b32 s1, s1, s8
	s_and_saveexec_b32 s0, s1
	s_cbranch_execz .LBB171_339
.LBB171_350:
	v_cmp_ne_u32_e32 vcc_lo, 1, v144
	v_lshlrev_b64 v[0:1], 3, v[130:131]
	s_cbranch_vccnz .LBB171_352
; %bb.351:
	v_add_co_u32 v66, vcc_lo, v76, v0
	v_add_co_ci_u32_e64 v67, null, v77, v1, vcc_lo
	global_load_dwordx2 v[66:67], v[66:67], off
	s_waitcnt vmcnt(0)
	v_mul_f64 v[66:67], s[16:17], v[66:67]
	v_cvt_f32_f64_e32 v66, v[66:67]
	s_branch .LBB171_353
.LBB171_352:
	v_mov_b32_e32 v66, 0
.LBB171_353:
	v_add_f64 v[62:63], v[62:63], v[14:15]
	v_add_f64 v[64:65], v[64:65], v[16:17]
	v_add_f64 v[58:59], v[58:59], v[10:11]
	v_add_f64 v[60:61], v[60:61], v[12:13]
	v_add_co_u32 v0, vcc_lo, v74, v0
	v_add_co_ci_u32_e64 v1, null, v75, v1, vcc_lo
	v_cvt_f32_f64_e32 v62, v[62:63]
	v_cvt_f32_f64_e32 v63, v[64:65]
	;; [unrolled: 1-line block ×4, first 2 shown]
	v_min3_f32 v60, v62, v63, v156
	v_min_f32_e32 v58, v58, v59
	v_min3_f32 v58, v66, v58, v60
	v_cvt_f64_f32_e32 v[58:59], v58
	global_store_dwordx2 v[0:1], v[58:59], off
	s_or_b32 exec_lo, exec_lo, s0
	s_and_b32 s1, s2, s8
	s_and_saveexec_b32 s0, s1
	s_cbranch_execz .LBB171_340
.LBB171_354:
	v_cmp_ne_u32_e32 vcc_lo, 1, v144
	v_lshlrev_b64 v[0:1], 3, v[132:133]
	s_cbranch_vccnz .LBB171_356
; %bb.355:
	v_add_co_u32 v58, vcc_lo, v76, v0
	v_add_co_ci_u32_e64 v59, null, v77, v1, vcc_lo
	global_load_dwordx2 v[58:59], v[58:59], off
	s_waitcnt vmcnt(0)
	v_mul_f64 v[58:59], s[16:17], v[58:59]
	v_cvt_f32_f64_e32 v58, v[58:59]
	s_branch .LBB171_357
.LBB171_356:
	v_mov_b32_e32 v58, 0
.LBB171_357:
	v_add_f64 v[54:55], v[54:55], v[14:15]
	v_add_f64 v[56:57], v[56:57], v[16:17]
	;; [unrolled: 1-line block ×4, first 2 shown]
	v_add_co_u32 v0, vcc_lo, v74, v0
	v_add_co_ci_u32_e64 v1, null, v75, v1, vcc_lo
	v_cvt_f32_f64_e32 v54, v[54:55]
	v_cvt_f32_f64_e32 v55, v[56:57]
	;; [unrolled: 1-line block ×4, first 2 shown]
	v_min3_f32 v52, v54, v55, v155
	v_min_f32_e32 v50, v50, v51
	v_min3_f32 v50, v58, v50, v52
	v_cvt_f64_f32_e32 v[50:51], v50
	global_store_dwordx2 v[0:1], v[50:51], off
	s_or_b32 exec_lo, exec_lo, s0
	s_and_b32 s1, s3, s8
	s_and_saveexec_b32 s0, s1
	s_cbranch_execz .LBB171_341
.LBB171_358:
	v_cmp_ne_u32_e32 vcc_lo, 1, v144
	v_lshlrev_b64 v[0:1], 3, v[134:135]
	s_cbranch_vccnz .LBB171_360
; %bb.359:
	v_add_co_u32 v50, vcc_lo, v76, v0
	v_add_co_ci_u32_e64 v51, null, v77, v1, vcc_lo
	global_load_dwordx2 v[50:51], v[50:51], off
	s_waitcnt vmcnt(0)
	v_mul_f64 v[50:51], s[16:17], v[50:51]
	v_cvt_f32_f64_e32 v50, v[50:51]
	s_branch .LBB171_361
.LBB171_360:
	v_mov_b32_e32 v50, 0
.LBB171_361:
	v_add_f64 v[46:47], v[46:47], v[14:15]
	v_add_f64 v[48:49], v[48:49], v[16:17]
	;; [unrolled: 1-line block ×4, first 2 shown]
	v_add_co_u32 v0, vcc_lo, v74, v0
	v_add_co_ci_u32_e64 v1, null, v75, v1, vcc_lo
	v_cvt_f32_f64_e32 v46, v[46:47]
	v_cvt_f32_f64_e32 v47, v[48:49]
	;; [unrolled: 1-line block ×4, first 2 shown]
	v_min3_f32 v44, v46, v47, v154
	v_min_f32_e32 v42, v42, v43
	v_min3_f32 v42, v50, v42, v44
	v_cvt_f64_f32_e32 v[42:43], v42
	global_store_dwordx2 v[0:1], v[42:43], off
	s_or_b32 exec_lo, exec_lo, s0
	s_and_b32 s1, s4, s8
	s_and_saveexec_b32 s0, s1
	s_cbranch_execz .LBB171_342
.LBB171_362:
	v_cmp_ne_u32_e32 vcc_lo, 1, v144
	v_lshlrev_b64 v[0:1], 3, v[136:137]
	s_cbranch_vccnz .LBB171_364
; %bb.363:
	v_add_co_u32 v42, vcc_lo, v76, v0
	v_add_co_ci_u32_e64 v43, null, v77, v1, vcc_lo
	global_load_dwordx2 v[42:43], v[42:43], off
	s_waitcnt vmcnt(0)
	v_mul_f64 v[42:43], s[16:17], v[42:43]
	v_cvt_f32_f64_e32 v42, v[42:43]
	s_branch .LBB171_365
.LBB171_364:
	v_mov_b32_e32 v42, 0
.LBB171_365:
	v_add_f64 v[38:39], v[38:39], v[14:15]
	v_add_f64 v[40:41], v[40:41], v[16:17]
	;; [unrolled: 1-line block ×4, first 2 shown]
	v_add_co_u32 v0, vcc_lo, v74, v0
	v_add_co_ci_u32_e64 v1, null, v75, v1, vcc_lo
	v_cvt_f32_f64_e32 v38, v[38:39]
	v_cvt_f32_f64_e32 v39, v[40:41]
	;; [unrolled: 1-line block ×4, first 2 shown]
	v_min3_f32 v36, v38, v39, v153
	v_min_f32_e32 v34, v34, v35
	v_min3_f32 v34, v42, v34, v36
	v_cvt_f64_f32_e32 v[34:35], v34
	global_store_dwordx2 v[0:1], v[34:35], off
	s_or_b32 exec_lo, exec_lo, s0
	s_and_b32 s1, s5, s8
	s_and_saveexec_b32 s0, s1
	s_cbranch_execz .LBB171_343
.LBB171_366:
	v_cmp_ne_u32_e32 vcc_lo, 1, v144
	v_lshlrev_b64 v[0:1], 3, v[138:139]
	s_cbranch_vccnz .LBB171_368
; %bb.367:
	v_add_co_u32 v34, vcc_lo, v76, v0
	v_add_co_ci_u32_e64 v35, null, v77, v1, vcc_lo
	global_load_dwordx2 v[34:35], v[34:35], off
	s_waitcnt vmcnt(0)
	v_mul_f64 v[34:35], s[16:17], v[34:35]
	v_cvt_f32_f64_e32 v34, v[34:35]
	s_branch .LBB171_369
.LBB171_368:
	v_mov_b32_e32 v34, 0
.LBB171_369:
	v_add_f64 v[30:31], v[30:31], v[14:15]
	v_add_f64 v[32:33], v[32:33], v[16:17]
	;; [unrolled: 1-line block ×4, first 2 shown]
	v_add_co_u32 v0, vcc_lo, v74, v0
	v_add_co_ci_u32_e64 v1, null, v75, v1, vcc_lo
	v_cvt_f32_f64_e32 v30, v[30:31]
	v_cvt_f32_f64_e32 v31, v[32:33]
	;; [unrolled: 1-line block ×4, first 2 shown]
	v_min3_f32 v28, v30, v31, v152
	v_min_f32_e32 v26, v26, v27
	v_min3_f32 v26, v34, v26, v28
	v_cvt_f64_f32_e32 v[26:27], v26
	global_store_dwordx2 v[0:1], v[26:27], off
	s_or_b32 exec_lo, exec_lo, s0
	s_and_b32 s1, s6, s8
	s_and_saveexec_b32 s0, s1
	s_cbranch_execz .LBB171_344
.LBB171_370:
	v_cmp_ne_u32_e32 vcc_lo, 1, v144
	v_lshlrev_b64 v[0:1], 3, v[140:141]
	s_cbranch_vccnz .LBB171_372
; %bb.371:
	v_add_co_u32 v26, vcc_lo, v76, v0
	v_add_co_ci_u32_e64 v27, null, v77, v1, vcc_lo
	global_load_dwordx2 v[26:27], v[26:27], off
	s_waitcnt vmcnt(0)
	v_mul_f64 v[26:27], s[16:17], v[26:27]
	v_cvt_f32_f64_e32 v26, v[26:27]
	s_branch .LBB171_373
.LBB171_372:
	v_mov_b32_e32 v26, 0
.LBB171_373:
	v_add_f64 v[22:23], v[22:23], v[14:15]
	v_add_f64 v[24:25], v[24:25], v[16:17]
	;; [unrolled: 1-line block ×4, first 2 shown]
	v_add_co_u32 v0, vcc_lo, v74, v0
	v_add_co_ci_u32_e64 v1, null, v75, v1, vcc_lo
	v_cvt_f32_f64_e32 v22, v[22:23]
	v_cvt_f32_f64_e32 v23, v[24:25]
	;; [unrolled: 1-line block ×4, first 2 shown]
	v_min3_f32 v20, v22, v23, v151
	v_min_f32_e32 v18, v18, v19
	v_min3_f32 v18, v26, v18, v20
	v_cvt_f64_f32_e32 v[18:19], v18
	global_store_dwordx2 v[0:1], v[18:19], off
	s_or_b32 exec_lo, exec_lo, s0
	s_and_b32 s0, s7, s8
	s_and_saveexec_b32 s1, s0
	s_cbranch_execz .LBB171_345
.LBB171_374:
	v_cmp_ne_u32_e32 vcc_lo, 1, v144
	v_lshlrev_b64 v[0:1], 3, v[142:143]
	s_cbranch_vccnz .LBB171_376
; %bb.375:
	v_add_co_u32 v18, vcc_lo, v76, v0
	v_add_co_ci_u32_e64 v19, null, v77, v1, vcc_lo
	global_load_dwordx2 v[18:19], v[18:19], off
	s_waitcnt vmcnt(0)
	v_mul_f64 v[18:19], s[16:17], v[18:19]
	v_cvt_f32_f64_e32 v18, v[18:19]
	s_branch .LBB171_377
.LBB171_376:
	v_mov_b32_e32 v18, 0
.LBB171_377:
	v_add_f64 v[6:7], v[6:7], v[14:15]
	v_add_f64 v[8:9], v[8:9], v[16:17]
	;; [unrolled: 1-line block ×4, first 2 shown]
	v_add_co_u32 v0, vcc_lo, v74, v0
	v_add_co_ci_u32_e64 v1, null, v75, v1, vcc_lo
	v_cvt_f32_f64_e32 v6, v[6:7]
	v_cvt_f32_f64_e32 v7, v[8:9]
	;; [unrolled: 1-line block ×4, first 2 shown]
	v_min3_f32 v4, v6, v7, v150
	v_min_f32_e32 v2, v2, v3
	v_min3_f32 v2, v18, v2, v4
	v_cvt_f64_f32_e32 v[2:3], v2
	global_store_dwordx2 v[0:1], v[2:3], off
	s_endpgm
	.section	.rodata,"a",@progbits
	.p2align	6, 0x0
	.amdhsa_kernel _ZN12_GLOBAL__N_120geam_min_plus_kernelId15HIP_vector_typeIdLj2EEdLi8ELi32ELi64ELi256ELi4ELi64ELi4ELi64ELi4ELc78ELc84ELb0ELb1ELb1EPKdS3_dEEviiiT16_PT17_ilS7_ilS5_S7_ilPT18_ili26rocblas_geam_ex_operation_
		.amdhsa_group_segment_fixed_size 20480
		.amdhsa_private_segment_fixed_size 0
		.amdhsa_kernarg_size 136
		.amdhsa_user_sgpr_count 6
		.amdhsa_user_sgpr_private_segment_buffer 1
		.amdhsa_user_sgpr_dispatch_ptr 0
		.amdhsa_user_sgpr_queue_ptr 0
		.amdhsa_user_sgpr_kernarg_segment_ptr 1
		.amdhsa_user_sgpr_dispatch_id 0
		.amdhsa_user_sgpr_flat_scratch_init 0
		.amdhsa_user_sgpr_private_segment_size 0
		.amdhsa_wavefront_size32 1
		.amdhsa_uses_dynamic_stack 0
		.amdhsa_system_sgpr_private_segment_wavefront_offset 0
		.amdhsa_system_sgpr_workgroup_id_x 1
		.amdhsa_system_sgpr_workgroup_id_y 0
		.amdhsa_system_sgpr_workgroup_id_z 1
		.amdhsa_system_sgpr_workgroup_info 0
		.amdhsa_system_vgpr_workitem_id 1
		.amdhsa_next_free_vgpr 226
		.amdhsa_next_free_sgpr 35
		.amdhsa_reserve_vcc 1
		.amdhsa_reserve_flat_scratch 0
		.amdhsa_float_round_mode_32 0
		.amdhsa_float_round_mode_16_64 0
		.amdhsa_float_denorm_mode_32 3
		.amdhsa_float_denorm_mode_16_64 3
		.amdhsa_dx10_clamp 1
		.amdhsa_ieee_mode 1
		.amdhsa_fp16_overflow 0
		.amdhsa_workgroup_processor_mode 1
		.amdhsa_memory_ordered 1
		.amdhsa_forward_progress 1
		.amdhsa_shared_vgpr_count 0
		.amdhsa_exception_fp_ieee_invalid_op 0
		.amdhsa_exception_fp_denorm_src 0
		.amdhsa_exception_fp_ieee_div_zero 0
		.amdhsa_exception_fp_ieee_overflow 0
		.amdhsa_exception_fp_ieee_underflow 0
		.amdhsa_exception_fp_ieee_inexact 0
		.amdhsa_exception_int_div_zero 0
	.end_amdhsa_kernel
	.section	.text._ZN12_GLOBAL__N_120geam_min_plus_kernelId15HIP_vector_typeIdLj2EEdLi8ELi32ELi64ELi256ELi4ELi64ELi4ELi64ELi4ELc78ELc84ELb0ELb1ELb1EPKdS3_dEEviiiT16_PT17_ilS7_ilS5_S7_ilPT18_ili26rocblas_geam_ex_operation_,"axG",@progbits,_ZN12_GLOBAL__N_120geam_min_plus_kernelId15HIP_vector_typeIdLj2EEdLi8ELi32ELi64ELi256ELi4ELi64ELi4ELi64ELi4ELc78ELc84ELb0ELb1ELb1EPKdS3_dEEviiiT16_PT17_ilS7_ilS5_S7_ilPT18_ili26rocblas_geam_ex_operation_,comdat
.Lfunc_end171:
	.size	_ZN12_GLOBAL__N_120geam_min_plus_kernelId15HIP_vector_typeIdLj2EEdLi8ELi32ELi64ELi256ELi4ELi64ELi4ELi64ELi4ELc78ELc84ELb0ELb1ELb1EPKdS3_dEEviiiT16_PT17_ilS7_ilS5_S7_ilPT18_ili26rocblas_geam_ex_operation_, .Lfunc_end171-_ZN12_GLOBAL__N_120geam_min_plus_kernelId15HIP_vector_typeIdLj2EEdLi8ELi32ELi64ELi256ELi4ELi64ELi4ELi64ELi4ELc78ELc84ELb0ELb1ELb1EPKdS3_dEEviiiT16_PT17_ilS7_ilS5_S7_ilPT18_ili26rocblas_geam_ex_operation_
                                        ; -- End function
	.set _ZN12_GLOBAL__N_120geam_min_plus_kernelId15HIP_vector_typeIdLj2EEdLi8ELi32ELi64ELi256ELi4ELi64ELi4ELi64ELi4ELc78ELc84ELb0ELb1ELb1EPKdS3_dEEviiiT16_PT17_ilS7_ilS5_S7_ilPT18_ili26rocblas_geam_ex_operation_.num_vgpr, 226
	.set _ZN12_GLOBAL__N_120geam_min_plus_kernelId15HIP_vector_typeIdLj2EEdLi8ELi32ELi64ELi256ELi4ELi64ELi4ELi64ELi4ELc78ELc84ELb0ELb1ELb1EPKdS3_dEEviiiT16_PT17_ilS7_ilS5_S7_ilPT18_ili26rocblas_geam_ex_operation_.num_agpr, 0
	.set _ZN12_GLOBAL__N_120geam_min_plus_kernelId15HIP_vector_typeIdLj2EEdLi8ELi32ELi64ELi256ELi4ELi64ELi4ELi64ELi4ELc78ELc84ELb0ELb1ELb1EPKdS3_dEEviiiT16_PT17_ilS7_ilS5_S7_ilPT18_ili26rocblas_geam_ex_operation_.numbered_sgpr, 35
	.set _ZN12_GLOBAL__N_120geam_min_plus_kernelId15HIP_vector_typeIdLj2EEdLi8ELi32ELi64ELi256ELi4ELi64ELi4ELi64ELi4ELc78ELc84ELb0ELb1ELb1EPKdS3_dEEviiiT16_PT17_ilS7_ilS5_S7_ilPT18_ili26rocblas_geam_ex_operation_.num_named_barrier, 0
	.set _ZN12_GLOBAL__N_120geam_min_plus_kernelId15HIP_vector_typeIdLj2EEdLi8ELi32ELi64ELi256ELi4ELi64ELi4ELi64ELi4ELc78ELc84ELb0ELb1ELb1EPKdS3_dEEviiiT16_PT17_ilS7_ilS5_S7_ilPT18_ili26rocblas_geam_ex_operation_.private_seg_size, 0
	.set _ZN12_GLOBAL__N_120geam_min_plus_kernelId15HIP_vector_typeIdLj2EEdLi8ELi32ELi64ELi256ELi4ELi64ELi4ELi64ELi4ELc78ELc84ELb0ELb1ELb1EPKdS3_dEEviiiT16_PT17_ilS7_ilS5_S7_ilPT18_ili26rocblas_geam_ex_operation_.uses_vcc, 1
	.set _ZN12_GLOBAL__N_120geam_min_plus_kernelId15HIP_vector_typeIdLj2EEdLi8ELi32ELi64ELi256ELi4ELi64ELi4ELi64ELi4ELc78ELc84ELb0ELb1ELb1EPKdS3_dEEviiiT16_PT17_ilS7_ilS5_S7_ilPT18_ili26rocblas_geam_ex_operation_.uses_flat_scratch, 0
	.set _ZN12_GLOBAL__N_120geam_min_plus_kernelId15HIP_vector_typeIdLj2EEdLi8ELi32ELi64ELi256ELi4ELi64ELi4ELi64ELi4ELc78ELc84ELb0ELb1ELb1EPKdS3_dEEviiiT16_PT17_ilS7_ilS5_S7_ilPT18_ili26rocblas_geam_ex_operation_.has_dyn_sized_stack, 0
	.set _ZN12_GLOBAL__N_120geam_min_plus_kernelId15HIP_vector_typeIdLj2EEdLi8ELi32ELi64ELi256ELi4ELi64ELi4ELi64ELi4ELc78ELc84ELb0ELb1ELb1EPKdS3_dEEviiiT16_PT17_ilS7_ilS5_S7_ilPT18_ili26rocblas_geam_ex_operation_.has_recursion, 0
	.set _ZN12_GLOBAL__N_120geam_min_plus_kernelId15HIP_vector_typeIdLj2EEdLi8ELi32ELi64ELi256ELi4ELi64ELi4ELi64ELi4ELc78ELc84ELb0ELb1ELb1EPKdS3_dEEviiiT16_PT17_ilS7_ilS5_S7_ilPT18_ili26rocblas_geam_ex_operation_.has_indirect_call, 0
	.section	.AMDGPU.csdata,"",@progbits
; Kernel info:
; codeLenInByte = 29760
; TotalNumSgprs: 37
; NumVgprs: 226
; ScratchSize: 0
; MemoryBound: 0
; FloatMode: 240
; IeeeMode: 1
; LDSByteSize: 20480 bytes/workgroup (compile time only)
; SGPRBlocks: 0
; VGPRBlocks: 28
; NumSGPRsForWavesPerEU: 37
; NumVGPRsForWavesPerEU: 226
; Occupancy: 4
; WaveLimiterHint : 0
; COMPUTE_PGM_RSRC2:SCRATCH_EN: 0
; COMPUTE_PGM_RSRC2:USER_SGPR: 6
; COMPUTE_PGM_RSRC2:TRAP_HANDLER: 0
; COMPUTE_PGM_RSRC2:TGID_X_EN: 1
; COMPUTE_PGM_RSRC2:TGID_Y_EN: 0
; COMPUTE_PGM_RSRC2:TGID_Z_EN: 1
; COMPUTE_PGM_RSRC2:TIDIG_COMP_CNT: 1
	.section	.text._ZN12_GLOBAL__N_120geam_min_plus_kernelId15HIP_vector_typeIdLj2EEdLi8ELi32ELi64ELi256ELi4ELi64ELi4ELi64ELi4ELc78ELc84ELb1ELb1ELb1EdKddEEviiiT16_PT17_ilS6_ilS4_S6_ilPT18_ili26rocblas_geam_ex_operation_,"axG",@progbits,_ZN12_GLOBAL__N_120geam_min_plus_kernelId15HIP_vector_typeIdLj2EEdLi8ELi32ELi64ELi256ELi4ELi64ELi4ELi64ELi4ELc78ELc84ELb1ELb1ELb1EdKddEEviiiT16_PT17_ilS6_ilS4_S6_ilPT18_ili26rocblas_geam_ex_operation_,comdat
	.globl	_ZN12_GLOBAL__N_120geam_min_plus_kernelId15HIP_vector_typeIdLj2EEdLi8ELi32ELi64ELi256ELi4ELi64ELi4ELi64ELi4ELc78ELc84ELb1ELb1ELb1EdKddEEviiiT16_PT17_ilS6_ilS4_S6_ilPT18_ili26rocblas_geam_ex_operation_ ; -- Begin function _ZN12_GLOBAL__N_120geam_min_plus_kernelId15HIP_vector_typeIdLj2EEdLi8ELi32ELi64ELi256ELi4ELi64ELi4ELi64ELi4ELc78ELc84ELb1ELb1ELb1EdKddEEviiiT16_PT17_ilS6_ilS4_S6_ilPT18_ili26rocblas_geam_ex_operation_
	.p2align	8
	.type	_ZN12_GLOBAL__N_120geam_min_plus_kernelId15HIP_vector_typeIdLj2EEdLi8ELi32ELi64ELi256ELi4ELi64ELi4ELi64ELi4ELc78ELc84ELb1ELb1ELb1EdKddEEviiiT16_PT17_ilS6_ilS4_S6_ilPT18_ili26rocblas_geam_ex_operation_,@function
_ZN12_GLOBAL__N_120geam_min_plus_kernelId15HIP_vector_typeIdLj2EEdLi8ELi32ELi64ELi256ELi4ELi64ELi4ELi64ELi4ELc78ELc84ELb1ELb1ELb1EdKddEEviiiT16_PT17_ilS6_ilS4_S6_ilPT18_ili26rocblas_geam_ex_operation_: ; @_ZN12_GLOBAL__N_120geam_min_plus_kernelId15HIP_vector_typeIdLj2EEdLi8ELi32ELi64ELi256ELi4ELi64ELi4ELi64ELi4ELc78ELc84ELb1ELb1ELb1EdKddEEviiiT16_PT17_ilS6_ilS4_S6_ilPT18_ili26rocblas_geam_ex_operation_
; %bb.0:
	s_clause 0x1
	s_load_dwordx4 s[8:11], s[4:5], 0x10
	s_load_dwordx4 s[0:3], s[4:5], 0x28
	s_mov_b64 s[22:23], 0
	s_waitcnt lgkmcnt(0)
	v_cmp_eq_f64_e64 s12, s[8:9], 0
	s_and_b32 vcc_lo, exec_lo, s12
	s_cbranch_vccnz .LBB172_2
; %bb.1:
	s_mul_i32 s1, s1, s7
	s_mul_hi_u32 s8, s0, s7
	s_mul_i32 s0, s0, s7
	s_add_i32 s1, s8, s1
	s_lshl_b64 s[0:1], s[0:1], 3
	s_add_u32 s22, s10, s0
	s_addc_u32 s23, s11, s1
.LBB172_2:
	s_clause 0x1
	s_load_dwordx4 s[8:11], s[4:5], 0x40
	s_load_dwordx2 s[0:1], s[4:5], 0x50
	s_andn2_b32 vcc_lo, exec_lo, s12
	s_mov_b32 s12, -1
	s_cbranch_vccnz .LBB172_4
; %bb.3:
	s_mov_b32 s12, 0
.LBB172_4:
	s_mov_b64 s[20:21], 0
	s_andn2_b32 vcc_lo, exec_lo, s12
	s_mov_b64 s[24:25], 0
	s_cbranch_vccnz .LBB172_6
; %bb.5:
	s_waitcnt lgkmcnt(0)
	s_mul_i32 s9, s9, s7
	s_mul_hi_u32 s12, s8, s7
	s_mul_i32 s8, s8, s7
	s_add_i32 s9, s12, s9
	s_lshl_b64 s[8:9], s[8:9], 3
	s_add_u32 s24, s2, s8
	s_addc_u32 s25, s3, s9
.LBB172_6:
	s_waitcnt lgkmcnt(0)
	v_cmp_eq_f64_e64 s2, s[10:11], 0
	v_cmp_neq_f64_e64 s9, s[10:11], 0
	s_load_dwordx4 s[16:19], s[4:5], 0x60
	s_and_b32 vcc_lo, exec_lo, s2
	s_cbranch_vccnz .LBB172_8
; %bb.7:
	s_waitcnt lgkmcnt(0)
	s_mul_i32 s2, s17, s7
	s_mul_hi_u32 s3, s16, s7
	s_add_i32 s3, s3, s2
	s_mul_i32 s2, s16, s7
	s_lshl_b64 s[2:3], s[2:3], 3
	s_add_u32 s20, s0, s2
	s_addc_u32 s21, s1, s3
.LBB172_8:
	s_load_dwordx4 s[12:15], s[4:5], 0x0
	s_waitcnt lgkmcnt(0)
	s_load_dword s16, s[4:5], 0x20
	v_mov_b32_e32 v3, 0x7fefffff
	s_add_i32 s0, s12, -1
	s_waitcnt lgkmcnt(0)
	s_ashr_i32 s17, s16, 31
	s_ashr_i32 s1, s0, 31
	s_lshr_b32 s1, s1, 26
	s_add_i32 s0, s0, s1
	s_ashr_i32 s0, s0, 6
	s_add_i32 s2, s0, 1
	s_not_b32 s0, s0
	v_cvt_f32_u32_e32 v2, s2
	v_rcp_iflag_f32_e32 v2, v2
	v_mul_f32_e32 v2, 0x4f7ffffe, v2
	v_cvt_u32_f32_e32 v2, v2
	v_readfirstlane_b32 s1, v2
	v_lshl_add_u32 v2, v1, 3, v0
	s_mul_i32 s0, s0, s1
	v_and_b32_e32 v12, 63, v2
	s_mul_hi_u32 s0, s1, s0
	v_lshrrev_b32_e32 v148, 6, v2
	s_add_i32 s1, s1, s0
	v_mov_b32_e32 v2, -1
	s_mul_hi_u32 s0, s6, s1
	v_mov_b32_e32 v5, v3
	s_mul_i32 s1, s0, s2
	s_add_i32 s3, s0, 1
	s_sub_i32 s1, s6, s1
	v_mov_b32_e32 v4, v2
	s_sub_i32 s8, s1, s2
	s_cmp_ge_u32 s1, s2
	s_cselect_b32 s0, s3, s0
	s_cselect_b32 s1, s8, s1
	s_add_i32 s3, s0, 1
	s_cmp_ge_u32 s1, s2
	s_cselect_b32 s1, s3, s0
	s_mul_i32 s0, s1, s2
	s_sub_i32 s0, s6, s0
	v_cmp_le_i32_e64 s6, s14, v148
	s_lshl_b32 s15, s0, 6
	v_or_b32_e32 v66, s15, v12
	v_cmp_le_i32_e32 vcc_lo, s12, v66
	v_ashrrev_i32_e32 v67, 31, v66
	s_nor_b32 s0, vcc_lo, s6
	s_and_saveexec_b32 s2, s0
	s_cbranch_execz .LBB172_10
; %bb.9:
	v_mad_i64_i32 v[4:5], null, s16, v148, 0
	v_lshlrev_b64 v[6:7], 3, v[66:67]
	v_lshlrev_b64 v[4:5], 3, v[4:5]
	v_add_co_u32 v4, s0, s22, v4
	v_add_co_ci_u32_e64 v5, null, s23, v5, s0
	v_add_co_u32 v4, s0, v4, v6
	v_add_co_ci_u32_e64 v5, null, v5, v7, s0
	global_load_dwordx2 v[4:5], v[4:5], off
.LBB172_10:
	s_or_b32 exec_lo, exec_lo, s2
	s_load_dword s26, s[4:5], 0x38
	s_lshl_b32 s28, s1, 8
	v_or_b32_e32 v68, s28, v12
	v_cmp_le_i32_e64 s0, s13, v68
	v_ashrrev_i32_e32 v69, 31, v68
	s_waitcnt lgkmcnt(0)
	v_mad_i64_i32 v[6:7], null, v148, s26, 0
	v_lshlrev_b64 v[6:7], 3, v[6:7]
	v_add_co_u32 v13, s1, s24, v6
	v_add_co_ci_u32_e64 v14, null, s25, v7, s1
	s_nor_b32 s1, s0, s6
	s_and_saveexec_b32 s2, s1
	s_cbranch_execz .LBB172_12
; %bb.11:
	v_lshlrev_b64 v[2:3], 3, v[68:69]
	v_add_co_u32 v2, s1, v13, v2
	v_add_co_ci_u32_e64 v3, null, v14, v3, s1
	global_load_dwordx2 v[2:3], v[2:3], off
.LBB172_12:
	s_or_b32 exec_lo, exec_lo, s2
	v_or_b32_e32 v8, 64, v68
	v_mov_b32_e32 v7, 0x7fefffff
	v_mov_b32_e32 v6, -1
	v_cmp_le_i32_e64 s1, s13, v8
	v_mov_b32_e32 v9, v7
	v_mov_b32_e32 v8, v6
	s_nor_b32 s2, s1, s6
	s_and_saveexec_b32 s3, s2
	s_cbranch_execz .LBB172_14
; %bb.13:
	v_lshlrev_b64 v[8:9], 3, v[68:69]
	v_add_co_u32 v8, s2, v13, v8
	v_add_co_ci_u32_e64 v9, null, v14, v9, s2
	global_load_dwordx2 v[8:9], v[8:9], off offset:512
.LBB172_14:
	s_or_b32 exec_lo, exec_lo, s3
	v_or_b32_e32 v10, 0x80, v68
	s_ashr_i32 s27, s26, 31
	v_cmp_le_i32_e64 s2, s13, v10
	s_nor_b32 s3, s2, s6
	s_and_saveexec_b32 s8, s3
	s_cbranch_execz .LBB172_16
; %bb.15:
	v_lshlrev_b64 v[6:7], 3, v[68:69]
	v_add_co_u32 v6, s3, v13, v6
	v_add_co_ci_u32_e64 v7, null, v14, v7, s3
	global_load_dwordx2 v[6:7], v[6:7], off offset:1024
.LBB172_16:
	s_or_b32 exec_lo, exec_lo, s8
	v_or_b32_e32 v10, 0xc0, v68
	v_mov_b32_e32 v74, -1
	v_mov_b32_e32 v75, 0x7fefffff
	v_cmp_le_i32_e64 s3, s13, v10
	v_mov_b32_e32 v10, v74
	v_mov_b32_e32 v11, v75
	s_nor_b32 s6, s3, s6
	s_and_saveexec_b32 s8, s6
	s_cbranch_execz .LBB172_18
; %bb.17:
	v_lshlrev_b64 v[10:11], 3, v[68:69]
	v_add_co_u32 v10, s6, v13, v10
	v_add_co_ci_u32_e64 v11, null, v14, v11, s6
	global_load_dwordx2 v[10:11], v[10:11], off offset:1536
.LBB172_18:
	s_or_b32 exec_lo, exec_lo, s8
	v_add_nc_u32_e32 v13, 4, v148
	v_cmp_le_i32_e64 s6, s14, v13
	s_nor_b32 s8, vcc_lo, s6
	s_and_saveexec_b32 s29, s8
	s_cbranch_execz .LBB172_20
; %bb.19:
	v_mad_u64_u32 v[14:15], null, s16, v13, 0
	v_mad_u64_u32 v[15:16], null, s17, v13, v[15:16]
	v_lshlrev_b64 v[16:17], 3, v[66:67]
	v_lshlrev_b64 v[14:15], 3, v[14:15]
	v_add_co_u32 v14, s8, s22, v14
	v_add_co_ci_u32_e64 v15, null, s23, v15, s8
	v_add_co_u32 v14, s8, v14, v16
	v_add_co_ci_u32_e64 v15, null, v15, v17, s8
	global_load_dwordx2 v[74:75], v[14:15], off
.LBB172_20:
	s_or_b32 exec_lo, exec_lo, s29
	v_mad_u64_u32 v[14:15], null, v13, s26, 0
	v_mov_b32_e32 v77, 0x7fefffff
	v_mov_b32_e32 v76, -1
	v_mov_b32_e32 v79, v77
	v_mad_u64_u32 v[15:16], null, v13, s27, v[15:16]
	v_mov_b32_e32 v78, v76
	v_lshlrev_b64 v[13:14], 3, v[14:15]
	v_add_co_u32 v13, s8, s24, v13
	v_add_co_ci_u32_e64 v14, null, s25, v14, s8
	s_nor_b32 s8, s0, s6
	s_and_saveexec_b32 s29, s8
	s_cbranch_execz .LBB172_22
; %bb.21:
	v_lshlrev_b64 v[15:16], 3, v[68:69]
	v_add_co_u32 v15, s8, v13, v15
	v_add_co_ci_u32_e64 v16, null, v14, v16, s8
	global_load_dwordx2 v[78:79], v[15:16], off
.LBB172_22:
	s_or_b32 exec_lo, exec_lo, s29
	s_nor_b32 s8, s1, s6
	s_and_saveexec_b32 s29, s8
	s_cbranch_execz .LBB172_24
; %bb.23:
	v_lshlrev_b64 v[15:16], 3, v[68:69]
	v_add_co_u32 v15, s8, v13, v15
	v_add_co_ci_u32_e64 v16, null, v14, v16, s8
	global_load_dwordx2 v[76:77], v[15:16], off offset:512
.LBB172_24:
	s_or_b32 exec_lo, exec_lo, s29
	v_mov_b32_e32 v71, 0x7fefffff
	v_mov_b32_e32 v70, -1
	s_nor_b32 s8, s2, s6
	v_mov_b32_e32 v73, v71
	v_mov_b32_e32 v72, v70
	s_and_saveexec_b32 s29, s8
	s_cbranch_execz .LBB172_26
; %bb.25:
	v_lshlrev_b64 v[15:16], 3, v[68:69]
	v_add_co_u32 v15, s8, v13, v15
	v_add_co_ci_u32_e64 v16, null, v14, v16, s8
	global_load_dwordx2 v[72:73], v[15:16], off offset:1024
.LBB172_26:
	s_or_b32 exec_lo, exec_lo, s29
	s_nor_b32 s6, s3, s6
	s_and_saveexec_b32 s8, s6
	s_cbranch_execz .LBB172_28
; %bb.27:
	v_lshlrev_b64 v[15:16], 3, v[68:69]
	v_add_co_u32 v13, s6, v13, v15
	v_add_co_ci_u32_e64 v14, null, v14, v16, s6
	global_load_dwordx2 v[70:71], v[13:14], off offset:1536
.LBB172_28:
	s_or_b32 exec_lo, exec_lo, s8
	v_lshlrev_b32_e32 v12, 5, v12
	v_lshlrev_b32_e32 v150, 5, v0
	;; [unrolled: 1-line block ×3, first 2 shown]
	s_cmp_lt_i32 s14, 9
	v_lshl_add_u32 v151, v148, 3, v12
	s_waitcnt vmcnt(0)
	ds_write_b64 v151, v[4:5] offset:16384
	ds_write2st64_b64 v151, v[2:3], v[8:9] offset1:4
	ds_write2st64_b64 v151, v[6:7], v[10:11] offset0:8 offset1:12
	s_waitcnt lgkmcnt(0)
	s_barrier
	buffer_gl0_inv
	ds_read_b128 v[10:13], v150 offset:16640
	ds_read_b128 v[14:17], v150 offset:16896
	;; [unrolled: 1-line block ×16, first 2 shown]
	ds_read_b128 v[84:87], v149
	ds_read_b128 v[6:9], v149 offset:16
	s_waitcnt lgkmcnt(1)
	v_add_f64 v[88:89], v[82:83], v[86:87]
	v_add_f64 v[90:91], v[80:81], v[84:85]
	s_waitcnt lgkmcnt(0)
	v_add_f64 v[144:145], v[4:5], v[8:9]
	v_add_f64 v[146:147], v[2:3], v[6:7]
	v_cvt_f32_f64_e32 v88, v[88:89]
	v_cvt_f32_f64_e32 v90, v[90:91]
	;; [unrolled: 1-line block ×4, first 2 shown]
	v_min3_f32 v143, v90, v88, 0x7f800000
	v_add_f64 v[88:89], v[12:13], v[86:87]
	v_add_f64 v[90:91], v[10:11], v[84:85]
	v_min3_f32 v227, v146, v144, v143
	v_cvt_f32_f64_e32 v88, v[88:89]
	v_cvt_f32_f64_e32 v90, v[90:91]
	v_min3_f32 v142, v90, v88, 0x7f800000
	v_add_f64 v[88:89], v[16:17], v[86:87]
	v_add_f64 v[90:91], v[14:15], v[84:85]
	v_cvt_f32_f64_e32 v88, v[88:89]
	v_cvt_f32_f64_e32 v90, v[90:91]
	v_min3_f32 v141, v90, v88, 0x7f800000
	v_add_f64 v[88:89], v[20:21], v[86:87]
	v_add_f64 v[90:91], v[18:19], v[84:85]
	;; [unrolled: 5-line block ×5, first 2 shown]
	v_add_f64 v[86:87], v[36:37], v[86:87]
	v_add_f64 v[84:85], v[34:35], v[84:85]
	v_cvt_f32_f64_e32 v88, v[88:89]
	v_cvt_f32_f64_e32 v90, v[90:91]
	;; [unrolled: 1-line block ×4, first 2 shown]
	v_add_f64 v[86:87], v[80:81], v[38:39]
	v_min3_f32 v137, v90, v88, 0x7f800000
	v_min3_f32 v136, v84, v85, 0x7f800000
	v_add_f64 v[84:85], v[82:83], v[40:41]
	v_cvt_f32_f64_e32 v86, v[86:87]
	v_cvt_f32_f64_e32 v84, v[84:85]
	v_min3_f32 v135, v86, v84, 0x7f800000
	v_add_f64 v[84:85], v[12:13], v[40:41]
	v_add_f64 v[86:87], v[10:11], v[38:39]
	v_cvt_f32_f64_e32 v84, v[84:85]
	v_cvt_f32_f64_e32 v86, v[86:87]
	v_min3_f32 v134, v86, v84, 0x7f800000
	v_add_f64 v[84:85], v[16:17], v[40:41]
	;; [unrolled: 5-line block ×6, first 2 shown]
	v_add_f64 v[86:87], v[30:31], v[38:39]
	v_add_f64 v[40:41], v[36:37], v[40:41]
	;; [unrolled: 1-line block ×3, first 2 shown]
	v_cvt_f32_f64_e32 v84, v[84:85]
	v_cvt_f32_f64_e32 v86, v[86:87]
	;; [unrolled: 1-line block ×4, first 2 shown]
	v_add_f64 v[40:41], v[80:81], v[42:43]
	v_min3_f32 v129, v86, v84, 0x7f800000
	v_min3_f32 v128, v38, v39, 0x7f800000
	v_add_f64 v[38:39], v[82:83], v[44:45]
	v_cvt_f32_f64_e32 v40, v[40:41]
	v_cvt_f32_f64_e32 v38, v[38:39]
	v_min3_f32 v127, v40, v38, 0x7f800000
	v_add_f64 v[38:39], v[12:13], v[44:45]
	v_add_f64 v[40:41], v[10:11], v[42:43]
	v_cvt_f32_f64_e32 v38, v[38:39]
	v_cvt_f32_f64_e32 v40, v[40:41]
	v_min3_f32 v126, v40, v38, 0x7f800000
	v_add_f64 v[38:39], v[16:17], v[44:45]
	v_add_f64 v[40:41], v[14:15], v[42:43]
	v_cvt_f32_f64_e32 v38, v[38:39]
	v_cvt_f32_f64_e32 v40, v[40:41]
	v_min3_f32 v125, v40, v38, 0x7f800000
	v_add_f64 v[38:39], v[20:21], v[44:45]
	v_add_f64 v[40:41], v[18:19], v[42:43]
	v_cvt_f32_f64_e32 v38, v[38:39]
	v_cvt_f32_f64_e32 v40, v[40:41]
	v_min3_f32 v124, v40, v38, 0x7f800000
	v_add_f64 v[38:39], v[24:25], v[44:45]
	v_add_f64 v[40:41], v[22:23], v[42:43]
	v_cvt_f32_f64_e32 v38, v[38:39]
	v_cvt_f32_f64_e32 v40, v[40:41]
	v_min3_f32 v123, v40, v38, 0x7f800000
	v_add_f64 v[38:39], v[28:29], v[44:45]
	v_add_f64 v[40:41], v[26:27], v[42:43]
	v_cvt_f32_f64_e32 v38, v[38:39]
	v_cvt_f32_f64_e32 v40, v[40:41]
	v_min3_f32 v122, v40, v38, 0x7f800000
	v_add_f64 v[38:39], v[32:33], v[44:45]
	v_add_f64 v[40:41], v[30:31], v[42:43]
	v_cvt_f32_f64_e32 v38, v[38:39]
	v_cvt_f32_f64_e32 v40, v[40:41]
	v_min3_f32 v121, v40, v38, 0x7f800000
	v_add_f64 v[38:39], v[36:37], v[44:45]
	v_add_f64 v[40:41], v[34:35], v[42:43]
	v_cvt_f32_f64_e32 v38, v[38:39]
	v_cvt_f32_f64_e32 v40, v[40:41]
	v_min3_f32 v120, v40, v38, 0x7f800000
	v_add_f64 v[38:39], v[82:83], v[48:49]
	v_add_f64 v[40:41], v[80:81], v[46:47]
	v_cvt_f32_f64_e32 v38, v[38:39]
	v_cvt_f32_f64_e32 v40, v[40:41]
	v_min3_f32 v119, v40, v38, 0x7f800000
	v_add_f64 v[38:39], v[12:13], v[48:49]
	v_add_f64 v[40:41], v[10:11], v[46:47]
	v_cvt_f32_f64_e32 v38, v[38:39]
	v_cvt_f32_f64_e32 v40, v[40:41]
	v_min3_f32 v118, v40, v38, 0x7f800000
	v_add_f64 v[38:39], v[16:17], v[48:49]
	v_add_f64 v[40:41], v[14:15], v[46:47]
	v_cvt_f32_f64_e32 v38, v[38:39]
	v_cvt_f32_f64_e32 v40, v[40:41]
	v_min3_f32 v117, v40, v38, 0x7f800000
	v_add_f64 v[38:39], v[20:21], v[48:49]
	v_add_f64 v[40:41], v[18:19], v[46:47]
	v_cvt_f32_f64_e32 v38, v[38:39]
	v_cvt_f32_f64_e32 v40, v[40:41]
	v_min3_f32 v116, v40, v38, 0x7f800000
	v_add_f64 v[38:39], v[24:25], v[48:49]
	v_add_f64 v[40:41], v[22:23], v[46:47]
	v_cvt_f32_f64_e32 v38, v[38:39]
	v_cvt_f32_f64_e32 v40, v[40:41]
	v_min3_f32 v115, v40, v38, 0x7f800000
	v_add_f64 v[38:39], v[28:29], v[48:49]
	v_add_f64 v[40:41], v[26:27], v[46:47]
	v_cvt_f32_f64_e32 v38, v[38:39]
	v_cvt_f32_f64_e32 v40, v[40:41]
	v_min3_f32 v114, v40, v38, 0x7f800000
	v_add_f64 v[38:39], v[32:33], v[48:49]
	v_add_f64 v[40:41], v[30:31], v[46:47]
	v_cvt_f32_f64_e32 v38, v[38:39]
	v_cvt_f32_f64_e32 v40, v[40:41]
	v_min3_f32 v113, v40, v38, 0x7f800000
	v_add_f64 v[38:39], v[36:37], v[48:49]
	v_add_f64 v[40:41], v[34:35], v[46:47]
	v_cvt_f32_f64_e32 v38, v[38:39]
	v_cvt_f32_f64_e32 v40, v[40:41]
	v_min3_f32 v112, v40, v38, 0x7f800000
	v_add_f64 v[38:39], v[82:83], v[52:53]
	v_add_f64 v[40:41], v[80:81], v[50:51]
	v_cvt_f32_f64_e32 v38, v[38:39]
	v_cvt_f32_f64_e32 v40, v[40:41]
	v_min3_f32 v111, v40, v38, 0x7f800000
	v_add_f64 v[38:39], v[12:13], v[52:53]
	v_add_f64 v[40:41], v[10:11], v[50:51]
	v_cvt_f32_f64_e32 v38, v[38:39]
	v_cvt_f32_f64_e32 v40, v[40:41]
	v_min3_f32 v110, v40, v38, 0x7f800000
	v_add_f64 v[38:39], v[16:17], v[52:53]
	v_add_f64 v[40:41], v[14:15], v[50:51]
	v_cvt_f32_f64_e32 v38, v[38:39]
	v_cvt_f32_f64_e32 v40, v[40:41]
	v_min3_f32 v109, v40, v38, 0x7f800000
	v_add_f64 v[38:39], v[20:21], v[52:53]
	v_add_f64 v[40:41], v[18:19], v[50:51]
	v_cvt_f32_f64_e32 v38, v[38:39]
	v_cvt_f32_f64_e32 v40, v[40:41]
	v_min3_f32 v108, v40, v38, 0x7f800000
	v_add_f64 v[38:39], v[24:25], v[52:53]
	v_add_f64 v[40:41], v[22:23], v[50:51]
	v_cvt_f32_f64_e32 v38, v[38:39]
	v_cvt_f32_f64_e32 v40, v[40:41]
	v_min3_f32 v107, v40, v38, 0x7f800000
	v_add_f64 v[38:39], v[28:29], v[52:53]
	v_add_f64 v[40:41], v[26:27], v[50:51]
	v_cvt_f32_f64_e32 v38, v[38:39]
	v_cvt_f32_f64_e32 v40, v[40:41]
	v_min3_f32 v106, v40, v38, 0x7f800000
	v_add_f64 v[38:39], v[32:33], v[52:53]
	v_add_f64 v[40:41], v[30:31], v[50:51]
	v_cvt_f32_f64_e32 v38, v[38:39]
	v_cvt_f32_f64_e32 v40, v[40:41]
	v_min3_f32 v105, v40, v38, 0x7f800000
	v_add_f64 v[38:39], v[36:37], v[52:53]
	v_add_f64 v[40:41], v[34:35], v[50:51]
	v_cvt_f32_f64_e32 v38, v[38:39]
	v_cvt_f32_f64_e32 v40, v[40:41]
	v_min3_f32 v104, v40, v38, 0x7f800000
	v_add_f64 v[38:39], v[82:83], v[56:57]
	v_add_f64 v[40:41], v[80:81], v[54:55]
	v_cvt_f32_f64_e32 v38, v[38:39]
	v_cvt_f32_f64_e32 v40, v[40:41]
	v_min3_f32 v103, v40, v38, 0x7f800000
	v_add_f64 v[38:39], v[12:13], v[56:57]
	v_add_f64 v[40:41], v[10:11], v[54:55]
	v_cvt_f32_f64_e32 v38, v[38:39]
	v_cvt_f32_f64_e32 v40, v[40:41]
	v_min3_f32 v102, v40, v38, 0x7f800000
	v_add_f64 v[38:39], v[16:17], v[56:57]
	v_add_f64 v[40:41], v[14:15], v[54:55]
	v_cvt_f32_f64_e32 v38, v[38:39]
	v_cvt_f32_f64_e32 v40, v[40:41]
	v_min3_f32 v101, v40, v38, 0x7f800000
	v_add_f64 v[38:39], v[20:21], v[56:57]
	v_add_f64 v[40:41], v[18:19], v[54:55]
	v_cvt_f32_f64_e32 v38, v[38:39]
	v_cvt_f32_f64_e32 v40, v[40:41]
	v_min3_f32 v100, v40, v38, 0x7f800000
	v_add_f64 v[38:39], v[24:25], v[56:57]
	v_add_f64 v[40:41], v[22:23], v[54:55]
	v_cvt_f32_f64_e32 v38, v[38:39]
	v_cvt_f32_f64_e32 v40, v[40:41]
	v_min3_f32 v99, v40, v38, 0x7f800000
	v_add_f64 v[38:39], v[28:29], v[56:57]
	v_add_f64 v[40:41], v[26:27], v[54:55]
	v_cvt_f32_f64_e32 v38, v[38:39]
	v_cvt_f32_f64_e32 v40, v[40:41]
	v_min3_f32 v98, v40, v38, 0x7f800000
	v_add_f64 v[38:39], v[32:33], v[56:57]
	v_add_f64 v[40:41], v[30:31], v[54:55]
	v_cvt_f32_f64_e32 v38, v[38:39]
	v_cvt_f32_f64_e32 v40, v[40:41]
	v_min3_f32 v97, v40, v38, 0x7f800000
	v_add_f64 v[38:39], v[36:37], v[56:57]
	v_add_f64 v[40:41], v[34:35], v[54:55]
	v_cvt_f32_f64_e32 v38, v[38:39]
	v_cvt_f32_f64_e32 v40, v[40:41]
	v_min3_f32 v96, v40, v38, 0x7f800000
	v_add_f64 v[38:39], v[82:83], v[60:61]
	v_add_f64 v[40:41], v[80:81], v[58:59]
	v_cvt_f32_f64_e32 v38, v[38:39]
	v_cvt_f32_f64_e32 v40, v[40:41]
	v_min3_f32 v95, v40, v38, 0x7f800000
	v_add_f64 v[38:39], v[12:13], v[60:61]
	v_add_f64 v[40:41], v[10:11], v[58:59]
	v_add_f64 v[12:13], v[12:13], v[64:65]
	;; [unrolled: 1-line block ×3, first 2 shown]
	v_cvt_f32_f64_e32 v38, v[38:39]
	v_cvt_f32_f64_e32 v40, v[40:41]
	;; [unrolled: 1-line block ×4, first 2 shown]
	v_add_f64 v[12:13], v[14:15], v[62:63]
	v_min3_f32 v94, v40, v38, 0x7f800000
	v_add_f64 v[38:39], v[16:17], v[60:61]
	v_add_f64 v[40:41], v[14:15], v[58:59]
	v_min3_f32 v86, v10, v11, 0x7f800000
	v_add_f64 v[10:11], v[16:17], v[64:65]
	v_cvt_f32_f64_e32 v12, v[12:13]
	v_cvt_f32_f64_e32 v38, v[38:39]
	;; [unrolled: 1-line block ×4, first 2 shown]
	v_min3_f32 v93, v40, v38, 0x7f800000
	v_add_f64 v[38:39], v[20:21], v[60:61]
	v_add_f64 v[40:41], v[18:19], v[58:59]
	v_min3_f32 v85, v12, v10, 0x7f800000
	v_add_f64 v[10:11], v[20:21], v[64:65]
	v_add_f64 v[12:13], v[18:19], v[62:63]
	v_cvt_f32_f64_e32 v38, v[38:39]
	v_cvt_f32_f64_e32 v40, v[40:41]
	;; [unrolled: 1-line block ×4, first 2 shown]
	v_min3_f32 v92, v40, v38, 0x7f800000
	v_add_f64 v[38:39], v[24:25], v[60:61]
	v_add_f64 v[40:41], v[22:23], v[58:59]
	v_min3_f32 v84, v12, v10, 0x7f800000
	v_add_f64 v[10:11], v[24:25], v[64:65]
	v_add_f64 v[12:13], v[22:23], v[62:63]
	v_cvt_f32_f64_e32 v38, v[38:39]
	v_cvt_f32_f64_e32 v40, v[40:41]
	;; [unrolled: 1-line block ×4, first 2 shown]
	v_min3_f32 v91, v40, v38, 0x7f800000
	v_add_f64 v[38:39], v[28:29], v[60:61]
	v_add_f64 v[40:41], v[26:27], v[58:59]
	v_cvt_f32_f64_e32 v38, v[38:39]
	v_cvt_f32_f64_e32 v40, v[40:41]
	v_min3_f32 v90, v40, v38, 0x7f800000
	v_add_f64 v[38:39], v[32:33], v[60:61]
	v_add_f64 v[40:41], v[30:31], v[58:59]
	v_cvt_f32_f64_e32 v38, v[38:39]
	v_cvt_f32_f64_e32 v40, v[40:41]
	;; [unrolled: 5-line block ×3, first 2 shown]
	v_min3_f32 v88, v40, v38, 0x7f800000
	v_add_f64 v[38:39], v[82:83], v[64:65]
	v_min3_f32 v83, v12, v10, 0x7f800000
	v_add_f64 v[10:11], v[28:29], v[64:65]
	v_add_f64 v[12:13], v[26:27], v[62:63]
	;; [unrolled: 1-line block ×3, first 2 shown]
	v_cvt_f32_f64_e32 v38, v[38:39]
	v_cvt_f32_f64_e32 v10, v[10:11]
	;; [unrolled: 1-line block ×4, first 2 shown]
	v_min3_f32 v82, v12, v10, 0x7f800000
	v_add_f64 v[10:11], v[32:33], v[64:65]
	v_add_f64 v[12:13], v[30:31], v[62:63]
	v_min3_f32 v87, v40, v38, 0x7f800000
	v_cvt_f32_f64_e32 v10, v[10:11]
	v_cvt_f32_f64_e32 v12, v[12:13]
	v_min3_f32 v81, v12, v10, 0x7f800000
	v_add_f64 v[10:11], v[36:37], v[64:65]
	v_add_f64 v[12:13], v[34:35], v[62:63]
	v_cvt_f32_f64_e32 v10, v[10:11]
	v_cvt_f32_f64_e32 v12, v[12:13]
	v_min3_f32 v80, v12, v10, 0x7f800000
	ds_read_b128 v[34:37], v150 offset:16656
	ds_read_b128 v[30:33], v150 offset:16912
	;; [unrolled: 1-line block ×14, first 2 shown]
	ds_write_b64 v151, v[74:75] offset:18432
	ds_write2st64_b64 v151, v[78:79], v[76:77] offset0:16 offset1:20
	ds_write2st64_b64 v151, v[72:73], v[70:71] offset0:24 offset1:28
	s_waitcnt lgkmcnt(0)
	s_barrier
	buffer_gl0_inv
	v_add_f64 v[143:144], v[36:37], v[8:9]
	v_add_f64 v[145:146], v[34:35], v[6:7]
	v_cvt_f32_f64_e32 v143, v[143:144]
	v_cvt_f32_f64_e32 v145, v[145:146]
	v_min3_f32 v226, v145, v143, v142
	v_add_f64 v[142:143], v[32:33], v[8:9]
	v_add_f64 v[144:145], v[30:31], v[6:7]
	v_cvt_f32_f64_e32 v142, v[142:143]
	v_cvt_f32_f64_e32 v144, v[144:145]
	v_min3_f32 v225, v144, v142, v141
	;; [unrolled: 5-line block ×5, first 2 shown]
	v_add_f64 v[138:139], v[16:17], v[8:9]
	v_add_f64 v[140:141], v[14:15], v[6:7]
	;; [unrolled: 1-line block ×4, first 2 shown]
	v_cvt_f32_f64_e32 v138, v[138:139]
	v_cvt_f32_f64_e32 v140, v[140:141]
	v_cvt_f32_f64_e32 v6, v[6:7]
	v_cvt_f32_f64_e32 v7, v[8:9]
	v_add_f64 v[8:9], v[2:3], v[62:63]
	v_min3_f32 v221, v140, v138, v137
	v_min3_f32 v220, v6, v7, v136
	v_add_f64 v[6:7], v[4:5], v[64:65]
	v_cvt_f32_f64_e32 v8, v[8:9]
	v_cvt_f32_f64_e32 v6, v[6:7]
	v_min3_f32 v219, v8, v6, v135
	v_add_f64 v[6:7], v[36:37], v[64:65]
	v_add_f64 v[8:9], v[34:35], v[62:63]
	v_cvt_f32_f64_e32 v6, v[6:7]
	v_cvt_f32_f64_e32 v8, v[8:9]
	v_min3_f32 v218, v8, v6, v134
	v_add_f64 v[6:7], v[32:33], v[64:65]
	;; [unrolled: 5-line block ×40, first 2 shown]
	v_add_f64 v[8:9], v[2:3], v[42:43]
	v_add_f64 v[4:5], v[4:5], v[40:41]
	;; [unrolled: 1-line block ×3, first 2 shown]
	v_cvt_f32_f64_e32 v6, v[6:7]
	v_cvt_f32_f64_e32 v8, v[8:9]
	v_cvt_f32_f64_e32 v2, v[2:3]
	v_cvt_f32_f64_e32 v3, v[4:5]
	v_add_f64 v[4:5], v[34:35], v[38:39]
	v_min3_f32 v167, v8, v6, v95
	v_add_f64 v[6:7], v[36:37], v[44:45]
	v_add_f64 v[8:9], v[34:35], v[42:43]
	v_min3_f32 v159, v2, v3, v87
	v_add_f64 v[2:3], v[36:37], v[40:41]
	v_cvt_f32_f64_e32 v4, v[4:5]
	v_cvt_f32_f64_e32 v6, v[6:7]
	v_cvt_f32_f64_e32 v8, v[8:9]
	v_cvt_f32_f64_e32 v2, v[2:3]
	v_min3_f32 v166, v8, v6, v94
	v_add_f64 v[6:7], v[32:33], v[44:45]
	v_add_f64 v[8:9], v[30:31], v[42:43]
	v_min3_f32 v158, v4, v2, v86
	v_add_f64 v[2:3], v[32:33], v[40:41]
	v_add_f64 v[4:5], v[30:31], v[38:39]
	v_cvt_f32_f64_e32 v6, v[6:7]
	v_cvt_f32_f64_e32 v8, v[8:9]
	v_cvt_f32_f64_e32 v2, v[2:3]
	v_cvt_f32_f64_e32 v4, v[4:5]
	v_min3_f32 v165, v8, v6, v93
	v_add_f64 v[6:7], v[28:29], v[44:45]
	v_add_f64 v[8:9], v[26:27], v[42:43]
	v_min3_f32 v157, v4, v2, v85
	v_add_f64 v[2:3], v[28:29], v[40:41]
	;; [unrolled: 10-line block ×6, first 2 shown]
	v_add_f64 v[4:5], v[10:11], v[38:39]
	v_cvt_f32_f64_e32 v6, v[6:7]
	v_cvt_f32_f64_e32 v8, v[8:9]
	;; [unrolled: 1-line block ×4, first 2 shown]
	v_min3_f32 v160, v8, v6, v88
	v_min3_f32 v152, v4, v2, v80
	s_cbranch_scc1 .LBB172_51
; %bb.29:
	v_add_nc_u32_e32 v6, 8, v148
	v_add_nc_u32_e32 v10, 12, v148
	v_lshlrev_b64 v[2:3], 3, v[66:67]
	v_lshlrev_b64 v[132:133], 3, v[68:69]
	v_or_b32_e32 v173, 0x4000, v151
	v_mad_i64_i32 v[4:5], null, v6, s16, 0
	v_mad_i64_i32 v[6:7], null, v6, s26, 0
	;; [unrolled: 1-line block ×3, first 2 shown]
	v_add_co_u32 v179, s6, s22, v2
	v_add_co_ci_u32_e64 v180, null, s23, v3, s6
	v_lshlrev_b64 v[2:3], 3, v[6:7]
	v_mad_i64_i32 v[6:7], null, v10, s16, 0
	v_lshlrev_b64 v[130:131], 3, v[4:5]
	v_lshlrev_b64 v[4:5], 3, v[8:9]
	v_or_b32_e32 v174, 0x4000, v150
	v_add_co_u32 v183, s6, s24, v2
	v_add_co_ci_u32_e64 v184, null, s25, v3, s6
	v_add_co_u32 v185, s6, s24, v4
	v_lshlrev_b64 v[134:135], 3, v[6:7]
	v_add_nc_u32_e32 v175, 0x4800, v151
	v_or_b32_e32 v176, 0x2000, v151
	v_lshl_add_u32 v181, v0, 5, 0x4800
	v_lshl_or_b32 v182, v1, 5, 0x2000
	v_add_co_ci_u32_e64 v186, null, s25, v5, s6
	v_mov_b32_e32 v136, -1
	v_mov_b32_e32 v137, 0x7fefffff
	s_add_i32 s29, s14, -8
	s_lshl_b64 s[16:17], s[16:17], 6
	s_lshl_b64 s[22:23], s[26:27], 6
	s_mov_b32 s24, 0
	s_branch .LBB172_31
.LBB172_30:                             ;   in Loop: Header=BB172_31 Depth=1
	s_or_b32 exec_lo, exec_lo, s8
	v_add_f64 v[228:229], v[100:101], v[128:129]
	v_add_f64 v[230:231], v[98:99], v[126:127]
	v_add_co_u32 v179, s6, v179, s16
	v_add_co_ci_u32_e64 v180, null, s17, v180, s6
	v_add_co_u32 v183, s6, v183, s22
	v_add_co_ci_u32_e64 v184, null, s23, v184, s6
	;; [unrolled: 2-line block ×3, first 2 shown]
	s_add_i32 s24, s24, 8
	s_cmp_ge_i32 s24, s29
	v_cvt_f32_f64_e32 v228, v[228:229]
	v_cvt_f32_f64_e32 v230, v[230:231]
	v_min3_f32 v227, v230, v228, v227
	v_add_f64 v[228:229], v[96:97], v[128:129]
	v_add_f64 v[230:231], v[94:95], v[126:127]
	v_cvt_f32_f64_e32 v228, v[228:229]
	v_cvt_f32_f64_e32 v230, v[230:231]
	v_min3_f32 v226, v230, v228, v226
	v_add_f64 v[228:229], v[92:93], v[128:129]
	v_add_f64 v[230:231], v[90:91], v[126:127]
	;; [unrolled: 5-line block ×6, first 2 shown]
	v_add_f64 v[128:129], v[68:69], v[128:129]
	v_add_f64 v[126:127], v[66:67], v[126:127]
	v_cvt_f32_f64_e32 v228, v[228:229]
	v_cvt_f32_f64_e32 v230, v[230:231]
	;; [unrolled: 1-line block ×4, first 2 shown]
	v_min3_f32 v221, v230, v228, v221
	v_add_f64 v[228:229], v[98:99], v[122:123]
	v_min3_f32 v126, v126, v127, v220
	v_add_f64 v[127:128], v[100:101], v[124:125]
	v_cvt_f32_f64_e32 v129, v[228:229]
	v_cvt_f32_f64_e32 v127, v[127:128]
	v_min3_f32 v127, v129, v127, v219
	v_add_f64 v[128:129], v[96:97], v[124:125]
	v_add_f64 v[219:220], v[94:95], v[122:123]
	v_cvt_f32_f64_e32 v128, v[128:129]
	v_cvt_f32_f64_e32 v219, v[219:220]
	v_min3_f32 v218, v219, v128, v218
	v_add_f64 v[128:129], v[92:93], v[124:125]
	;; [unrolled: 5-line block ×6, first 2 shown]
	v_add_f64 v[219:220], v[70:71], v[122:123]
	v_add_f64 v[124:125], v[68:69], v[124:125]
	;; [unrolled: 1-line block ×3, first 2 shown]
	v_cvt_f32_f64_e32 v128, v[128:129]
	v_cvt_f32_f64_e32 v219, v[219:220]
	v_cvt_f32_f64_e32 v122, v[122:123]
	v_cvt_f32_f64_e32 v123, v[124:125]
	v_add_f64 v[124:125], v[98:99], v[118:119]
	v_min3_f32 v213, v219, v128, v213
	v_add_f64 v[128:129], v[86:87], v[110:111]
	v_min3_f32 v212, v122, v123, v212
	v_add_f64 v[122:123], v[100:101], v[120:121]
	v_cvt_f32_f64_e32 v124, v[124:125]
	v_cvt_f32_f64_e32 v122, v[122:123]
	v_min3_f32 v211, v124, v122, v211
	v_add_f64 v[122:123], v[96:97], v[120:121]
	v_add_f64 v[124:125], v[94:95], v[118:119]
	v_cvt_f32_f64_e32 v122, v[122:123]
	v_cvt_f32_f64_e32 v124, v[124:125]
	v_min3_f32 v210, v124, v122, v210
	v_add_f64 v[122:123], v[92:93], v[120:121]
	;; [unrolled: 5-line block ×6, first 2 shown]
	v_add_f64 v[124:125], v[70:71], v[118:119]
	v_add_f64 v[120:121], v[68:69], v[120:121]
	;; [unrolled: 1-line block ×3, first 2 shown]
	v_cvt_f32_f64_e32 v122, v[122:123]
	v_cvt_f32_f64_e32 v124, v[124:125]
	;; [unrolled: 1-line block ×4, first 2 shown]
	v_add_f64 v[120:121], v[98:99], v[114:115]
	v_min3_f32 v205, v124, v122, v205
	v_min3_f32 v204, v118, v119, v204
	v_add_f64 v[118:119], v[100:101], v[116:117]
	v_cvt_f32_f64_e32 v120, v[120:121]
	v_cvt_f32_f64_e32 v118, v[118:119]
	v_min3_f32 v203, v120, v118, v203
	v_add_f64 v[118:119], v[96:97], v[116:117]
	v_add_f64 v[120:121], v[94:95], v[114:115]
	v_cvt_f32_f64_e32 v118, v[118:119]
	v_cvt_f32_f64_e32 v120, v[120:121]
	v_min3_f32 v202, v120, v118, v202
	v_add_f64 v[118:119], v[92:93], v[116:117]
	v_add_f64 v[120:121], v[90:91], v[114:115]
	v_cvt_f32_f64_e32 v118, v[118:119]
	v_cvt_f32_f64_e32 v120, v[120:121]
	v_min3_f32 v201, v120, v118, v201
	v_add_f64 v[118:119], v[88:89], v[116:117]
	v_add_f64 v[120:121], v[86:87], v[114:115]
	v_cvt_f32_f64_e32 v118, v[118:119]
	v_cvt_f32_f64_e32 v120, v[120:121]
	v_add_f64 v[121:122], v[82:83], v[114:115]
	v_min3_f32 v118, v120, v118, v200
	v_add_f64 v[119:120], v[84:85], v[116:117]
	v_cvt_f32_f64_e32 v121, v[121:122]
	v_add_f64 v[122:123], v[78:79], v[114:115]
	v_cvt_f32_f64_e32 v119, v[119:120]
	v_cvt_f32_f64_e32 v122, v[122:123]
	v_add_f64 v[123:124], v[70:71], v[114:115]
	v_add_f64 v[114:115], v[66:67], v[114:115]
	v_min3_f32 v119, v121, v119, v199
	v_add_f64 v[120:121], v[80:81], v[116:117]
	v_cvt_f32_f64_e32 v123, v[123:124]
	v_cvt_f32_f64_e32 v114, v[114:115]
	v_add_f64 v[124:125], v[94:95], v[110:111]
	v_cvt_f32_f64_e32 v120, v[120:121]
	v_min3_f32 v120, v122, v120, v198
	v_add_f64 v[121:122], v[72:73], v[116:117]
	v_add_f64 v[116:117], v[68:69], v[116:117]
	v_cvt_f32_f64_e32 v121, v[121:122]
	v_cvt_f32_f64_e32 v115, v[116:117]
	v_add_f64 v[116:117], v[100:101], v[112:113]
	v_min3_f32 v121, v123, v121, v197
	v_add_f64 v[122:123], v[98:99], v[110:111]
	v_min3_f32 v115, v114, v115, v196
	v_cvt_f32_f64_e32 v116, v[116:117]
	v_cvt_f32_f64_e32 v114, v[122:123]
	v_add_f64 v[122:123], v[96:97], v[112:113]
	v_min3_f32 v116, v114, v116, v195
	v_cvt_f32_f64_e32 v114, v[124:125]
	v_cvt_f32_f64_e32 v117, v[122:123]
	v_add_f64 v[122:123], v[92:93], v[112:113]
	v_add_f64 v[124:125], v[90:91], v[110:111]
	v_min3_f32 v117, v114, v117, v194
	v_cvt_f32_f64_e32 v122, v[122:123]
	v_cvt_f32_f64_e32 v114, v[124:125]
	v_add_f64 v[123:124], v[88:89], v[112:113]
	v_min3_f32 v122, v114, v122, v193
	v_cvt_f32_f64_e32 v114, v[128:129]
	v_cvt_f32_f64_e32 v123, v[123:124]
	v_add_f64 v[124:125], v[84:85], v[112:113]
	v_add_f64 v[128:129], v[82:83], v[110:111]
	v_min3_f32 v123, v114, v123, v192
	v_cvt_f32_f64_e32 v124, v[124:125]
	v_cvt_f32_f64_e32 v114, v[128:129]
	v_add_f64 v[128:129], v[80:81], v[112:113]
	v_min3_f32 v124, v114, v124, v191
	v_add_f64 v[191:192], v[78:79], v[110:111]
	v_cvt_f32_f64_e32 v125, v[128:129]
	v_add_f64 v[128:129], v[72:73], v[112:113]
	v_add_f64 v[112:113], v[68:69], v[112:113]
	v_cvt_f32_f64_e32 v114, v[191:192]
	v_cvt_f32_f64_e32 v128, v[128:129]
	v_min3_f32 v125, v114, v125, v190
	v_add_f64 v[190:191], v[70:71], v[110:111]
	v_add_f64 v[110:111], v[66:67], v[110:111]
	v_cvt_f32_f64_e32 v114, v[190:191]
	v_cvt_f32_f64_e32 v110, v[110:111]
	;; [unrolled: 1-line block ×3, first 2 shown]
	v_min3_f32 v114, v114, v128, v189
	v_add_f64 v[128:129], v[98:99], v[106:107]
	v_min3_f32 v112, v110, v111, v188
	v_add_f64 v[110:111], v[100:101], v[108:109]
	v_cvt_f32_f64_e32 v113, v[128:129]
	v_add_f64 v[128:129], v[94:95], v[106:107]
	v_cvt_f32_f64_e32 v110, v[110:111]
	v_cvt_f32_f64_e32 v128, v[128:129]
	v_min3_f32 v113, v113, v110, v187
	v_add_f64 v[110:111], v[96:97], v[108:109]
	v_add_f64 v[187:188], v[90:91], v[106:107]
	v_cvt_f32_f64_e32 v110, v[110:111]
	v_cvt_f32_f64_e32 v129, v[187:188]
	v_min3_f32 v128, v128, v110, v178
	v_add_f64 v[110:111], v[92:93], v[108:109]
	v_cvt_f32_f64_e32 v110, v[110:111]
	v_min3_f32 v129, v129, v110, v177
	v_add_f64 v[110:111], v[88:89], v[108:109]
	v_add_f64 v[177:178], v[86:87], v[106:107]
	v_cvt_f32_f64_e32 v110, v[110:111]
	v_cvt_f32_f64_e32 v177, v[177:178]
	v_min3_f32 v172, v177, v110, v172
	v_add_f64 v[110:111], v[84:85], v[108:109]
	v_add_f64 v[177:178], v[82:83], v[106:107]
	v_cvt_f32_f64_e32 v110, v[110:111]
	;; [unrolled: 5-line block ×3, first 2 shown]
	v_cvt_f32_f64_e32 v177, v[177:178]
	v_min3_f32 v170, v177, v110, v170
	v_add_f64 v[110:111], v[72:73], v[108:109]
	v_add_f64 v[177:178], v[70:71], v[106:107]
	;; [unrolled: 1-line block ×4, first 2 shown]
	v_cvt_f32_f64_e32 v110, v[110:111]
	v_cvt_f32_f64_e32 v177, v[177:178]
	;; [unrolled: 1-line block ×4, first 2 shown]
	v_add_f64 v[108:109], v[98:99], v[102:103]
	v_add_f64 v[98:99], v[98:99], v[74:75]
	v_min3_f32 v169, v177, v110, v169
	v_min3_f32 v168, v106, v107, v168
	v_add_f64 v[106:107], v[100:101], v[104:105]
	v_cvt_f32_f64_e32 v108, v[108:109]
	v_add_f64 v[100:101], v[100:101], v[76:77]
	v_cvt_f32_f64_e32 v98, v[98:99]
	v_cvt_f32_f64_e32 v106, v[106:107]
	;; [unrolled: 1-line block ×3, first 2 shown]
	v_min3_f32 v167, v108, v106, v167
	v_add_f64 v[106:107], v[96:97], v[104:105]
	v_add_f64 v[108:109], v[94:95], v[102:103]
	;; [unrolled: 1-line block ×4, first 2 shown]
	v_min3_f32 v98, v98, v99, v159
	v_add_f64 v[99:100], v[10:11], v[46:47]
	v_cvt_f32_f64_e32 v106, v[106:107]
	v_cvt_f32_f64_e32 v108, v[108:109]
	v_add_f64 v[109:110], v[90:91], v[102:103]
	v_add_f64 v[90:91], v[90:91], v[74:75]
	v_cvt_f32_f64_e32 v94, v[94:95]
	v_cvt_f32_f64_e32 v95, v[96:97]
	v_min3_f32 v106, v108, v106, v166
	v_add_f64 v[107:108], v[92:93], v[104:105]
	v_cvt_f32_f64_e32 v109, v[109:110]
	v_add_f64 v[110:111], v[86:87], v[102:103]
	v_add_f64 v[86:87], v[86:87], v[74:75]
	;; [unrolled: 1-line block ×3, first 2 shown]
	v_cvt_f32_f64_e32 v90, v[90:91]
	v_min3_f32 v94, v94, v95, v158
	v_add_f64 v[95:96], v[6:7], v[50:51]
	v_cvt_f32_f64_e32 v107, v[107:108]
	v_cvt_f32_f64_e32 v110, v[110:111]
	;; [unrolled: 1-line block ×4, first 2 shown]
	v_min3_f32 v107, v109, v107, v165
	v_add_f64 v[108:109], v[88:89], v[104:105]
	v_add_f64 v[88:89], v[88:89], v[76:77]
	v_min3_f32 v90, v90, v91, v157
	v_add_f64 v[91:92], v[26:27], v[50:51]
	v_cvt_f32_f64_e32 v108, v[108:109]
	v_cvt_f32_f64_e32 v87, v[88:89]
	v_min3_f32 v108, v110, v108, v164
	v_add_f64 v[109:110], v[84:85], v[104:105]
	v_add_f64 v[164:165], v[82:83], v[102:103]
	;; [unrolled: 1-line block ×4, first 2 shown]
	v_min3_f32 v86, v86, v87, v156
	v_add_f64 v[87:88], v[14:15], v[54:55]
	v_cvt_f32_f64_e32 v109, v[109:110]
	v_cvt_f32_f64_e32 v111, v[164:165]
	v_cvt_f32_f64_e32 v82, v[82:83]
	v_cvt_f32_f64_e32 v83, v[84:85]
	v_min3_f32 v109, v111, v109, v163
	v_add_f64 v[110:111], v[80:81], v[104:105]
	v_add_f64 v[163:164], v[78:79], v[102:103]
	;; [unrolled: 1-line block ×4, first 2 shown]
	v_min3_f32 v82, v82, v83, v155
	v_add_f64 v[83:84], v[10:11], v[58:59]
	v_cvt_f32_f64_e32 v110, v[110:111]
	v_cvt_f32_f64_e32 v163, v[163:164]
	v_add_f64 v[164:165], v[70:71], v[102:103]
	v_add_f64 v[102:103], v[66:67], v[102:103]
	v_add_f64 v[66:67], v[66:67], v[74:75]
	v_add_f64 v[70:71], v[70:71], v[74:75]
	v_add_f64 v[74:75], v[26:27], v[62:63]
	v_cvt_f32_f64_e32 v78, v[78:79]
	v_cvt_f32_f64_e32 v79, v[80:81]
	v_min3_f32 v110, v163, v110, v162
	v_add_f64 v[162:163], v[72:73], v[104:105]
	v_add_f64 v[104:105], v[68:69], v[104:105]
	;; [unrolled: 1-line block ×4, first 2 shown]
	v_cvt_f32_f64_e32 v66, v[66:67]
	v_cvt_f32_f64_e32 v70, v[70:71]
	v_add_f64 v[76:77], v[14:15], v[62:63]
	v_min3_f32 v78, v78, v79, v154
	v_add_f64 v[79:80], v[26:27], v[58:59]
	v_cvt_f32_f64_e32 v102, v[102:103]
	v_cvt_f32_f64_e32 v111, v[164:165]
	;; [unrolled: 1-line block ×6, first 2 shown]
	v_add_f64 v[68:69], v[34:35], v[62:63]
	v_min3_f32 v111, v111, v162, v161
	v_min3_f32 v102, v102, v103, v160
	;; [unrolled: 1-line block ×3, first 2 shown]
	v_add_f64 v[66:67], v[36:37], v[64:65]
	v_cvt_f32_f64_e32 v68, v[68:69]
	v_min3_f32 v71, v70, v71, v153
	v_add_f64 v[69:70], v[30:31], v[62:63]
	v_cvt_f32_f64_e32 v66, v[66:67]
	v_cvt_f32_f64_e32 v69, v[69:70]
	;; [unrolled: 1-line block ×3, first 2 shown]
	v_add_f64 v[74:75], v[18:19], v[62:63]
	v_min3_f32 v66, v68, v66, v227
	v_add_f64 v[67:68], v[32:33], v[64:65]
	v_cvt_f32_f64_e32 v72, v[74:75]
	v_add_f64 v[74:75], v[16:17], v[64:65]
	v_cvt_f32_f64_e32 v67, v[67:68]
	v_min3_f32 v67, v69, v67, v226
	v_add_f64 v[68:69], v[28:29], v[64:65]
	v_cvt_f32_f64_e32 v68, v[68:69]
	v_min3_f32 v68, v70, v68, v225
	v_add_f64 v[69:70], v[20:21], v[64:65]
	v_cvt_f32_f64_e32 v69, v[69:70]
	v_cvt_f32_f64_e32 v70, v[76:77]
	v_add_f64 v[76:77], v[10:11], v[62:63]
	v_min3_f32 v69, v72, v69, v224
	v_cvt_f32_f64_e32 v72, v[74:75]
	v_add_f64 v[74:75], v[12:13], v[64:65]
	v_min3_f32 v70, v70, v72, v223
	v_cvt_f32_f64_e32 v72, v[76:77]
	v_cvt_f32_f64_e32 v74, v[74:75]
	v_add_f64 v[76:77], v[6:7], v[62:63]
	v_add_f64 v[62:63], v[2:3], v[62:63]
	v_min3_f32 v72, v72, v74, v222
	v_add_f64 v[74:75], v[8:9], v[64:65]
	v_add_f64 v[64:65], v[4:5], v[64:65]
	v_cvt_f32_f64_e32 v76, v[76:77]
	v_cvt_f32_f64_e32 v62, v[62:63]
	;; [unrolled: 1-line block ×4, first 2 shown]
	v_min3_f32 v74, v76, v74, v221
	v_min3_f32 v62, v62, v63, v126
	v_add_f64 v[63:64], v[36:37], v[60:61]
	v_add_f64 v[75:76], v[34:35], v[58:59]
	v_cvt_f32_f64_e32 v63, v[63:64]
	v_cvt_f32_f64_e32 v65, v[75:76]
	v_add_f64 v[75:76], v[30:31], v[58:59]
	v_min3_f32 v63, v65, v63, v127
	v_add_f64 v[64:65], v[32:33], v[60:61]
	v_cvt_f32_f64_e32 v75, v[75:76]
	v_cvt_f32_f64_e32 v64, v[64:65]
	;; [unrolled: 1-line block ×3, first 2 shown]
	v_add_f64 v[79:80], v[18:19], v[58:59]
	v_min3_f32 v64, v75, v64, v218
	v_add_f64 v[75:76], v[28:29], v[60:61]
	v_cvt_f32_f64_e32 v77, v[79:80]
	v_add_f64 v[79:80], v[14:15], v[58:59]
	v_cvt_f32_f64_e32 v75, v[75:76]
	v_cvt_f32_f64_e32 v79, v[79:80]
	v_min3_f32 v65, v65, v75, v217
	v_add_f64 v[75:76], v[20:21], v[60:61]
	v_cvt_f32_f64_e32 v75, v[75:76]
	v_min3_f32 v75, v77, v75, v216
	v_add_f64 v[76:77], v[16:17], v[60:61]
	v_cvt_f32_f64_e32 v76, v[76:77]
	v_cvt_f32_f64_e32 v77, v[83:84]
	v_add_f64 v[83:84], v[6:7], v[58:59]
	v_add_f64 v[58:59], v[2:3], v[58:59]
	v_min3_f32 v76, v79, v76, v215
	v_add_f64 v[79:80], v[12:13], v[60:61]
	v_cvt_f32_f64_e32 v81, v[83:84]
	v_cvt_f32_f64_e32 v58, v[58:59]
	v_add_f64 v[83:84], v[26:27], v[54:55]
	v_cvt_f32_f64_e32 v79, v[79:80]
	v_min3_f32 v77, v77, v79, v214
	v_add_f64 v[79:80], v[8:9], v[60:61]
	v_add_f64 v[60:61], v[4:5], v[60:61]
	v_cvt_f32_f64_e32 v79, v[79:80]
	v_cvt_f32_f64_e32 v59, v[60:61]
	v_min3_f32 v79, v81, v79, v213
	v_min3_f32 v58, v58, v59, v212
	v_add_f64 v[59:60], v[36:37], v[56:57]
	v_add_f64 v[80:81], v[34:35], v[54:55]
	v_cvt_f32_f64_e32 v59, v[59:60]
	v_cvt_f32_f64_e32 v61, v[80:81]
	v_add_f64 v[80:81], v[30:31], v[54:55]
	v_min3_f32 v59, v61, v59, v211
	v_add_f64 v[60:61], v[32:33], v[56:57]
	v_cvt_f32_f64_e32 v80, v[80:81]
	v_cvt_f32_f64_e32 v60, v[60:61]
	;; [unrolled: 1-line block ×3, first 2 shown]
	v_add_f64 v[83:84], v[18:19], v[54:55]
	v_min3_f32 v60, v80, v60, v210
	v_add_f64 v[80:81], v[28:29], v[56:57]
	v_cvt_f32_f64_e32 v83, v[83:84]
	v_cvt_f32_f64_e32 v80, v[80:81]
	v_min3_f32 v61, v61, v80, v209
	v_add_f64 v[80:81], v[20:21], v[56:57]
	v_cvt_f32_f64_e32 v80, v[80:81]
	v_cvt_f32_f64_e32 v81, v[87:88]
	v_add_f64 v[87:88], v[10:11], v[54:55]
	v_min3_f32 v80, v83, v80, v208
	v_add_f64 v[83:84], v[16:17], v[56:57]
	v_cvt_f32_f64_e32 v85, v[87:88]
	v_add_f64 v[87:88], v[6:7], v[54:55]
	v_add_f64 v[54:55], v[2:3], v[54:55]
	v_cvt_f32_f64_e32 v83, v[83:84]
	v_cvt_f32_f64_e32 v87, v[87:88]
	;; [unrolled: 1-line block ×3, first 2 shown]
	v_min3_f32 v81, v81, v83, v207
	v_add_f64 v[83:84], v[12:13], v[56:57]
	v_cvt_f32_f64_e32 v83, v[83:84]
	v_min3_f32 v83, v85, v83, v206
	v_add_f64 v[84:85], v[8:9], v[56:57]
	v_add_f64 v[56:57], v[4:5], v[56:57]
	v_cvt_f32_f64_e32 v84, v[84:85]
	v_cvt_f32_f64_e32 v55, v[56:57]
	v_min3_f32 v84, v87, v84, v205
	v_min3_f32 v54, v54, v55, v204
	v_add_f64 v[55:56], v[36:37], v[52:53]
	v_add_f64 v[87:88], v[34:35], v[50:51]
	v_cvt_f32_f64_e32 v55, v[55:56]
	v_cvt_f32_f64_e32 v57, v[87:88]
	v_add_f64 v[87:88], v[30:31], v[50:51]
	v_min3_f32 v55, v57, v55, v203
	v_add_f64 v[56:57], v[32:33], v[52:53]
	v_cvt_f32_f64_e32 v85, v[87:88]
	v_add_f64 v[87:88], v[28:29], v[52:53]
	v_cvt_f32_f64_e32 v56, v[56:57]
	v_cvt_f32_f64_e32 v57, v[91:92]
	v_add_f64 v[91:92], v[18:19], v[50:51]
	v_min3_f32 v56, v85, v56, v202
	v_cvt_f32_f64_e32 v85, v[87:88]
	v_add_f64 v[87:88], v[20:21], v[52:53]
	v_min3_f32 v57, v57, v85, v201
	v_cvt_f32_f64_e32 v85, v[91:92]
	v_cvt_f32_f64_e32 v87, v[87:88]
	v_add_f64 v[91:92], v[14:15], v[50:51]
	v_min3_f32 v85, v85, v87, v118
	v_add_f64 v[87:88], v[16:17], v[52:53]
	v_cvt_f32_f64_e32 v89, v[91:92]
	v_add_f64 v[91:92], v[10:11], v[50:51]
	v_add_f64 v[50:51], v[2:3], v[50:51]
	v_cvt_f32_f64_e32 v87, v[87:88]
	v_cvt_f32_f64_e32 v91, v[91:92]
	;; [unrolled: 1-line block ×3, first 2 shown]
	v_min3_f32 v87, v89, v87, v119
	v_add_f64 v[88:89], v[12:13], v[52:53]
	v_cvt_f32_f64_e32 v88, v[88:89]
	v_cvt_f32_f64_e32 v89, v[95:96]
	v_add_f64 v[95:96], v[26:27], v[46:47]
	v_min3_f32 v88, v91, v88, v120
	v_add_f64 v[91:92], v[8:9], v[52:53]
	v_add_f64 v[52:53], v[4:5], v[52:53]
	v_cvt_f32_f64_e32 v91, v[91:92]
	v_cvt_f32_f64_e32 v51, v[52:53]
	v_min3_f32 v89, v89, v91, v121
	v_min3_f32 v50, v50, v51, v115
	v_add_f64 v[51:52], v[36:37], v[48:49]
	v_add_f64 v[91:92], v[34:35], v[46:47]
	v_cvt_f32_f64_e32 v51, v[51:52]
	v_cvt_f32_f64_e32 v53, v[91:92]
	v_add_f64 v[91:92], v[30:31], v[46:47]
	v_min3_f32 v51, v53, v51, v116
	v_add_f64 v[52:53], v[32:33], v[48:49]
	v_cvt_f32_f64_e32 v91, v[91:92]
	v_cvt_f32_f64_e32 v52, v[52:53]
	;; [unrolled: 1-line block ×3, first 2 shown]
	v_add_f64 v[95:96], v[18:19], v[46:47]
	v_min3_f32 v52, v91, v52, v117
	v_add_f64 v[91:92], v[28:29], v[48:49]
	v_cvt_f32_f64_e32 v93, v[95:96]
	v_add_f64 v[95:96], v[14:15], v[46:47]
	v_cvt_f32_f64_e32 v91, v[91:92]
	v_cvt_f32_f64_e32 v95, v[95:96]
	v_min3_f32 v53, v53, v91, v122
	v_add_f64 v[91:92], v[20:21], v[48:49]
	v_cvt_f32_f64_e32 v91, v[91:92]
	v_min3_f32 v91, v93, v91, v123
	v_add_f64 v[92:93], v[16:17], v[48:49]
	v_cvt_f32_f64_e32 v92, v[92:93]
	v_cvt_f32_f64_e32 v93, v[99:100]
	v_add_f64 v[99:100], v[6:7], v[46:47]
	v_add_f64 v[46:47], v[2:3], v[46:47]
	v_min3_f32 v92, v95, v92, v124
	v_add_f64 v[95:96], v[12:13], v[48:49]
	v_cvt_f32_f64_e32 v46, v[46:47]
	v_cvt_f32_f64_e32 v95, v[95:96]
	v_min3_f32 v152, v93, v95, v125
	v_add_f64 v[95:96], v[8:9], v[48:49]
	v_add_f64 v[48:49], v[4:5], v[48:49]
	v_cvt_f32_f64_e32 v93, v[99:100]
	v_add_f64 v[99:100], v[26:27], v[42:43]
	v_cvt_f32_f64_e32 v95, v[95:96]
	v_cvt_f32_f64_e32 v47, v[48:49]
	v_min3_f32 v153, v93, v95, v114
	v_min3_f32 v46, v46, v47, v112
	v_add_f64 v[47:48], v[36:37], v[44:45]
	v_add_f64 v[95:96], v[34:35], v[42:43]
	v_cvt_f32_f64_e32 v47, v[47:48]
	v_cvt_f32_f64_e32 v49, v[95:96]
	v_add_f64 v[95:96], v[30:31], v[42:43]
	v_min3_f32 v47, v49, v47, v113
	v_add_f64 v[48:49], v[32:33], v[44:45]
	v_cvt_f32_f64_e32 v93, v[95:96]
	v_add_f64 v[95:96], v[28:29], v[44:45]
	v_cvt_f32_f64_e32 v48, v[48:49]
	v_cvt_f32_f64_e32 v49, v[99:100]
	v_add_f64 v[99:100], v[18:19], v[42:43]
	v_min3_f32 v48, v93, v48, v128
	v_cvt_f32_f64_e32 v93, v[95:96]
	v_add_f64 v[95:96], v[20:21], v[44:45]
	v_min3_f32 v49, v49, v93, v129
	v_cvt_f32_f64_e32 v93, v[99:100]
	v_cvt_f32_f64_e32 v95, v[95:96]
	v_add_f64 v[99:100], v[14:15], v[42:43]
	v_min3_f32 v154, v93, v95, v172
	v_add_f64 v[95:96], v[16:17], v[44:45]
	v_cvt_f32_f64_e32 v93, v[99:100]
	v_add_f64 v[99:100], v[10:11], v[42:43]
	v_cvt_f32_f64_e32 v95, v[95:96]
	v_min3_f32 v155, v93, v95, v171
	v_add_f64 v[95:96], v[12:13], v[44:45]
	v_cvt_f32_f64_e32 v93, v[99:100]
	v_add_f64 v[99:100], v[6:7], v[42:43]
	v_add_f64 v[42:43], v[2:3], v[42:43]
	v_cvt_f32_f64_e32 v95, v[95:96]
	v_cvt_f32_f64_e32 v42, v[42:43]
	v_min3_f32 v156, v93, v95, v170
	v_add_f64 v[95:96], v[8:9], v[44:45]
	v_add_f64 v[44:45], v[4:5], v[44:45]
	v_cvt_f32_f64_e32 v93, v[99:100]
	v_add_f64 v[99:100], v[26:27], v[38:39]
	v_add_f64 v[26:27], v[26:27], v[22:23]
	v_cvt_f32_f64_e32 v95, v[95:96]
	v_cvt_f32_f64_e32 v43, v[44:45]
	;; [unrolled: 1-line block ×3, first 2 shown]
	v_min3_f32 v157, v93, v95, v169
	v_min3_f32 v42, v42, v43, v168
	v_add_f64 v[43:44], v[36:37], v[40:41]
	v_add_f64 v[95:96], v[34:35], v[38:39]
	;; [unrolled: 1-line block ×4, first 2 shown]
	v_cvt_f32_f64_e32 v43, v[43:44]
	v_cvt_f32_f64_e32 v45, v[95:96]
	v_add_f64 v[95:96], v[30:31], v[38:39]
	v_add_f64 v[30:31], v[30:31], v[22:23]
	v_cvt_f32_f64_e32 v34, v[34:35]
	v_cvt_f32_f64_e32 v35, v[36:37]
	v_min3_f32 v43, v45, v43, v167
	v_add_f64 v[44:45], v[32:33], v[40:41]
	v_cvt_f32_f64_e32 v93, v[95:96]
	v_add_f64 v[95:96], v[28:29], v[40:41]
	v_add_f64 v[32:33], v[32:33], v[24:25]
	;; [unrolled: 1-line block ×3, first 2 shown]
	v_cvt_f32_f64_e32 v30, v[30:31]
	v_min3_f32 v199, v34, v35, v98
	v_cvt_f32_f64_e32 v44, v[44:45]
	v_cvt_f32_f64_e32 v45, v[99:100]
	v_add_f64 v[99:100], v[18:19], v[38:39]
	v_add_f64 v[18:19], v[18:19], v[22:23]
	v_cvt_f32_f64_e32 v31, v[32:33]
	v_cvt_f32_f64_e32 v27, v[28:29]
	v_min3_f32 v44, v93, v44, v106
	v_cvt_f32_f64_e32 v93, v[95:96]
	v_add_f64 v[95:96], v[20:21], v[40:41]
	v_add_f64 v[20:21], v[20:21], v[24:25]
	v_cvt_f32_f64_e32 v18, v[18:19]
	v_min3_f32 v200, v30, v31, v94
	v_min3_f32 v201, v26, v27, v90
	;; [unrolled: 1-line block ×3, first 2 shown]
	v_cvt_f32_f64_e32 v93, v[99:100]
	v_cvt_f32_f64_e32 v95, v[95:96]
	v_add_f64 v[99:100], v[14:15], v[38:39]
	v_add_f64 v[14:15], v[14:15], v[22:23]
	v_cvt_f32_f64_e32 v19, v[20:21]
	v_min3_f32 v158, v93, v95, v108
	v_add_f64 v[95:96], v[16:17], v[40:41]
	v_cvt_f32_f64_e32 v93, v[99:100]
	v_add_f64 v[99:100], v[10:11], v[38:39]
	v_add_f64 v[16:17], v[16:17], v[24:25]
	;; [unrolled: 1-line block ×3, first 2 shown]
	v_cvt_f32_f64_e32 v14, v[14:15]
	v_min3_f32 v202, v18, v19, v86
	v_cvt_f32_f64_e32 v95, v[95:96]
	v_cvt_f32_f64_e32 v15, v[16:17]
	;; [unrolled: 1-line block ×3, first 2 shown]
	v_min3_f32 v159, v93, v95, v109
	v_add_f64 v[95:96], v[12:13], v[40:41]
	v_cvt_f32_f64_e32 v93, v[99:100]
	v_add_f64 v[99:100], v[6:7], v[38:39]
	v_add_f64 v[38:39], v[2:3], v[38:39]
	;; [unrolled: 1-line block ×5, first 2 shown]
	v_min3_f32 v203, v14, v15, v82
	v_cvt_f32_f64_e32 v95, v[95:96]
	v_cvt_f32_f64_e32 v38, v[38:39]
	;; [unrolled: 1-line block ×5, first 2 shown]
	v_min3_f32 v160, v93, v95, v110
	v_add_f64 v[95:96], v[8:9], v[40:41]
	v_add_f64 v[40:41], v[4:5], v[40:41]
	v_add_f64 v[8:9], v[8:9], v[24:25]
	v_add_f64 v[4:5], v[4:5], v[24:25]
	v_cvt_f32_f64_e32 v93, v[99:100]
	v_min3_f32 v204, v10, v11, v78
	v_cvt_f32_f64_e32 v95, v[95:96]
	v_cvt_f32_f64_e32 v39, v[40:41]
	;; [unrolled: 1-line block ×4, first 2 shown]
	v_min3_f32 v177, v93, v95, v111
	v_min3_f32 v178, v38, v39, v102
	;; [unrolled: 1-line block ×4, first 2 shown]
	ds_read_b128 v[6:9], v174 offset:256
	ds_read_b128 v[10:13], v174 offset:512
	;; [unrolled: 1-line block ×14, first 2 shown]
	ds_read_b128 v[97:100], v149
	ds_read_b128 v[34:37], v149 offset:16
	ds_read_b128 v[195:198], v174
	ds_read_b128 v[2:5], v174 offset:16
	s_waitcnt lgkmcnt(1)
	v_add_f64 v[101:102], v[197:198], v[99:100]
	v_add_f64 v[103:104], v[195:196], v[97:98]
	v_cvt_f32_f64_e32 v73, v[101:102]
	v_cvt_f32_f64_e32 v71, v[103:104]
	v_add_f64 v[101:102], v[8:9], v[99:100]
	v_add_f64 v[103:104], v[6:7], v[97:98]
	v_min3_f32 v129, v71, v73, v66
	v_cvt_f32_f64_e32 v71, v[101:102]
	v_cvt_f32_f64_e32 v66, v[103:104]
	v_add_f64 v[101:102], v[10:11], v[97:98]
	v_min3_f32 v128, v66, v71, v67
	v_add_f64 v[66:67], v[12:13], v[99:100]
	v_cvt_f32_f64_e32 v71, v[101:102]
	v_add_f64 v[101:102], v[14:15], v[97:98]
	v_cvt_f32_f64_e32 v66, v[66:67]
	v_min3_f32 v127, v71, v66, v68
	v_add_f64 v[66:67], v[16:17], v[99:100]
	v_cvt_f32_f64_e32 v68, v[101:102]
	v_cvt_f32_f64_e32 v66, v[66:67]
	v_min3_f32 v126, v68, v66, v69
	v_add_f64 v[66:67], v[20:21], v[99:100]
	v_add_f64 v[68:69], v[18:19], v[97:98]
	v_cvt_f32_f64_e32 v66, v[66:67]
	v_cvt_f32_f64_e32 v68, v[68:69]
	v_min3_f32 v125, v68, v66, v70
	v_add_f64 v[66:67], v[24:25], v[99:100]
	;; [unrolled: 5-line block ×11, first 2 shown]
	v_add_f64 v[64:65], v[26:27], v[38:39]
	v_add_f64 v[40:41], v[32:33], v[40:41]
	;; [unrolled: 1-line block ×3, first 2 shown]
	v_cvt_f32_f64_e32 v62, v[62:63]
	v_cvt_f32_f64_e32 v64, v[64:65]
	;; [unrolled: 1-line block ×4, first 2 shown]
	v_add_f64 v[40:41], v[195:196], v[93:94]
	v_min3_f32 v115, v64, v62, v79
	v_min3_f32 v114, v38, v39, v58
	v_add_f64 v[38:39], v[197:198], v[95:96]
	v_cvt_f32_f64_e32 v40, v[40:41]
	v_cvt_f32_f64_e32 v38, v[38:39]
	v_min3_f32 v113, v40, v38, v59
	v_add_f64 v[38:39], v[8:9], v[95:96]
	v_add_f64 v[40:41], v[6:7], v[93:94]
	v_cvt_f32_f64_e32 v38, v[38:39]
	v_cvt_f32_f64_e32 v40, v[40:41]
	v_min3_f32 v112, v40, v38, v60
	v_add_f64 v[38:39], v[12:13], v[95:96]
	;; [unrolled: 5-line block ×23, first 2 shown]
	v_add_f64 v[40:41], v[30:31], v[165:166]
	s_waitcnt lgkmcnt(0)
	v_add_f64 v[152:153], v[4:5], v[36:37]
	v_cvt_f32_f64_e32 v38, v[38:39]
	v_cvt_f32_f64_e32 v40, v[40:41]
	;; [unrolled: 1-line block ×3, first 2 shown]
	v_min3_f32 v90, v40, v38, v46
	v_add_f64 v[38:39], v[197:198], v[171:172]
	v_add_f64 v[40:41], v[195:196], v[169:170]
	v_cvt_f32_f64_e32 v38, v[38:39]
	v_cvt_f32_f64_e32 v40, v[40:41]
	v_min3_f32 v89, v40, v38, v47
	v_add_f64 v[38:39], v[8:9], v[171:172]
	v_add_f64 v[40:41], v[6:7], v[169:170]
	v_cvt_f32_f64_e32 v38, v[38:39]
	v_cvt_f32_f64_e32 v40, v[40:41]
	;; [unrolled: 5-line block ×5, first 2 shown]
	v_min3_f32 v85, v40, v38, v155
	v_add_f64 v[38:39], v[24:25], v[171:172]
	v_add_f64 v[40:41], v[22:23], v[169:170]
	;; [unrolled: 1-line block ×3, first 2 shown]
	v_cvt_f32_f64_e32 v38, v[38:39]
	v_cvt_f32_f64_e32 v40, v[40:41]
	;; [unrolled: 1-line block ×3, first 2 shown]
	v_min3_f32 v84, v40, v38, v156
	v_add_f64 v[38:39], v[28:29], v[171:172]
	v_add_f64 v[40:41], v[26:27], v[169:170]
	v_min3_f32 v227, v154, v152, v129
	v_cvt_f32_f64_e32 v38, v[38:39]
	v_cvt_f32_f64_e32 v40, v[40:41]
	v_min3_f32 v83, v40, v38, v157
	v_add_f64 v[38:39], v[32:33], v[171:172]
	v_add_f64 v[40:41], v[30:31], v[169:170]
	v_cvt_f32_f64_e32 v38, v[38:39]
	v_cvt_f32_f64_e32 v40, v[40:41]
	v_min3_f32 v82, v40, v38, v42
	v_add_f64 v[38:39], v[197:198], v[189:190]
	v_add_f64 v[40:41], v[195:196], v[187:188]
	;; [unrolled: 5-line block ×3, first 2 shown]
	v_add_f64 v[8:9], v[8:9], v[193:194]
	v_add_f64 v[6:7], v[6:7], v[191:192]
	v_cvt_f32_f64_e32 v38, v[38:39]
	v_cvt_f32_f64_e32 v40, v[40:41]
	;; [unrolled: 1-line block ×4, first 2 shown]
	v_add_f64 v[8:9], v[10:11], v[191:192]
	v_min3_f32 v80, v40, v38, v44
	v_add_f64 v[38:39], v[12:13], v[189:190]
	v_add_f64 v[40:41], v[10:11], v[187:188]
	v_min3_f32 v72, v6, v7, v200
	v_add_f64 v[6:7], v[12:13], v[193:194]
	v_cvt_f32_f64_e32 v8, v[8:9]
	v_cvt_f32_f64_e32 v38, v[38:39]
	v_cvt_f32_f64_e32 v40, v[40:41]
	v_cvt_f32_f64_e32 v6, v[6:7]
	v_min3_f32 v79, v40, v38, v45
	v_add_f64 v[38:39], v[16:17], v[189:190]
	v_add_f64 v[40:41], v[14:15], v[187:188]
	v_min3_f32 v71, v8, v6, v201
	v_add_f64 v[6:7], v[16:17], v[193:194]
	v_add_f64 v[8:9], v[14:15], v[191:192]
	v_cvt_f32_f64_e32 v38, v[38:39]
	v_cvt_f32_f64_e32 v40, v[40:41]
	v_cvt_f32_f64_e32 v6, v[6:7]
	v_cvt_f32_f64_e32 v8, v[8:9]
	v_min3_f32 v78, v40, v38, v158
	v_add_f64 v[38:39], v[20:21], v[189:190]
	v_add_f64 v[40:41], v[18:19], v[187:188]
	v_min3_f32 v70, v8, v6, v202
	v_add_f64 v[6:7], v[20:21], v[193:194]
	;; [unrolled: 10-line block ×5, first 2 shown]
	v_add_f64 v[8:9], v[30:31], v[191:192]
	v_cvt_f32_f64_e32 v38, v[38:39]
	v_cvt_f32_f64_e32 v40, v[40:41]
	;; [unrolled: 1-line block ×4, first 2 shown]
	v_min3_f32 v74, v40, v38, v178
	v_add_f64 v[38:39], v[197:198], v[193:194]
	v_add_f64 v[40:41], v[195:196], v[191:192]
	v_min3_f32 v66, v8, v6, v206
	v_cvt_f32_f64_e32 v38, v[38:39]
	v_cvt_f32_f64_e32 v40, v[40:41]
	v_min3_f32 v73, v40, v38, v199
	ds_read_b128 v[22:25], v174 offset:272
	ds_read_b128 v[18:21], v174 offset:528
	;; [unrolled: 1-line block ×14, first 2 shown]
	s_waitcnt vmcnt(0)
	ds_write_b64 v175, v[142:143]
	ds_write2st64_b64 v176, v[138:139], v[140:141] offset1:4
	ds_write2st64_b64 v176, v[144:145], v[146:147] offset0:8 offset1:12
	s_waitcnt lgkmcnt(0)
	s_barrier
	buffer_gl0_inv
	v_add_f64 v[152:153], v[24:25], v[36:37]
	v_add_f64 v[154:155], v[22:23], v[34:35]
	v_cvt_f32_f64_e32 v152, v[152:153]
	v_cvt_f32_f64_e32 v129, v[154:155]
	v_min3_f32 v226, v129, v152, v128
	v_add_f64 v[128:129], v[20:21], v[36:37]
	v_add_f64 v[152:153], v[18:19], v[34:35]
	v_cvt_f32_f64_e32 v128, v[128:129]
	v_cvt_f32_f64_e32 v152, v[152:153]
	v_min3_f32 v225, v152, v128, v127
	;; [unrolled: 5-line block ×5, first 2 shown]
	v_add_f64 v[124:125], v[32:33], v[36:37]
	v_add_f64 v[126:127], v[30:31], v[34:35]
	;; [unrolled: 1-line block ×4, first 2 shown]
	v_cvt_f32_f64_e32 v124, v[124:125]
	v_cvt_f32_f64_e32 v126, v[126:127]
	;; [unrolled: 1-line block ×4, first 2 shown]
	v_add_f64 v[36:37], v[2:3], v[62:63]
	v_min3_f32 v221, v126, v124, v123
	v_min3_f32 v220, v34, v35, v122
	v_add_f64 v[34:35], v[4:5], v[64:65]
	v_cvt_f32_f64_e32 v36, v[36:37]
	v_cvt_f32_f64_e32 v34, v[34:35]
	v_min3_f32 v219, v36, v34, v121
	v_add_f64 v[34:35], v[24:25], v[64:65]
	v_add_f64 v[36:37], v[22:23], v[62:63]
	v_cvt_f32_f64_e32 v34, v[34:35]
	v_cvt_f32_f64_e32 v36, v[36:37]
	v_min3_f32 v218, v36, v34, v120
	v_add_f64 v[34:35], v[20:21], v[64:65]
	;; [unrolled: 5-line block ×40, first 2 shown]
	v_add_f64 v[36:37], v[2:3], v[42:43]
	v_add_f64 v[4:5], v[4:5], v[40:41]
	;; [unrolled: 1-line block ×3, first 2 shown]
	v_cvt_f32_f64_e32 v34, v[34:35]
	v_cvt_f32_f64_e32 v36, v[36:37]
	;; [unrolled: 1-line block ×4, first 2 shown]
	v_add_f64 v[4:5], v[22:23], v[38:39]
	v_min3_f32 v167, v36, v34, v81
	v_add_f64 v[34:35], v[24:25], v[44:45]
	v_add_f64 v[36:37], v[22:23], v[42:43]
	v_min3_f32 v159, v2, v3, v73
	v_add_f64 v[2:3], v[24:25], v[40:41]
	v_cvt_f32_f64_e32 v4, v[4:5]
	v_cvt_f32_f64_e32 v34, v[34:35]
	v_cvt_f32_f64_e32 v36, v[36:37]
	v_cvt_f32_f64_e32 v2, v[2:3]
	v_min3_f32 v166, v36, v34, v80
	v_add_f64 v[34:35], v[20:21], v[44:45]
	v_add_f64 v[36:37], v[18:19], v[42:43]
	v_min3_f32 v158, v4, v2, v72
	v_add_f64 v[2:3], v[20:21], v[40:41]
	v_add_f64 v[4:5], v[18:19], v[38:39]
	v_cvt_f32_f64_e32 v34, v[34:35]
	v_cvt_f32_f64_e32 v36, v[36:37]
	v_cvt_f32_f64_e32 v2, v[2:3]
	v_cvt_f32_f64_e32 v4, v[4:5]
	v_min3_f32 v165, v36, v34, v79
	v_add_f64 v[34:35], v[16:17], v[44:45]
	v_add_f64 v[36:37], v[14:15], v[42:43]
	v_min3_f32 v157, v4, v2, v71
	v_add_f64 v[2:3], v[16:17], v[40:41]
	;; [unrolled: 10-line block ×6, first 2 shown]
	v_add_f64 v[4:5], v[26:27], v[38:39]
	v_cvt_f32_f64_e32 v34, v[34:35]
	v_cvt_f32_f64_e32 v36, v[36:37]
	;; [unrolled: 1-line block ×4, first 2 shown]
	v_min3_f32 v160, v36, v34, v74
	v_min3_f32 v152, v4, v2, v66
	s_cbranch_scc1 .LBB172_51
.LBB172_31:                             ; =>This Inner Loop Header: Depth=1
	v_add_nc_u32_e32 v228, s24, v148
	v_mov_b32_e32 v139, v137
	v_mov_b32_e32 v138, v136
	v_add_nc_u32_e32 v2, 8, v228
	v_cmp_le_i32_e64 s6, s14, v2
	s_nor_b32 s8, vcc_lo, s6
	s_and_saveexec_b32 s25, s8
	s_cbranch_execz .LBB172_33
; %bb.32:                               ;   in Loop: Header=BB172_31 Depth=1
	v_add_co_u32 v2, s8, v179, v130
	v_add_co_ci_u32_e64 v3, null, v180, v131, s8
	global_load_dwordx2 v[138:139], v[2:3], off
.LBB172_33:                             ;   in Loop: Header=BB172_31 Depth=1
	s_or_b32 exec_lo, exec_lo, s25
	v_mov_b32_e32 v141, v137
	v_mov_b32_e32 v140, v136
	s_nor_b32 s8, s0, s6
	s_and_saveexec_b32 s25, s8
	s_cbranch_execz .LBB172_35
; %bb.34:                               ;   in Loop: Header=BB172_31 Depth=1
	v_add_co_u32 v2, s8, v183, v132
	v_add_co_ci_u32_e64 v3, null, v184, v133, s8
	global_load_dwordx2 v[140:141], v[2:3], off
.LBB172_35:                             ;   in Loop: Header=BB172_31 Depth=1
	s_or_b32 exec_lo, exec_lo, s25
	v_mov_b32_e32 v143, v137
	v_mov_b32_e32 v142, v136
	s_nor_b32 s8, s1, s6
	s_and_saveexec_b32 s25, s8
	s_cbranch_execz .LBB172_37
; %bb.36:                               ;   in Loop: Header=BB172_31 Depth=1
	v_add_co_u32 v2, s8, v183, v132
	v_add_co_ci_u32_e64 v3, null, v184, v133, s8
	global_load_dwordx2 v[142:143], v[2:3], off offset:512
.LBB172_37:                             ;   in Loop: Header=BB172_31 Depth=1
	s_or_b32 exec_lo, exec_lo, s25
	v_mov_b32_e32 v145, v137
	v_mov_b32_e32 v144, v136
	s_nor_b32 s8, s2, s6
	s_and_saveexec_b32 s25, s8
	s_cbranch_execz .LBB172_39
; %bb.38:                               ;   in Loop: Header=BB172_31 Depth=1
	v_add_co_u32 v2, s8, v183, v132
	v_add_co_ci_u32_e64 v3, null, v184, v133, s8
	global_load_dwordx2 v[144:145], v[2:3], off offset:1024
.LBB172_39:                             ;   in Loop: Header=BB172_31 Depth=1
	;; [unrolled: 11-line block ×3, first 2 shown]
	s_or_b32 exec_lo, exec_lo, s8
	ds_read_b128 v[126:129], v182
	ds_read_b128 v[62:65], v182 offset:16
	ds_read_b128 v[98:101], v181
	ds_read_b128 v[34:37], v181 offset:16
	ds_read_b128 v[94:97], v181 offset:256
	;; [unrolled: 1-line block ×29, first 2 shown]
	v_add_nc_u32_e32 v228, 12, v228
	s_waitcnt vmcnt(0)
	ds_write_b64 v173, v[138:139]
	ds_write2st64_b64 v151, v[140:141], v[142:143] offset1:4
	v_mov_b32_e32 v143, v137
	v_mov_b32_e32 v142, v136
	ds_write2st64_b64 v151, v[144:145], v[146:147] offset0:8 offset1:12
	v_cmp_le_i32_e64 s6, s14, v228
	s_waitcnt lgkmcnt(0)
	s_barrier
	buffer_gl0_inv
	s_nor_b32 s8, vcc_lo, s6
	s_and_saveexec_b32 s25, s8
	s_cbranch_execz .LBB172_43
; %bb.42:                               ;   in Loop: Header=BB172_31 Depth=1
	v_add_co_u32 v138, s8, v179, v134
	v_add_co_ci_u32_e64 v139, null, v180, v135, s8
	global_load_dwordx2 v[142:143], v[138:139], off
.LBB172_43:                             ;   in Loop: Header=BB172_31 Depth=1
	s_or_b32 exec_lo, exec_lo, s25
	v_mov_b32_e32 v139, v137
	v_mov_b32_e32 v138, v136
	s_nor_b32 s8, s0, s6
	s_and_saveexec_b32 s25, s8
	s_cbranch_execz .LBB172_45
; %bb.44:                               ;   in Loop: Header=BB172_31 Depth=1
	v_add_co_u32 v138, s8, v185, v132
	v_add_co_ci_u32_e64 v139, null, v186, v133, s8
	global_load_dwordx2 v[138:139], v[138:139], off
.LBB172_45:                             ;   in Loop: Header=BB172_31 Depth=1
	s_or_b32 exec_lo, exec_lo, s25
	v_mov_b32_e32 v141, v137
	v_mov_b32_e32 v140, v136
	s_nor_b32 s8, s1, s6
	s_and_saveexec_b32 s25, s8
	s_cbranch_execz .LBB172_47
; %bb.46:                               ;   in Loop: Header=BB172_31 Depth=1
	v_add_co_u32 v140, s8, v185, v132
	v_add_co_ci_u32_e64 v141, null, v186, v133, s8
	global_load_dwordx2 v[140:141], v[140:141], off offset:512
.LBB172_47:                             ;   in Loop: Header=BB172_31 Depth=1
	s_or_b32 exec_lo, exec_lo, s25
	v_mov_b32_e32 v145, v137
	v_mov_b32_e32 v144, v136
	s_nor_b32 s8, s2, s6
	s_and_saveexec_b32 s25, s8
	s_cbranch_execz .LBB172_49
; %bb.48:                               ;   in Loop: Header=BB172_31 Depth=1
	v_add_co_u32 v144, s8, v185, v132
	v_add_co_ci_u32_e64 v145, null, v186, v133, s8
	global_load_dwordx2 v[144:145], v[144:145], off offset:1024
.LBB172_49:                             ;   in Loop: Header=BB172_31 Depth=1
	s_or_b32 exec_lo, exec_lo, s25
	v_mov_b32_e32 v147, v137
	v_mov_b32_e32 v146, v136
	s_nor_b32 s6, s3, s6
	s_and_saveexec_b32 s8, s6
	s_cbranch_execz .LBB172_30
; %bb.50:                               ;   in Loop: Header=BB172_31 Depth=1
	v_add_co_u32 v146, s6, v185, v132
	v_add_co_ci_u32_e64 v147, null, v186, v133, s6
	global_load_dwordx2 v[146:147], v[146:147], off offset:1536
	s_branch .LBB172_30
.LBB172_51:
	s_clause 0x2
	s_load_dwordx2 s[0:1], s[4:5], 0x78
	s_load_dword s16, s[4:5], 0x58
	s_load_dword s14, s[4:5], 0x70
	ds_read_b128 v[70:73], v150 offset:18432
	ds_read_b128 v[66:69], v150 offset:18448
	;; [unrolled: 1-line block ×16, first 2 shown]
	v_add_nc_u32_e32 v145, s28, v1
	ds_read_b128 v[6:9], v150 offset:20224
	ds_read_b128 v[2:5], v150 offset:20240
	ds_read_b128 v[118:121], v149 offset:9216
	ds_read_b128 v[114:117], v149 offset:9232
	ds_read_b128 v[110:113], v149 offset:10240
	ds_read_b128 v[106:109], v149 offset:10256
	ds_read_b128 v[102:105], v149 offset:11264
	ds_read_b128 v[98:101], v149 offset:11280
	ds_read_b128 v[94:97], v149 offset:12288
	ds_read_b128 v[90:93], v149 offset:12304
	ds_read_b128 v[86:89], v149 offset:13312
	ds_read_b128 v[82:85], v149 offset:13328
	ds_read_b128 v[78:81], v149 offset:14336
	ds_read_b128 v[74:77], v149 offset:14352
	ds_read_b128 v[14:17], v149 offset:15360
	ds_read_b128 v[10:13], v149 offset:15376
	v_add_nc_u32_e32 v0, s15, v0
	v_cmp_gt_i32_e64 s8, s13, v145
	v_cndmask_b32_e64 v144, 0, 1, s9
	v_ashrrev_i32_e32 v1, 31, v0
	s_waitcnt lgkmcnt(0)
	s_mul_i32 s1, s1, s7
	v_mad_i64_i32 v[130:131], null, v145, s16, 0
	v_mad_i64_i32 v[132:133], null, v145, s14, 0
	s_mul_hi_u32 s2, s0, s7
	s_mul_i32 s0, s0, s7
	s_add_i32 s1, s2, s1
	s_lshl_b64 s[0:1], s[0:1], 3
	v_lshlrev_b64 v[130:131], 3, v[130:131]
	v_lshlrev_b64 v[132:133], 3, v[132:133]
	s_add_u32 s17, s18, s0
	s_addc_u32 s15, s19, s1
	v_cmp_gt_i32_e64 s0, s12, v0
	v_add_co_u32 v148, vcc_lo, s20, v130
	v_add_co_ci_u32_e64 v149, null, s21, v131, vcc_lo
	v_add_co_u32 v146, vcc_lo, s17, v132
	v_add_co_ci_u32_e64 v147, null, s15, v133, vcc_lo
	s_and_b32 s2, s0, s8
	s_and_saveexec_b32 s1, s2
	s_cbranch_execz .LBB172_56
; %bb.52:
	s_andn2_b32 vcc_lo, exec_lo, s9
	s_cbranch_vccnz .LBB172_54
; %bb.53:
	v_lshlrev_b64 v[130:131], 3, v[0:1]
	v_add_co_u32 v130, vcc_lo, v148, v130
	v_add_co_ci_u32_e64 v131, null, v149, v131, vcc_lo
	global_load_dwordx2 v[130:131], v[130:131], off
	s_waitcnt vmcnt(0)
	v_mul_f64 v[130:131], s[10:11], v[130:131]
	v_cvt_f32_f64_e32 v130, v[130:131]
	s_branch .LBB172_55
.LBB172_54:
	v_mov_b32_e32 v130, 0
.LBB172_55:
	v_add_f64 v[131:132], v[70:71], v[126:127]
	v_add_f64 v[133:134], v[72:73], v[128:129]
	;; [unrolled: 1-line block ×4, first 2 shown]
	v_cvt_f32_f64_e32 v131, v[131:132]
	v_cvt_f32_f64_e32 v132, v[133:134]
	;; [unrolled: 1-line block ×4, first 2 shown]
	v_min3_f32 v131, v131, v132, v227
	v_min_f32_e32 v132, v133, v134
	v_min3_f32 v130, v130, v132, v131
	v_lshlrev_b64 v[132:133], 3, v[0:1]
	v_cvt_f64_f32_e32 v[130:131], v130
	v_add_co_u32 v132, vcc_lo, v146, v132
	v_add_co_ci_u32_e64 v133, null, v147, v133, vcc_lo
	global_store_dwordx2 v[132:133], v[130:131], off
.LBB172_56:
	s_or_b32 exec_lo, exec_lo, s1
	v_add_nc_u32_e32 v130, 8, v0
	v_cmp_gt_i32_e64 s1, s12, v130
	v_ashrrev_i32_e32 v131, 31, v130
	s_and_b32 s3, s1, s8
	s_and_saveexec_b32 s2, s3
	s_cbranch_execz .LBB172_61
; %bb.57:
	v_cmp_ne_u32_e32 vcc_lo, 1, v144
	s_cbranch_vccnz .LBB172_59
; %bb.58:
	v_lshlrev_b64 v[132:133], 3, v[130:131]
	v_add_co_u32 v132, vcc_lo, v148, v132
	v_add_co_ci_u32_e64 v133, null, v149, v133, vcc_lo
	global_load_dwordx2 v[132:133], v[132:133], off
	s_waitcnt vmcnt(0)
	v_mul_f64 v[132:133], s[10:11], v[132:133]
	v_cvt_f32_f64_e32 v132, v[132:133]
	s_branch .LBB172_60
.LBB172_59:
	v_mov_b32_e32 v132, 0
.LBB172_60:
	v_add_f64 v[133:134], v[62:63], v[126:127]
	v_add_f64 v[135:136], v[64:65], v[128:129]
	v_add_f64 v[137:138], v[58:59], v[122:123]
	v_add_f64 v[139:140], v[60:61], v[124:125]
	v_cvt_f32_f64_e32 v133, v[133:134]
	v_cvt_f32_f64_e32 v134, v[135:136]
	v_cvt_f32_f64_e32 v135, v[137:138]
	v_cvt_f32_f64_e32 v136, v[139:140]
	v_min3_f32 v133, v133, v134, v226
	v_min_f32_e32 v134, v135, v136
	v_min3_f32 v132, v132, v134, v133
	v_lshlrev_b64 v[134:135], 3, v[130:131]
	v_cvt_f64_f32_e32 v[132:133], v132
	v_add_co_u32 v134, vcc_lo, v146, v134
	v_add_co_ci_u32_e64 v135, null, v147, v135, vcc_lo
	global_store_dwordx2 v[134:135], v[132:133], off
.LBB172_61:
	s_or_b32 exec_lo, exec_lo, s2
	v_add_nc_u32_e32 v132, 16, v0
	v_cmp_gt_i32_e64 s2, s12, v132
	v_ashrrev_i32_e32 v133, 31, v132
	s_and_b32 s4, s2, s8
	s_and_saveexec_b32 s3, s4
	s_cbranch_execz .LBB172_66
; %bb.62:
	v_cmp_ne_u32_e32 vcc_lo, 1, v144
	s_cbranch_vccnz .LBB172_64
; %bb.63:
	v_lshlrev_b64 v[134:135], 3, v[132:133]
	v_add_co_u32 v134, vcc_lo, v148, v134
	v_add_co_ci_u32_e64 v135, null, v149, v135, vcc_lo
	global_load_dwordx2 v[134:135], v[134:135], off
	s_waitcnt vmcnt(0)
	v_mul_f64 v[134:135], s[10:11], v[134:135]
	v_cvt_f32_f64_e32 v134, v[134:135]
	s_branch .LBB172_65
.LBB172_64:
	v_mov_b32_e32 v134, 0
.LBB172_65:
	v_add_f64 v[135:136], v[54:55], v[126:127]
	v_add_f64 v[137:138], v[56:57], v[128:129]
	v_add_f64 v[139:140], v[50:51], v[122:123]
	v_add_f64 v[141:142], v[52:53], v[124:125]
	v_cvt_f32_f64_e32 v135, v[135:136]
	v_cvt_f32_f64_e32 v136, v[137:138]
	v_cvt_f32_f64_e32 v137, v[139:140]
	v_cvt_f32_f64_e32 v138, v[141:142]
	v_min3_f32 v135, v135, v136, v225
	v_min_f32_e32 v136, v137, v138
	v_min3_f32 v134, v134, v136, v135
	v_lshlrev_b64 v[136:137], 3, v[132:133]
	v_cvt_f64_f32_e32 v[134:135], v134
	v_add_co_u32 v136, vcc_lo, v146, v136
	v_add_co_ci_u32_e64 v137, null, v147, v137, vcc_lo
	global_store_dwordx2 v[136:137], v[134:135], off
.LBB172_66:
	;; [unrolled: 39-line block ×7, first 2 shown]
	s_or_b32 exec_lo, exec_lo, s8
	v_add_nc_u32_e32 v126, 32, v145
	v_mad_i64_i32 v[122:123], null, v126, s16, 0
	v_mad_i64_i32 v[124:125], null, v126, s14, 0
	v_cmp_gt_i32_e64 s8, s13, v126
	v_lshlrev_b64 v[122:123], 3, v[122:123]
	s_and_b32 s12, s0, s8
	v_lshlrev_b64 v[126:127], 3, v[124:125]
	v_add_co_u32 v124, vcc_lo, s20, v122
	v_add_co_ci_u32_e64 v125, null, s21, v123, vcc_lo
	v_add_co_u32 v122, vcc_lo, s17, v126
	v_add_co_ci_u32_e64 v123, null, s15, v127, vcc_lo
	s_and_saveexec_b32 s9, s12
	s_cbranch_execnz .LBB172_99
; %bb.92:
	s_or_b32 exec_lo, exec_lo, s9
	s_and_b32 s12, s1, s8
	s_and_saveexec_b32 s9, s12
	s_cbranch_execnz .LBB172_103
.LBB172_93:
	s_or_b32 exec_lo, exec_lo, s9
	s_and_b32 s12, s2, s8
	s_and_saveexec_b32 s9, s12
	s_cbranch_execnz .LBB172_107
.LBB172_94:
	s_or_b32 exec_lo, exec_lo, s9
	s_and_b32 s12, s3, s8
	s_and_saveexec_b32 s9, s12
	s_cbranch_execnz .LBB172_111
.LBB172_95:
	s_or_b32 exec_lo, exec_lo, s9
	s_and_b32 s12, s4, s8
	s_and_saveexec_b32 s9, s12
	s_cbranch_execnz .LBB172_115
.LBB172_96:
	s_or_b32 exec_lo, exec_lo, s9
	s_and_b32 s12, s5, s8
	s_and_saveexec_b32 s9, s12
	s_cbranch_execnz .LBB172_119
.LBB172_97:
	s_or_b32 exec_lo, exec_lo, s9
	s_and_b32 s12, s6, s8
	s_and_saveexec_b32 s9, s12
	s_cbranch_execnz .LBB172_123
.LBB172_98:
	s_or_b32 exec_lo, exec_lo, s9
	s_and_b32 s9, s7, s8
	s_and_saveexec_b32 s8, s9
	s_cbranch_execnz .LBB172_127
	s_branch .LBB172_131
.LBB172_99:
	v_cmp_ne_u32_e32 vcc_lo, 1, v144
	s_cbranch_vccnz .LBB172_101
; %bb.100:
	v_lshlrev_b64 v[126:127], 3, v[0:1]
	v_add_co_u32 v126, vcc_lo, v124, v126
	v_add_co_ci_u32_e64 v127, null, v125, v127, vcc_lo
	global_load_dwordx2 v[126:127], v[126:127], off
	s_waitcnt vmcnt(0)
	v_mul_f64 v[126:127], s[10:11], v[126:127]
	v_cvt_f32_f64_e32 v126, v[126:127]
	s_branch .LBB172_102
.LBB172_101:
	v_mov_b32_e32 v126, 0
.LBB172_102:
	v_add_f64 v[127:128], v[70:71], v[118:119]
	v_add_f64 v[146:147], v[72:73], v[120:121]
	;; [unrolled: 1-line block ×4, first 2 shown]
	v_cvt_f32_f64_e32 v127, v[127:128]
	v_cvt_f32_f64_e32 v128, v[146:147]
	;; [unrolled: 1-line block ×4, first 2 shown]
	v_min3_f32 v127, v127, v128, v219
	v_min_f32_e32 v128, v129, v146
	v_min3_f32 v126, v126, v128, v127
	v_lshlrev_b64 v[128:129], 3, v[0:1]
	v_cvt_f64_f32_e32 v[126:127], v126
	v_add_co_u32 v128, vcc_lo, v122, v128
	v_add_co_ci_u32_e64 v129, null, v123, v129, vcc_lo
	global_store_dwordx2 v[128:129], v[126:127], off
	s_or_b32 exec_lo, exec_lo, s9
	s_and_b32 s12, s1, s8
	s_and_saveexec_b32 s9, s12
	s_cbranch_execz .LBB172_93
.LBB172_103:
	v_cmp_ne_u32_e32 vcc_lo, 1, v144
	s_cbranch_vccnz .LBB172_105
; %bb.104:
	v_lshlrev_b64 v[126:127], 3, v[130:131]
	v_add_co_u32 v126, vcc_lo, v124, v126
	v_add_co_ci_u32_e64 v127, null, v125, v127, vcc_lo
	global_load_dwordx2 v[126:127], v[126:127], off
	s_waitcnt vmcnt(0)
	v_mul_f64 v[126:127], s[10:11], v[126:127]
	v_cvt_f32_f64_e32 v126, v[126:127]
	s_branch .LBB172_106
.LBB172_105:
	v_mov_b32_e32 v126, 0
.LBB172_106:
	v_add_f64 v[127:128], v[62:63], v[118:119]
	v_add_f64 v[146:147], v[64:65], v[120:121]
	;; [unrolled: 1-line block ×4, first 2 shown]
	v_cvt_f32_f64_e32 v127, v[127:128]
	v_cvt_f32_f64_e32 v128, v[146:147]
	;; [unrolled: 1-line block ×4, first 2 shown]
	v_min3_f32 v127, v127, v128, v218
	v_min_f32_e32 v128, v129, v146
	v_min3_f32 v126, v126, v128, v127
	v_lshlrev_b64 v[128:129], 3, v[130:131]
	v_cvt_f64_f32_e32 v[126:127], v126
	v_add_co_u32 v128, vcc_lo, v122, v128
	v_add_co_ci_u32_e64 v129, null, v123, v129, vcc_lo
	global_store_dwordx2 v[128:129], v[126:127], off
	s_or_b32 exec_lo, exec_lo, s9
	s_and_b32 s12, s2, s8
	s_and_saveexec_b32 s9, s12
	s_cbranch_execz .LBB172_94
.LBB172_107:
	v_cmp_ne_u32_e32 vcc_lo, 1, v144
	s_cbranch_vccnz .LBB172_109
; %bb.108:
	v_lshlrev_b64 v[126:127], 3, v[132:133]
	v_add_co_u32 v126, vcc_lo, v124, v126
	v_add_co_ci_u32_e64 v127, null, v125, v127, vcc_lo
	global_load_dwordx2 v[126:127], v[126:127], off
	s_waitcnt vmcnt(0)
	v_mul_f64 v[126:127], s[10:11], v[126:127]
	v_cvt_f32_f64_e32 v126, v[126:127]
	s_branch .LBB172_110
.LBB172_109:
	v_mov_b32_e32 v126, 0
.LBB172_110:
	v_add_f64 v[127:128], v[54:55], v[118:119]
	v_add_f64 v[146:147], v[56:57], v[120:121]
	;; [unrolled: 1-line block ×4, first 2 shown]
	v_cvt_f32_f64_e32 v127, v[127:128]
	v_cvt_f32_f64_e32 v128, v[146:147]
	;; [unrolled: 1-line block ×4, first 2 shown]
	v_min3_f32 v127, v127, v128, v217
	v_min_f32_e32 v128, v129, v146
	v_min3_f32 v126, v126, v128, v127
	v_lshlrev_b64 v[128:129], 3, v[132:133]
	v_cvt_f64_f32_e32 v[126:127], v126
	v_add_co_u32 v128, vcc_lo, v122, v128
	v_add_co_ci_u32_e64 v129, null, v123, v129, vcc_lo
	global_store_dwordx2 v[128:129], v[126:127], off
	s_or_b32 exec_lo, exec_lo, s9
	s_and_b32 s12, s3, s8
	s_and_saveexec_b32 s9, s12
	s_cbranch_execz .LBB172_95
.LBB172_111:
	v_cmp_ne_u32_e32 vcc_lo, 1, v144
	s_cbranch_vccnz .LBB172_113
; %bb.112:
	v_lshlrev_b64 v[126:127], 3, v[134:135]
	v_add_co_u32 v126, vcc_lo, v124, v126
	v_add_co_ci_u32_e64 v127, null, v125, v127, vcc_lo
	global_load_dwordx2 v[126:127], v[126:127], off
	s_waitcnt vmcnt(0)
	v_mul_f64 v[126:127], s[10:11], v[126:127]
	v_cvt_f32_f64_e32 v126, v[126:127]
	s_branch .LBB172_114
.LBB172_113:
	v_mov_b32_e32 v126, 0
.LBB172_114:
	v_add_f64 v[127:128], v[46:47], v[118:119]
	v_add_f64 v[146:147], v[48:49], v[120:121]
	;; [unrolled: 1-line block ×4, first 2 shown]
	v_cvt_f32_f64_e32 v127, v[127:128]
	v_cvt_f32_f64_e32 v128, v[146:147]
	;; [unrolled: 1-line block ×4, first 2 shown]
	v_min3_f32 v127, v127, v128, v216
	v_min_f32_e32 v128, v129, v146
	v_min3_f32 v126, v126, v128, v127
	v_lshlrev_b64 v[128:129], 3, v[134:135]
	v_cvt_f64_f32_e32 v[126:127], v126
	v_add_co_u32 v128, vcc_lo, v122, v128
	v_add_co_ci_u32_e64 v129, null, v123, v129, vcc_lo
	global_store_dwordx2 v[128:129], v[126:127], off
	s_or_b32 exec_lo, exec_lo, s9
	s_and_b32 s12, s4, s8
	s_and_saveexec_b32 s9, s12
	s_cbranch_execz .LBB172_96
.LBB172_115:
	v_cmp_ne_u32_e32 vcc_lo, 1, v144
	s_cbranch_vccnz .LBB172_117
; %bb.116:
	v_lshlrev_b64 v[126:127], 3, v[136:137]
	v_add_co_u32 v126, vcc_lo, v124, v126
	v_add_co_ci_u32_e64 v127, null, v125, v127, vcc_lo
	global_load_dwordx2 v[126:127], v[126:127], off
	s_waitcnt vmcnt(0)
	v_mul_f64 v[126:127], s[10:11], v[126:127]
	v_cvt_f32_f64_e32 v126, v[126:127]
	s_branch .LBB172_118
.LBB172_117:
	v_mov_b32_e32 v126, 0
.LBB172_118:
	v_add_f64 v[127:128], v[38:39], v[118:119]
	v_add_f64 v[146:147], v[40:41], v[120:121]
	v_add_f64 v[148:149], v[34:35], v[114:115]
	v_add_f64 v[150:151], v[36:37], v[116:117]
	v_cvt_f32_f64_e32 v127, v[127:128]
	v_cvt_f32_f64_e32 v128, v[146:147]
	v_cvt_f32_f64_e32 v129, v[148:149]
	v_cvt_f32_f64_e32 v146, v[150:151]
	v_min3_f32 v127, v127, v128, v215
	v_min_f32_e32 v128, v129, v146
	v_min3_f32 v126, v126, v128, v127
	v_lshlrev_b64 v[128:129], 3, v[136:137]
	v_cvt_f64_f32_e32 v[126:127], v126
	v_add_co_u32 v128, vcc_lo, v122, v128
	v_add_co_ci_u32_e64 v129, null, v123, v129, vcc_lo
	global_store_dwordx2 v[128:129], v[126:127], off
	s_or_b32 exec_lo, exec_lo, s9
	s_and_b32 s12, s5, s8
	s_and_saveexec_b32 s9, s12
	s_cbranch_execz .LBB172_97
.LBB172_119:
	v_cmp_ne_u32_e32 vcc_lo, 1, v144
	s_cbranch_vccnz .LBB172_121
; %bb.120:
	v_lshlrev_b64 v[126:127], 3, v[138:139]
	v_add_co_u32 v126, vcc_lo, v124, v126
	v_add_co_ci_u32_e64 v127, null, v125, v127, vcc_lo
	global_load_dwordx2 v[126:127], v[126:127], off
	s_waitcnt vmcnt(0)
	v_mul_f64 v[126:127], s[10:11], v[126:127]
	v_cvt_f32_f64_e32 v126, v[126:127]
	s_branch .LBB172_122
.LBB172_121:
	v_mov_b32_e32 v126, 0
.LBB172_122:
	v_add_f64 v[127:128], v[30:31], v[118:119]
	v_add_f64 v[146:147], v[32:33], v[120:121]
	;; [unrolled: 1-line block ×4, first 2 shown]
	v_cvt_f32_f64_e32 v127, v[127:128]
	v_cvt_f32_f64_e32 v128, v[146:147]
	;; [unrolled: 1-line block ×4, first 2 shown]
	v_min3_f32 v127, v127, v128, v214
	v_min_f32_e32 v128, v129, v146
	v_min3_f32 v126, v126, v128, v127
	v_lshlrev_b64 v[128:129], 3, v[138:139]
	v_cvt_f64_f32_e32 v[126:127], v126
	v_add_co_u32 v128, vcc_lo, v122, v128
	v_add_co_ci_u32_e64 v129, null, v123, v129, vcc_lo
	global_store_dwordx2 v[128:129], v[126:127], off
	s_or_b32 exec_lo, exec_lo, s9
	s_and_b32 s12, s6, s8
	s_and_saveexec_b32 s9, s12
	s_cbranch_execz .LBB172_98
.LBB172_123:
	v_cmp_ne_u32_e32 vcc_lo, 1, v144
	s_cbranch_vccnz .LBB172_125
; %bb.124:
	v_lshlrev_b64 v[126:127], 3, v[140:141]
	v_add_co_u32 v126, vcc_lo, v124, v126
	v_add_co_ci_u32_e64 v127, null, v125, v127, vcc_lo
	global_load_dwordx2 v[126:127], v[126:127], off
	s_waitcnt vmcnt(0)
	v_mul_f64 v[126:127], s[10:11], v[126:127]
	v_cvt_f32_f64_e32 v126, v[126:127]
	s_branch .LBB172_126
.LBB172_125:
	v_mov_b32_e32 v126, 0
.LBB172_126:
	v_add_f64 v[127:128], v[22:23], v[118:119]
	v_add_f64 v[146:147], v[24:25], v[120:121]
	v_add_f64 v[148:149], v[18:19], v[114:115]
	v_add_f64 v[150:151], v[20:21], v[116:117]
	v_cvt_f32_f64_e32 v127, v[127:128]
	v_cvt_f32_f64_e32 v128, v[146:147]
	;; [unrolled: 1-line block ×4, first 2 shown]
	v_min3_f32 v127, v127, v128, v213
	v_min_f32_e32 v128, v129, v146
	v_min3_f32 v126, v126, v128, v127
	v_lshlrev_b64 v[128:129], 3, v[140:141]
	v_cvt_f64_f32_e32 v[126:127], v126
	v_add_co_u32 v128, vcc_lo, v122, v128
	v_add_co_ci_u32_e64 v129, null, v123, v129, vcc_lo
	global_store_dwordx2 v[128:129], v[126:127], off
	s_or_b32 exec_lo, exec_lo, s9
	s_and_b32 s9, s7, s8
	s_and_saveexec_b32 s8, s9
	s_cbranch_execz .LBB172_131
.LBB172_127:
	v_cmp_ne_u32_e32 vcc_lo, 1, v144
	s_cbranch_vccnz .LBB172_129
; %bb.128:
	v_lshlrev_b64 v[126:127], 3, v[142:143]
	v_add_co_u32 v124, vcc_lo, v124, v126
	v_add_co_ci_u32_e64 v125, null, v125, v127, vcc_lo
	global_load_dwordx2 v[124:125], v[124:125], off
	s_waitcnt vmcnt(0)
	v_mul_f64 v[124:125], s[10:11], v[124:125]
	v_cvt_f32_f64_e32 v124, v[124:125]
	s_branch .LBB172_130
.LBB172_129:
	v_mov_b32_e32 v124, 0
.LBB172_130:
	v_add_f64 v[118:119], v[6:7], v[118:119]
	v_add_f64 v[120:121], v[8:9], v[120:121]
	;; [unrolled: 1-line block ×4, first 2 shown]
	v_cvt_f32_f64_e32 v118, v[118:119]
	v_cvt_f32_f64_e32 v119, v[120:121]
	;; [unrolled: 1-line block ×4, first 2 shown]
	v_min3_f32 v116, v118, v119, v212
	v_min_f32_e32 v114, v114, v115
	v_min3_f32 v114, v124, v114, v116
	v_lshlrev_b64 v[116:117], 3, v[142:143]
	v_cvt_f64_f32_e32 v[114:115], v114
	v_add_co_u32 v116, vcc_lo, v122, v116
	v_add_co_ci_u32_e64 v117, null, v123, v117, vcc_lo
	global_store_dwordx2 v[116:117], v[114:115], off
.LBB172_131:
	s_or_b32 exec_lo, exec_lo, s8
	v_add_nc_u32_e32 v118, 64, v145
	v_mad_i64_i32 v[114:115], null, v118, s16, 0
	v_mad_i64_i32 v[116:117], null, v118, s14, 0
	v_cmp_gt_i32_e64 s8, s13, v118
	v_lshlrev_b64 v[114:115], 3, v[114:115]
	s_and_b32 s12, s0, s8
	v_lshlrev_b64 v[118:119], 3, v[116:117]
	v_add_co_u32 v116, vcc_lo, s20, v114
	v_add_co_ci_u32_e64 v117, null, s21, v115, vcc_lo
	v_add_co_u32 v114, vcc_lo, s17, v118
	v_add_co_ci_u32_e64 v115, null, s15, v119, vcc_lo
	s_and_saveexec_b32 s9, s12
	s_cbranch_execnz .LBB172_139
; %bb.132:
	s_or_b32 exec_lo, exec_lo, s9
	s_and_b32 s12, s1, s8
	s_and_saveexec_b32 s9, s12
	s_cbranch_execnz .LBB172_143
.LBB172_133:
	s_or_b32 exec_lo, exec_lo, s9
	s_and_b32 s12, s2, s8
	s_and_saveexec_b32 s9, s12
	s_cbranch_execnz .LBB172_147
.LBB172_134:
	s_or_b32 exec_lo, exec_lo, s9
	s_and_b32 s12, s3, s8
	s_and_saveexec_b32 s9, s12
	s_cbranch_execnz .LBB172_151
.LBB172_135:
	s_or_b32 exec_lo, exec_lo, s9
	s_and_b32 s12, s4, s8
	s_and_saveexec_b32 s9, s12
	s_cbranch_execnz .LBB172_155
.LBB172_136:
	s_or_b32 exec_lo, exec_lo, s9
	s_and_b32 s12, s5, s8
	s_and_saveexec_b32 s9, s12
	s_cbranch_execnz .LBB172_159
.LBB172_137:
	s_or_b32 exec_lo, exec_lo, s9
	s_and_b32 s12, s6, s8
	s_and_saveexec_b32 s9, s12
	s_cbranch_execnz .LBB172_163
.LBB172_138:
	s_or_b32 exec_lo, exec_lo, s9
	s_and_b32 s9, s7, s8
	s_and_saveexec_b32 s8, s9
	s_cbranch_execnz .LBB172_167
	s_branch .LBB172_171
.LBB172_139:
	v_cmp_ne_u32_e32 vcc_lo, 1, v144
	s_cbranch_vccnz .LBB172_141
; %bb.140:
	v_lshlrev_b64 v[118:119], 3, v[0:1]
	v_add_co_u32 v118, vcc_lo, v116, v118
	v_add_co_ci_u32_e64 v119, null, v117, v119, vcc_lo
	global_load_dwordx2 v[118:119], v[118:119], off
	s_waitcnt vmcnt(0)
	v_mul_f64 v[118:119], s[10:11], v[118:119]
	v_cvt_f32_f64_e32 v118, v[118:119]
	s_branch .LBB172_142
.LBB172_141:
	v_mov_b32_e32 v118, 0
.LBB172_142:
	v_add_f64 v[119:120], v[70:71], v[110:111]
	v_add_f64 v[121:122], v[72:73], v[112:113]
	;; [unrolled: 1-line block ×4, first 2 shown]
	v_cvt_f32_f64_e32 v119, v[119:120]
	v_cvt_f32_f64_e32 v120, v[121:122]
	;; [unrolled: 1-line block ×4, first 2 shown]
	v_min3_f32 v119, v119, v120, v211
	v_min_f32_e32 v120, v121, v122
	v_min3_f32 v118, v118, v120, v119
	v_lshlrev_b64 v[120:121], 3, v[0:1]
	v_cvt_f64_f32_e32 v[118:119], v118
	v_add_co_u32 v120, vcc_lo, v114, v120
	v_add_co_ci_u32_e64 v121, null, v115, v121, vcc_lo
	global_store_dwordx2 v[120:121], v[118:119], off
	s_or_b32 exec_lo, exec_lo, s9
	s_and_b32 s12, s1, s8
	s_and_saveexec_b32 s9, s12
	s_cbranch_execz .LBB172_133
.LBB172_143:
	v_cmp_ne_u32_e32 vcc_lo, 1, v144
	s_cbranch_vccnz .LBB172_145
; %bb.144:
	v_lshlrev_b64 v[118:119], 3, v[130:131]
	v_add_co_u32 v118, vcc_lo, v116, v118
	v_add_co_ci_u32_e64 v119, null, v117, v119, vcc_lo
	global_load_dwordx2 v[118:119], v[118:119], off
	s_waitcnt vmcnt(0)
	v_mul_f64 v[118:119], s[10:11], v[118:119]
	v_cvt_f32_f64_e32 v118, v[118:119]
	s_branch .LBB172_146
.LBB172_145:
	v_mov_b32_e32 v118, 0
.LBB172_146:
	v_add_f64 v[119:120], v[62:63], v[110:111]
	v_add_f64 v[121:122], v[64:65], v[112:113]
	;; [unrolled: 1-line block ×4, first 2 shown]
	v_cvt_f32_f64_e32 v119, v[119:120]
	v_cvt_f32_f64_e32 v120, v[121:122]
	;; [unrolled: 1-line block ×4, first 2 shown]
	v_min3_f32 v119, v119, v120, v210
	v_min_f32_e32 v120, v121, v122
	v_min3_f32 v118, v118, v120, v119
	v_lshlrev_b64 v[120:121], 3, v[130:131]
	v_cvt_f64_f32_e32 v[118:119], v118
	v_add_co_u32 v120, vcc_lo, v114, v120
	v_add_co_ci_u32_e64 v121, null, v115, v121, vcc_lo
	global_store_dwordx2 v[120:121], v[118:119], off
	s_or_b32 exec_lo, exec_lo, s9
	s_and_b32 s12, s2, s8
	s_and_saveexec_b32 s9, s12
	s_cbranch_execz .LBB172_134
.LBB172_147:
	v_cmp_ne_u32_e32 vcc_lo, 1, v144
	s_cbranch_vccnz .LBB172_149
; %bb.148:
	v_lshlrev_b64 v[118:119], 3, v[132:133]
	v_add_co_u32 v118, vcc_lo, v116, v118
	v_add_co_ci_u32_e64 v119, null, v117, v119, vcc_lo
	global_load_dwordx2 v[118:119], v[118:119], off
	s_waitcnt vmcnt(0)
	v_mul_f64 v[118:119], s[10:11], v[118:119]
	v_cvt_f32_f64_e32 v118, v[118:119]
	s_branch .LBB172_150
.LBB172_149:
	v_mov_b32_e32 v118, 0
.LBB172_150:
	v_add_f64 v[119:120], v[54:55], v[110:111]
	v_add_f64 v[121:122], v[56:57], v[112:113]
	;; [unrolled: 1-line block ×4, first 2 shown]
	v_cvt_f32_f64_e32 v119, v[119:120]
	v_cvt_f32_f64_e32 v120, v[121:122]
	;; [unrolled: 1-line block ×4, first 2 shown]
	v_min3_f32 v119, v119, v120, v209
	v_min_f32_e32 v120, v121, v122
	v_min3_f32 v118, v118, v120, v119
	v_lshlrev_b64 v[120:121], 3, v[132:133]
	v_cvt_f64_f32_e32 v[118:119], v118
	v_add_co_u32 v120, vcc_lo, v114, v120
	v_add_co_ci_u32_e64 v121, null, v115, v121, vcc_lo
	global_store_dwordx2 v[120:121], v[118:119], off
	s_or_b32 exec_lo, exec_lo, s9
	s_and_b32 s12, s3, s8
	s_and_saveexec_b32 s9, s12
	s_cbranch_execz .LBB172_135
.LBB172_151:
	v_cmp_ne_u32_e32 vcc_lo, 1, v144
	s_cbranch_vccnz .LBB172_153
; %bb.152:
	v_lshlrev_b64 v[118:119], 3, v[134:135]
	v_add_co_u32 v118, vcc_lo, v116, v118
	v_add_co_ci_u32_e64 v119, null, v117, v119, vcc_lo
	global_load_dwordx2 v[118:119], v[118:119], off
	s_waitcnt vmcnt(0)
	v_mul_f64 v[118:119], s[10:11], v[118:119]
	v_cvt_f32_f64_e32 v118, v[118:119]
	s_branch .LBB172_154
.LBB172_153:
	v_mov_b32_e32 v118, 0
.LBB172_154:
	v_add_f64 v[119:120], v[46:47], v[110:111]
	v_add_f64 v[121:122], v[48:49], v[112:113]
	;; [unrolled: 1-line block ×4, first 2 shown]
	v_cvt_f32_f64_e32 v119, v[119:120]
	v_cvt_f32_f64_e32 v120, v[121:122]
	;; [unrolled: 1-line block ×4, first 2 shown]
	v_min3_f32 v119, v119, v120, v208
	v_min_f32_e32 v120, v121, v122
	v_min3_f32 v118, v118, v120, v119
	v_lshlrev_b64 v[120:121], 3, v[134:135]
	v_cvt_f64_f32_e32 v[118:119], v118
	v_add_co_u32 v120, vcc_lo, v114, v120
	v_add_co_ci_u32_e64 v121, null, v115, v121, vcc_lo
	global_store_dwordx2 v[120:121], v[118:119], off
	s_or_b32 exec_lo, exec_lo, s9
	s_and_b32 s12, s4, s8
	s_and_saveexec_b32 s9, s12
	s_cbranch_execz .LBB172_136
.LBB172_155:
	v_cmp_ne_u32_e32 vcc_lo, 1, v144
	s_cbranch_vccnz .LBB172_157
; %bb.156:
	v_lshlrev_b64 v[118:119], 3, v[136:137]
	v_add_co_u32 v118, vcc_lo, v116, v118
	v_add_co_ci_u32_e64 v119, null, v117, v119, vcc_lo
	global_load_dwordx2 v[118:119], v[118:119], off
	s_waitcnt vmcnt(0)
	v_mul_f64 v[118:119], s[10:11], v[118:119]
	v_cvt_f32_f64_e32 v118, v[118:119]
	s_branch .LBB172_158
.LBB172_157:
	v_mov_b32_e32 v118, 0
.LBB172_158:
	v_add_f64 v[119:120], v[38:39], v[110:111]
	v_add_f64 v[121:122], v[40:41], v[112:113]
	;; [unrolled: 1-line block ×4, first 2 shown]
	v_cvt_f32_f64_e32 v119, v[119:120]
	v_cvt_f32_f64_e32 v120, v[121:122]
	;; [unrolled: 1-line block ×4, first 2 shown]
	v_min3_f32 v119, v119, v120, v207
	v_min_f32_e32 v120, v121, v122
	v_min3_f32 v118, v118, v120, v119
	v_lshlrev_b64 v[120:121], 3, v[136:137]
	v_cvt_f64_f32_e32 v[118:119], v118
	v_add_co_u32 v120, vcc_lo, v114, v120
	v_add_co_ci_u32_e64 v121, null, v115, v121, vcc_lo
	global_store_dwordx2 v[120:121], v[118:119], off
	s_or_b32 exec_lo, exec_lo, s9
	s_and_b32 s12, s5, s8
	s_and_saveexec_b32 s9, s12
	s_cbranch_execz .LBB172_137
.LBB172_159:
	v_cmp_ne_u32_e32 vcc_lo, 1, v144
	s_cbranch_vccnz .LBB172_161
; %bb.160:
	v_lshlrev_b64 v[118:119], 3, v[138:139]
	v_add_co_u32 v118, vcc_lo, v116, v118
	v_add_co_ci_u32_e64 v119, null, v117, v119, vcc_lo
	global_load_dwordx2 v[118:119], v[118:119], off
	s_waitcnt vmcnt(0)
	v_mul_f64 v[118:119], s[10:11], v[118:119]
	v_cvt_f32_f64_e32 v118, v[118:119]
	s_branch .LBB172_162
.LBB172_161:
	v_mov_b32_e32 v118, 0
.LBB172_162:
	v_add_f64 v[119:120], v[30:31], v[110:111]
	v_add_f64 v[121:122], v[32:33], v[112:113]
	;; [unrolled: 1-line block ×4, first 2 shown]
	v_cvt_f32_f64_e32 v119, v[119:120]
	v_cvt_f32_f64_e32 v120, v[121:122]
	;; [unrolled: 1-line block ×4, first 2 shown]
	v_min3_f32 v119, v119, v120, v206
	v_min_f32_e32 v120, v121, v122
	v_min3_f32 v118, v118, v120, v119
	v_lshlrev_b64 v[120:121], 3, v[138:139]
	v_cvt_f64_f32_e32 v[118:119], v118
	v_add_co_u32 v120, vcc_lo, v114, v120
	v_add_co_ci_u32_e64 v121, null, v115, v121, vcc_lo
	global_store_dwordx2 v[120:121], v[118:119], off
	s_or_b32 exec_lo, exec_lo, s9
	s_and_b32 s12, s6, s8
	s_and_saveexec_b32 s9, s12
	s_cbranch_execz .LBB172_138
.LBB172_163:
	v_cmp_ne_u32_e32 vcc_lo, 1, v144
	s_cbranch_vccnz .LBB172_165
; %bb.164:
	v_lshlrev_b64 v[118:119], 3, v[140:141]
	v_add_co_u32 v118, vcc_lo, v116, v118
	v_add_co_ci_u32_e64 v119, null, v117, v119, vcc_lo
	global_load_dwordx2 v[118:119], v[118:119], off
	s_waitcnt vmcnt(0)
	v_mul_f64 v[118:119], s[10:11], v[118:119]
	v_cvt_f32_f64_e32 v118, v[118:119]
	s_branch .LBB172_166
.LBB172_165:
	v_mov_b32_e32 v118, 0
.LBB172_166:
	v_add_f64 v[119:120], v[22:23], v[110:111]
	v_add_f64 v[121:122], v[24:25], v[112:113]
	;; [unrolled: 1-line block ×4, first 2 shown]
	v_cvt_f32_f64_e32 v119, v[119:120]
	v_cvt_f32_f64_e32 v120, v[121:122]
	;; [unrolled: 1-line block ×4, first 2 shown]
	v_min3_f32 v119, v119, v120, v205
	v_min_f32_e32 v120, v121, v122
	v_min3_f32 v118, v118, v120, v119
	v_lshlrev_b64 v[120:121], 3, v[140:141]
	v_cvt_f64_f32_e32 v[118:119], v118
	v_add_co_u32 v120, vcc_lo, v114, v120
	v_add_co_ci_u32_e64 v121, null, v115, v121, vcc_lo
	global_store_dwordx2 v[120:121], v[118:119], off
	s_or_b32 exec_lo, exec_lo, s9
	s_and_b32 s9, s7, s8
	s_and_saveexec_b32 s8, s9
	s_cbranch_execz .LBB172_171
.LBB172_167:
	v_cmp_ne_u32_e32 vcc_lo, 1, v144
	s_cbranch_vccnz .LBB172_169
; %bb.168:
	v_lshlrev_b64 v[118:119], 3, v[142:143]
	v_add_co_u32 v116, vcc_lo, v116, v118
	v_add_co_ci_u32_e64 v117, null, v117, v119, vcc_lo
	global_load_dwordx2 v[116:117], v[116:117], off
	s_waitcnt vmcnt(0)
	v_mul_f64 v[116:117], s[10:11], v[116:117]
	v_cvt_f32_f64_e32 v116, v[116:117]
	s_branch .LBB172_170
.LBB172_169:
	v_mov_b32_e32 v116, 0
.LBB172_170:
	v_add_f64 v[110:111], v[6:7], v[110:111]
	v_add_f64 v[112:113], v[8:9], v[112:113]
	;; [unrolled: 1-line block ×4, first 2 shown]
	v_cvt_f32_f64_e32 v110, v[110:111]
	v_cvt_f32_f64_e32 v111, v[112:113]
	;; [unrolled: 1-line block ×4, first 2 shown]
	v_min3_f32 v108, v110, v111, v204
	v_min_f32_e32 v106, v106, v107
	v_min3_f32 v106, v116, v106, v108
	v_lshlrev_b64 v[108:109], 3, v[142:143]
	v_cvt_f64_f32_e32 v[106:107], v106
	v_add_co_u32 v108, vcc_lo, v114, v108
	v_add_co_ci_u32_e64 v109, null, v115, v109, vcc_lo
	global_store_dwordx2 v[108:109], v[106:107], off
.LBB172_171:
	s_or_b32 exec_lo, exec_lo, s8
	v_add_nc_u32_e32 v110, 0x60, v145
	v_mad_i64_i32 v[106:107], null, v110, s16, 0
	v_mad_i64_i32 v[108:109], null, v110, s14, 0
	v_cmp_gt_i32_e64 s8, s13, v110
	v_lshlrev_b64 v[106:107], 3, v[106:107]
	s_and_b32 s12, s0, s8
	v_lshlrev_b64 v[110:111], 3, v[108:109]
	v_add_co_u32 v108, vcc_lo, s20, v106
	v_add_co_ci_u32_e64 v109, null, s21, v107, vcc_lo
	v_add_co_u32 v106, vcc_lo, s17, v110
	v_add_co_ci_u32_e64 v107, null, s15, v111, vcc_lo
	s_and_saveexec_b32 s9, s12
	s_cbranch_execnz .LBB172_179
; %bb.172:
	s_or_b32 exec_lo, exec_lo, s9
	s_and_b32 s12, s1, s8
	s_and_saveexec_b32 s9, s12
	s_cbranch_execnz .LBB172_183
.LBB172_173:
	s_or_b32 exec_lo, exec_lo, s9
	s_and_b32 s12, s2, s8
	s_and_saveexec_b32 s9, s12
	s_cbranch_execnz .LBB172_187
.LBB172_174:
	s_or_b32 exec_lo, exec_lo, s9
	s_and_b32 s12, s3, s8
	s_and_saveexec_b32 s9, s12
	s_cbranch_execnz .LBB172_191
.LBB172_175:
	s_or_b32 exec_lo, exec_lo, s9
	s_and_b32 s12, s4, s8
	s_and_saveexec_b32 s9, s12
	s_cbranch_execnz .LBB172_195
.LBB172_176:
	s_or_b32 exec_lo, exec_lo, s9
	s_and_b32 s12, s5, s8
	s_and_saveexec_b32 s9, s12
	s_cbranch_execnz .LBB172_199
.LBB172_177:
	s_or_b32 exec_lo, exec_lo, s9
	s_and_b32 s12, s6, s8
	s_and_saveexec_b32 s9, s12
	s_cbranch_execnz .LBB172_203
.LBB172_178:
	s_or_b32 exec_lo, exec_lo, s9
	s_and_b32 s9, s7, s8
	s_and_saveexec_b32 s8, s9
	s_cbranch_execnz .LBB172_207
	s_branch .LBB172_211
.LBB172_179:
	v_cmp_ne_u32_e32 vcc_lo, 1, v144
	s_cbranch_vccnz .LBB172_181
; %bb.180:
	v_lshlrev_b64 v[110:111], 3, v[0:1]
	v_add_co_u32 v110, vcc_lo, v108, v110
	v_add_co_ci_u32_e64 v111, null, v109, v111, vcc_lo
	global_load_dwordx2 v[110:111], v[110:111], off
	s_waitcnt vmcnt(0)
	v_mul_f64 v[110:111], s[10:11], v[110:111]
	v_cvt_f32_f64_e32 v110, v[110:111]
	s_branch .LBB172_182
.LBB172_181:
	v_mov_b32_e32 v110, 0
.LBB172_182:
	v_add_f64 v[111:112], v[70:71], v[102:103]
	v_add_f64 v[113:114], v[72:73], v[104:105]
	v_add_f64 v[115:116], v[66:67], v[98:99]
	v_add_f64 v[117:118], v[68:69], v[100:101]
	v_cvt_f32_f64_e32 v111, v[111:112]
	v_cvt_f32_f64_e32 v112, v[113:114]
	;; [unrolled: 1-line block ×4, first 2 shown]
	v_min3_f32 v111, v111, v112, v203
	v_min_f32_e32 v112, v113, v114
	v_min3_f32 v110, v110, v112, v111
	v_lshlrev_b64 v[112:113], 3, v[0:1]
	v_cvt_f64_f32_e32 v[110:111], v110
	v_add_co_u32 v112, vcc_lo, v106, v112
	v_add_co_ci_u32_e64 v113, null, v107, v113, vcc_lo
	global_store_dwordx2 v[112:113], v[110:111], off
	s_or_b32 exec_lo, exec_lo, s9
	s_and_b32 s12, s1, s8
	s_and_saveexec_b32 s9, s12
	s_cbranch_execz .LBB172_173
.LBB172_183:
	v_cmp_ne_u32_e32 vcc_lo, 1, v144
	s_cbranch_vccnz .LBB172_185
; %bb.184:
	v_lshlrev_b64 v[110:111], 3, v[130:131]
	v_add_co_u32 v110, vcc_lo, v108, v110
	v_add_co_ci_u32_e64 v111, null, v109, v111, vcc_lo
	global_load_dwordx2 v[110:111], v[110:111], off
	s_waitcnt vmcnt(0)
	v_mul_f64 v[110:111], s[10:11], v[110:111]
	v_cvt_f32_f64_e32 v110, v[110:111]
	s_branch .LBB172_186
.LBB172_185:
	v_mov_b32_e32 v110, 0
.LBB172_186:
	v_add_f64 v[111:112], v[62:63], v[102:103]
	v_add_f64 v[113:114], v[64:65], v[104:105]
	;; [unrolled: 1-line block ×4, first 2 shown]
	v_cvt_f32_f64_e32 v111, v[111:112]
	v_cvt_f32_f64_e32 v112, v[113:114]
	;; [unrolled: 1-line block ×4, first 2 shown]
	v_min3_f32 v111, v111, v112, v202
	v_min_f32_e32 v112, v113, v114
	v_min3_f32 v110, v110, v112, v111
	v_lshlrev_b64 v[112:113], 3, v[130:131]
	v_cvt_f64_f32_e32 v[110:111], v110
	v_add_co_u32 v112, vcc_lo, v106, v112
	v_add_co_ci_u32_e64 v113, null, v107, v113, vcc_lo
	global_store_dwordx2 v[112:113], v[110:111], off
	s_or_b32 exec_lo, exec_lo, s9
	s_and_b32 s12, s2, s8
	s_and_saveexec_b32 s9, s12
	s_cbranch_execz .LBB172_174
.LBB172_187:
	v_cmp_ne_u32_e32 vcc_lo, 1, v144
	s_cbranch_vccnz .LBB172_189
; %bb.188:
	v_lshlrev_b64 v[110:111], 3, v[132:133]
	v_add_co_u32 v110, vcc_lo, v108, v110
	v_add_co_ci_u32_e64 v111, null, v109, v111, vcc_lo
	global_load_dwordx2 v[110:111], v[110:111], off
	s_waitcnt vmcnt(0)
	v_mul_f64 v[110:111], s[10:11], v[110:111]
	v_cvt_f32_f64_e32 v110, v[110:111]
	s_branch .LBB172_190
.LBB172_189:
	v_mov_b32_e32 v110, 0
.LBB172_190:
	v_add_f64 v[111:112], v[54:55], v[102:103]
	v_add_f64 v[113:114], v[56:57], v[104:105]
	;; [unrolled: 1-line block ×4, first 2 shown]
	v_cvt_f32_f64_e32 v111, v[111:112]
	v_cvt_f32_f64_e32 v112, v[113:114]
	;; [unrolled: 1-line block ×4, first 2 shown]
	v_min3_f32 v111, v111, v112, v201
	v_min_f32_e32 v112, v113, v114
	v_min3_f32 v110, v110, v112, v111
	v_lshlrev_b64 v[112:113], 3, v[132:133]
	v_cvt_f64_f32_e32 v[110:111], v110
	v_add_co_u32 v112, vcc_lo, v106, v112
	v_add_co_ci_u32_e64 v113, null, v107, v113, vcc_lo
	global_store_dwordx2 v[112:113], v[110:111], off
	s_or_b32 exec_lo, exec_lo, s9
	s_and_b32 s12, s3, s8
	s_and_saveexec_b32 s9, s12
	s_cbranch_execz .LBB172_175
.LBB172_191:
	v_cmp_ne_u32_e32 vcc_lo, 1, v144
	s_cbranch_vccnz .LBB172_193
; %bb.192:
	v_lshlrev_b64 v[110:111], 3, v[134:135]
	v_add_co_u32 v110, vcc_lo, v108, v110
	v_add_co_ci_u32_e64 v111, null, v109, v111, vcc_lo
	global_load_dwordx2 v[110:111], v[110:111], off
	s_waitcnt vmcnt(0)
	v_mul_f64 v[110:111], s[10:11], v[110:111]
	v_cvt_f32_f64_e32 v110, v[110:111]
	s_branch .LBB172_194
.LBB172_193:
	v_mov_b32_e32 v110, 0
.LBB172_194:
	v_add_f64 v[111:112], v[46:47], v[102:103]
	v_add_f64 v[113:114], v[48:49], v[104:105]
	;; [unrolled: 1-line block ×4, first 2 shown]
	v_cvt_f32_f64_e32 v111, v[111:112]
	v_cvt_f32_f64_e32 v112, v[113:114]
	;; [unrolled: 1-line block ×4, first 2 shown]
	v_min3_f32 v111, v111, v112, v200
	v_min_f32_e32 v112, v113, v114
	v_min3_f32 v110, v110, v112, v111
	v_lshlrev_b64 v[112:113], 3, v[134:135]
	v_cvt_f64_f32_e32 v[110:111], v110
	v_add_co_u32 v112, vcc_lo, v106, v112
	v_add_co_ci_u32_e64 v113, null, v107, v113, vcc_lo
	global_store_dwordx2 v[112:113], v[110:111], off
	s_or_b32 exec_lo, exec_lo, s9
	s_and_b32 s12, s4, s8
	s_and_saveexec_b32 s9, s12
	s_cbranch_execz .LBB172_176
.LBB172_195:
	v_cmp_ne_u32_e32 vcc_lo, 1, v144
	s_cbranch_vccnz .LBB172_197
; %bb.196:
	v_lshlrev_b64 v[110:111], 3, v[136:137]
	v_add_co_u32 v110, vcc_lo, v108, v110
	v_add_co_ci_u32_e64 v111, null, v109, v111, vcc_lo
	global_load_dwordx2 v[110:111], v[110:111], off
	s_waitcnt vmcnt(0)
	v_mul_f64 v[110:111], s[10:11], v[110:111]
	v_cvt_f32_f64_e32 v110, v[110:111]
	s_branch .LBB172_198
.LBB172_197:
	v_mov_b32_e32 v110, 0
.LBB172_198:
	v_add_f64 v[111:112], v[38:39], v[102:103]
	v_add_f64 v[113:114], v[40:41], v[104:105]
	;; [unrolled: 1-line block ×4, first 2 shown]
	v_cvt_f32_f64_e32 v111, v[111:112]
	v_cvt_f32_f64_e32 v112, v[113:114]
	;; [unrolled: 1-line block ×4, first 2 shown]
	v_min3_f32 v111, v111, v112, v199
	v_min_f32_e32 v112, v113, v114
	v_min3_f32 v110, v110, v112, v111
	v_lshlrev_b64 v[112:113], 3, v[136:137]
	v_cvt_f64_f32_e32 v[110:111], v110
	v_add_co_u32 v112, vcc_lo, v106, v112
	v_add_co_ci_u32_e64 v113, null, v107, v113, vcc_lo
	global_store_dwordx2 v[112:113], v[110:111], off
	s_or_b32 exec_lo, exec_lo, s9
	s_and_b32 s12, s5, s8
	s_and_saveexec_b32 s9, s12
	s_cbranch_execz .LBB172_177
.LBB172_199:
	v_cmp_ne_u32_e32 vcc_lo, 1, v144
	s_cbranch_vccnz .LBB172_201
; %bb.200:
	v_lshlrev_b64 v[110:111], 3, v[138:139]
	v_add_co_u32 v110, vcc_lo, v108, v110
	v_add_co_ci_u32_e64 v111, null, v109, v111, vcc_lo
	global_load_dwordx2 v[110:111], v[110:111], off
	s_waitcnt vmcnt(0)
	v_mul_f64 v[110:111], s[10:11], v[110:111]
	v_cvt_f32_f64_e32 v110, v[110:111]
	s_branch .LBB172_202
.LBB172_201:
	v_mov_b32_e32 v110, 0
.LBB172_202:
	v_add_f64 v[111:112], v[30:31], v[102:103]
	v_add_f64 v[113:114], v[32:33], v[104:105]
	;; [unrolled: 1-line block ×4, first 2 shown]
	v_cvt_f32_f64_e32 v111, v[111:112]
	v_cvt_f32_f64_e32 v112, v[113:114]
	;; [unrolled: 1-line block ×4, first 2 shown]
	v_min3_f32 v111, v111, v112, v198
	v_min_f32_e32 v112, v113, v114
	v_min3_f32 v110, v110, v112, v111
	v_lshlrev_b64 v[112:113], 3, v[138:139]
	v_cvt_f64_f32_e32 v[110:111], v110
	v_add_co_u32 v112, vcc_lo, v106, v112
	v_add_co_ci_u32_e64 v113, null, v107, v113, vcc_lo
	global_store_dwordx2 v[112:113], v[110:111], off
	s_or_b32 exec_lo, exec_lo, s9
	s_and_b32 s12, s6, s8
	s_and_saveexec_b32 s9, s12
	s_cbranch_execz .LBB172_178
.LBB172_203:
	v_cmp_ne_u32_e32 vcc_lo, 1, v144
	s_cbranch_vccnz .LBB172_205
; %bb.204:
	v_lshlrev_b64 v[110:111], 3, v[140:141]
	v_add_co_u32 v110, vcc_lo, v108, v110
	v_add_co_ci_u32_e64 v111, null, v109, v111, vcc_lo
	global_load_dwordx2 v[110:111], v[110:111], off
	s_waitcnt vmcnt(0)
	v_mul_f64 v[110:111], s[10:11], v[110:111]
	v_cvt_f32_f64_e32 v110, v[110:111]
	s_branch .LBB172_206
.LBB172_205:
	v_mov_b32_e32 v110, 0
.LBB172_206:
	v_add_f64 v[111:112], v[22:23], v[102:103]
	v_add_f64 v[113:114], v[24:25], v[104:105]
	;; [unrolled: 1-line block ×4, first 2 shown]
	v_cvt_f32_f64_e32 v111, v[111:112]
	v_cvt_f32_f64_e32 v112, v[113:114]
	;; [unrolled: 1-line block ×4, first 2 shown]
	v_min3_f32 v111, v111, v112, v197
	v_min_f32_e32 v112, v113, v114
	v_min3_f32 v110, v110, v112, v111
	v_lshlrev_b64 v[112:113], 3, v[140:141]
	v_cvt_f64_f32_e32 v[110:111], v110
	v_add_co_u32 v112, vcc_lo, v106, v112
	v_add_co_ci_u32_e64 v113, null, v107, v113, vcc_lo
	global_store_dwordx2 v[112:113], v[110:111], off
	s_or_b32 exec_lo, exec_lo, s9
	s_and_b32 s9, s7, s8
	s_and_saveexec_b32 s8, s9
	s_cbranch_execz .LBB172_211
.LBB172_207:
	v_cmp_ne_u32_e32 vcc_lo, 1, v144
	s_cbranch_vccnz .LBB172_209
; %bb.208:
	v_lshlrev_b64 v[110:111], 3, v[142:143]
	v_add_co_u32 v108, vcc_lo, v108, v110
	v_add_co_ci_u32_e64 v109, null, v109, v111, vcc_lo
	global_load_dwordx2 v[108:109], v[108:109], off
	s_waitcnt vmcnt(0)
	v_mul_f64 v[108:109], s[10:11], v[108:109]
	v_cvt_f32_f64_e32 v108, v[108:109]
	s_branch .LBB172_210
.LBB172_209:
	v_mov_b32_e32 v108, 0
.LBB172_210:
	v_add_f64 v[102:103], v[6:7], v[102:103]
	v_add_f64 v[104:105], v[8:9], v[104:105]
	;; [unrolled: 1-line block ×4, first 2 shown]
	v_cvt_f32_f64_e32 v102, v[102:103]
	v_cvt_f32_f64_e32 v103, v[104:105]
	;; [unrolled: 1-line block ×4, first 2 shown]
	v_min3_f32 v100, v102, v103, v196
	v_min_f32_e32 v98, v98, v99
	v_min3_f32 v98, v108, v98, v100
	v_lshlrev_b64 v[100:101], 3, v[142:143]
	v_cvt_f64_f32_e32 v[98:99], v98
	v_add_co_u32 v100, vcc_lo, v106, v100
	v_add_co_ci_u32_e64 v101, null, v107, v101, vcc_lo
	global_store_dwordx2 v[100:101], v[98:99], off
.LBB172_211:
	s_or_b32 exec_lo, exec_lo, s8
	v_add_nc_u32_e32 v102, 0x80, v145
	v_mad_i64_i32 v[98:99], null, v102, s16, 0
	v_mad_i64_i32 v[100:101], null, v102, s14, 0
	v_cmp_gt_i32_e64 s8, s13, v102
	v_lshlrev_b64 v[98:99], 3, v[98:99]
	s_and_b32 s12, s0, s8
	v_lshlrev_b64 v[102:103], 3, v[100:101]
	v_add_co_u32 v100, vcc_lo, s20, v98
	v_add_co_ci_u32_e64 v101, null, s21, v99, vcc_lo
	v_add_co_u32 v98, vcc_lo, s17, v102
	v_add_co_ci_u32_e64 v99, null, s15, v103, vcc_lo
	s_and_saveexec_b32 s9, s12
	s_cbranch_execnz .LBB172_219
; %bb.212:
	s_or_b32 exec_lo, exec_lo, s9
	s_and_b32 s12, s1, s8
	s_and_saveexec_b32 s9, s12
	s_cbranch_execnz .LBB172_223
.LBB172_213:
	s_or_b32 exec_lo, exec_lo, s9
	s_and_b32 s12, s2, s8
	s_and_saveexec_b32 s9, s12
	s_cbranch_execnz .LBB172_227
.LBB172_214:
	s_or_b32 exec_lo, exec_lo, s9
	s_and_b32 s12, s3, s8
	s_and_saveexec_b32 s9, s12
	s_cbranch_execnz .LBB172_231
.LBB172_215:
	s_or_b32 exec_lo, exec_lo, s9
	s_and_b32 s12, s4, s8
	s_and_saveexec_b32 s9, s12
	s_cbranch_execnz .LBB172_235
.LBB172_216:
	s_or_b32 exec_lo, exec_lo, s9
	s_and_b32 s12, s5, s8
	s_and_saveexec_b32 s9, s12
	s_cbranch_execnz .LBB172_239
.LBB172_217:
	s_or_b32 exec_lo, exec_lo, s9
	s_and_b32 s12, s6, s8
	s_and_saveexec_b32 s9, s12
	s_cbranch_execnz .LBB172_243
.LBB172_218:
	s_or_b32 exec_lo, exec_lo, s9
	s_and_b32 s9, s7, s8
	s_and_saveexec_b32 s8, s9
	s_cbranch_execnz .LBB172_247
	s_branch .LBB172_251
.LBB172_219:
	v_cmp_ne_u32_e32 vcc_lo, 1, v144
	s_cbranch_vccnz .LBB172_221
; %bb.220:
	v_lshlrev_b64 v[102:103], 3, v[0:1]
	v_add_co_u32 v102, vcc_lo, v100, v102
	v_add_co_ci_u32_e64 v103, null, v101, v103, vcc_lo
	global_load_dwordx2 v[102:103], v[102:103], off
	s_waitcnt vmcnt(0)
	v_mul_f64 v[102:103], s[10:11], v[102:103]
	v_cvt_f32_f64_e32 v102, v[102:103]
	s_branch .LBB172_222
.LBB172_221:
	v_mov_b32_e32 v102, 0
.LBB172_222:
	v_add_f64 v[103:104], v[70:71], v[94:95]
	v_add_f64 v[105:106], v[72:73], v[96:97]
	;; [unrolled: 1-line block ×4, first 2 shown]
	v_cvt_f32_f64_e32 v103, v[103:104]
	v_cvt_f32_f64_e32 v104, v[105:106]
	;; [unrolled: 1-line block ×4, first 2 shown]
	v_min3_f32 v103, v103, v104, v195
	v_min_f32_e32 v104, v105, v106
	v_min3_f32 v102, v102, v104, v103
	v_lshlrev_b64 v[104:105], 3, v[0:1]
	v_cvt_f64_f32_e32 v[102:103], v102
	v_add_co_u32 v104, vcc_lo, v98, v104
	v_add_co_ci_u32_e64 v105, null, v99, v105, vcc_lo
	global_store_dwordx2 v[104:105], v[102:103], off
	s_or_b32 exec_lo, exec_lo, s9
	s_and_b32 s12, s1, s8
	s_and_saveexec_b32 s9, s12
	s_cbranch_execz .LBB172_213
.LBB172_223:
	v_cmp_ne_u32_e32 vcc_lo, 1, v144
	s_cbranch_vccnz .LBB172_225
; %bb.224:
	v_lshlrev_b64 v[102:103], 3, v[130:131]
	v_add_co_u32 v102, vcc_lo, v100, v102
	v_add_co_ci_u32_e64 v103, null, v101, v103, vcc_lo
	global_load_dwordx2 v[102:103], v[102:103], off
	s_waitcnt vmcnt(0)
	v_mul_f64 v[102:103], s[10:11], v[102:103]
	v_cvt_f32_f64_e32 v102, v[102:103]
	s_branch .LBB172_226
.LBB172_225:
	v_mov_b32_e32 v102, 0
.LBB172_226:
	v_add_f64 v[103:104], v[62:63], v[94:95]
	v_add_f64 v[105:106], v[64:65], v[96:97]
	;; [unrolled: 1-line block ×4, first 2 shown]
	v_cvt_f32_f64_e32 v103, v[103:104]
	v_cvt_f32_f64_e32 v104, v[105:106]
	;; [unrolled: 1-line block ×4, first 2 shown]
	v_min3_f32 v103, v103, v104, v194
	v_min_f32_e32 v104, v105, v106
	v_min3_f32 v102, v102, v104, v103
	v_lshlrev_b64 v[104:105], 3, v[130:131]
	v_cvt_f64_f32_e32 v[102:103], v102
	v_add_co_u32 v104, vcc_lo, v98, v104
	v_add_co_ci_u32_e64 v105, null, v99, v105, vcc_lo
	global_store_dwordx2 v[104:105], v[102:103], off
	s_or_b32 exec_lo, exec_lo, s9
	s_and_b32 s12, s2, s8
	s_and_saveexec_b32 s9, s12
	s_cbranch_execz .LBB172_214
.LBB172_227:
	v_cmp_ne_u32_e32 vcc_lo, 1, v144
	s_cbranch_vccnz .LBB172_229
; %bb.228:
	v_lshlrev_b64 v[102:103], 3, v[132:133]
	v_add_co_u32 v102, vcc_lo, v100, v102
	v_add_co_ci_u32_e64 v103, null, v101, v103, vcc_lo
	global_load_dwordx2 v[102:103], v[102:103], off
	s_waitcnt vmcnt(0)
	v_mul_f64 v[102:103], s[10:11], v[102:103]
	v_cvt_f32_f64_e32 v102, v[102:103]
	s_branch .LBB172_230
.LBB172_229:
	v_mov_b32_e32 v102, 0
.LBB172_230:
	v_add_f64 v[103:104], v[54:55], v[94:95]
	v_add_f64 v[105:106], v[56:57], v[96:97]
	;; [unrolled: 1-line block ×4, first 2 shown]
	v_cvt_f32_f64_e32 v103, v[103:104]
	v_cvt_f32_f64_e32 v104, v[105:106]
	;; [unrolled: 1-line block ×4, first 2 shown]
	v_min3_f32 v103, v103, v104, v193
	v_min_f32_e32 v104, v105, v106
	v_min3_f32 v102, v102, v104, v103
	v_lshlrev_b64 v[104:105], 3, v[132:133]
	v_cvt_f64_f32_e32 v[102:103], v102
	v_add_co_u32 v104, vcc_lo, v98, v104
	v_add_co_ci_u32_e64 v105, null, v99, v105, vcc_lo
	global_store_dwordx2 v[104:105], v[102:103], off
	s_or_b32 exec_lo, exec_lo, s9
	s_and_b32 s12, s3, s8
	s_and_saveexec_b32 s9, s12
	s_cbranch_execz .LBB172_215
.LBB172_231:
	v_cmp_ne_u32_e32 vcc_lo, 1, v144
	s_cbranch_vccnz .LBB172_233
; %bb.232:
	v_lshlrev_b64 v[102:103], 3, v[134:135]
	v_add_co_u32 v102, vcc_lo, v100, v102
	v_add_co_ci_u32_e64 v103, null, v101, v103, vcc_lo
	global_load_dwordx2 v[102:103], v[102:103], off
	s_waitcnt vmcnt(0)
	v_mul_f64 v[102:103], s[10:11], v[102:103]
	v_cvt_f32_f64_e32 v102, v[102:103]
	s_branch .LBB172_234
.LBB172_233:
	v_mov_b32_e32 v102, 0
.LBB172_234:
	v_add_f64 v[103:104], v[46:47], v[94:95]
	v_add_f64 v[105:106], v[48:49], v[96:97]
	;; [unrolled: 1-line block ×4, first 2 shown]
	v_cvt_f32_f64_e32 v103, v[103:104]
	v_cvt_f32_f64_e32 v104, v[105:106]
	;; [unrolled: 1-line block ×4, first 2 shown]
	v_min3_f32 v103, v103, v104, v192
	v_min_f32_e32 v104, v105, v106
	v_min3_f32 v102, v102, v104, v103
	v_lshlrev_b64 v[104:105], 3, v[134:135]
	v_cvt_f64_f32_e32 v[102:103], v102
	v_add_co_u32 v104, vcc_lo, v98, v104
	v_add_co_ci_u32_e64 v105, null, v99, v105, vcc_lo
	global_store_dwordx2 v[104:105], v[102:103], off
	s_or_b32 exec_lo, exec_lo, s9
	s_and_b32 s12, s4, s8
	s_and_saveexec_b32 s9, s12
	s_cbranch_execz .LBB172_216
.LBB172_235:
	v_cmp_ne_u32_e32 vcc_lo, 1, v144
	s_cbranch_vccnz .LBB172_237
; %bb.236:
	v_lshlrev_b64 v[102:103], 3, v[136:137]
	v_add_co_u32 v102, vcc_lo, v100, v102
	v_add_co_ci_u32_e64 v103, null, v101, v103, vcc_lo
	global_load_dwordx2 v[102:103], v[102:103], off
	s_waitcnt vmcnt(0)
	v_mul_f64 v[102:103], s[10:11], v[102:103]
	v_cvt_f32_f64_e32 v102, v[102:103]
	s_branch .LBB172_238
.LBB172_237:
	v_mov_b32_e32 v102, 0
.LBB172_238:
	v_add_f64 v[103:104], v[38:39], v[94:95]
	v_add_f64 v[105:106], v[40:41], v[96:97]
	;; [unrolled: 1-line block ×4, first 2 shown]
	v_cvt_f32_f64_e32 v103, v[103:104]
	v_cvt_f32_f64_e32 v104, v[105:106]
	;; [unrolled: 1-line block ×4, first 2 shown]
	v_min3_f32 v103, v103, v104, v191
	v_min_f32_e32 v104, v105, v106
	v_min3_f32 v102, v102, v104, v103
	v_lshlrev_b64 v[104:105], 3, v[136:137]
	v_cvt_f64_f32_e32 v[102:103], v102
	v_add_co_u32 v104, vcc_lo, v98, v104
	v_add_co_ci_u32_e64 v105, null, v99, v105, vcc_lo
	global_store_dwordx2 v[104:105], v[102:103], off
	s_or_b32 exec_lo, exec_lo, s9
	s_and_b32 s12, s5, s8
	s_and_saveexec_b32 s9, s12
	s_cbranch_execz .LBB172_217
.LBB172_239:
	v_cmp_ne_u32_e32 vcc_lo, 1, v144
	s_cbranch_vccnz .LBB172_241
; %bb.240:
	v_lshlrev_b64 v[102:103], 3, v[138:139]
	v_add_co_u32 v102, vcc_lo, v100, v102
	v_add_co_ci_u32_e64 v103, null, v101, v103, vcc_lo
	global_load_dwordx2 v[102:103], v[102:103], off
	s_waitcnt vmcnt(0)
	v_mul_f64 v[102:103], s[10:11], v[102:103]
	v_cvt_f32_f64_e32 v102, v[102:103]
	s_branch .LBB172_242
.LBB172_241:
	v_mov_b32_e32 v102, 0
.LBB172_242:
	v_add_f64 v[103:104], v[30:31], v[94:95]
	v_add_f64 v[105:106], v[32:33], v[96:97]
	;; [unrolled: 1-line block ×4, first 2 shown]
	v_cvt_f32_f64_e32 v103, v[103:104]
	v_cvt_f32_f64_e32 v104, v[105:106]
	;; [unrolled: 1-line block ×4, first 2 shown]
	v_min3_f32 v103, v103, v104, v190
	v_min_f32_e32 v104, v105, v106
	v_min3_f32 v102, v102, v104, v103
	v_lshlrev_b64 v[104:105], 3, v[138:139]
	v_cvt_f64_f32_e32 v[102:103], v102
	v_add_co_u32 v104, vcc_lo, v98, v104
	v_add_co_ci_u32_e64 v105, null, v99, v105, vcc_lo
	global_store_dwordx2 v[104:105], v[102:103], off
	s_or_b32 exec_lo, exec_lo, s9
	s_and_b32 s12, s6, s8
	s_and_saveexec_b32 s9, s12
	s_cbranch_execz .LBB172_218
.LBB172_243:
	v_cmp_ne_u32_e32 vcc_lo, 1, v144
	s_cbranch_vccnz .LBB172_245
; %bb.244:
	v_lshlrev_b64 v[102:103], 3, v[140:141]
	v_add_co_u32 v102, vcc_lo, v100, v102
	v_add_co_ci_u32_e64 v103, null, v101, v103, vcc_lo
	global_load_dwordx2 v[102:103], v[102:103], off
	s_waitcnt vmcnt(0)
	v_mul_f64 v[102:103], s[10:11], v[102:103]
	v_cvt_f32_f64_e32 v102, v[102:103]
	s_branch .LBB172_246
.LBB172_245:
	v_mov_b32_e32 v102, 0
.LBB172_246:
	v_add_f64 v[103:104], v[22:23], v[94:95]
	v_add_f64 v[105:106], v[24:25], v[96:97]
	;; [unrolled: 1-line block ×4, first 2 shown]
	v_cvt_f32_f64_e32 v103, v[103:104]
	v_cvt_f32_f64_e32 v104, v[105:106]
	v_cvt_f32_f64_e32 v105, v[107:108]
	v_cvt_f32_f64_e32 v106, v[109:110]
	v_min3_f32 v103, v103, v104, v189
	v_min_f32_e32 v104, v105, v106
	v_min3_f32 v102, v102, v104, v103
	v_lshlrev_b64 v[104:105], 3, v[140:141]
	v_cvt_f64_f32_e32 v[102:103], v102
	v_add_co_u32 v104, vcc_lo, v98, v104
	v_add_co_ci_u32_e64 v105, null, v99, v105, vcc_lo
	global_store_dwordx2 v[104:105], v[102:103], off
	s_or_b32 exec_lo, exec_lo, s9
	s_and_b32 s9, s7, s8
	s_and_saveexec_b32 s8, s9
	s_cbranch_execz .LBB172_251
.LBB172_247:
	v_cmp_ne_u32_e32 vcc_lo, 1, v144
	s_cbranch_vccnz .LBB172_249
; %bb.248:
	v_lshlrev_b64 v[102:103], 3, v[142:143]
	v_add_co_u32 v100, vcc_lo, v100, v102
	v_add_co_ci_u32_e64 v101, null, v101, v103, vcc_lo
	global_load_dwordx2 v[100:101], v[100:101], off
	s_waitcnt vmcnt(0)
	v_mul_f64 v[100:101], s[10:11], v[100:101]
	v_cvt_f32_f64_e32 v100, v[100:101]
	s_branch .LBB172_250
.LBB172_249:
	v_mov_b32_e32 v100, 0
.LBB172_250:
	v_add_f64 v[94:95], v[6:7], v[94:95]
	v_add_f64 v[96:97], v[8:9], v[96:97]
	;; [unrolled: 1-line block ×4, first 2 shown]
	v_cvt_f32_f64_e32 v94, v[94:95]
	v_cvt_f32_f64_e32 v95, v[96:97]
	;; [unrolled: 1-line block ×4, first 2 shown]
	v_min3_f32 v92, v94, v95, v188
	v_min_f32_e32 v90, v90, v91
	v_min3_f32 v90, v100, v90, v92
	v_lshlrev_b64 v[92:93], 3, v[142:143]
	v_cvt_f64_f32_e32 v[90:91], v90
	v_add_co_u32 v92, vcc_lo, v98, v92
	v_add_co_ci_u32_e64 v93, null, v99, v93, vcc_lo
	global_store_dwordx2 v[92:93], v[90:91], off
.LBB172_251:
	s_or_b32 exec_lo, exec_lo, s8
	v_add_nc_u32_e32 v94, 0xa0, v145
	v_mad_i64_i32 v[90:91], null, v94, s16, 0
	v_mad_i64_i32 v[92:93], null, v94, s14, 0
	v_cmp_gt_i32_e64 s8, s13, v94
	v_lshlrev_b64 v[90:91], 3, v[90:91]
	s_and_b32 s12, s0, s8
	v_lshlrev_b64 v[94:95], 3, v[92:93]
	v_add_co_u32 v92, vcc_lo, s20, v90
	v_add_co_ci_u32_e64 v93, null, s21, v91, vcc_lo
	v_add_co_u32 v90, vcc_lo, s17, v94
	v_add_co_ci_u32_e64 v91, null, s15, v95, vcc_lo
	s_and_saveexec_b32 s9, s12
	s_cbranch_execnz .LBB172_259
; %bb.252:
	s_or_b32 exec_lo, exec_lo, s9
	s_and_b32 s12, s1, s8
	s_and_saveexec_b32 s9, s12
	s_cbranch_execnz .LBB172_263
.LBB172_253:
	s_or_b32 exec_lo, exec_lo, s9
	s_and_b32 s12, s2, s8
	s_and_saveexec_b32 s9, s12
	s_cbranch_execnz .LBB172_267
.LBB172_254:
	s_or_b32 exec_lo, exec_lo, s9
	s_and_b32 s12, s3, s8
	s_and_saveexec_b32 s9, s12
	s_cbranch_execnz .LBB172_271
.LBB172_255:
	s_or_b32 exec_lo, exec_lo, s9
	s_and_b32 s12, s4, s8
	s_and_saveexec_b32 s9, s12
	s_cbranch_execnz .LBB172_275
.LBB172_256:
	s_or_b32 exec_lo, exec_lo, s9
	s_and_b32 s12, s5, s8
	s_and_saveexec_b32 s9, s12
	s_cbranch_execnz .LBB172_279
.LBB172_257:
	s_or_b32 exec_lo, exec_lo, s9
	s_and_b32 s12, s6, s8
	s_and_saveexec_b32 s9, s12
	s_cbranch_execnz .LBB172_283
.LBB172_258:
	s_or_b32 exec_lo, exec_lo, s9
	s_and_b32 s9, s7, s8
	s_and_saveexec_b32 s8, s9
	s_cbranch_execnz .LBB172_287
	s_branch .LBB172_291
.LBB172_259:
	v_cmp_ne_u32_e32 vcc_lo, 1, v144
	s_cbranch_vccnz .LBB172_261
; %bb.260:
	v_lshlrev_b64 v[94:95], 3, v[0:1]
	v_add_co_u32 v94, vcc_lo, v92, v94
	v_add_co_ci_u32_e64 v95, null, v93, v95, vcc_lo
	global_load_dwordx2 v[94:95], v[94:95], off
	s_waitcnt vmcnt(0)
	v_mul_f64 v[94:95], s[10:11], v[94:95]
	v_cvt_f32_f64_e32 v94, v[94:95]
	s_branch .LBB172_262
.LBB172_261:
	v_mov_b32_e32 v94, 0
.LBB172_262:
	v_add_f64 v[95:96], v[70:71], v[86:87]
	v_add_f64 v[97:98], v[72:73], v[88:89]
	;; [unrolled: 1-line block ×4, first 2 shown]
	v_cvt_f32_f64_e32 v95, v[95:96]
	v_cvt_f32_f64_e32 v96, v[97:98]
	;; [unrolled: 1-line block ×4, first 2 shown]
	v_min3_f32 v95, v95, v96, v187
	v_min_f32_e32 v96, v97, v98
	v_min3_f32 v94, v94, v96, v95
	v_lshlrev_b64 v[96:97], 3, v[0:1]
	v_cvt_f64_f32_e32 v[94:95], v94
	v_add_co_u32 v96, vcc_lo, v90, v96
	v_add_co_ci_u32_e64 v97, null, v91, v97, vcc_lo
	global_store_dwordx2 v[96:97], v[94:95], off
	s_or_b32 exec_lo, exec_lo, s9
	s_and_b32 s12, s1, s8
	s_and_saveexec_b32 s9, s12
	s_cbranch_execz .LBB172_253
.LBB172_263:
	v_cmp_ne_u32_e32 vcc_lo, 1, v144
	s_cbranch_vccnz .LBB172_265
; %bb.264:
	v_lshlrev_b64 v[94:95], 3, v[130:131]
	v_add_co_u32 v94, vcc_lo, v92, v94
	v_add_co_ci_u32_e64 v95, null, v93, v95, vcc_lo
	global_load_dwordx2 v[94:95], v[94:95], off
	s_waitcnt vmcnt(0)
	v_mul_f64 v[94:95], s[10:11], v[94:95]
	v_cvt_f32_f64_e32 v94, v[94:95]
	s_branch .LBB172_266
.LBB172_265:
	v_mov_b32_e32 v94, 0
.LBB172_266:
	v_add_f64 v[95:96], v[62:63], v[86:87]
	v_add_f64 v[97:98], v[64:65], v[88:89]
	;; [unrolled: 1-line block ×4, first 2 shown]
	v_cvt_f32_f64_e32 v95, v[95:96]
	v_cvt_f32_f64_e32 v96, v[97:98]
	;; [unrolled: 1-line block ×4, first 2 shown]
	v_min3_f32 v95, v95, v96, v178
	v_min_f32_e32 v96, v97, v98
	v_min3_f32 v94, v94, v96, v95
	v_lshlrev_b64 v[96:97], 3, v[130:131]
	v_cvt_f64_f32_e32 v[94:95], v94
	v_add_co_u32 v96, vcc_lo, v90, v96
	v_add_co_ci_u32_e64 v97, null, v91, v97, vcc_lo
	global_store_dwordx2 v[96:97], v[94:95], off
	s_or_b32 exec_lo, exec_lo, s9
	s_and_b32 s12, s2, s8
	s_and_saveexec_b32 s9, s12
	s_cbranch_execz .LBB172_254
.LBB172_267:
	v_cmp_ne_u32_e32 vcc_lo, 1, v144
	s_cbranch_vccnz .LBB172_269
; %bb.268:
	v_lshlrev_b64 v[94:95], 3, v[132:133]
	v_add_co_u32 v94, vcc_lo, v92, v94
	v_add_co_ci_u32_e64 v95, null, v93, v95, vcc_lo
	global_load_dwordx2 v[94:95], v[94:95], off
	s_waitcnt vmcnt(0)
	v_mul_f64 v[94:95], s[10:11], v[94:95]
	v_cvt_f32_f64_e32 v94, v[94:95]
	s_branch .LBB172_270
.LBB172_269:
	v_mov_b32_e32 v94, 0
.LBB172_270:
	v_add_f64 v[95:96], v[54:55], v[86:87]
	v_add_f64 v[97:98], v[56:57], v[88:89]
	;; [unrolled: 1-line block ×4, first 2 shown]
	v_cvt_f32_f64_e32 v95, v[95:96]
	v_cvt_f32_f64_e32 v96, v[97:98]
	;; [unrolled: 1-line block ×4, first 2 shown]
	v_min3_f32 v95, v95, v96, v177
	v_min_f32_e32 v96, v97, v98
	v_min3_f32 v94, v94, v96, v95
	v_lshlrev_b64 v[96:97], 3, v[132:133]
	v_cvt_f64_f32_e32 v[94:95], v94
	v_add_co_u32 v96, vcc_lo, v90, v96
	v_add_co_ci_u32_e64 v97, null, v91, v97, vcc_lo
	global_store_dwordx2 v[96:97], v[94:95], off
	s_or_b32 exec_lo, exec_lo, s9
	s_and_b32 s12, s3, s8
	s_and_saveexec_b32 s9, s12
	s_cbranch_execz .LBB172_255
.LBB172_271:
	v_cmp_ne_u32_e32 vcc_lo, 1, v144
	s_cbranch_vccnz .LBB172_273
; %bb.272:
	v_lshlrev_b64 v[94:95], 3, v[134:135]
	v_add_co_u32 v94, vcc_lo, v92, v94
	v_add_co_ci_u32_e64 v95, null, v93, v95, vcc_lo
	global_load_dwordx2 v[94:95], v[94:95], off
	s_waitcnt vmcnt(0)
	v_mul_f64 v[94:95], s[10:11], v[94:95]
	v_cvt_f32_f64_e32 v94, v[94:95]
	s_branch .LBB172_274
.LBB172_273:
	v_mov_b32_e32 v94, 0
.LBB172_274:
	v_add_f64 v[95:96], v[46:47], v[86:87]
	v_add_f64 v[97:98], v[48:49], v[88:89]
	;; [unrolled: 1-line block ×4, first 2 shown]
	v_cvt_f32_f64_e32 v95, v[95:96]
	v_cvt_f32_f64_e32 v96, v[97:98]
	;; [unrolled: 1-line block ×4, first 2 shown]
	v_min3_f32 v95, v95, v96, v172
	v_min_f32_e32 v96, v97, v98
	v_min3_f32 v94, v94, v96, v95
	v_lshlrev_b64 v[96:97], 3, v[134:135]
	v_cvt_f64_f32_e32 v[94:95], v94
	v_add_co_u32 v96, vcc_lo, v90, v96
	v_add_co_ci_u32_e64 v97, null, v91, v97, vcc_lo
	global_store_dwordx2 v[96:97], v[94:95], off
	s_or_b32 exec_lo, exec_lo, s9
	s_and_b32 s12, s4, s8
	s_and_saveexec_b32 s9, s12
	s_cbranch_execz .LBB172_256
.LBB172_275:
	v_cmp_ne_u32_e32 vcc_lo, 1, v144
	s_cbranch_vccnz .LBB172_277
; %bb.276:
	v_lshlrev_b64 v[94:95], 3, v[136:137]
	v_add_co_u32 v94, vcc_lo, v92, v94
	v_add_co_ci_u32_e64 v95, null, v93, v95, vcc_lo
	global_load_dwordx2 v[94:95], v[94:95], off
	s_waitcnt vmcnt(0)
	v_mul_f64 v[94:95], s[10:11], v[94:95]
	v_cvt_f32_f64_e32 v94, v[94:95]
	s_branch .LBB172_278
.LBB172_277:
	v_mov_b32_e32 v94, 0
.LBB172_278:
	v_add_f64 v[95:96], v[38:39], v[86:87]
	v_add_f64 v[97:98], v[40:41], v[88:89]
	v_add_f64 v[99:100], v[34:35], v[82:83]
	v_add_f64 v[101:102], v[36:37], v[84:85]
	v_cvt_f32_f64_e32 v95, v[95:96]
	v_cvt_f32_f64_e32 v96, v[97:98]
	v_cvt_f32_f64_e32 v97, v[99:100]
	v_cvt_f32_f64_e32 v98, v[101:102]
	v_min3_f32 v95, v95, v96, v171
	v_min_f32_e32 v96, v97, v98
	v_min3_f32 v94, v94, v96, v95
	v_lshlrev_b64 v[96:97], 3, v[136:137]
	v_cvt_f64_f32_e32 v[94:95], v94
	v_add_co_u32 v96, vcc_lo, v90, v96
	v_add_co_ci_u32_e64 v97, null, v91, v97, vcc_lo
	global_store_dwordx2 v[96:97], v[94:95], off
	s_or_b32 exec_lo, exec_lo, s9
	s_and_b32 s12, s5, s8
	s_and_saveexec_b32 s9, s12
	s_cbranch_execz .LBB172_257
.LBB172_279:
	v_cmp_ne_u32_e32 vcc_lo, 1, v144
	s_cbranch_vccnz .LBB172_281
; %bb.280:
	v_lshlrev_b64 v[94:95], 3, v[138:139]
	v_add_co_u32 v94, vcc_lo, v92, v94
	v_add_co_ci_u32_e64 v95, null, v93, v95, vcc_lo
	global_load_dwordx2 v[94:95], v[94:95], off
	s_waitcnt vmcnt(0)
	v_mul_f64 v[94:95], s[10:11], v[94:95]
	v_cvt_f32_f64_e32 v94, v[94:95]
	s_branch .LBB172_282
.LBB172_281:
	v_mov_b32_e32 v94, 0
.LBB172_282:
	v_add_f64 v[95:96], v[30:31], v[86:87]
	v_add_f64 v[97:98], v[32:33], v[88:89]
	;; [unrolled: 1-line block ×4, first 2 shown]
	v_cvt_f32_f64_e32 v95, v[95:96]
	v_cvt_f32_f64_e32 v96, v[97:98]
	;; [unrolled: 1-line block ×4, first 2 shown]
	v_min3_f32 v95, v95, v96, v170
	v_min_f32_e32 v96, v97, v98
	v_min3_f32 v94, v94, v96, v95
	v_lshlrev_b64 v[96:97], 3, v[138:139]
	v_cvt_f64_f32_e32 v[94:95], v94
	v_add_co_u32 v96, vcc_lo, v90, v96
	v_add_co_ci_u32_e64 v97, null, v91, v97, vcc_lo
	global_store_dwordx2 v[96:97], v[94:95], off
	s_or_b32 exec_lo, exec_lo, s9
	s_and_b32 s12, s6, s8
	s_and_saveexec_b32 s9, s12
	s_cbranch_execz .LBB172_258
.LBB172_283:
	v_cmp_ne_u32_e32 vcc_lo, 1, v144
	s_cbranch_vccnz .LBB172_285
; %bb.284:
	v_lshlrev_b64 v[94:95], 3, v[140:141]
	v_add_co_u32 v94, vcc_lo, v92, v94
	v_add_co_ci_u32_e64 v95, null, v93, v95, vcc_lo
	global_load_dwordx2 v[94:95], v[94:95], off
	s_waitcnt vmcnt(0)
	v_mul_f64 v[94:95], s[10:11], v[94:95]
	v_cvt_f32_f64_e32 v94, v[94:95]
	s_branch .LBB172_286
.LBB172_285:
	v_mov_b32_e32 v94, 0
.LBB172_286:
	v_add_f64 v[95:96], v[22:23], v[86:87]
	v_add_f64 v[97:98], v[24:25], v[88:89]
	;; [unrolled: 1-line block ×4, first 2 shown]
	v_cvt_f32_f64_e32 v95, v[95:96]
	v_cvt_f32_f64_e32 v96, v[97:98]
	;; [unrolled: 1-line block ×4, first 2 shown]
	v_min3_f32 v95, v95, v96, v169
	v_min_f32_e32 v96, v97, v98
	v_min3_f32 v94, v94, v96, v95
	v_lshlrev_b64 v[96:97], 3, v[140:141]
	v_cvt_f64_f32_e32 v[94:95], v94
	v_add_co_u32 v96, vcc_lo, v90, v96
	v_add_co_ci_u32_e64 v97, null, v91, v97, vcc_lo
	global_store_dwordx2 v[96:97], v[94:95], off
	s_or_b32 exec_lo, exec_lo, s9
	s_and_b32 s9, s7, s8
	s_and_saveexec_b32 s8, s9
	s_cbranch_execz .LBB172_291
.LBB172_287:
	v_cmp_ne_u32_e32 vcc_lo, 1, v144
	s_cbranch_vccnz .LBB172_289
; %bb.288:
	v_lshlrev_b64 v[94:95], 3, v[142:143]
	v_add_co_u32 v92, vcc_lo, v92, v94
	v_add_co_ci_u32_e64 v93, null, v93, v95, vcc_lo
	global_load_dwordx2 v[92:93], v[92:93], off
	s_waitcnt vmcnt(0)
	v_mul_f64 v[92:93], s[10:11], v[92:93]
	v_cvt_f32_f64_e32 v92, v[92:93]
	s_branch .LBB172_290
.LBB172_289:
	v_mov_b32_e32 v92, 0
.LBB172_290:
	v_add_f64 v[86:87], v[6:7], v[86:87]
	v_add_f64 v[88:89], v[8:9], v[88:89]
	;; [unrolled: 1-line block ×4, first 2 shown]
	v_cvt_f32_f64_e32 v86, v[86:87]
	v_cvt_f32_f64_e32 v87, v[88:89]
	;; [unrolled: 1-line block ×4, first 2 shown]
	v_min3_f32 v84, v86, v87, v168
	v_min_f32_e32 v82, v82, v83
	v_min3_f32 v82, v92, v82, v84
	v_lshlrev_b64 v[84:85], 3, v[142:143]
	v_cvt_f64_f32_e32 v[82:83], v82
	v_add_co_u32 v84, vcc_lo, v90, v84
	v_add_co_ci_u32_e64 v85, null, v91, v85, vcc_lo
	global_store_dwordx2 v[84:85], v[82:83], off
.LBB172_291:
	s_or_b32 exec_lo, exec_lo, s8
	v_add_nc_u32_e32 v86, 0xc0, v145
	v_mad_i64_i32 v[82:83], null, v86, s16, 0
	v_mad_i64_i32 v[84:85], null, v86, s14, 0
	v_cmp_gt_i32_e64 s8, s13, v86
	v_lshlrev_b64 v[82:83], 3, v[82:83]
	s_and_b32 s12, s0, s8
	v_lshlrev_b64 v[86:87], 3, v[84:85]
	v_add_co_u32 v84, vcc_lo, s20, v82
	v_add_co_ci_u32_e64 v85, null, s21, v83, vcc_lo
	v_add_co_u32 v82, vcc_lo, s17, v86
	v_add_co_ci_u32_e64 v83, null, s15, v87, vcc_lo
	s_and_saveexec_b32 s9, s12
	s_cbranch_execnz .LBB172_299
; %bb.292:
	s_or_b32 exec_lo, exec_lo, s9
	s_and_b32 s12, s1, s8
	s_and_saveexec_b32 s9, s12
	s_cbranch_execnz .LBB172_303
.LBB172_293:
	s_or_b32 exec_lo, exec_lo, s9
	s_and_b32 s12, s2, s8
	s_and_saveexec_b32 s9, s12
	s_cbranch_execnz .LBB172_307
.LBB172_294:
	s_or_b32 exec_lo, exec_lo, s9
	s_and_b32 s12, s3, s8
	s_and_saveexec_b32 s9, s12
	s_cbranch_execnz .LBB172_311
.LBB172_295:
	s_or_b32 exec_lo, exec_lo, s9
	s_and_b32 s12, s4, s8
	s_and_saveexec_b32 s9, s12
	s_cbranch_execnz .LBB172_315
.LBB172_296:
	s_or_b32 exec_lo, exec_lo, s9
	s_and_b32 s12, s5, s8
	s_and_saveexec_b32 s9, s12
	s_cbranch_execnz .LBB172_319
.LBB172_297:
	s_or_b32 exec_lo, exec_lo, s9
	s_and_b32 s12, s6, s8
	s_and_saveexec_b32 s9, s12
	s_cbranch_execnz .LBB172_323
.LBB172_298:
	s_or_b32 exec_lo, exec_lo, s9
	s_and_b32 s9, s7, s8
	s_and_saveexec_b32 s8, s9
	s_cbranch_execnz .LBB172_327
	s_branch .LBB172_331
.LBB172_299:
	v_cmp_ne_u32_e32 vcc_lo, 1, v144
	s_cbranch_vccnz .LBB172_301
; %bb.300:
	v_lshlrev_b64 v[86:87], 3, v[0:1]
	v_add_co_u32 v86, vcc_lo, v84, v86
	v_add_co_ci_u32_e64 v87, null, v85, v87, vcc_lo
	global_load_dwordx2 v[86:87], v[86:87], off
	s_waitcnt vmcnt(0)
	v_mul_f64 v[86:87], s[10:11], v[86:87]
	v_cvt_f32_f64_e32 v86, v[86:87]
	s_branch .LBB172_302
.LBB172_301:
	v_mov_b32_e32 v86, 0
.LBB172_302:
	v_add_f64 v[87:88], v[70:71], v[78:79]
	v_add_f64 v[89:90], v[72:73], v[80:81]
	v_add_f64 v[91:92], v[66:67], v[74:75]
	v_add_f64 v[93:94], v[68:69], v[76:77]
	v_cvt_f32_f64_e32 v87, v[87:88]
	v_cvt_f32_f64_e32 v88, v[89:90]
	;; [unrolled: 1-line block ×4, first 2 shown]
	v_min3_f32 v87, v87, v88, v167
	v_min_f32_e32 v88, v89, v90
	v_min3_f32 v86, v86, v88, v87
	v_lshlrev_b64 v[88:89], 3, v[0:1]
	v_cvt_f64_f32_e32 v[86:87], v86
	v_add_co_u32 v88, vcc_lo, v82, v88
	v_add_co_ci_u32_e64 v89, null, v83, v89, vcc_lo
	global_store_dwordx2 v[88:89], v[86:87], off
	s_or_b32 exec_lo, exec_lo, s9
	s_and_b32 s12, s1, s8
	s_and_saveexec_b32 s9, s12
	s_cbranch_execz .LBB172_293
.LBB172_303:
	v_cmp_ne_u32_e32 vcc_lo, 1, v144
	s_cbranch_vccnz .LBB172_305
; %bb.304:
	v_lshlrev_b64 v[86:87], 3, v[130:131]
	v_add_co_u32 v86, vcc_lo, v84, v86
	v_add_co_ci_u32_e64 v87, null, v85, v87, vcc_lo
	global_load_dwordx2 v[86:87], v[86:87], off
	s_waitcnt vmcnt(0)
	v_mul_f64 v[86:87], s[10:11], v[86:87]
	v_cvt_f32_f64_e32 v86, v[86:87]
	s_branch .LBB172_306
.LBB172_305:
	v_mov_b32_e32 v86, 0
.LBB172_306:
	v_add_f64 v[87:88], v[62:63], v[78:79]
	v_add_f64 v[89:90], v[64:65], v[80:81]
	;; [unrolled: 1-line block ×4, first 2 shown]
	v_cvt_f32_f64_e32 v87, v[87:88]
	v_cvt_f32_f64_e32 v88, v[89:90]
	v_cvt_f32_f64_e32 v89, v[91:92]
	v_cvt_f32_f64_e32 v90, v[93:94]
	v_min3_f32 v87, v87, v88, v166
	v_min_f32_e32 v88, v89, v90
	v_min3_f32 v86, v86, v88, v87
	v_lshlrev_b64 v[88:89], 3, v[130:131]
	v_cvt_f64_f32_e32 v[86:87], v86
	v_add_co_u32 v88, vcc_lo, v82, v88
	v_add_co_ci_u32_e64 v89, null, v83, v89, vcc_lo
	global_store_dwordx2 v[88:89], v[86:87], off
	s_or_b32 exec_lo, exec_lo, s9
	s_and_b32 s12, s2, s8
	s_and_saveexec_b32 s9, s12
	s_cbranch_execz .LBB172_294
.LBB172_307:
	v_cmp_ne_u32_e32 vcc_lo, 1, v144
	s_cbranch_vccnz .LBB172_309
; %bb.308:
	v_lshlrev_b64 v[86:87], 3, v[132:133]
	v_add_co_u32 v86, vcc_lo, v84, v86
	v_add_co_ci_u32_e64 v87, null, v85, v87, vcc_lo
	global_load_dwordx2 v[86:87], v[86:87], off
	s_waitcnt vmcnt(0)
	v_mul_f64 v[86:87], s[10:11], v[86:87]
	v_cvt_f32_f64_e32 v86, v[86:87]
	s_branch .LBB172_310
.LBB172_309:
	v_mov_b32_e32 v86, 0
.LBB172_310:
	v_add_f64 v[87:88], v[54:55], v[78:79]
	v_add_f64 v[89:90], v[56:57], v[80:81]
	;; [unrolled: 1-line block ×4, first 2 shown]
	v_cvt_f32_f64_e32 v87, v[87:88]
	v_cvt_f32_f64_e32 v88, v[89:90]
	;; [unrolled: 1-line block ×4, first 2 shown]
	v_min3_f32 v87, v87, v88, v165
	v_min_f32_e32 v88, v89, v90
	v_min3_f32 v86, v86, v88, v87
	v_lshlrev_b64 v[88:89], 3, v[132:133]
	v_cvt_f64_f32_e32 v[86:87], v86
	v_add_co_u32 v88, vcc_lo, v82, v88
	v_add_co_ci_u32_e64 v89, null, v83, v89, vcc_lo
	global_store_dwordx2 v[88:89], v[86:87], off
	s_or_b32 exec_lo, exec_lo, s9
	s_and_b32 s12, s3, s8
	s_and_saveexec_b32 s9, s12
	s_cbranch_execz .LBB172_295
.LBB172_311:
	v_cmp_ne_u32_e32 vcc_lo, 1, v144
	s_cbranch_vccnz .LBB172_313
; %bb.312:
	v_lshlrev_b64 v[86:87], 3, v[134:135]
	v_add_co_u32 v86, vcc_lo, v84, v86
	v_add_co_ci_u32_e64 v87, null, v85, v87, vcc_lo
	global_load_dwordx2 v[86:87], v[86:87], off
	s_waitcnt vmcnt(0)
	v_mul_f64 v[86:87], s[10:11], v[86:87]
	v_cvt_f32_f64_e32 v86, v[86:87]
	s_branch .LBB172_314
.LBB172_313:
	v_mov_b32_e32 v86, 0
.LBB172_314:
	v_add_f64 v[87:88], v[46:47], v[78:79]
	v_add_f64 v[89:90], v[48:49], v[80:81]
	v_add_f64 v[91:92], v[42:43], v[74:75]
	v_add_f64 v[93:94], v[44:45], v[76:77]
	v_cvt_f32_f64_e32 v87, v[87:88]
	v_cvt_f32_f64_e32 v88, v[89:90]
	;; [unrolled: 1-line block ×4, first 2 shown]
	v_min3_f32 v87, v87, v88, v164
	v_min_f32_e32 v88, v89, v90
	v_min3_f32 v86, v86, v88, v87
	v_lshlrev_b64 v[88:89], 3, v[134:135]
	v_cvt_f64_f32_e32 v[86:87], v86
	v_add_co_u32 v88, vcc_lo, v82, v88
	v_add_co_ci_u32_e64 v89, null, v83, v89, vcc_lo
	global_store_dwordx2 v[88:89], v[86:87], off
	s_or_b32 exec_lo, exec_lo, s9
	s_and_b32 s12, s4, s8
	s_and_saveexec_b32 s9, s12
	s_cbranch_execz .LBB172_296
.LBB172_315:
	v_cmp_ne_u32_e32 vcc_lo, 1, v144
	s_cbranch_vccnz .LBB172_317
; %bb.316:
	v_lshlrev_b64 v[86:87], 3, v[136:137]
	v_add_co_u32 v86, vcc_lo, v84, v86
	v_add_co_ci_u32_e64 v87, null, v85, v87, vcc_lo
	global_load_dwordx2 v[86:87], v[86:87], off
	s_waitcnt vmcnt(0)
	v_mul_f64 v[86:87], s[10:11], v[86:87]
	v_cvt_f32_f64_e32 v86, v[86:87]
	s_branch .LBB172_318
.LBB172_317:
	v_mov_b32_e32 v86, 0
.LBB172_318:
	v_add_f64 v[87:88], v[38:39], v[78:79]
	v_add_f64 v[89:90], v[40:41], v[80:81]
	;; [unrolled: 1-line block ×4, first 2 shown]
	v_cvt_f32_f64_e32 v87, v[87:88]
	v_cvt_f32_f64_e32 v88, v[89:90]
	;; [unrolled: 1-line block ×4, first 2 shown]
	v_min3_f32 v87, v87, v88, v163
	v_min_f32_e32 v88, v89, v90
	v_min3_f32 v86, v86, v88, v87
	v_lshlrev_b64 v[88:89], 3, v[136:137]
	v_cvt_f64_f32_e32 v[86:87], v86
	v_add_co_u32 v88, vcc_lo, v82, v88
	v_add_co_ci_u32_e64 v89, null, v83, v89, vcc_lo
	global_store_dwordx2 v[88:89], v[86:87], off
	s_or_b32 exec_lo, exec_lo, s9
	s_and_b32 s12, s5, s8
	s_and_saveexec_b32 s9, s12
	s_cbranch_execz .LBB172_297
.LBB172_319:
	v_cmp_ne_u32_e32 vcc_lo, 1, v144
	s_cbranch_vccnz .LBB172_321
; %bb.320:
	v_lshlrev_b64 v[86:87], 3, v[138:139]
	v_add_co_u32 v86, vcc_lo, v84, v86
	v_add_co_ci_u32_e64 v87, null, v85, v87, vcc_lo
	global_load_dwordx2 v[86:87], v[86:87], off
	s_waitcnt vmcnt(0)
	v_mul_f64 v[86:87], s[10:11], v[86:87]
	v_cvt_f32_f64_e32 v86, v[86:87]
	s_branch .LBB172_322
.LBB172_321:
	v_mov_b32_e32 v86, 0
.LBB172_322:
	v_add_f64 v[87:88], v[30:31], v[78:79]
	v_add_f64 v[89:90], v[32:33], v[80:81]
	;; [unrolled: 1-line block ×4, first 2 shown]
	v_cvt_f32_f64_e32 v87, v[87:88]
	v_cvt_f32_f64_e32 v88, v[89:90]
	v_cvt_f32_f64_e32 v89, v[91:92]
	v_cvt_f32_f64_e32 v90, v[93:94]
	v_min3_f32 v87, v87, v88, v162
	v_min_f32_e32 v88, v89, v90
	v_min3_f32 v86, v86, v88, v87
	v_lshlrev_b64 v[88:89], 3, v[138:139]
	v_cvt_f64_f32_e32 v[86:87], v86
	v_add_co_u32 v88, vcc_lo, v82, v88
	v_add_co_ci_u32_e64 v89, null, v83, v89, vcc_lo
	global_store_dwordx2 v[88:89], v[86:87], off
	s_or_b32 exec_lo, exec_lo, s9
	s_and_b32 s12, s6, s8
	s_and_saveexec_b32 s9, s12
	s_cbranch_execz .LBB172_298
.LBB172_323:
	v_cmp_ne_u32_e32 vcc_lo, 1, v144
	s_cbranch_vccnz .LBB172_325
; %bb.324:
	v_lshlrev_b64 v[86:87], 3, v[140:141]
	v_add_co_u32 v86, vcc_lo, v84, v86
	v_add_co_ci_u32_e64 v87, null, v85, v87, vcc_lo
	global_load_dwordx2 v[86:87], v[86:87], off
	s_waitcnt vmcnt(0)
	v_mul_f64 v[86:87], s[10:11], v[86:87]
	v_cvt_f32_f64_e32 v86, v[86:87]
	s_branch .LBB172_326
.LBB172_325:
	v_mov_b32_e32 v86, 0
.LBB172_326:
	v_add_f64 v[87:88], v[22:23], v[78:79]
	v_add_f64 v[89:90], v[24:25], v[80:81]
	;; [unrolled: 1-line block ×4, first 2 shown]
	v_cvt_f32_f64_e32 v87, v[87:88]
	v_cvt_f32_f64_e32 v88, v[89:90]
	;; [unrolled: 1-line block ×4, first 2 shown]
	v_min3_f32 v87, v87, v88, v161
	v_min_f32_e32 v88, v89, v90
	v_min3_f32 v86, v86, v88, v87
	v_lshlrev_b64 v[88:89], 3, v[140:141]
	v_cvt_f64_f32_e32 v[86:87], v86
	v_add_co_u32 v88, vcc_lo, v82, v88
	v_add_co_ci_u32_e64 v89, null, v83, v89, vcc_lo
	global_store_dwordx2 v[88:89], v[86:87], off
	s_or_b32 exec_lo, exec_lo, s9
	s_and_b32 s9, s7, s8
	s_and_saveexec_b32 s8, s9
	s_cbranch_execz .LBB172_331
.LBB172_327:
	v_cmp_ne_u32_e32 vcc_lo, 1, v144
	s_cbranch_vccnz .LBB172_329
; %bb.328:
	v_lshlrev_b64 v[86:87], 3, v[142:143]
	v_add_co_u32 v84, vcc_lo, v84, v86
	v_add_co_ci_u32_e64 v85, null, v85, v87, vcc_lo
	global_load_dwordx2 v[84:85], v[84:85], off
	s_waitcnt vmcnt(0)
	v_mul_f64 v[84:85], s[10:11], v[84:85]
	v_cvt_f32_f64_e32 v84, v[84:85]
	s_branch .LBB172_330
.LBB172_329:
	v_mov_b32_e32 v84, 0
.LBB172_330:
	v_add_f64 v[78:79], v[6:7], v[78:79]
	v_add_f64 v[80:81], v[8:9], v[80:81]
	;; [unrolled: 1-line block ×4, first 2 shown]
	v_cvt_f32_f64_e32 v78, v[78:79]
	v_cvt_f32_f64_e32 v79, v[80:81]
	;; [unrolled: 1-line block ×4, first 2 shown]
	v_min3_f32 v76, v78, v79, v160
	v_min_f32_e32 v74, v74, v75
	v_min3_f32 v74, v84, v74, v76
	v_lshlrev_b64 v[76:77], 3, v[142:143]
	v_cvt_f64_f32_e32 v[74:75], v74
	v_add_co_u32 v76, vcc_lo, v82, v76
	v_add_co_ci_u32_e64 v77, null, v83, v77, vcc_lo
	global_store_dwordx2 v[76:77], v[74:75], off
.LBB172_331:
	s_or_b32 exec_lo, exec_lo, s8
	v_add_nc_u32_e32 v78, 0xe0, v145
	v_mad_i64_i32 v[74:75], null, v78, s16, 0
	v_mad_i64_i32 v[76:77], null, v78, s14, 0
	v_cmp_gt_i32_e64 s8, s13, v78
	v_lshlrev_b64 v[74:75], 3, v[74:75]
	s_and_b32 s9, s0, s8
	v_lshlrev_b64 v[78:79], 3, v[76:77]
	v_add_co_u32 v76, vcc_lo, s20, v74
	v_add_co_ci_u32_e64 v77, null, s21, v75, vcc_lo
	v_add_co_u32 v74, vcc_lo, s17, v78
	v_add_co_ci_u32_e64 v75, null, s15, v79, vcc_lo
	s_and_saveexec_b32 s0, s9
	s_cbranch_execnz .LBB172_340
; %bb.332:
	s_or_b32 exec_lo, exec_lo, s0
	s_and_b32 s1, s1, s8
	s_and_saveexec_b32 s0, s1
	s_cbranch_execnz .LBB172_344
.LBB172_333:
	s_or_b32 exec_lo, exec_lo, s0
	s_and_b32 s1, s2, s8
	s_and_saveexec_b32 s0, s1
	s_cbranch_execnz .LBB172_348
.LBB172_334:
	s_or_b32 exec_lo, exec_lo, s0
	s_and_b32 s1, s3, s8
	s_and_saveexec_b32 s0, s1
	s_cbranch_execnz .LBB172_352
.LBB172_335:
	s_or_b32 exec_lo, exec_lo, s0
	s_and_b32 s1, s4, s8
	s_and_saveexec_b32 s0, s1
	s_cbranch_execnz .LBB172_356
.LBB172_336:
	s_or_b32 exec_lo, exec_lo, s0
	s_and_b32 s1, s5, s8
	s_and_saveexec_b32 s0, s1
	s_cbranch_execnz .LBB172_360
.LBB172_337:
	s_or_b32 exec_lo, exec_lo, s0
	s_and_b32 s1, s6, s8
	s_and_saveexec_b32 s0, s1
	s_cbranch_execnz .LBB172_364
.LBB172_338:
	s_or_b32 exec_lo, exec_lo, s0
	s_and_b32 s0, s7, s8
	s_and_saveexec_b32 s1, s0
	s_cbranch_execnz .LBB172_368
.LBB172_339:
	s_endpgm
.LBB172_340:
	v_cmp_ne_u32_e32 vcc_lo, 1, v144
	v_lshlrev_b64 v[0:1], 3, v[0:1]
	s_cbranch_vccnz .LBB172_342
; %bb.341:
	v_add_co_u32 v78, vcc_lo, v76, v0
	v_add_co_ci_u32_e64 v79, null, v77, v1, vcc_lo
	global_load_dwordx2 v[78:79], v[78:79], off
	s_waitcnt vmcnt(0)
	v_mul_f64 v[78:79], s[10:11], v[78:79]
	v_cvt_f32_f64_e32 v78, v[78:79]
	s_branch .LBB172_343
.LBB172_342:
	v_mov_b32_e32 v78, 0
.LBB172_343:
	v_add_f64 v[70:71], v[70:71], v[14:15]
	v_add_f64 v[72:73], v[72:73], v[16:17]
	v_add_f64 v[66:67], v[66:67], v[10:11]
	v_add_f64 v[68:69], v[68:69], v[12:13]
	v_add_co_u32 v0, vcc_lo, v74, v0
	v_add_co_ci_u32_e64 v1, null, v75, v1, vcc_lo
	v_cvt_f32_f64_e32 v70, v[70:71]
	v_cvt_f32_f64_e32 v71, v[72:73]
	v_cvt_f32_f64_e32 v66, v[66:67]
	v_cvt_f32_f64_e32 v67, v[68:69]
	v_min3_f32 v68, v70, v71, v159
	v_min_f32_e32 v66, v66, v67
	v_min3_f32 v66, v78, v66, v68
	v_cvt_f64_f32_e32 v[66:67], v66
	global_store_dwordx2 v[0:1], v[66:67], off
	s_or_b32 exec_lo, exec_lo, s0
	s_and_b32 s1, s1, s8
	s_and_saveexec_b32 s0, s1
	s_cbranch_execz .LBB172_333
.LBB172_344:
	v_cmp_ne_u32_e32 vcc_lo, 1, v144
	v_lshlrev_b64 v[0:1], 3, v[130:131]
	s_cbranch_vccnz .LBB172_346
; %bb.345:
	v_add_co_u32 v66, vcc_lo, v76, v0
	v_add_co_ci_u32_e64 v67, null, v77, v1, vcc_lo
	global_load_dwordx2 v[66:67], v[66:67], off
	s_waitcnt vmcnt(0)
	v_mul_f64 v[66:67], s[10:11], v[66:67]
	v_cvt_f32_f64_e32 v66, v[66:67]
	s_branch .LBB172_347
.LBB172_346:
	v_mov_b32_e32 v66, 0
.LBB172_347:
	v_add_f64 v[62:63], v[62:63], v[14:15]
	v_add_f64 v[64:65], v[64:65], v[16:17]
	;; [unrolled: 1-line block ×4, first 2 shown]
	v_add_co_u32 v0, vcc_lo, v74, v0
	v_add_co_ci_u32_e64 v1, null, v75, v1, vcc_lo
	v_cvt_f32_f64_e32 v62, v[62:63]
	v_cvt_f32_f64_e32 v63, v[64:65]
	;; [unrolled: 1-line block ×4, first 2 shown]
	v_min3_f32 v60, v62, v63, v158
	v_min_f32_e32 v58, v58, v59
	v_min3_f32 v58, v66, v58, v60
	v_cvt_f64_f32_e32 v[58:59], v58
	global_store_dwordx2 v[0:1], v[58:59], off
	s_or_b32 exec_lo, exec_lo, s0
	s_and_b32 s1, s2, s8
	s_and_saveexec_b32 s0, s1
	s_cbranch_execz .LBB172_334
.LBB172_348:
	v_cmp_ne_u32_e32 vcc_lo, 1, v144
	v_lshlrev_b64 v[0:1], 3, v[132:133]
	s_cbranch_vccnz .LBB172_350
; %bb.349:
	v_add_co_u32 v58, vcc_lo, v76, v0
	v_add_co_ci_u32_e64 v59, null, v77, v1, vcc_lo
	global_load_dwordx2 v[58:59], v[58:59], off
	s_waitcnt vmcnt(0)
	v_mul_f64 v[58:59], s[10:11], v[58:59]
	v_cvt_f32_f64_e32 v58, v[58:59]
	s_branch .LBB172_351
.LBB172_350:
	v_mov_b32_e32 v58, 0
.LBB172_351:
	v_add_f64 v[54:55], v[54:55], v[14:15]
	v_add_f64 v[56:57], v[56:57], v[16:17]
	;; [unrolled: 1-line block ×4, first 2 shown]
	v_add_co_u32 v0, vcc_lo, v74, v0
	v_add_co_ci_u32_e64 v1, null, v75, v1, vcc_lo
	v_cvt_f32_f64_e32 v54, v[54:55]
	v_cvt_f32_f64_e32 v55, v[56:57]
	;; [unrolled: 1-line block ×4, first 2 shown]
	v_min3_f32 v52, v54, v55, v157
	v_min_f32_e32 v50, v50, v51
	v_min3_f32 v50, v58, v50, v52
	v_cvt_f64_f32_e32 v[50:51], v50
	global_store_dwordx2 v[0:1], v[50:51], off
	s_or_b32 exec_lo, exec_lo, s0
	s_and_b32 s1, s3, s8
	s_and_saveexec_b32 s0, s1
	s_cbranch_execz .LBB172_335
.LBB172_352:
	v_cmp_ne_u32_e32 vcc_lo, 1, v144
	v_lshlrev_b64 v[0:1], 3, v[134:135]
	s_cbranch_vccnz .LBB172_354
; %bb.353:
	v_add_co_u32 v50, vcc_lo, v76, v0
	v_add_co_ci_u32_e64 v51, null, v77, v1, vcc_lo
	global_load_dwordx2 v[50:51], v[50:51], off
	s_waitcnt vmcnt(0)
	v_mul_f64 v[50:51], s[10:11], v[50:51]
	v_cvt_f32_f64_e32 v50, v[50:51]
	s_branch .LBB172_355
.LBB172_354:
	v_mov_b32_e32 v50, 0
.LBB172_355:
	v_add_f64 v[46:47], v[46:47], v[14:15]
	v_add_f64 v[48:49], v[48:49], v[16:17]
	;; [unrolled: 1-line block ×4, first 2 shown]
	v_add_co_u32 v0, vcc_lo, v74, v0
	v_add_co_ci_u32_e64 v1, null, v75, v1, vcc_lo
	v_cvt_f32_f64_e32 v46, v[46:47]
	v_cvt_f32_f64_e32 v47, v[48:49]
	;; [unrolled: 1-line block ×4, first 2 shown]
	v_min3_f32 v44, v46, v47, v156
	v_min_f32_e32 v42, v42, v43
	v_min3_f32 v42, v50, v42, v44
	v_cvt_f64_f32_e32 v[42:43], v42
	global_store_dwordx2 v[0:1], v[42:43], off
	s_or_b32 exec_lo, exec_lo, s0
	s_and_b32 s1, s4, s8
	s_and_saveexec_b32 s0, s1
	s_cbranch_execz .LBB172_336
.LBB172_356:
	v_cmp_ne_u32_e32 vcc_lo, 1, v144
	v_lshlrev_b64 v[0:1], 3, v[136:137]
	s_cbranch_vccnz .LBB172_358
; %bb.357:
	v_add_co_u32 v42, vcc_lo, v76, v0
	v_add_co_ci_u32_e64 v43, null, v77, v1, vcc_lo
	global_load_dwordx2 v[42:43], v[42:43], off
	s_waitcnt vmcnt(0)
	v_mul_f64 v[42:43], s[10:11], v[42:43]
	v_cvt_f32_f64_e32 v42, v[42:43]
	s_branch .LBB172_359
.LBB172_358:
	v_mov_b32_e32 v42, 0
.LBB172_359:
	v_add_f64 v[38:39], v[38:39], v[14:15]
	v_add_f64 v[40:41], v[40:41], v[16:17]
	;; [unrolled: 1-line block ×4, first 2 shown]
	v_add_co_u32 v0, vcc_lo, v74, v0
	v_add_co_ci_u32_e64 v1, null, v75, v1, vcc_lo
	v_cvt_f32_f64_e32 v38, v[38:39]
	v_cvt_f32_f64_e32 v39, v[40:41]
	;; [unrolled: 1-line block ×4, first 2 shown]
	v_min3_f32 v36, v38, v39, v155
	v_min_f32_e32 v34, v34, v35
	v_min3_f32 v34, v42, v34, v36
	v_cvt_f64_f32_e32 v[34:35], v34
	global_store_dwordx2 v[0:1], v[34:35], off
	s_or_b32 exec_lo, exec_lo, s0
	s_and_b32 s1, s5, s8
	s_and_saveexec_b32 s0, s1
	s_cbranch_execz .LBB172_337
.LBB172_360:
	v_cmp_ne_u32_e32 vcc_lo, 1, v144
	v_lshlrev_b64 v[0:1], 3, v[138:139]
	s_cbranch_vccnz .LBB172_362
; %bb.361:
	v_add_co_u32 v34, vcc_lo, v76, v0
	v_add_co_ci_u32_e64 v35, null, v77, v1, vcc_lo
	global_load_dwordx2 v[34:35], v[34:35], off
	s_waitcnt vmcnt(0)
	v_mul_f64 v[34:35], s[10:11], v[34:35]
	v_cvt_f32_f64_e32 v34, v[34:35]
	s_branch .LBB172_363
.LBB172_362:
	v_mov_b32_e32 v34, 0
.LBB172_363:
	v_add_f64 v[30:31], v[30:31], v[14:15]
	v_add_f64 v[32:33], v[32:33], v[16:17]
	;; [unrolled: 1-line block ×4, first 2 shown]
	v_add_co_u32 v0, vcc_lo, v74, v0
	v_add_co_ci_u32_e64 v1, null, v75, v1, vcc_lo
	v_cvt_f32_f64_e32 v30, v[30:31]
	v_cvt_f32_f64_e32 v31, v[32:33]
	;; [unrolled: 1-line block ×4, first 2 shown]
	v_min3_f32 v28, v30, v31, v154
	v_min_f32_e32 v26, v26, v27
	v_min3_f32 v26, v34, v26, v28
	v_cvt_f64_f32_e32 v[26:27], v26
	global_store_dwordx2 v[0:1], v[26:27], off
	s_or_b32 exec_lo, exec_lo, s0
	s_and_b32 s1, s6, s8
	s_and_saveexec_b32 s0, s1
	s_cbranch_execz .LBB172_338
.LBB172_364:
	v_cmp_ne_u32_e32 vcc_lo, 1, v144
	v_lshlrev_b64 v[0:1], 3, v[140:141]
	s_cbranch_vccnz .LBB172_366
; %bb.365:
	v_add_co_u32 v26, vcc_lo, v76, v0
	v_add_co_ci_u32_e64 v27, null, v77, v1, vcc_lo
	global_load_dwordx2 v[26:27], v[26:27], off
	s_waitcnt vmcnt(0)
	v_mul_f64 v[26:27], s[10:11], v[26:27]
	v_cvt_f32_f64_e32 v26, v[26:27]
	s_branch .LBB172_367
.LBB172_366:
	v_mov_b32_e32 v26, 0
.LBB172_367:
	v_add_f64 v[22:23], v[22:23], v[14:15]
	v_add_f64 v[24:25], v[24:25], v[16:17]
	;; [unrolled: 1-line block ×4, first 2 shown]
	v_add_co_u32 v0, vcc_lo, v74, v0
	v_add_co_ci_u32_e64 v1, null, v75, v1, vcc_lo
	v_cvt_f32_f64_e32 v22, v[22:23]
	v_cvt_f32_f64_e32 v23, v[24:25]
	;; [unrolled: 1-line block ×4, first 2 shown]
	v_min3_f32 v20, v22, v23, v153
	v_min_f32_e32 v18, v18, v19
	v_min3_f32 v18, v26, v18, v20
	v_cvt_f64_f32_e32 v[18:19], v18
	global_store_dwordx2 v[0:1], v[18:19], off
	s_or_b32 exec_lo, exec_lo, s0
	s_and_b32 s0, s7, s8
	s_and_saveexec_b32 s1, s0
	s_cbranch_execz .LBB172_339
.LBB172_368:
	v_cmp_ne_u32_e32 vcc_lo, 1, v144
	v_lshlrev_b64 v[0:1], 3, v[142:143]
	s_cbranch_vccnz .LBB172_370
; %bb.369:
	v_add_co_u32 v18, vcc_lo, v76, v0
	v_add_co_ci_u32_e64 v19, null, v77, v1, vcc_lo
	global_load_dwordx2 v[18:19], v[18:19], off
	s_waitcnt vmcnt(0)
	v_mul_f64 v[18:19], s[10:11], v[18:19]
	v_cvt_f32_f64_e32 v18, v[18:19]
	s_branch .LBB172_371
.LBB172_370:
	v_mov_b32_e32 v18, 0
.LBB172_371:
	v_add_f64 v[6:7], v[6:7], v[14:15]
	v_add_f64 v[8:9], v[8:9], v[16:17]
	;; [unrolled: 1-line block ×4, first 2 shown]
	v_add_co_u32 v0, vcc_lo, v74, v0
	v_add_co_ci_u32_e64 v1, null, v75, v1, vcc_lo
	v_cvt_f32_f64_e32 v6, v[6:7]
	v_cvt_f32_f64_e32 v7, v[8:9]
	;; [unrolled: 1-line block ×4, first 2 shown]
	v_min3_f32 v4, v6, v7, v152
	v_min_f32_e32 v2, v2, v3
	v_min3_f32 v2, v18, v2, v4
	v_cvt_f64_f32_e32 v[2:3], v2
	global_store_dwordx2 v[0:1], v[2:3], off
	s_endpgm
	.section	.rodata,"a",@progbits
	.p2align	6, 0x0
	.amdhsa_kernel _ZN12_GLOBAL__N_120geam_min_plus_kernelId15HIP_vector_typeIdLj2EEdLi8ELi32ELi64ELi256ELi4ELi64ELi4ELi64ELi4ELc78ELc84ELb1ELb1ELb1EdKddEEviiiT16_PT17_ilS6_ilS4_S6_ilPT18_ili26rocblas_geam_ex_operation_
		.amdhsa_group_segment_fixed_size 20480
		.amdhsa_private_segment_fixed_size 0
		.amdhsa_kernarg_size 136
		.amdhsa_user_sgpr_count 6
		.amdhsa_user_sgpr_private_segment_buffer 1
		.amdhsa_user_sgpr_dispatch_ptr 0
		.amdhsa_user_sgpr_queue_ptr 0
		.amdhsa_user_sgpr_kernarg_segment_ptr 1
		.amdhsa_user_sgpr_dispatch_id 0
		.amdhsa_user_sgpr_flat_scratch_init 0
		.amdhsa_user_sgpr_private_segment_size 0
		.amdhsa_wavefront_size32 1
		.amdhsa_uses_dynamic_stack 0
		.amdhsa_system_sgpr_private_segment_wavefront_offset 0
		.amdhsa_system_sgpr_workgroup_id_x 1
		.amdhsa_system_sgpr_workgroup_id_y 0
		.amdhsa_system_sgpr_workgroup_id_z 1
		.amdhsa_system_sgpr_workgroup_info 0
		.amdhsa_system_vgpr_workitem_id 1
		.amdhsa_next_free_vgpr 232
		.amdhsa_next_free_sgpr 30
		.amdhsa_reserve_vcc 1
		.amdhsa_reserve_flat_scratch 0
		.amdhsa_float_round_mode_32 0
		.amdhsa_float_round_mode_16_64 0
		.amdhsa_float_denorm_mode_32 3
		.amdhsa_float_denorm_mode_16_64 3
		.amdhsa_dx10_clamp 1
		.amdhsa_ieee_mode 1
		.amdhsa_fp16_overflow 0
		.amdhsa_workgroup_processor_mode 1
		.amdhsa_memory_ordered 1
		.amdhsa_forward_progress 1
		.amdhsa_shared_vgpr_count 0
		.amdhsa_exception_fp_ieee_invalid_op 0
		.amdhsa_exception_fp_denorm_src 0
		.amdhsa_exception_fp_ieee_div_zero 0
		.amdhsa_exception_fp_ieee_overflow 0
		.amdhsa_exception_fp_ieee_underflow 0
		.amdhsa_exception_fp_ieee_inexact 0
		.amdhsa_exception_int_div_zero 0
	.end_amdhsa_kernel
	.section	.text._ZN12_GLOBAL__N_120geam_min_plus_kernelId15HIP_vector_typeIdLj2EEdLi8ELi32ELi64ELi256ELi4ELi64ELi4ELi64ELi4ELc78ELc84ELb1ELb1ELb1EdKddEEviiiT16_PT17_ilS6_ilS4_S6_ilPT18_ili26rocblas_geam_ex_operation_,"axG",@progbits,_ZN12_GLOBAL__N_120geam_min_plus_kernelId15HIP_vector_typeIdLj2EEdLi8ELi32ELi64ELi256ELi4ELi64ELi4ELi64ELi4ELc78ELc84ELb1ELb1ELb1EdKddEEviiiT16_PT17_ilS6_ilS4_S6_ilPT18_ili26rocblas_geam_ex_operation_,comdat
.Lfunc_end172:
	.size	_ZN12_GLOBAL__N_120geam_min_plus_kernelId15HIP_vector_typeIdLj2EEdLi8ELi32ELi64ELi256ELi4ELi64ELi4ELi64ELi4ELc78ELc84ELb1ELb1ELb1EdKddEEviiiT16_PT17_ilS6_ilS4_S6_ilPT18_ili26rocblas_geam_ex_operation_, .Lfunc_end172-_ZN12_GLOBAL__N_120geam_min_plus_kernelId15HIP_vector_typeIdLj2EEdLi8ELi32ELi64ELi256ELi4ELi64ELi4ELi64ELi4ELc78ELc84ELb1ELb1ELb1EdKddEEviiiT16_PT17_ilS6_ilS4_S6_ilPT18_ili26rocblas_geam_ex_operation_
                                        ; -- End function
	.set _ZN12_GLOBAL__N_120geam_min_plus_kernelId15HIP_vector_typeIdLj2EEdLi8ELi32ELi64ELi256ELi4ELi64ELi4ELi64ELi4ELc78ELc84ELb1ELb1ELb1EdKddEEviiiT16_PT17_ilS6_ilS4_S6_ilPT18_ili26rocblas_geam_ex_operation_.num_vgpr, 232
	.set _ZN12_GLOBAL__N_120geam_min_plus_kernelId15HIP_vector_typeIdLj2EEdLi8ELi32ELi64ELi256ELi4ELi64ELi4ELi64ELi4ELc78ELc84ELb1ELb1ELb1EdKddEEviiiT16_PT17_ilS6_ilS4_S6_ilPT18_ili26rocblas_geam_ex_operation_.num_agpr, 0
	.set _ZN12_GLOBAL__N_120geam_min_plus_kernelId15HIP_vector_typeIdLj2EEdLi8ELi32ELi64ELi256ELi4ELi64ELi4ELi64ELi4ELc78ELc84ELb1ELb1ELb1EdKddEEviiiT16_PT17_ilS6_ilS4_S6_ilPT18_ili26rocblas_geam_ex_operation_.numbered_sgpr, 30
	.set _ZN12_GLOBAL__N_120geam_min_plus_kernelId15HIP_vector_typeIdLj2EEdLi8ELi32ELi64ELi256ELi4ELi64ELi4ELi64ELi4ELc78ELc84ELb1ELb1ELb1EdKddEEviiiT16_PT17_ilS6_ilS4_S6_ilPT18_ili26rocblas_geam_ex_operation_.num_named_barrier, 0
	.set _ZN12_GLOBAL__N_120geam_min_plus_kernelId15HIP_vector_typeIdLj2EEdLi8ELi32ELi64ELi256ELi4ELi64ELi4ELi64ELi4ELc78ELc84ELb1ELb1ELb1EdKddEEviiiT16_PT17_ilS6_ilS4_S6_ilPT18_ili26rocblas_geam_ex_operation_.private_seg_size, 0
	.set _ZN12_GLOBAL__N_120geam_min_plus_kernelId15HIP_vector_typeIdLj2EEdLi8ELi32ELi64ELi256ELi4ELi64ELi4ELi64ELi4ELc78ELc84ELb1ELb1ELb1EdKddEEviiiT16_PT17_ilS6_ilS4_S6_ilPT18_ili26rocblas_geam_ex_operation_.uses_vcc, 1
	.set _ZN12_GLOBAL__N_120geam_min_plus_kernelId15HIP_vector_typeIdLj2EEdLi8ELi32ELi64ELi256ELi4ELi64ELi4ELi64ELi4ELc78ELc84ELb1ELb1ELb1EdKddEEviiiT16_PT17_ilS6_ilS4_S6_ilPT18_ili26rocblas_geam_ex_operation_.uses_flat_scratch, 0
	.set _ZN12_GLOBAL__N_120geam_min_plus_kernelId15HIP_vector_typeIdLj2EEdLi8ELi32ELi64ELi256ELi4ELi64ELi4ELi64ELi4ELc78ELc84ELb1ELb1ELb1EdKddEEviiiT16_PT17_ilS6_ilS4_S6_ilPT18_ili26rocblas_geam_ex_operation_.has_dyn_sized_stack, 0
	.set _ZN12_GLOBAL__N_120geam_min_plus_kernelId15HIP_vector_typeIdLj2EEdLi8ELi32ELi64ELi256ELi4ELi64ELi4ELi64ELi4ELc78ELc84ELb1ELb1ELb1EdKddEEviiiT16_PT17_ilS6_ilS4_S6_ilPT18_ili26rocblas_geam_ex_operation_.has_recursion, 0
	.set _ZN12_GLOBAL__N_120geam_min_plus_kernelId15HIP_vector_typeIdLj2EEdLi8ELi32ELi64ELi256ELi4ELi64ELi4ELi64ELi4ELc78ELc84ELb1ELb1ELb1EdKddEEviiiT16_PT17_ilS6_ilS4_S6_ilPT18_ili26rocblas_geam_ex_operation_.has_indirect_call, 0
	.section	.AMDGPU.csdata,"",@progbits
; Kernel info:
; codeLenInByte = 29152
; TotalNumSgprs: 32
; NumVgprs: 232
; ScratchSize: 0
; MemoryBound: 0
; FloatMode: 240
; IeeeMode: 1
; LDSByteSize: 20480 bytes/workgroup (compile time only)
; SGPRBlocks: 0
; VGPRBlocks: 28
; NumSGPRsForWavesPerEU: 32
; NumVGPRsForWavesPerEU: 232
; Occupancy: 4
; WaveLimiterHint : 0
; COMPUTE_PGM_RSRC2:SCRATCH_EN: 0
; COMPUTE_PGM_RSRC2:USER_SGPR: 6
; COMPUTE_PGM_RSRC2:TRAP_HANDLER: 0
; COMPUTE_PGM_RSRC2:TGID_X_EN: 1
; COMPUTE_PGM_RSRC2:TGID_Y_EN: 0
; COMPUTE_PGM_RSRC2:TGID_Z_EN: 1
; COMPUTE_PGM_RSRC2:TIDIG_COMP_CNT: 1
	.section	.text._ZN12_GLOBAL__N_120geam_min_plus_kernelId15HIP_vector_typeIdLj2EEdLi8ELi32ELi64ELi256ELi4ELi64ELi4ELi64ELi4ELc78ELc84ELb0ELb1ELb1EdKddEEviiiT16_PT17_ilS6_ilS4_S6_ilPT18_ili26rocblas_geam_ex_operation_,"axG",@progbits,_ZN12_GLOBAL__N_120geam_min_plus_kernelId15HIP_vector_typeIdLj2EEdLi8ELi32ELi64ELi256ELi4ELi64ELi4ELi64ELi4ELc78ELc84ELb0ELb1ELb1EdKddEEviiiT16_PT17_ilS6_ilS4_S6_ilPT18_ili26rocblas_geam_ex_operation_,comdat
	.globl	_ZN12_GLOBAL__N_120geam_min_plus_kernelId15HIP_vector_typeIdLj2EEdLi8ELi32ELi64ELi256ELi4ELi64ELi4ELi64ELi4ELc78ELc84ELb0ELb1ELb1EdKddEEviiiT16_PT17_ilS6_ilS4_S6_ilPT18_ili26rocblas_geam_ex_operation_ ; -- Begin function _ZN12_GLOBAL__N_120geam_min_plus_kernelId15HIP_vector_typeIdLj2EEdLi8ELi32ELi64ELi256ELi4ELi64ELi4ELi64ELi4ELc78ELc84ELb0ELb1ELb1EdKddEEviiiT16_PT17_ilS6_ilS4_S6_ilPT18_ili26rocblas_geam_ex_operation_
	.p2align	8
	.type	_ZN12_GLOBAL__N_120geam_min_plus_kernelId15HIP_vector_typeIdLj2EEdLi8ELi32ELi64ELi256ELi4ELi64ELi4ELi64ELi4ELc78ELc84ELb0ELb1ELb1EdKddEEviiiT16_PT17_ilS6_ilS4_S6_ilPT18_ili26rocblas_geam_ex_operation_,@function
_ZN12_GLOBAL__N_120geam_min_plus_kernelId15HIP_vector_typeIdLj2EEdLi8ELi32ELi64ELi256ELi4ELi64ELi4ELi64ELi4ELc78ELc84ELb0ELb1ELb1EdKddEEviiiT16_PT17_ilS6_ilS4_S6_ilPT18_ili26rocblas_geam_ex_operation_: ; @_ZN12_GLOBAL__N_120geam_min_plus_kernelId15HIP_vector_typeIdLj2EEdLi8ELi32ELi64ELi256ELi4ELi64ELi4ELi64ELi4ELc78ELc84ELb0ELb1ELb1EdKddEEviiiT16_PT17_ilS6_ilS4_S6_ilPT18_ili26rocblas_geam_ex_operation_
; %bb.0:
	s_clause 0x1
	s_load_dwordx4 s[20:23], s[4:5], 0x10
	s_load_dwordx4 s[0:3], s[4:5], 0x28
	s_mov_b64 s[26:27], 0
	s_waitcnt lgkmcnt(0)
	v_cmp_eq_f64_e64 s12, s[20:21], 0
	s_and_b32 vcc_lo, exec_lo, s12
	s_cbranch_vccnz .LBB173_2
; %bb.1:
	s_mul_i32 s1, s1, s7
	s_mul_hi_u32 s8, s0, s7
	s_mul_i32 s0, s0, s7
	s_add_i32 s1, s8, s1
	s_lshl_b64 s[0:1], s[0:1], 3
	s_add_u32 s26, s22, s0
	s_addc_u32 s27, s23, s1
.LBB173_2:
	s_clause 0x1
	s_load_dwordx4 s[8:11], s[4:5], 0x40
	s_load_dwordx2 s[0:1], s[4:5], 0x50
	s_andn2_b32 vcc_lo, exec_lo, s12
	s_mov_b32 s12, -1
	s_cbranch_vccnz .LBB173_4
; %bb.3:
	s_mov_b32 s12, 0
.LBB173_4:
	s_mov_b64 s[22:23], 0
	s_andn2_b32 vcc_lo, exec_lo, s12
	s_mov_b64 s[24:25], 0
	s_cbranch_vccnz .LBB173_6
; %bb.5:
	s_waitcnt lgkmcnt(0)
	s_mul_i32 s9, s9, s7
	s_mul_hi_u32 s12, s8, s7
	s_mul_i32 s8, s8, s7
	s_add_i32 s9, s12, s9
	s_lshl_b64 s[8:9], s[8:9], 3
	s_add_u32 s24, s2, s8
	s_addc_u32 s25, s3, s9
.LBB173_6:
	s_waitcnt lgkmcnt(0)
	v_cmp_eq_f64_e64 s2, s[10:11], 0
	v_cmp_neq_f64_e64 s9, s[10:11], 0
	s_load_dwordx4 s[16:19], s[4:5], 0x60
	s_and_b32 vcc_lo, exec_lo, s2
	s_cbranch_vccnz .LBB173_8
; %bb.7:
	s_waitcnt lgkmcnt(0)
	s_mul_i32 s2, s17, s7
	s_mul_hi_u32 s3, s16, s7
	s_add_i32 s3, s3, s2
	s_mul_i32 s2, s16, s7
	s_lshl_b64 s[2:3], s[2:3], 3
	s_add_u32 s22, s0, s2
	s_addc_u32 s23, s1, s3
.LBB173_8:
	s_load_dwordx4 s[12:15], s[4:5], 0x0
	s_waitcnt lgkmcnt(0)
	s_load_dword s16, s[4:5], 0x20
	v_cmp_eq_f64_e64 s29, s[20:21], 0
	s_add_i32 s0, s12, -1
	s_waitcnt lgkmcnt(0)
	s_ashr_i32 s17, s16, 31
	s_ashr_i32 s1, s0, 31
	s_lshr_b32 s1, s1, 26
	s_add_i32 s0, s0, s1
	s_ashr_i32 s0, s0, 6
	s_add_i32 s2, s0, 1
	s_not_b32 s0, s0
	v_cvt_f32_u32_e32 v2, s2
	v_rcp_iflag_f32_e32 v2, v2
	v_mul_f32_e32 v2, 0x4f7ffffe, v2
	v_cvt_u32_f32_e32 v2, v2
	v_readfirstlane_b32 s1, v2
	v_lshl_add_u32 v2, v1, 3, v0
	s_mul_i32 s0, s0, s1
	v_and_b32_e32 v12, 63, v2
	s_mul_hi_u32 s0, s1, s0
	v_lshrrev_b32_e32 v146, 6, v2
	s_add_i32 s1, s1, s0
                                        ; implicit-def: $vgpr2_vgpr3
	s_mul_hi_u32 s0, s6, s1
	s_mul_i32 s1, s0, s2
	s_add_i32 s3, s0, 1
	s_sub_i32 s1, s6, s1
	s_sub_i32 s8, s1, s2
	s_cmp_ge_u32 s1, s2
	s_cselect_b32 s0, s3, s0
	s_cselect_b32 s1, s8, s1
	s_add_i32 s3, s0, 1
	s_cmp_ge_u32 s1, s2
	s_cselect_b32 s1, s3, s0
                                        ; implicit-def: $sgpr3
	s_mul_i32 s0, s1, s2
	s_sub_i32 s0, s6, s0
	v_cmp_le_i32_e64 s6, s14, v146
	s_lshl_b32 s15, s0, 6
	v_or_b32_e32 v66, s15, v12
	v_cmp_le_i32_e32 vcc_lo, s12, v66
	v_ashrrev_i32_e32 v67, 31, v66
	s_or_b32 s2, vcc_lo, s6
	s_nor_b32 s0, s29, s2
	s_and_saveexec_b32 s8, s0
	s_xor_b32 s8, exec_lo, s8
	s_cbranch_execz .LBB173_10
; %bb.9:
	s_add_i32 s3, s14, -1
	v_lshlrev_b64 v[4:5], 3, v[66:67]
	v_min_u32_e32 v2, s3, v146
	v_mad_i64_i32 v[2:3], null, s16, v2, 0
	v_lshlrev_b64 v[2:3], 3, v[2:3]
	v_add_co_u32 v2, s0, s26, v2
	v_add_co_ci_u32_e64 v3, null, s27, v3, s0
	v_add_co_u32 v2, s0, v2, v4
	v_add_co_ci_u32_e64 v3, null, v3, v5, s0
	global_load_dwordx2 v[2:3], v[2:3], off
	s_waitcnt vmcnt(0)
	v_mul_f64 v[2:3], s[20:21], v[2:3]
.LBB173_10:
	s_or_saveexec_b32 s0, s8
	v_mov_b32_e32 v4, s3
	s_xor_b32 exec_lo, exec_lo, s0
; %bb.11:
	s_add_i32 s3, s14, -1
	v_cndmask_b32_e64 v3, 0, 0x7fefffff, s2
	v_cndmask_b32_e64 v2, 0, -1, s2
	v_mov_b32_e32 v4, s3
; %bb.12:
	s_or_b32 exec_lo, exec_lo, s0
	s_load_dword s30, s[4:5], 0x38
	v_min_i32_e32 v4, v146, v4
	s_lshl_b32 s28, s1, 8
	v_or_b32_e32 v68, s28, v12
	v_cmp_le_i32_e64 s0, s13, v68
	v_ashrrev_i32_e32 v69, 31, v68
	s_or_b32 s2, s0, s6
	s_waitcnt lgkmcnt(0)
	v_mad_i64_i32 v[4:5], null, v4, s30, 0
	v_lshlrev_b64 v[6:7], 3, v[4:5]
	v_cndmask_b32_e64 v5, 0, 0x7fefffff, s2
	v_cndmask_b32_e64 v4, 0, -1, s2
	v_add_co_u32 v13, s1, s24, v6
	v_add_co_ci_u32_e64 v14, null, s25, v7, s1
	s_nor_b32 s1, s29, s2
	s_and_saveexec_b32 s2, s1
	s_cbranch_execz .LBB173_14
; %bb.13:
	v_lshlrev_b64 v[4:5], 3, v[68:69]
	v_add_co_u32 v4, s1, v13, v4
	v_add_co_ci_u32_e64 v5, null, v14, v5, s1
	global_load_dwordx2 v[4:5], v[4:5], off
	s_waitcnt vmcnt(0)
	v_mul_f64 v[4:5], s[20:21], v[4:5]
.LBB173_14:
	s_or_b32 exec_lo, exec_lo, s2
	v_or_b32_e32 v6, 64, v68
	v_cmp_le_i32_e64 s1, s13, v6
	s_or_b32 s2, s1, s6
	v_cndmask_b32_e64 v7, 0, 0x7fefffff, s2
	v_cndmask_b32_e64 v6, 0, -1, s2
	s_nor_b32 s2, s29, s2
	s_and_saveexec_b32 s3, s2
	s_cbranch_execz .LBB173_16
; %bb.15:
	v_lshlrev_b64 v[6:7], 3, v[68:69]
	v_add_co_u32 v6, s2, v13, v6
	v_add_co_ci_u32_e64 v7, null, v14, v7, s2
	global_load_dwordx2 v[6:7], v[6:7], off offset:512
	s_waitcnt vmcnt(0)
	v_mul_f64 v[6:7], s[20:21], v[6:7]
.LBB173_16:
	s_or_b32 exec_lo, exec_lo, s3
	v_or_b32_e32 v8, 0x80, v68
	v_cmp_le_i32_e64 s2, s13, v8
	s_or_b32 s3, s2, s6
	v_cndmask_b32_e64 v9, 0, 0x7fefffff, s3
	v_cndmask_b32_e64 v8, 0, -1, s3
	s_nor_b32 s3, s29, s3
	s_and_saveexec_b32 s8, s3
	s_cbranch_execz .LBB173_18
; %bb.17:
	v_lshlrev_b64 v[8:9], 3, v[68:69]
	v_add_co_u32 v8, s3, v13, v8
	v_add_co_ci_u32_e64 v9, null, v14, v9, s3
	global_load_dwordx2 v[8:9], v[8:9], off offset:1024
	s_waitcnt vmcnt(0)
	v_mul_f64 v[8:9], s[20:21], v[8:9]
.LBB173_18:
	;; [unrolled: 17-line block ×3, first 2 shown]
	s_or_b32 exec_lo, exec_lo, s8
	v_add_nc_u32_e32 v13, 4, v146
                                        ; implicit-def: $vgpr74_vgpr75
                                        ; implicit-def: $sgpr33
	v_cmp_le_i32_e64 s6, s14, v13
	s_or_b32 s31, vcc_lo, s6
	s_nor_b32 s8, s29, s31
	s_and_saveexec_b32 s34, s8
	s_xor_b32 s34, exec_lo, s34
	s_cbranch_execz .LBB173_22
; %bb.21:
	s_add_i32 s33, s14, -1
	v_min_u32_e32 v16, s33, v13
	v_mad_u64_u32 v[14:15], null, s16, v16, 0
	v_mad_u64_u32 v[15:16], null, s17, v16, v[15:16]
	v_lshlrev_b64 v[16:17], 3, v[66:67]
	v_lshlrev_b64 v[14:15], 3, v[14:15]
	v_add_co_u32 v14, s8, s26, v14
	v_add_co_ci_u32_e64 v15, null, s27, v15, s8
	v_add_co_u32 v14, s8, v14, v16
	v_add_co_ci_u32_e64 v15, null, v15, v17, s8
	global_load_dwordx2 v[14:15], v[14:15], off
	s_waitcnt vmcnt(0)
	v_mul_f64 v[74:75], s[20:21], v[14:15]
.LBB173_22:
	s_or_saveexec_b32 s8, s34
	v_mov_b32_e32 v14, s33
	s_xor_b32 exec_lo, exec_lo, s8
; %bb.23:
	s_add_i32 s33, s14, -1
	v_cndmask_b32_e64 v75, 0, 0x7fefffff, s31
	v_cndmask_b32_e64 v74, 0, -1, s31
	v_mov_b32_e32 v14, s33
; %bb.24:
	s_or_b32 exec_lo, exec_lo, s8
	v_min_i32_e32 v13, v13, v14
	s_or_b32 s31, s0, s6
	v_cndmask_b32_e64 v77, 0, 0x7fefffff, s31
	v_cndmask_b32_e64 v76, 0, -1, s31
	v_mad_i64_i32 v[13:14], null, v13, s30, 0
	v_lshlrev_b64 v[13:14], 3, v[13:14]
	v_add_co_u32 v13, s8, s24, v13
	v_add_co_ci_u32_e64 v14, null, s25, v14, s8
	s_nor_b32 s8, s29, s31
	s_and_saveexec_b32 s31, s8
	s_cbranch_execz .LBB173_26
; %bb.25:
	v_lshlrev_b64 v[15:16], 3, v[68:69]
	v_add_co_u32 v15, s8, v13, v15
	v_add_co_ci_u32_e64 v16, null, v14, v16, s8
	global_load_dwordx2 v[15:16], v[15:16], off
	s_waitcnt vmcnt(0)
	v_mul_f64 v[76:77], s[20:21], v[15:16]
.LBB173_26:
	s_or_b32 exec_lo, exec_lo, s31
	s_or_b32 s8, s1, s6
	v_cndmask_b32_e64 v79, 0, 0x7fefffff, s8
	v_cndmask_b32_e64 v78, 0, -1, s8
	s_nor_b32 s8, s29, s8
	s_and_saveexec_b32 s31, s8
	s_cbranch_execz .LBB173_28
; %bb.27:
	v_lshlrev_b64 v[15:16], 3, v[68:69]
	v_add_co_u32 v15, s8, v13, v15
	v_add_co_ci_u32_e64 v16, null, v14, v16, s8
	global_load_dwordx2 v[15:16], v[15:16], off offset:512
	s_waitcnt vmcnt(0)
	v_mul_f64 v[78:79], s[20:21], v[15:16]
.LBB173_28:
	s_or_b32 exec_lo, exec_lo, s31
	s_or_b32 s8, s2, s6
	v_cndmask_b32_e64 v71, 0, 0x7fefffff, s8
	v_cndmask_b32_e64 v70, 0, -1, s8
	s_nor_b32 s8, s29, s8
	s_and_saveexec_b32 s31, s8
	s_cbranch_execz .LBB173_30
; %bb.29:
	v_lshlrev_b64 v[15:16], 3, v[68:69]
	v_add_co_u32 v15, s8, v13, v15
	v_add_co_ci_u32_e64 v16, null, v14, v16, s8
	global_load_dwordx2 v[15:16], v[15:16], off offset:1024
	s_waitcnt vmcnt(0)
	v_mul_f64 v[70:71], s[20:21], v[15:16]
.LBB173_30:
	;; [unrolled: 15-line block ×3, first 2 shown]
	s_or_b32 exec_lo, exec_lo, s8
	v_lshlrev_b32_e32 v12, 5, v12
	v_lshlrev_b32_e32 v148, 5, v0
	v_lshlrev_b32_e32 v147, 5, v1
	s_cmp_lt_i32 s14, 9
	v_lshl_add_u32 v149, v146, 3, v12
	ds_write_b64 v149, v[2:3] offset:16384
	ds_write2st64_b64 v149, v[4:5], v[6:7] offset1:4
	ds_write2st64_b64 v149, v[8:9], v[10:11] offset0:8 offset1:12
	s_waitcnt lgkmcnt(0)
	s_barrier
	buffer_gl0_inv
	ds_read_b128 v[10:13], v148 offset:16640
	ds_read_b128 v[14:17], v148 offset:16896
	;; [unrolled: 1-line block ×16, first 2 shown]
	ds_read_b128 v[84:87], v147
	ds_read_b128 v[6:9], v147 offset:16
	s_waitcnt lgkmcnt(1)
	v_add_f64 v[88:89], v[82:83], v[86:87]
	v_add_f64 v[90:91], v[80:81], v[84:85]
	s_waitcnt lgkmcnt(0)
	v_add_f64 v[144:145], v[4:5], v[8:9]
	v_add_f64 v[150:151], v[2:3], v[6:7]
	v_cvt_f32_f64_e32 v88, v[88:89]
	v_cvt_f32_f64_e32 v90, v[90:91]
	;; [unrolled: 1-line block ×4, first 2 shown]
	v_min3_f32 v143, v90, v88, 0x7f800000
	v_add_f64 v[88:89], v[12:13], v[86:87]
	v_add_f64 v[90:91], v[10:11], v[84:85]
	v_min3_f32 v221, v150, v144, v143
	v_cvt_f32_f64_e32 v88, v[88:89]
	v_cvt_f32_f64_e32 v90, v[90:91]
	v_min3_f32 v142, v90, v88, 0x7f800000
	v_add_f64 v[88:89], v[16:17], v[86:87]
	v_add_f64 v[90:91], v[14:15], v[84:85]
	v_cvt_f32_f64_e32 v88, v[88:89]
	v_cvt_f32_f64_e32 v90, v[90:91]
	v_min3_f32 v141, v90, v88, 0x7f800000
	v_add_f64 v[88:89], v[20:21], v[86:87]
	v_add_f64 v[90:91], v[18:19], v[84:85]
	;; [unrolled: 5-line block ×5, first 2 shown]
	v_add_f64 v[86:87], v[36:37], v[86:87]
	v_add_f64 v[84:85], v[34:35], v[84:85]
	v_cvt_f32_f64_e32 v88, v[88:89]
	v_cvt_f32_f64_e32 v90, v[90:91]
	;; [unrolled: 1-line block ×4, first 2 shown]
	v_add_f64 v[86:87], v[80:81], v[38:39]
	v_min3_f32 v137, v90, v88, 0x7f800000
	v_min3_f32 v136, v84, v85, 0x7f800000
	v_add_f64 v[84:85], v[82:83], v[40:41]
	v_cvt_f32_f64_e32 v86, v[86:87]
	v_cvt_f32_f64_e32 v84, v[84:85]
	v_min3_f32 v135, v86, v84, 0x7f800000
	v_add_f64 v[84:85], v[12:13], v[40:41]
	v_add_f64 v[86:87], v[10:11], v[38:39]
	v_cvt_f32_f64_e32 v84, v[84:85]
	v_cvt_f32_f64_e32 v86, v[86:87]
	v_min3_f32 v134, v86, v84, 0x7f800000
	v_add_f64 v[84:85], v[16:17], v[40:41]
	;; [unrolled: 5-line block ×6, first 2 shown]
	v_add_f64 v[86:87], v[30:31], v[38:39]
	v_add_f64 v[40:41], v[36:37], v[40:41]
	;; [unrolled: 1-line block ×3, first 2 shown]
	v_cvt_f32_f64_e32 v84, v[84:85]
	v_cvt_f32_f64_e32 v86, v[86:87]
	;; [unrolled: 1-line block ×4, first 2 shown]
	v_add_f64 v[40:41], v[80:81], v[42:43]
	v_min3_f32 v129, v86, v84, 0x7f800000
	v_min3_f32 v128, v38, v39, 0x7f800000
	v_add_f64 v[38:39], v[82:83], v[44:45]
	v_cvt_f32_f64_e32 v40, v[40:41]
	v_cvt_f32_f64_e32 v38, v[38:39]
	v_min3_f32 v127, v40, v38, 0x7f800000
	v_add_f64 v[38:39], v[12:13], v[44:45]
	v_add_f64 v[40:41], v[10:11], v[42:43]
	v_cvt_f32_f64_e32 v38, v[38:39]
	v_cvt_f32_f64_e32 v40, v[40:41]
	v_min3_f32 v126, v40, v38, 0x7f800000
	v_add_f64 v[38:39], v[16:17], v[44:45]
	;; [unrolled: 5-line block ×33, first 2 shown]
	v_add_f64 v[40:41], v[10:11], v[58:59]
	v_add_f64 v[12:13], v[12:13], v[64:65]
	;; [unrolled: 1-line block ×3, first 2 shown]
	v_cvt_f32_f64_e32 v38, v[38:39]
	v_cvt_f32_f64_e32 v40, v[40:41]
	;; [unrolled: 1-line block ×4, first 2 shown]
	v_add_f64 v[12:13], v[14:15], v[62:63]
	v_min3_f32 v94, v40, v38, 0x7f800000
	v_add_f64 v[38:39], v[16:17], v[60:61]
	v_add_f64 v[40:41], v[14:15], v[58:59]
	v_min3_f32 v86, v10, v11, 0x7f800000
	v_add_f64 v[10:11], v[16:17], v[64:65]
	v_cvt_f32_f64_e32 v12, v[12:13]
	v_cvt_f32_f64_e32 v38, v[38:39]
	;; [unrolled: 1-line block ×4, first 2 shown]
	v_min3_f32 v93, v40, v38, 0x7f800000
	v_add_f64 v[38:39], v[20:21], v[60:61]
	v_add_f64 v[40:41], v[18:19], v[58:59]
	v_min3_f32 v85, v12, v10, 0x7f800000
	v_add_f64 v[10:11], v[20:21], v[64:65]
	v_add_f64 v[12:13], v[18:19], v[62:63]
	v_cvt_f32_f64_e32 v38, v[38:39]
	v_cvt_f32_f64_e32 v40, v[40:41]
	;; [unrolled: 1-line block ×4, first 2 shown]
	v_min3_f32 v92, v40, v38, 0x7f800000
	v_add_f64 v[38:39], v[24:25], v[60:61]
	v_add_f64 v[40:41], v[22:23], v[58:59]
	v_min3_f32 v84, v12, v10, 0x7f800000
	v_add_f64 v[10:11], v[24:25], v[64:65]
	v_add_f64 v[12:13], v[22:23], v[62:63]
	v_cvt_f32_f64_e32 v38, v[38:39]
	v_cvt_f32_f64_e32 v40, v[40:41]
	;; [unrolled: 1-line block ×4, first 2 shown]
	v_min3_f32 v91, v40, v38, 0x7f800000
	v_add_f64 v[38:39], v[28:29], v[60:61]
	v_add_f64 v[40:41], v[26:27], v[58:59]
	v_cvt_f32_f64_e32 v38, v[38:39]
	v_cvt_f32_f64_e32 v40, v[40:41]
	v_min3_f32 v90, v40, v38, 0x7f800000
	v_add_f64 v[38:39], v[32:33], v[60:61]
	v_add_f64 v[40:41], v[30:31], v[58:59]
	v_cvt_f32_f64_e32 v38, v[38:39]
	v_cvt_f32_f64_e32 v40, v[40:41]
	;; [unrolled: 5-line block ×3, first 2 shown]
	v_min3_f32 v88, v40, v38, 0x7f800000
	v_add_f64 v[38:39], v[82:83], v[64:65]
	v_min3_f32 v83, v12, v10, 0x7f800000
	v_add_f64 v[10:11], v[28:29], v[64:65]
	v_add_f64 v[12:13], v[26:27], v[62:63]
	;; [unrolled: 1-line block ×3, first 2 shown]
	v_cvt_f32_f64_e32 v38, v[38:39]
	v_cvt_f32_f64_e32 v10, v[10:11]
	;; [unrolled: 1-line block ×4, first 2 shown]
	v_min3_f32 v82, v12, v10, 0x7f800000
	v_add_f64 v[10:11], v[32:33], v[64:65]
	v_add_f64 v[12:13], v[30:31], v[62:63]
	v_min3_f32 v87, v40, v38, 0x7f800000
	v_cvt_f32_f64_e32 v10, v[10:11]
	v_cvt_f32_f64_e32 v12, v[12:13]
	v_min3_f32 v81, v12, v10, 0x7f800000
	v_add_f64 v[10:11], v[36:37], v[64:65]
	v_add_f64 v[12:13], v[34:35], v[62:63]
	v_cvt_f32_f64_e32 v10, v[10:11]
	v_cvt_f32_f64_e32 v12, v[12:13]
	v_min3_f32 v80, v12, v10, 0x7f800000
	ds_read_b128 v[34:37], v148 offset:16656
	ds_read_b128 v[30:33], v148 offset:16912
	;; [unrolled: 1-line block ×14, first 2 shown]
	ds_write_b64 v149, v[74:75] offset:18432
	ds_write2st64_b64 v149, v[76:77], v[78:79] offset0:16 offset1:20
	ds_write2st64_b64 v149, v[70:71], v[72:73] offset0:24 offset1:28
	s_waitcnt lgkmcnt(0)
	s_barrier
	buffer_gl0_inv
	v_add_f64 v[143:144], v[36:37], v[8:9]
	v_add_f64 v[150:151], v[34:35], v[6:7]
	v_cvt_f32_f64_e32 v143, v[143:144]
	v_cvt_f32_f64_e32 v145, v[150:151]
	v_min3_f32 v220, v145, v143, v142
	v_add_f64 v[142:143], v[32:33], v[8:9]
	v_add_f64 v[144:145], v[30:31], v[6:7]
	v_cvt_f32_f64_e32 v142, v[142:143]
	v_cvt_f32_f64_e32 v144, v[144:145]
	v_min3_f32 v219, v144, v142, v141
	v_add_f64 v[141:142], v[28:29], v[8:9]
	v_add_f64 v[143:144], v[26:27], v[6:7]
	v_cvt_f32_f64_e32 v141, v[141:142]
	v_cvt_f32_f64_e32 v143, v[143:144]
	v_min3_f32 v218, v143, v141, v140
	v_add_f64 v[140:141], v[24:25], v[8:9]
	v_add_f64 v[142:143], v[22:23], v[6:7]
	v_cvt_f32_f64_e32 v140, v[140:141]
	v_cvt_f32_f64_e32 v142, v[142:143]
	v_min3_f32 v217, v142, v140, v139
	v_add_f64 v[139:140], v[20:21], v[8:9]
	v_add_f64 v[141:142], v[18:19], v[6:7]
	v_cvt_f32_f64_e32 v139, v[139:140]
	v_cvt_f32_f64_e32 v141, v[141:142]
	v_min3_f32 v216, v141, v139, v138
	v_add_f64 v[138:139], v[16:17], v[8:9]
	v_add_f64 v[140:141], v[14:15], v[6:7]
	;; [unrolled: 1-line block ×4, first 2 shown]
	v_cvt_f32_f64_e32 v138, v[138:139]
	v_cvt_f32_f64_e32 v140, v[140:141]
	;; [unrolled: 1-line block ×4, first 2 shown]
	v_add_f64 v[8:9], v[2:3], v[62:63]
	v_min3_f32 v215, v140, v138, v137
	v_min3_f32 v214, v6, v7, v136
	v_add_f64 v[6:7], v[4:5], v[64:65]
	v_cvt_f32_f64_e32 v8, v[8:9]
	v_cvt_f32_f64_e32 v6, v[6:7]
	v_min3_f32 v213, v8, v6, v135
	v_add_f64 v[6:7], v[36:37], v[64:65]
	v_add_f64 v[8:9], v[34:35], v[62:63]
	v_cvt_f32_f64_e32 v6, v[6:7]
	v_cvt_f32_f64_e32 v8, v[8:9]
	v_min3_f32 v212, v8, v6, v134
	v_add_f64 v[6:7], v[32:33], v[64:65]
	v_add_f64 v[8:9], v[30:31], v[62:63]
	v_cvt_f32_f64_e32 v6, v[6:7]
	v_cvt_f32_f64_e32 v8, v[8:9]
	v_min3_f32 v211, v8, v6, v133
	v_add_f64 v[6:7], v[28:29], v[64:65]
	v_add_f64 v[8:9], v[26:27], v[62:63]
	v_cvt_f32_f64_e32 v6, v[6:7]
	v_cvt_f32_f64_e32 v8, v[8:9]
	v_min3_f32 v210, v8, v6, v132
	v_add_f64 v[6:7], v[24:25], v[64:65]
	v_add_f64 v[8:9], v[22:23], v[62:63]
	v_cvt_f32_f64_e32 v6, v[6:7]
	v_cvt_f32_f64_e32 v8, v[8:9]
	v_min3_f32 v209, v8, v6, v131
	v_add_f64 v[6:7], v[20:21], v[64:65]
	v_add_f64 v[8:9], v[18:19], v[62:63]
	v_cvt_f32_f64_e32 v6, v[6:7]
	v_cvt_f32_f64_e32 v8, v[8:9]
	v_min3_f32 v208, v8, v6, v130
	v_add_f64 v[6:7], v[16:17], v[64:65]
	v_add_f64 v[8:9], v[14:15], v[62:63]
	v_cvt_f32_f64_e32 v6, v[6:7]
	v_cvt_f32_f64_e32 v8, v[8:9]
	v_min3_f32 v207, v8, v6, v129
	v_add_f64 v[6:7], v[12:13], v[64:65]
	v_add_f64 v[8:9], v[10:11], v[62:63]
	v_cvt_f32_f64_e32 v6, v[6:7]
	v_cvt_f32_f64_e32 v8, v[8:9]
	v_min3_f32 v206, v8, v6, v128
	v_add_f64 v[6:7], v[4:5], v[60:61]
	v_add_f64 v[8:9], v[2:3], v[58:59]
	v_cvt_f32_f64_e32 v6, v[6:7]
	v_cvt_f32_f64_e32 v8, v[8:9]
	v_min3_f32 v205, v8, v6, v127
	v_add_f64 v[6:7], v[36:37], v[60:61]
	v_add_f64 v[8:9], v[34:35], v[58:59]
	v_cvt_f32_f64_e32 v6, v[6:7]
	v_cvt_f32_f64_e32 v8, v[8:9]
	v_min3_f32 v204, v8, v6, v126
	v_add_f64 v[6:7], v[32:33], v[60:61]
	v_add_f64 v[8:9], v[30:31], v[58:59]
	v_cvt_f32_f64_e32 v6, v[6:7]
	v_cvt_f32_f64_e32 v8, v[8:9]
	v_min3_f32 v203, v8, v6, v125
	v_add_f64 v[6:7], v[28:29], v[60:61]
	v_add_f64 v[8:9], v[26:27], v[58:59]
	v_cvt_f32_f64_e32 v6, v[6:7]
	v_cvt_f32_f64_e32 v8, v[8:9]
	v_min3_f32 v202, v8, v6, v124
	v_add_f64 v[6:7], v[24:25], v[60:61]
	v_add_f64 v[8:9], v[22:23], v[58:59]
	v_cvt_f32_f64_e32 v6, v[6:7]
	v_cvt_f32_f64_e32 v8, v[8:9]
	v_min3_f32 v201, v8, v6, v123
	v_add_f64 v[6:7], v[20:21], v[60:61]
	v_add_f64 v[8:9], v[18:19], v[58:59]
	v_cvt_f32_f64_e32 v6, v[6:7]
	v_cvt_f32_f64_e32 v8, v[8:9]
	v_min3_f32 v200, v8, v6, v122
	v_add_f64 v[6:7], v[16:17], v[60:61]
	v_add_f64 v[8:9], v[14:15], v[58:59]
	v_cvt_f32_f64_e32 v6, v[6:7]
	v_cvt_f32_f64_e32 v8, v[8:9]
	v_min3_f32 v199, v8, v6, v121
	v_add_f64 v[6:7], v[12:13], v[60:61]
	v_add_f64 v[8:9], v[10:11], v[58:59]
	v_cvt_f32_f64_e32 v6, v[6:7]
	v_cvt_f32_f64_e32 v8, v[8:9]
	v_min3_f32 v198, v8, v6, v120
	v_add_f64 v[6:7], v[4:5], v[56:57]
	v_add_f64 v[8:9], v[2:3], v[54:55]
	v_cvt_f32_f64_e32 v6, v[6:7]
	v_cvt_f32_f64_e32 v8, v[8:9]
	v_min3_f32 v197, v8, v6, v119
	v_add_f64 v[6:7], v[36:37], v[56:57]
	v_add_f64 v[8:9], v[34:35], v[54:55]
	v_cvt_f32_f64_e32 v6, v[6:7]
	v_cvt_f32_f64_e32 v8, v[8:9]
	v_min3_f32 v196, v8, v6, v118
	v_add_f64 v[6:7], v[32:33], v[56:57]
	v_add_f64 v[8:9], v[30:31], v[54:55]
	v_cvt_f32_f64_e32 v6, v[6:7]
	v_cvt_f32_f64_e32 v8, v[8:9]
	v_min3_f32 v195, v8, v6, v117
	v_add_f64 v[6:7], v[28:29], v[56:57]
	v_add_f64 v[8:9], v[26:27], v[54:55]
	v_cvt_f32_f64_e32 v6, v[6:7]
	v_cvt_f32_f64_e32 v8, v[8:9]
	v_min3_f32 v194, v8, v6, v116
	v_add_f64 v[6:7], v[24:25], v[56:57]
	v_add_f64 v[8:9], v[22:23], v[54:55]
	v_cvt_f32_f64_e32 v6, v[6:7]
	v_cvt_f32_f64_e32 v8, v[8:9]
	v_min3_f32 v193, v8, v6, v115
	v_add_f64 v[6:7], v[20:21], v[56:57]
	v_add_f64 v[8:9], v[18:19], v[54:55]
	v_cvt_f32_f64_e32 v6, v[6:7]
	v_cvt_f32_f64_e32 v8, v[8:9]
	v_min3_f32 v192, v8, v6, v114
	v_add_f64 v[6:7], v[16:17], v[56:57]
	v_add_f64 v[8:9], v[14:15], v[54:55]
	v_cvt_f32_f64_e32 v6, v[6:7]
	v_cvt_f32_f64_e32 v8, v[8:9]
	v_min3_f32 v191, v8, v6, v113
	v_add_f64 v[6:7], v[12:13], v[56:57]
	v_add_f64 v[8:9], v[10:11], v[54:55]
	v_cvt_f32_f64_e32 v6, v[6:7]
	v_cvt_f32_f64_e32 v8, v[8:9]
	v_min3_f32 v190, v8, v6, v112
	v_add_f64 v[6:7], v[4:5], v[52:53]
	v_add_f64 v[8:9], v[2:3], v[50:51]
	v_cvt_f32_f64_e32 v6, v[6:7]
	v_cvt_f32_f64_e32 v8, v[8:9]
	v_min3_f32 v189, v8, v6, v111
	v_add_f64 v[6:7], v[36:37], v[52:53]
	v_add_f64 v[8:9], v[34:35], v[50:51]
	v_cvt_f32_f64_e32 v6, v[6:7]
	v_cvt_f32_f64_e32 v8, v[8:9]
	v_min3_f32 v188, v8, v6, v110
	v_add_f64 v[6:7], v[32:33], v[52:53]
	v_add_f64 v[8:9], v[30:31], v[50:51]
	v_cvt_f32_f64_e32 v6, v[6:7]
	v_cvt_f32_f64_e32 v8, v[8:9]
	v_min3_f32 v187, v8, v6, v109
	v_add_f64 v[6:7], v[28:29], v[52:53]
	v_add_f64 v[8:9], v[26:27], v[50:51]
	v_cvt_f32_f64_e32 v6, v[6:7]
	v_cvt_f32_f64_e32 v8, v[8:9]
	v_min3_f32 v186, v8, v6, v108
	v_add_f64 v[6:7], v[24:25], v[52:53]
	v_add_f64 v[8:9], v[22:23], v[50:51]
	v_cvt_f32_f64_e32 v6, v[6:7]
	v_cvt_f32_f64_e32 v8, v[8:9]
	v_min3_f32 v185, v8, v6, v107
	v_add_f64 v[6:7], v[20:21], v[52:53]
	v_add_f64 v[8:9], v[18:19], v[50:51]
	v_cvt_f32_f64_e32 v6, v[6:7]
	v_cvt_f32_f64_e32 v8, v[8:9]
	v_min3_f32 v184, v8, v6, v106
	v_add_f64 v[6:7], v[16:17], v[52:53]
	v_add_f64 v[8:9], v[14:15], v[50:51]
	v_cvt_f32_f64_e32 v6, v[6:7]
	v_cvt_f32_f64_e32 v8, v[8:9]
	v_min3_f32 v183, v8, v6, v105
	v_add_f64 v[6:7], v[12:13], v[52:53]
	v_add_f64 v[8:9], v[10:11], v[50:51]
	v_cvt_f32_f64_e32 v6, v[6:7]
	v_cvt_f32_f64_e32 v8, v[8:9]
	v_min3_f32 v182, v8, v6, v104
	v_add_f64 v[6:7], v[4:5], v[48:49]
	v_add_f64 v[8:9], v[2:3], v[46:47]
	v_cvt_f32_f64_e32 v6, v[6:7]
	v_cvt_f32_f64_e32 v8, v[8:9]
	v_min3_f32 v181, v8, v6, v103
	v_add_f64 v[6:7], v[36:37], v[48:49]
	v_add_f64 v[8:9], v[34:35], v[46:47]
	v_cvt_f32_f64_e32 v6, v[6:7]
	v_cvt_f32_f64_e32 v8, v[8:9]
	v_min3_f32 v176, v8, v6, v102
	v_add_f64 v[6:7], v[32:33], v[48:49]
	v_add_f64 v[8:9], v[30:31], v[46:47]
	v_cvt_f32_f64_e32 v6, v[6:7]
	v_cvt_f32_f64_e32 v8, v[8:9]
	v_min3_f32 v174, v8, v6, v101
	v_add_f64 v[6:7], v[28:29], v[48:49]
	v_add_f64 v[8:9], v[26:27], v[46:47]
	v_cvt_f32_f64_e32 v6, v[6:7]
	v_cvt_f32_f64_e32 v8, v[8:9]
	v_min3_f32 v170, v8, v6, v100
	v_add_f64 v[6:7], v[24:25], v[48:49]
	v_add_f64 v[8:9], v[22:23], v[46:47]
	v_cvt_f32_f64_e32 v6, v[6:7]
	v_cvt_f32_f64_e32 v8, v[8:9]
	v_min3_f32 v169, v8, v6, v99
	v_add_f64 v[6:7], v[20:21], v[48:49]
	v_add_f64 v[8:9], v[18:19], v[46:47]
	v_cvt_f32_f64_e32 v6, v[6:7]
	v_cvt_f32_f64_e32 v8, v[8:9]
	v_min3_f32 v168, v8, v6, v98
	v_add_f64 v[6:7], v[16:17], v[48:49]
	v_add_f64 v[8:9], v[14:15], v[46:47]
	v_cvt_f32_f64_e32 v6, v[6:7]
	v_cvt_f32_f64_e32 v8, v[8:9]
	v_min3_f32 v167, v8, v6, v97
	v_add_f64 v[6:7], v[12:13], v[48:49]
	v_add_f64 v[8:9], v[10:11], v[46:47]
	v_cvt_f32_f64_e32 v6, v[6:7]
	v_cvt_f32_f64_e32 v8, v[8:9]
	v_min3_f32 v166, v8, v6, v96
	v_add_f64 v[6:7], v[4:5], v[44:45]
	v_add_f64 v[8:9], v[2:3], v[42:43]
	v_add_f64 v[4:5], v[4:5], v[40:41]
	;; [unrolled: 1-line block ×3, first 2 shown]
	v_cvt_f32_f64_e32 v6, v[6:7]
	v_cvt_f32_f64_e32 v8, v[8:9]
	;; [unrolled: 1-line block ×4, first 2 shown]
	v_add_f64 v[4:5], v[34:35], v[38:39]
	v_min3_f32 v165, v8, v6, v95
	v_add_f64 v[6:7], v[36:37], v[44:45]
	v_add_f64 v[8:9], v[34:35], v[42:43]
	v_min3_f32 v157, v2, v3, v87
	v_add_f64 v[2:3], v[36:37], v[40:41]
	v_cvt_f32_f64_e32 v4, v[4:5]
	v_cvt_f32_f64_e32 v6, v[6:7]
	v_cvt_f32_f64_e32 v8, v[8:9]
	v_cvt_f32_f64_e32 v2, v[2:3]
	v_min3_f32 v164, v8, v6, v94
	v_add_f64 v[6:7], v[32:33], v[44:45]
	v_add_f64 v[8:9], v[30:31], v[42:43]
	v_min3_f32 v156, v4, v2, v86
	v_add_f64 v[2:3], v[32:33], v[40:41]
	v_add_f64 v[4:5], v[30:31], v[38:39]
	v_cvt_f32_f64_e32 v6, v[6:7]
	v_cvt_f32_f64_e32 v8, v[8:9]
	v_cvt_f32_f64_e32 v2, v[2:3]
	v_cvt_f32_f64_e32 v4, v[4:5]
	v_min3_f32 v163, v8, v6, v93
	v_add_f64 v[6:7], v[28:29], v[44:45]
	v_add_f64 v[8:9], v[26:27], v[42:43]
	v_min3_f32 v155, v4, v2, v85
	v_add_f64 v[2:3], v[28:29], v[40:41]
	;; [unrolled: 10-line block ×6, first 2 shown]
	v_add_f64 v[4:5], v[10:11], v[38:39]
	v_cvt_f32_f64_e32 v6, v[6:7]
	v_cvt_f32_f64_e32 v8, v[8:9]
	;; [unrolled: 1-line block ×4, first 2 shown]
	v_min3_f32 v158, v8, v6, v88
	v_min3_f32 v150, v4, v2, v80
	s_cbranch_scc1 .LBB173_59
; %bb.33:
	v_add_nc_u32_e32 v4, 12, v146
	v_add_nc_u32_e32 v6, 8, v146
	v_lshlrev_b64 v[2:3], 3, v[66:67]
	v_lshlrev_b64 v[134:135], 3, v[68:69]
	v_or_b32_e32 v171, 0x4000, v149
	v_mad_i64_i32 v[4:5], null, v4, s16, 0
	v_mad_i64_i32 v[6:7], null, v6, s16, 0
	v_add_co_u32 v177, s6, s26, v2
	v_or_b32_e32 v172, 0x4000, v148
	v_add_nc_u32_e32 v173, 0x4800, v149
	v_lshlrev_b64 v[130:131], 3, v[4:5]
	v_or_b32_e32 v175, 0x2000, v149
	v_lshlrev_b64 v[132:133], 3, v[6:7]
	v_add_co_ci_u32_e64 v178, null, s27, v3, s6
	v_lshl_add_u32 v179, v0, 5, 0x4800
	v_lshl_or_b32 v180, v1, 5, 0x2000
	s_add_i32 s31, s14, -8
	s_add_i32 s26, s14, -1
	s_lshl_b64 s[16:17], s[16:17], 6
	s_mov_b32 s27, 0
	s_branch .LBB173_35
.LBB173_34:                             ;   in Loop: Header=BB173_35 Depth=1
	s_or_b32 exec_lo, exec_lo, s8
	v_add_f64 v[222:223], v[100:101], v[128:129]
	v_add_f64 v[224:225], v[98:99], v[126:127]
	v_add_co_u32 v177, s6, v177, s16
	v_add_co_ci_u32_e64 v178, null, s17, v178, s6
	s_add_i32 s27, s27, 8
	s_cmp_ge_i32 s27, s31
	v_cvt_f32_f64_e32 v222, v[222:223]
	v_cvt_f32_f64_e32 v224, v[224:225]
	v_min3_f32 v221, v224, v222, v221
	v_add_f64 v[222:223], v[96:97], v[128:129]
	v_add_f64 v[224:225], v[94:95], v[126:127]
	v_cvt_f32_f64_e32 v222, v[222:223]
	v_cvt_f32_f64_e32 v224, v[224:225]
	v_min3_f32 v220, v224, v222, v220
	v_add_f64 v[222:223], v[92:93], v[128:129]
	v_add_f64 v[224:225], v[90:91], v[126:127]
	;; [unrolled: 5-line block ×6, first 2 shown]
	v_add_f64 v[128:129], v[68:69], v[128:129]
	v_add_f64 v[126:127], v[66:67], v[126:127]
	v_cvt_f32_f64_e32 v222, v[222:223]
	v_cvt_f32_f64_e32 v224, v[224:225]
	;; [unrolled: 1-line block ×4, first 2 shown]
	v_add_f64 v[128:129], v[98:99], v[122:123]
	v_min3_f32 v215, v224, v222, v215
	v_min3_f32 v214, v126, v127, v214
	v_add_f64 v[126:127], v[100:101], v[124:125]
	v_cvt_f32_f64_e32 v128, v[128:129]
	v_cvt_f32_f64_e32 v126, v[126:127]
	v_min3_f32 v213, v128, v126, v213
	v_add_f64 v[126:127], v[96:97], v[124:125]
	v_add_f64 v[128:129], v[94:95], v[122:123]
	v_cvt_f32_f64_e32 v126, v[126:127]
	v_cvt_f32_f64_e32 v128, v[128:129]
	v_min3_f32 v212, v128, v126, v212
	v_add_f64 v[126:127], v[92:93], v[124:125]
	;; [unrolled: 5-line block ×6, first 2 shown]
	v_add_f64 v[128:129], v[70:71], v[122:123]
	v_add_f64 v[124:125], v[68:69], v[124:125]
	v_add_f64 v[122:123], v[66:67], v[122:123]
	v_cvt_f32_f64_e32 v126, v[126:127]
	v_cvt_f32_f64_e32 v128, v[128:129]
	;; [unrolled: 1-line block ×4, first 2 shown]
	v_add_f64 v[124:125], v[98:99], v[118:119]
	v_min3_f32 v207, v128, v126, v207
	v_min3_f32 v206, v122, v123, v206
	v_add_f64 v[122:123], v[100:101], v[120:121]
	v_cvt_f32_f64_e32 v124, v[124:125]
	v_add_f64 v[125:126], v[94:95], v[118:119]
	v_cvt_f32_f64_e32 v122, v[122:123]
	v_cvt_f32_f64_e32 v125, v[125:126]
	v_min3_f32 v122, v124, v122, v205
	v_add_f64 v[123:124], v[96:97], v[120:121]
	v_cvt_f32_f64_e32 v123, v[123:124]
	v_min3_f32 v204, v125, v123, v204
	v_add_f64 v[123:124], v[92:93], v[120:121]
	v_add_f64 v[125:126], v[90:91], v[118:119]
	v_cvt_f32_f64_e32 v123, v[123:124]
	v_cvt_f32_f64_e32 v125, v[125:126]
	v_min3_f32 v203, v125, v123, v203
	v_add_f64 v[123:124], v[88:89], v[120:121]
	v_add_f64 v[125:126], v[86:87], v[118:119]
	v_cvt_f32_f64_e32 v123, v[123:124]
	;; [unrolled: 5-line block ×4, first 2 shown]
	v_cvt_f32_f64_e32 v125, v[125:126]
	v_min3_f32 v200, v125, v123, v200
	v_add_f64 v[123:124], v[72:73], v[120:121]
	v_add_f64 v[125:126], v[70:71], v[118:119]
	;; [unrolled: 1-line block ×4, first 2 shown]
	v_cvt_f32_f64_e32 v123, v[123:124]
	v_cvt_f32_f64_e32 v125, v[125:126]
	;; [unrolled: 1-line block ×4, first 2 shown]
	v_add_f64 v[120:121], v[98:99], v[114:115]
	v_min3_f32 v199, v125, v123, v199
	v_add_f64 v[123:124], v[82:83], v[114:115]
	v_add_f64 v[125:126], v[70:71], v[114:115]
	v_min3_f32 v198, v118, v119, v198
	v_add_f64 v[118:119], v[100:101], v[116:117]
	v_cvt_f32_f64_e32 v120, v[120:121]
	v_cvt_f32_f64_e32 v118, v[118:119]
	v_min3_f32 v197, v120, v118, v197
	v_add_f64 v[118:119], v[96:97], v[116:117]
	v_add_f64 v[120:121], v[94:95], v[114:115]
	v_cvt_f32_f64_e32 v118, v[118:119]
	v_cvt_f32_f64_e32 v120, v[120:121]
	v_min3_f32 v196, v120, v118, v196
	v_add_f64 v[118:119], v[92:93], v[116:117]
	;; [unrolled: 5-line block ×3, first 2 shown]
	v_add_f64 v[120:121], v[86:87], v[114:115]
	v_cvt_f32_f64_e32 v118, v[118:119]
	v_cvt_f32_f64_e32 v120, v[120:121]
	;; [unrolled: 1-line block ×3, first 2 shown]
	v_add_f64 v[123:124], v[78:79], v[114:115]
	v_add_f64 v[114:115], v[66:67], v[114:115]
	v_min3_f32 v118, v120, v118, v194
	v_add_f64 v[119:120], v[84:85], v[116:117]
	v_cvt_f32_f64_e32 v123, v[123:124]
	v_cvt_f32_f64_e32 v114, v[114:115]
	v_cvt_f32_f64_e32 v119, v[119:120]
	v_min3_f32 v119, v121, v119, v193
	v_add_f64 v[120:121], v[80:81], v[116:117]
	v_cvt_f32_f64_e32 v120, v[120:121]
	v_cvt_f32_f64_e32 v121, v[125:126]
	v_add_f64 v[125:126], v[90:91], v[110:111]
	v_min3_f32 v120, v123, v120, v192
	v_add_f64 v[123:124], v[72:73], v[116:117]
	v_add_f64 v[116:117], v[68:69], v[116:117]
	v_cvt_f32_f64_e32 v123, v[123:124]
	v_cvt_f32_f64_e32 v115, v[116:117]
	v_min3_f32 v121, v121, v123, v191
	v_min3_f32 v114, v114, v115, v190
	v_add_f64 v[115:116], v[100:101], v[112:113]
	v_add_f64 v[123:124], v[98:99], v[110:111]
	v_cvt_f32_f64_e32 v115, v[115:116]
	v_cvt_f32_f64_e32 v117, v[123:124]
	v_add_f64 v[123:124], v[94:95], v[110:111]
	v_min3_f32 v115, v117, v115, v189
	v_add_f64 v[116:117], v[96:97], v[112:113]
	v_cvt_f32_f64_e32 v123, v[123:124]
	v_cvt_f32_f64_e32 v116, v[116:117]
	;; [unrolled: 1-line block ×3, first 2 shown]
	v_add_f64 v[125:126], v[86:87], v[110:111]
	v_min3_f32 v116, v123, v116, v188
	v_add_f64 v[123:124], v[92:93], v[112:113]
	v_cvt_f32_f64_e32 v125, v[125:126]
	v_add_f64 v[126:127], v[82:83], v[110:111]
	v_cvt_f32_f64_e32 v123, v[123:124]
	v_cvt_f32_f64_e32 v126, v[126:127]
	v_add_f64 v[127:128], v[78:79], v[110:111]
	v_min3_f32 v117, v117, v123, v187
	v_add_f64 v[123:124], v[88:89], v[112:113]
	v_cvt_f32_f64_e32 v127, v[127:128]
	v_cvt_f32_f64_e32 v123, v[123:124]
	v_min3_f32 v123, v125, v123, v186
	v_add_f64 v[124:125], v[84:85], v[112:113]
	v_cvt_f32_f64_e32 v124, v[124:125]
	v_min3_f32 v124, v126, v124, v185
	v_add_f64 v[125:126], v[80:81], v[112:113]
	;; [unrolled: 3-line block ×3, first 2 shown]
	v_add_f64 v[127:128], v[70:71], v[110:111]
	v_add_f64 v[112:113], v[68:69], v[112:113]
	v_add_f64 v[110:111], v[66:67], v[110:111]
	v_cvt_f32_f64_e32 v125, v[125:126]
	v_cvt_f32_f64_e32 v127, v[127:128]
	;; [unrolled: 1-line block ×4, first 2 shown]
	v_min3_f32 v125, v127, v125, v183
	v_add_f64 v[126:127], v[98:99], v[106:107]
	v_min3_f32 v112, v110, v111, v182
	v_add_f64 v[110:111], v[100:101], v[108:109]
	v_cvt_f32_f64_e32 v113, v[126:127]
	v_add_f64 v[126:127], v[94:95], v[106:107]
	v_cvt_f32_f64_e32 v110, v[110:111]
	v_cvt_f32_f64_e32 v126, v[126:127]
	v_add_f64 v[127:128], v[90:91], v[106:107]
	v_min3_f32 v113, v113, v110, v181
	v_add_f64 v[110:111], v[96:97], v[108:109]
	v_add_f64 v[181:182], v[82:83], v[106:107]
	v_cvt_f32_f64_e32 v127, v[127:128]
	v_add_f64 v[128:129], v[86:87], v[106:107]
	v_cvt_f32_f64_e32 v110, v[110:111]
	v_cvt_f32_f64_e32 v128, v[128:129]
	v_min3_f32 v126, v126, v110, v176
	v_add_f64 v[110:111], v[92:93], v[108:109]
	v_cvt_f32_f64_e32 v129, v[181:182]
	v_cvt_f32_f64_e32 v110, v[110:111]
	v_min3_f32 v127, v127, v110, v174
	v_add_f64 v[110:111], v[88:89], v[108:109]
	v_cvt_f32_f64_e32 v110, v[110:111]
	v_min3_f32 v128, v128, v110, v170
	v_add_f64 v[110:111], v[84:85], v[108:109]
	;; [unrolled: 3-line block ×3, first 2 shown]
	v_add_f64 v[169:170], v[78:79], v[106:107]
	v_cvt_f32_f64_e32 v110, v[110:111]
	v_cvt_f32_f64_e32 v169, v[169:170]
	v_min3_f32 v168, v169, v110, v168
	v_add_f64 v[110:111], v[72:73], v[108:109]
	v_add_f64 v[169:170], v[70:71], v[106:107]
	;; [unrolled: 1-line block ×4, first 2 shown]
	v_cvt_f32_f64_e32 v110, v[110:111]
	v_cvt_f32_f64_e32 v169, v[169:170]
	;; [unrolled: 1-line block ×4, first 2 shown]
	v_add_f64 v[108:109], v[98:99], v[102:103]
	v_add_f64 v[98:99], v[98:99], v[74:75]
	v_min3_f32 v167, v169, v110, v167
	v_min3_f32 v166, v106, v107, v166
	v_add_f64 v[106:107], v[100:101], v[104:105]
	v_cvt_f32_f64_e32 v108, v[108:109]
	v_add_f64 v[100:101], v[100:101], v[76:77]
	v_cvt_f32_f64_e32 v98, v[98:99]
	v_cvt_f32_f64_e32 v106, v[106:107]
	;; [unrolled: 1-line block ×3, first 2 shown]
	v_min3_f32 v165, v108, v106, v165
	v_add_f64 v[106:107], v[96:97], v[104:105]
	v_add_f64 v[108:109], v[94:95], v[102:103]
	v_add_f64 v[94:95], v[94:95], v[74:75]
	v_add_f64 v[96:97], v[96:97], v[76:77]
	v_min3_f32 v98, v98, v99, v157
	v_add_f64 v[99:100], v[10:11], v[46:47]
	v_cvt_f32_f64_e32 v106, v[106:107]
	v_cvt_f32_f64_e32 v108, v[108:109]
	v_add_f64 v[109:110], v[90:91], v[102:103]
	v_add_f64 v[90:91], v[90:91], v[74:75]
	v_cvt_f32_f64_e32 v94, v[94:95]
	v_cvt_f32_f64_e32 v95, v[96:97]
	v_min3_f32 v106, v108, v106, v164
	v_add_f64 v[107:108], v[92:93], v[104:105]
	v_cvt_f32_f64_e32 v109, v[109:110]
	v_add_f64 v[110:111], v[86:87], v[102:103]
	v_add_f64 v[86:87], v[86:87], v[74:75]
	;; [unrolled: 1-line block ×3, first 2 shown]
	v_cvt_f32_f64_e32 v90, v[90:91]
	v_min3_f32 v94, v94, v95, v156
	v_add_f64 v[95:96], v[6:7], v[50:51]
	v_cvt_f32_f64_e32 v107, v[107:108]
	v_cvt_f32_f64_e32 v110, v[110:111]
	;; [unrolled: 1-line block ×4, first 2 shown]
	v_min3_f32 v107, v109, v107, v163
	v_add_f64 v[108:109], v[88:89], v[104:105]
	v_add_f64 v[88:89], v[88:89], v[76:77]
	v_min3_f32 v90, v90, v91, v155
	v_add_f64 v[91:92], v[26:27], v[50:51]
	v_cvt_f32_f64_e32 v108, v[108:109]
	v_cvt_f32_f64_e32 v87, v[88:89]
	v_min3_f32 v108, v110, v108, v162
	v_add_f64 v[109:110], v[84:85], v[104:105]
	v_add_f64 v[162:163], v[82:83], v[102:103]
	;; [unrolled: 1-line block ×4, first 2 shown]
	v_min3_f32 v86, v86, v87, v154
	v_add_f64 v[87:88], v[14:15], v[54:55]
	v_cvt_f32_f64_e32 v109, v[109:110]
	v_cvt_f32_f64_e32 v111, v[162:163]
	;; [unrolled: 1-line block ×4, first 2 shown]
	v_min3_f32 v109, v111, v109, v161
	v_add_f64 v[110:111], v[80:81], v[104:105]
	v_add_f64 v[161:162], v[78:79], v[102:103]
	;; [unrolled: 1-line block ×4, first 2 shown]
	v_min3_f32 v82, v82, v83, v153
	v_add_f64 v[83:84], v[10:11], v[58:59]
	v_cvt_f32_f64_e32 v110, v[110:111]
	v_cvt_f32_f64_e32 v161, v[161:162]
	v_add_f64 v[162:163], v[70:71], v[102:103]
	v_add_f64 v[102:103], v[66:67], v[102:103]
	;; [unrolled: 1-line block ×5, first 2 shown]
	v_cvt_f32_f64_e32 v78, v[78:79]
	v_cvt_f32_f64_e32 v79, v[80:81]
	v_min3_f32 v110, v161, v110, v160
	v_add_f64 v[160:161], v[72:73], v[104:105]
	v_add_f64 v[104:105], v[68:69], v[104:105]
	;; [unrolled: 1-line block ×4, first 2 shown]
	v_cvt_f32_f64_e32 v66, v[66:67]
	v_cvt_f32_f64_e32 v70, v[70:71]
	v_add_f64 v[76:77], v[14:15], v[62:63]
	v_min3_f32 v78, v78, v79, v152
	v_add_f64 v[79:80], v[26:27], v[58:59]
	v_cvt_f32_f64_e32 v102, v[102:103]
	v_cvt_f32_f64_e32 v111, v[162:163]
	;; [unrolled: 1-line block ×6, first 2 shown]
	v_add_f64 v[68:69], v[34:35], v[62:63]
	v_min3_f32 v111, v111, v160, v159
	v_min3_f32 v102, v102, v103, v158
	;; [unrolled: 1-line block ×3, first 2 shown]
	v_add_f64 v[66:67], v[36:37], v[64:65]
	v_cvt_f32_f64_e32 v68, v[68:69]
	v_min3_f32 v71, v70, v71, v151
	v_add_f64 v[69:70], v[30:31], v[62:63]
	v_cvt_f32_f64_e32 v66, v[66:67]
	v_cvt_f32_f64_e32 v69, v[69:70]
	;; [unrolled: 1-line block ×3, first 2 shown]
	v_add_f64 v[74:75], v[18:19], v[62:63]
	v_min3_f32 v66, v68, v66, v221
	v_add_f64 v[67:68], v[32:33], v[64:65]
	v_cvt_f32_f64_e32 v72, v[74:75]
	v_add_f64 v[74:75], v[16:17], v[64:65]
	v_cvt_f32_f64_e32 v67, v[67:68]
	v_min3_f32 v67, v69, v67, v220
	v_add_f64 v[68:69], v[28:29], v[64:65]
	v_cvt_f32_f64_e32 v68, v[68:69]
	v_min3_f32 v68, v70, v68, v219
	v_add_f64 v[69:70], v[20:21], v[64:65]
	v_cvt_f32_f64_e32 v69, v[69:70]
	v_cvt_f32_f64_e32 v70, v[76:77]
	v_add_f64 v[76:77], v[10:11], v[62:63]
	v_min3_f32 v69, v72, v69, v218
	v_cvt_f32_f64_e32 v72, v[74:75]
	v_add_f64 v[74:75], v[12:13], v[64:65]
	v_min3_f32 v70, v70, v72, v217
	v_cvt_f32_f64_e32 v72, v[76:77]
	v_cvt_f32_f64_e32 v74, v[74:75]
	v_add_f64 v[76:77], v[6:7], v[62:63]
	v_add_f64 v[62:63], v[2:3], v[62:63]
	v_min3_f32 v72, v72, v74, v216
	v_add_f64 v[74:75], v[8:9], v[64:65]
	v_add_f64 v[64:65], v[4:5], v[64:65]
	v_cvt_f32_f64_e32 v76, v[76:77]
	v_cvt_f32_f64_e32 v62, v[62:63]
	;; [unrolled: 1-line block ×4, first 2 shown]
	v_min3_f32 v74, v76, v74, v215
	v_min3_f32 v62, v62, v63, v214
	v_add_f64 v[63:64], v[36:37], v[60:61]
	v_add_f64 v[75:76], v[34:35], v[58:59]
	v_cvt_f32_f64_e32 v63, v[63:64]
	v_cvt_f32_f64_e32 v65, v[75:76]
	v_add_f64 v[75:76], v[30:31], v[58:59]
	v_min3_f32 v63, v65, v63, v213
	v_add_f64 v[64:65], v[32:33], v[60:61]
	v_cvt_f32_f64_e32 v75, v[75:76]
	v_cvt_f32_f64_e32 v64, v[64:65]
	;; [unrolled: 1-line block ×3, first 2 shown]
	v_add_f64 v[79:80], v[18:19], v[58:59]
	v_min3_f32 v64, v75, v64, v212
	v_add_f64 v[75:76], v[28:29], v[60:61]
	v_cvt_f32_f64_e32 v77, v[79:80]
	v_add_f64 v[79:80], v[14:15], v[58:59]
	v_cvt_f32_f64_e32 v75, v[75:76]
	v_cvt_f32_f64_e32 v79, v[79:80]
	v_min3_f32 v65, v65, v75, v211
	v_add_f64 v[75:76], v[20:21], v[60:61]
	v_cvt_f32_f64_e32 v75, v[75:76]
	v_min3_f32 v75, v77, v75, v210
	v_add_f64 v[76:77], v[16:17], v[60:61]
	v_cvt_f32_f64_e32 v76, v[76:77]
	v_cvt_f32_f64_e32 v77, v[83:84]
	v_add_f64 v[83:84], v[6:7], v[58:59]
	v_add_f64 v[58:59], v[2:3], v[58:59]
	v_min3_f32 v76, v79, v76, v209
	v_add_f64 v[79:80], v[12:13], v[60:61]
	v_cvt_f32_f64_e32 v81, v[83:84]
	v_cvt_f32_f64_e32 v58, v[58:59]
	v_add_f64 v[83:84], v[26:27], v[54:55]
	v_cvt_f32_f64_e32 v79, v[79:80]
	v_min3_f32 v77, v77, v79, v208
	v_add_f64 v[79:80], v[8:9], v[60:61]
	v_add_f64 v[60:61], v[4:5], v[60:61]
	v_cvt_f32_f64_e32 v79, v[79:80]
	v_cvt_f32_f64_e32 v59, v[60:61]
	v_min3_f32 v79, v81, v79, v207
	v_min3_f32 v58, v58, v59, v206
	v_add_f64 v[59:60], v[36:37], v[56:57]
	v_add_f64 v[80:81], v[34:35], v[54:55]
	v_cvt_f32_f64_e32 v59, v[59:60]
	v_cvt_f32_f64_e32 v61, v[80:81]
	v_add_f64 v[80:81], v[30:31], v[54:55]
	v_min3_f32 v59, v61, v59, v122
	v_add_f64 v[60:61], v[32:33], v[56:57]
	v_cvt_f32_f64_e32 v80, v[80:81]
	v_cvt_f32_f64_e32 v60, v[60:61]
	;; [unrolled: 1-line block ×3, first 2 shown]
	v_add_f64 v[83:84], v[18:19], v[54:55]
	v_min3_f32 v60, v80, v60, v204
	v_add_f64 v[80:81], v[28:29], v[56:57]
	v_cvt_f32_f64_e32 v83, v[83:84]
	v_cvt_f32_f64_e32 v80, v[80:81]
	v_min3_f32 v61, v61, v80, v203
	v_add_f64 v[80:81], v[20:21], v[56:57]
	v_cvt_f32_f64_e32 v80, v[80:81]
	v_cvt_f32_f64_e32 v81, v[87:88]
	v_add_f64 v[87:88], v[10:11], v[54:55]
	v_min3_f32 v80, v83, v80, v202
	v_add_f64 v[83:84], v[16:17], v[56:57]
	v_cvt_f32_f64_e32 v85, v[87:88]
	v_add_f64 v[87:88], v[6:7], v[54:55]
	v_add_f64 v[54:55], v[2:3], v[54:55]
	v_cvt_f32_f64_e32 v83, v[83:84]
	v_cvt_f32_f64_e32 v87, v[87:88]
	;; [unrolled: 1-line block ×3, first 2 shown]
	v_min3_f32 v81, v81, v83, v201
	v_add_f64 v[83:84], v[12:13], v[56:57]
	v_cvt_f32_f64_e32 v83, v[83:84]
	v_min3_f32 v83, v85, v83, v200
	v_add_f64 v[84:85], v[8:9], v[56:57]
	v_add_f64 v[56:57], v[4:5], v[56:57]
	v_cvt_f32_f64_e32 v84, v[84:85]
	v_cvt_f32_f64_e32 v55, v[56:57]
	v_min3_f32 v84, v87, v84, v199
	v_min3_f32 v54, v54, v55, v198
	v_add_f64 v[55:56], v[36:37], v[52:53]
	v_add_f64 v[87:88], v[34:35], v[50:51]
	v_cvt_f32_f64_e32 v55, v[55:56]
	v_cvt_f32_f64_e32 v57, v[87:88]
	v_add_f64 v[87:88], v[30:31], v[50:51]
	v_min3_f32 v55, v57, v55, v197
	v_add_f64 v[56:57], v[32:33], v[52:53]
	v_cvt_f32_f64_e32 v85, v[87:88]
	v_add_f64 v[87:88], v[28:29], v[52:53]
	v_cvt_f32_f64_e32 v56, v[56:57]
	v_cvt_f32_f64_e32 v57, v[91:92]
	v_add_f64 v[91:92], v[18:19], v[50:51]
	v_min3_f32 v56, v85, v56, v196
	v_cvt_f32_f64_e32 v85, v[87:88]
	v_add_f64 v[87:88], v[20:21], v[52:53]
	v_min3_f32 v57, v57, v85, v195
	v_cvt_f32_f64_e32 v85, v[91:92]
	v_cvt_f32_f64_e32 v87, v[87:88]
	v_add_f64 v[91:92], v[14:15], v[50:51]
	v_min3_f32 v85, v85, v87, v118
	v_add_f64 v[87:88], v[16:17], v[52:53]
	v_cvt_f32_f64_e32 v89, v[91:92]
	v_add_f64 v[91:92], v[10:11], v[50:51]
	v_add_f64 v[50:51], v[2:3], v[50:51]
	v_cvt_f32_f64_e32 v87, v[87:88]
	v_cvt_f32_f64_e32 v91, v[91:92]
	;; [unrolled: 1-line block ×3, first 2 shown]
	v_min3_f32 v87, v89, v87, v119
	v_add_f64 v[88:89], v[12:13], v[52:53]
	v_cvt_f32_f64_e32 v88, v[88:89]
	v_cvt_f32_f64_e32 v89, v[95:96]
	v_add_f64 v[95:96], v[26:27], v[46:47]
	v_min3_f32 v88, v91, v88, v120
	v_add_f64 v[91:92], v[8:9], v[52:53]
	v_add_f64 v[52:53], v[4:5], v[52:53]
	v_cvt_f32_f64_e32 v91, v[91:92]
	v_cvt_f32_f64_e32 v51, v[52:53]
	v_min3_f32 v89, v89, v91, v121
	v_min3_f32 v50, v50, v51, v114
	v_add_f64 v[51:52], v[36:37], v[48:49]
	v_add_f64 v[91:92], v[34:35], v[46:47]
	v_cvt_f32_f64_e32 v51, v[51:52]
	v_cvt_f32_f64_e32 v53, v[91:92]
	v_add_f64 v[91:92], v[30:31], v[46:47]
	v_min3_f32 v51, v53, v51, v115
	v_add_f64 v[52:53], v[32:33], v[48:49]
	v_cvt_f32_f64_e32 v91, v[91:92]
	v_cvt_f32_f64_e32 v52, v[52:53]
	v_cvt_f32_f64_e32 v53, v[95:96]
	v_add_f64 v[95:96], v[18:19], v[46:47]
	v_min3_f32 v52, v91, v52, v116
	v_add_f64 v[91:92], v[28:29], v[48:49]
	v_cvt_f32_f64_e32 v93, v[95:96]
	v_add_f64 v[95:96], v[14:15], v[46:47]
	v_cvt_f32_f64_e32 v91, v[91:92]
	v_cvt_f32_f64_e32 v95, v[95:96]
	v_min3_f32 v53, v53, v91, v117
	v_add_f64 v[91:92], v[20:21], v[48:49]
	v_cvt_f32_f64_e32 v91, v[91:92]
	v_min3_f32 v91, v93, v91, v123
	v_add_f64 v[92:93], v[16:17], v[48:49]
	v_cvt_f32_f64_e32 v92, v[92:93]
	v_cvt_f32_f64_e32 v93, v[99:100]
	v_add_f64 v[99:100], v[6:7], v[46:47]
	v_add_f64 v[46:47], v[2:3], v[46:47]
	v_min3_f32 v92, v95, v92, v124
	v_add_f64 v[95:96], v[12:13], v[48:49]
	v_cvt_f32_f64_e32 v46, v[46:47]
	v_cvt_f32_f64_e32 v95, v[95:96]
	v_min3_f32 v150, v93, v95, v184
	v_add_f64 v[95:96], v[8:9], v[48:49]
	v_add_f64 v[48:49], v[4:5], v[48:49]
	v_cvt_f32_f64_e32 v93, v[99:100]
	v_add_f64 v[99:100], v[26:27], v[42:43]
	v_cvt_f32_f64_e32 v95, v[95:96]
	v_cvt_f32_f64_e32 v47, v[48:49]
	v_min3_f32 v151, v93, v95, v125
	v_min3_f32 v46, v46, v47, v112
	v_add_f64 v[47:48], v[36:37], v[44:45]
	v_add_f64 v[95:96], v[34:35], v[42:43]
	v_cvt_f32_f64_e32 v47, v[47:48]
	v_cvt_f32_f64_e32 v49, v[95:96]
	v_add_f64 v[95:96], v[30:31], v[42:43]
	v_min3_f32 v47, v49, v47, v113
	v_add_f64 v[48:49], v[32:33], v[44:45]
	v_cvt_f32_f64_e32 v93, v[95:96]
	v_add_f64 v[95:96], v[28:29], v[44:45]
	v_cvt_f32_f64_e32 v48, v[48:49]
	v_cvt_f32_f64_e32 v49, v[99:100]
	v_add_f64 v[99:100], v[18:19], v[42:43]
	v_min3_f32 v48, v93, v48, v126
	v_cvt_f32_f64_e32 v93, v[95:96]
	v_add_f64 v[95:96], v[20:21], v[44:45]
	v_min3_f32 v49, v49, v93, v127
	v_cvt_f32_f64_e32 v93, v[99:100]
	v_cvt_f32_f64_e32 v95, v[95:96]
	v_add_f64 v[99:100], v[14:15], v[42:43]
	v_min3_f32 v152, v93, v95, v128
	v_add_f64 v[95:96], v[16:17], v[44:45]
	v_cvt_f32_f64_e32 v93, v[99:100]
	v_add_f64 v[99:100], v[10:11], v[42:43]
	v_cvt_f32_f64_e32 v95, v[95:96]
	v_min3_f32 v153, v93, v95, v129
	v_add_f64 v[95:96], v[12:13], v[44:45]
	v_cvt_f32_f64_e32 v93, v[99:100]
	v_add_f64 v[99:100], v[6:7], v[42:43]
	v_add_f64 v[42:43], v[2:3], v[42:43]
	v_cvt_f32_f64_e32 v95, v[95:96]
	v_cvt_f32_f64_e32 v42, v[42:43]
	v_min3_f32 v154, v93, v95, v168
	v_add_f64 v[95:96], v[8:9], v[44:45]
	v_add_f64 v[44:45], v[4:5], v[44:45]
	v_cvt_f32_f64_e32 v93, v[99:100]
	v_add_f64 v[99:100], v[26:27], v[38:39]
	v_add_f64 v[26:27], v[26:27], v[22:23]
	v_cvt_f32_f64_e32 v95, v[95:96]
	v_cvt_f32_f64_e32 v43, v[44:45]
	v_cvt_f32_f64_e32 v26, v[26:27]
	v_min3_f32 v155, v93, v95, v167
	v_min3_f32 v42, v42, v43, v166
	v_add_f64 v[43:44], v[36:37], v[40:41]
	v_add_f64 v[95:96], v[34:35], v[38:39]
	;; [unrolled: 1-line block ×4, first 2 shown]
	v_cvt_f32_f64_e32 v43, v[43:44]
	v_cvt_f32_f64_e32 v45, v[95:96]
	v_add_f64 v[95:96], v[30:31], v[38:39]
	v_add_f64 v[30:31], v[30:31], v[22:23]
	v_cvt_f32_f64_e32 v34, v[34:35]
	v_cvt_f32_f64_e32 v35, v[36:37]
	v_min3_f32 v43, v45, v43, v165
	v_add_f64 v[44:45], v[32:33], v[40:41]
	v_cvt_f32_f64_e32 v93, v[95:96]
	v_add_f64 v[95:96], v[28:29], v[40:41]
	v_add_f64 v[32:33], v[32:33], v[24:25]
	;; [unrolled: 1-line block ×3, first 2 shown]
	v_cvt_f32_f64_e32 v30, v[30:31]
	v_min3_f32 v193, v34, v35, v98
	v_cvt_f32_f64_e32 v44, v[44:45]
	v_cvt_f32_f64_e32 v45, v[99:100]
	v_add_f64 v[99:100], v[18:19], v[38:39]
	v_add_f64 v[18:19], v[18:19], v[22:23]
	v_cvt_f32_f64_e32 v31, v[32:33]
	v_cvt_f32_f64_e32 v27, v[28:29]
	v_min3_f32 v44, v93, v44, v106
	v_cvt_f32_f64_e32 v93, v[95:96]
	v_add_f64 v[95:96], v[20:21], v[40:41]
	v_add_f64 v[20:21], v[20:21], v[24:25]
	v_cvt_f32_f64_e32 v18, v[18:19]
	v_min3_f32 v194, v30, v31, v94
	v_min3_f32 v195, v26, v27, v90
	;; [unrolled: 1-line block ×3, first 2 shown]
	v_cvt_f32_f64_e32 v93, v[99:100]
	v_cvt_f32_f64_e32 v95, v[95:96]
	v_add_f64 v[99:100], v[14:15], v[38:39]
	v_add_f64 v[14:15], v[14:15], v[22:23]
	v_cvt_f32_f64_e32 v19, v[20:21]
	v_min3_f32 v156, v93, v95, v108
	v_add_f64 v[95:96], v[16:17], v[40:41]
	v_cvt_f32_f64_e32 v93, v[99:100]
	v_add_f64 v[99:100], v[10:11], v[38:39]
	v_add_f64 v[16:17], v[16:17], v[24:25]
	;; [unrolled: 1-line block ×3, first 2 shown]
	v_cvt_f32_f64_e32 v14, v[14:15]
	v_min3_f32 v196, v18, v19, v86
	v_cvt_f32_f64_e32 v95, v[95:96]
	v_cvt_f32_f64_e32 v15, v[16:17]
	;; [unrolled: 1-line block ×3, first 2 shown]
	v_min3_f32 v157, v93, v95, v109
	v_add_f64 v[95:96], v[12:13], v[40:41]
	v_cvt_f32_f64_e32 v93, v[99:100]
	v_add_f64 v[99:100], v[6:7], v[38:39]
	v_add_f64 v[38:39], v[2:3], v[38:39]
	v_add_f64 v[12:13], v[12:13], v[24:25]
	v_add_f64 v[6:7], v[6:7], v[22:23]
	v_add_f64 v[2:3], v[2:3], v[22:23]
	v_min3_f32 v197, v14, v15, v82
	v_cvt_f32_f64_e32 v95, v[95:96]
	v_cvt_f32_f64_e32 v38, v[38:39]
	;; [unrolled: 1-line block ×5, first 2 shown]
	v_min3_f32 v158, v93, v95, v110
	v_add_f64 v[95:96], v[8:9], v[40:41]
	v_add_f64 v[40:41], v[4:5], v[40:41]
	;; [unrolled: 1-line block ×4, first 2 shown]
	v_cvt_f32_f64_e32 v93, v[99:100]
	v_min3_f32 v198, v10, v11, v78
	v_cvt_f32_f64_e32 v95, v[95:96]
	v_cvt_f32_f64_e32 v39, v[40:41]
	;; [unrolled: 1-line block ×4, first 2 shown]
	v_min3_f32 v174, v93, v95, v111
	v_min3_f32 v176, v38, v39, v102
	;; [unrolled: 1-line block ×4, first 2 shown]
	ds_read_b128 v[6:9], v172 offset:256
	ds_read_b128 v[10:13], v172 offset:512
	;; [unrolled: 1-line block ×14, first 2 shown]
	ds_read_b128 v[97:100], v147
	ds_read_b128 v[34:37], v147 offset:16
	ds_read_b128 v[189:192], v172
	ds_read_b128 v[2:5], v172 offset:16
	s_waitcnt lgkmcnt(1)
	v_add_f64 v[101:102], v[191:192], v[99:100]
	v_add_f64 v[103:104], v[189:190], v[97:98]
	v_cvt_f32_f64_e32 v73, v[101:102]
	v_cvt_f32_f64_e32 v71, v[103:104]
	v_add_f64 v[101:102], v[8:9], v[99:100]
	v_add_f64 v[103:104], v[6:7], v[97:98]
	v_min3_f32 v129, v71, v73, v66
	v_cvt_f32_f64_e32 v71, v[101:102]
	v_cvt_f32_f64_e32 v66, v[103:104]
	v_add_f64 v[101:102], v[10:11], v[97:98]
	v_min3_f32 v128, v66, v71, v67
	v_add_f64 v[66:67], v[12:13], v[99:100]
	v_cvt_f32_f64_e32 v71, v[101:102]
	v_add_f64 v[101:102], v[14:15], v[97:98]
	v_cvt_f32_f64_e32 v66, v[66:67]
	v_min3_f32 v127, v71, v66, v68
	v_add_f64 v[66:67], v[16:17], v[99:100]
	v_cvt_f32_f64_e32 v68, v[101:102]
	v_cvt_f32_f64_e32 v66, v[66:67]
	v_min3_f32 v126, v68, v66, v69
	v_add_f64 v[66:67], v[20:21], v[99:100]
	v_add_f64 v[68:69], v[18:19], v[97:98]
	v_cvt_f32_f64_e32 v66, v[66:67]
	v_cvt_f32_f64_e32 v68, v[68:69]
	v_min3_f32 v125, v68, v66, v70
	v_add_f64 v[66:67], v[24:25], v[99:100]
	;; [unrolled: 5-line block ×11, first 2 shown]
	v_add_f64 v[64:65], v[26:27], v[38:39]
	v_add_f64 v[40:41], v[32:33], v[40:41]
	;; [unrolled: 1-line block ×3, first 2 shown]
	v_cvt_f32_f64_e32 v62, v[62:63]
	v_cvt_f32_f64_e32 v64, v[64:65]
	;; [unrolled: 1-line block ×4, first 2 shown]
	v_add_f64 v[40:41], v[189:190], v[93:94]
	v_min3_f32 v115, v64, v62, v79
	v_min3_f32 v114, v38, v39, v58
	v_add_f64 v[38:39], v[191:192], v[95:96]
	v_cvt_f32_f64_e32 v40, v[40:41]
	v_cvt_f32_f64_e32 v38, v[38:39]
	v_min3_f32 v113, v40, v38, v59
	v_add_f64 v[38:39], v[8:9], v[95:96]
	v_add_f64 v[40:41], v[6:7], v[93:94]
	v_cvt_f32_f64_e32 v38, v[38:39]
	v_cvt_f32_f64_e32 v40, v[40:41]
	v_min3_f32 v112, v40, v38, v60
	v_add_f64 v[38:39], v[12:13], v[95:96]
	;; [unrolled: 5-line block ×23, first 2 shown]
	v_add_f64 v[40:41], v[30:31], v[163:164]
	s_waitcnt lgkmcnt(0)
	v_add_f64 v[150:151], v[4:5], v[36:37]
	v_cvt_f32_f64_e32 v38, v[38:39]
	v_cvt_f32_f64_e32 v40, v[40:41]
	;; [unrolled: 1-line block ×3, first 2 shown]
	v_min3_f32 v90, v40, v38, v46
	v_add_f64 v[38:39], v[191:192], v[169:170]
	v_add_f64 v[40:41], v[189:190], v[167:168]
	v_cvt_f32_f64_e32 v38, v[38:39]
	v_cvt_f32_f64_e32 v40, v[40:41]
	v_min3_f32 v89, v40, v38, v47
	v_add_f64 v[38:39], v[8:9], v[169:170]
	v_add_f64 v[40:41], v[6:7], v[167:168]
	v_cvt_f32_f64_e32 v38, v[38:39]
	v_cvt_f32_f64_e32 v40, v[40:41]
	;; [unrolled: 5-line block ×5, first 2 shown]
	v_min3_f32 v85, v40, v38, v153
	v_add_f64 v[38:39], v[24:25], v[169:170]
	v_add_f64 v[40:41], v[22:23], v[167:168]
	;; [unrolled: 1-line block ×3, first 2 shown]
	v_cvt_f32_f64_e32 v38, v[38:39]
	v_cvt_f32_f64_e32 v40, v[40:41]
	;; [unrolled: 1-line block ×3, first 2 shown]
	v_min3_f32 v84, v40, v38, v154
	v_add_f64 v[38:39], v[28:29], v[169:170]
	v_add_f64 v[40:41], v[26:27], v[167:168]
	v_min3_f32 v221, v152, v150, v129
	v_cvt_f32_f64_e32 v38, v[38:39]
	v_cvt_f32_f64_e32 v40, v[40:41]
	v_min3_f32 v83, v40, v38, v155
	v_add_f64 v[38:39], v[32:33], v[169:170]
	v_add_f64 v[40:41], v[30:31], v[167:168]
	v_cvt_f32_f64_e32 v38, v[38:39]
	v_cvt_f32_f64_e32 v40, v[40:41]
	v_min3_f32 v82, v40, v38, v42
	v_add_f64 v[38:39], v[191:192], v[183:184]
	v_add_f64 v[40:41], v[189:190], v[181:182]
	;; [unrolled: 5-line block ×3, first 2 shown]
	v_add_f64 v[8:9], v[8:9], v[187:188]
	v_add_f64 v[6:7], v[6:7], v[185:186]
	v_cvt_f32_f64_e32 v38, v[38:39]
	v_cvt_f32_f64_e32 v40, v[40:41]
	;; [unrolled: 1-line block ×4, first 2 shown]
	v_add_f64 v[8:9], v[10:11], v[185:186]
	v_min3_f32 v80, v40, v38, v44
	v_add_f64 v[38:39], v[12:13], v[183:184]
	v_add_f64 v[40:41], v[10:11], v[181:182]
	v_min3_f32 v72, v6, v7, v194
	v_add_f64 v[6:7], v[12:13], v[187:188]
	v_cvt_f32_f64_e32 v8, v[8:9]
	v_cvt_f32_f64_e32 v38, v[38:39]
	v_cvt_f32_f64_e32 v40, v[40:41]
	v_cvt_f32_f64_e32 v6, v[6:7]
	v_min3_f32 v79, v40, v38, v45
	v_add_f64 v[38:39], v[16:17], v[183:184]
	v_add_f64 v[40:41], v[14:15], v[181:182]
	v_min3_f32 v71, v8, v6, v195
	v_add_f64 v[6:7], v[16:17], v[187:188]
	v_add_f64 v[8:9], v[14:15], v[185:186]
	v_cvt_f32_f64_e32 v38, v[38:39]
	v_cvt_f32_f64_e32 v40, v[40:41]
	v_cvt_f32_f64_e32 v6, v[6:7]
	v_cvt_f32_f64_e32 v8, v[8:9]
	v_min3_f32 v78, v40, v38, v156
	v_add_f64 v[38:39], v[20:21], v[183:184]
	v_add_f64 v[40:41], v[18:19], v[181:182]
	v_min3_f32 v70, v8, v6, v196
	v_add_f64 v[6:7], v[20:21], v[187:188]
	;; [unrolled: 10-line block ×5, first 2 shown]
	v_add_f64 v[8:9], v[30:31], v[185:186]
	v_cvt_f32_f64_e32 v38, v[38:39]
	v_cvt_f32_f64_e32 v40, v[40:41]
	;; [unrolled: 1-line block ×4, first 2 shown]
	v_min3_f32 v74, v40, v38, v176
	v_add_f64 v[38:39], v[191:192], v[187:188]
	v_add_f64 v[40:41], v[189:190], v[185:186]
	v_min3_f32 v66, v8, v6, v200
	v_cvt_f32_f64_e32 v38, v[38:39]
	v_cvt_f32_f64_e32 v40, v[40:41]
	v_min3_f32 v73, v40, v38, v193
	ds_read_b128 v[22:25], v172 offset:272
	ds_read_b128 v[18:21], v172 offset:528
	;; [unrolled: 1-line block ×14, first 2 shown]
	ds_write_b64 v173, v[138:139]
	ds_write2st64_b64 v175, v[136:137], v[140:141] offset1:4
	ds_write2st64_b64 v175, v[142:143], v[144:145] offset0:8 offset1:12
	s_waitcnt lgkmcnt(0)
	s_barrier
	buffer_gl0_inv
	v_add_f64 v[150:151], v[24:25], v[36:37]
	v_add_f64 v[152:153], v[22:23], v[34:35]
	v_cvt_f32_f64_e32 v150, v[150:151]
	v_cvt_f32_f64_e32 v129, v[152:153]
	v_min3_f32 v220, v129, v150, v128
	v_add_f64 v[128:129], v[20:21], v[36:37]
	v_add_f64 v[150:151], v[18:19], v[34:35]
	v_cvt_f32_f64_e32 v128, v[128:129]
	v_cvt_f32_f64_e32 v150, v[150:151]
	v_min3_f32 v219, v150, v128, v127
	;; [unrolled: 5-line block ×5, first 2 shown]
	v_add_f64 v[124:125], v[32:33], v[36:37]
	v_add_f64 v[126:127], v[30:31], v[34:35]
	;; [unrolled: 1-line block ×4, first 2 shown]
	v_cvt_f32_f64_e32 v124, v[124:125]
	v_cvt_f32_f64_e32 v126, v[126:127]
	;; [unrolled: 1-line block ×4, first 2 shown]
	v_add_f64 v[36:37], v[2:3], v[62:63]
	v_min3_f32 v215, v126, v124, v123
	v_min3_f32 v214, v34, v35, v122
	v_add_f64 v[34:35], v[4:5], v[64:65]
	v_cvt_f32_f64_e32 v36, v[36:37]
	v_cvt_f32_f64_e32 v34, v[34:35]
	v_min3_f32 v213, v36, v34, v121
	v_add_f64 v[34:35], v[24:25], v[64:65]
	v_add_f64 v[36:37], v[22:23], v[62:63]
	v_cvt_f32_f64_e32 v34, v[34:35]
	v_cvt_f32_f64_e32 v36, v[36:37]
	v_min3_f32 v212, v36, v34, v120
	v_add_f64 v[34:35], v[20:21], v[64:65]
	;; [unrolled: 5-line block ×40, first 2 shown]
	v_add_f64 v[36:37], v[2:3], v[42:43]
	v_add_f64 v[4:5], v[4:5], v[40:41]
	;; [unrolled: 1-line block ×3, first 2 shown]
	v_cvt_f32_f64_e32 v34, v[34:35]
	v_cvt_f32_f64_e32 v36, v[36:37]
	;; [unrolled: 1-line block ×4, first 2 shown]
	v_add_f64 v[4:5], v[22:23], v[38:39]
	v_min3_f32 v165, v36, v34, v81
	v_add_f64 v[34:35], v[24:25], v[44:45]
	v_add_f64 v[36:37], v[22:23], v[42:43]
	v_min3_f32 v157, v2, v3, v73
	v_add_f64 v[2:3], v[24:25], v[40:41]
	v_cvt_f32_f64_e32 v4, v[4:5]
	v_cvt_f32_f64_e32 v34, v[34:35]
	v_cvt_f32_f64_e32 v36, v[36:37]
	v_cvt_f32_f64_e32 v2, v[2:3]
	v_min3_f32 v164, v36, v34, v80
	v_add_f64 v[34:35], v[20:21], v[44:45]
	v_add_f64 v[36:37], v[18:19], v[42:43]
	v_min3_f32 v156, v4, v2, v72
	v_add_f64 v[2:3], v[20:21], v[40:41]
	v_add_f64 v[4:5], v[18:19], v[38:39]
	v_cvt_f32_f64_e32 v34, v[34:35]
	v_cvt_f32_f64_e32 v36, v[36:37]
	v_cvt_f32_f64_e32 v2, v[2:3]
	v_cvt_f32_f64_e32 v4, v[4:5]
	v_min3_f32 v163, v36, v34, v79
	v_add_f64 v[34:35], v[16:17], v[44:45]
	v_add_f64 v[36:37], v[14:15], v[42:43]
	v_min3_f32 v155, v4, v2, v71
	v_add_f64 v[2:3], v[16:17], v[40:41]
	;; [unrolled: 10-line block ×6, first 2 shown]
	v_add_f64 v[4:5], v[26:27], v[38:39]
	v_cvt_f32_f64_e32 v34, v[34:35]
	v_cvt_f32_f64_e32 v36, v[36:37]
	;; [unrolled: 1-line block ×4, first 2 shown]
	v_min3_f32 v158, v36, v34, v74
	v_min3_f32 v150, v4, v2, v66
	s_cbranch_scc1 .LBB173_59
.LBB173_35:                             ; =>This Inner Loop Header: Depth=1
	v_add_nc_u32_e32 v222, s27, v146
                                        ; implicit-def: $vgpr136_vgpr137
	v_add_nc_u32_e32 v2, 8, v222
	v_cmp_le_i32_e64 s6, s14, v2
	s_or_b32 s33, vcc_lo, s6
	s_nor_b32 s8, s29, s33
	s_and_saveexec_b32 s34, s8
	s_xor_b32 s34, exec_lo, s34
	s_cbranch_execz .LBB173_37
; %bb.36:                               ;   in Loop: Header=BB173_35 Depth=1
	v_add_co_u32 v3, s8, v177, v132
	v_add_co_ci_u32_e64 v4, null, v178, v133, s8
	global_load_dwordx2 v[3:4], v[3:4], off
	s_waitcnt vmcnt(0)
	v_mul_f64 v[136:137], s[20:21], v[3:4]
.LBB173_37:                             ;   in Loop: Header=BB173_35 Depth=1
	s_andn2_saveexec_b32 s8, s34
; %bb.38:                               ;   in Loop: Header=BB173_35 Depth=1
	v_cndmask_b32_e64 v137, 0, 0x7fefffff, s33
	v_cndmask_b32_e64 v136, 0, -1, s33
; %bb.39:                               ;   in Loop: Header=BB173_35 Depth=1
	s_or_b32 exec_lo, exec_lo, s8
	v_min_i32_e32 v2, s26, v2
	s_or_b32 s33, s0, s6
	v_cndmask_b32_e64 v139, 0, 0x7fefffff, s33
	v_cndmask_b32_e64 v138, 0, -1, s33
	v_mad_i64_i32 v[2:3], null, v2, s30, 0
	v_lshlrev_b64 v[2:3], 3, v[2:3]
	v_add_co_u32 v2, s8, s24, v2
	v_add_co_ci_u32_e64 v3, null, s25, v3, s8
	s_nor_b32 s8, s29, s33
	s_and_saveexec_b32 s33, s8
	s_cbranch_execz .LBB173_41
; %bb.40:                               ;   in Loop: Header=BB173_35 Depth=1
	v_add_co_u32 v4, s8, v2, v134
	v_add_co_ci_u32_e64 v5, null, v3, v135, s8
	global_load_dwordx2 v[4:5], v[4:5], off
	s_waitcnt vmcnt(0)
	v_mul_f64 v[138:139], s[20:21], v[4:5]
.LBB173_41:                             ;   in Loop: Header=BB173_35 Depth=1
	s_or_b32 exec_lo, exec_lo, s33
	s_or_b32 s8, s1, s6
	v_cndmask_b32_e64 v141, 0, 0x7fefffff, s8
	v_cndmask_b32_e64 v140, 0, -1, s8
	s_nor_b32 s8, s29, s8
	s_and_saveexec_b32 s33, s8
	s_cbranch_execz .LBB173_43
; %bb.42:                               ;   in Loop: Header=BB173_35 Depth=1
	v_add_co_u32 v4, s8, v2, v134
	v_add_co_ci_u32_e64 v5, null, v3, v135, s8
	global_load_dwordx2 v[4:5], v[4:5], off offset:512
	s_waitcnt vmcnt(0)
	v_mul_f64 v[140:141], s[20:21], v[4:5]
.LBB173_43:                             ;   in Loop: Header=BB173_35 Depth=1
	s_or_b32 exec_lo, exec_lo, s33
	s_or_b32 s8, s2, s6
	v_cndmask_b32_e64 v143, 0, 0x7fefffff, s8
	v_cndmask_b32_e64 v142, 0, -1, s8
	s_nor_b32 s8, s29, s8
	s_and_saveexec_b32 s33, s8
	s_cbranch_execz .LBB173_45
; %bb.44:                               ;   in Loop: Header=BB173_35 Depth=1
	v_add_co_u32 v4, s8, v2, v134
	v_add_co_ci_u32_e64 v5, null, v3, v135, s8
	global_load_dwordx2 v[4:5], v[4:5], off offset:1024
	s_waitcnt vmcnt(0)
	v_mul_f64 v[142:143], s[20:21], v[4:5]
.LBB173_45:                             ;   in Loop: Header=BB173_35 Depth=1
	;; [unrolled: 14-line block ×3, first 2 shown]
	s_or_b32 exec_lo, exec_lo, s8
	ds_read_b128 v[126:129], v180
	ds_read_b128 v[62:65], v180 offset:16
	ds_read_b128 v[98:101], v179
	ds_read_b128 v[34:37], v179 offset:16
	ds_read_b128 v[94:97], v179 offset:256
	ds_read_b128 v[30:33], v179 offset:272
	ds_read_b128 v[90:93], v179 offset:512
	ds_read_b128 v[26:29], v179 offset:528
	ds_read_b128 v[86:89], v179 offset:768
	ds_read_b128 v[18:21], v179 offset:784
	ds_read_b128 v[82:85], v179 offset:1024
	ds_read_b128 v[14:17], v179 offset:1040
	ds_read_b128 v[78:81], v179 offset:1280
	ds_read_b128 v[10:13], v179 offset:1296
	ds_read_b128 v[70:73], v179 offset:1536
	ds_read_b128 v[6:9], v179 offset:1552
	ds_read_b128 v[66:69], v179 offset:1792
	ds_read_b128 v[2:5], v179 offset:1808
	ds_read_b128 v[122:125], v180 offset:1024
	ds_read_b128 v[58:61], v180 offset:1040
	ds_read_b128 v[118:121], v180 offset:2048
	ds_read_b128 v[54:57], v180 offset:2064
	ds_read_b128 v[114:117], v180 offset:3072
	ds_read_b128 v[50:53], v180 offset:3088
	ds_read_b128 v[110:113], v180 offset:4096
	ds_read_b128 v[46:49], v180 offset:4112
	ds_read_b128 v[106:109], v180 offset:5120
	ds_read_b128 v[42:45], v180 offset:5136
	ds_read_b128 v[102:105], v180 offset:6144
	ds_read_b128 v[38:41], v180 offset:6160
	ds_read_b128 v[74:77], v180 offset:7168
	ds_read_b128 v[22:25], v180 offset:7184
	v_add_nc_u32_e32 v222, 12, v222
	ds_write_b64 v171, v[136:137]
	ds_write2st64_b64 v149, v[138:139], v[140:141] offset1:4
	ds_write2st64_b64 v149, v[142:143], v[144:145] offset0:8 offset1:12
	s_waitcnt lgkmcnt(0)
	s_barrier
	buffer_gl0_inv
	v_cmp_le_i32_e64 s6, s14, v222
                                        ; implicit-def: $vgpr138_vgpr139
	s_or_b32 s33, vcc_lo, s6
	s_nor_b32 s8, s29, s33
	s_and_saveexec_b32 s34, s8
	s_xor_b32 s34, exec_lo, s34
	s_cbranch_execz .LBB173_49
; %bb.48:                               ;   in Loop: Header=BB173_35 Depth=1
	v_add_co_u32 v136, s8, v177, v130
	v_add_co_ci_u32_e64 v137, null, v178, v131, s8
	global_load_dwordx2 v[136:137], v[136:137], off
	s_waitcnt vmcnt(0)
	v_mul_f64 v[138:139], s[20:21], v[136:137]
.LBB173_49:                             ;   in Loop: Header=BB173_35 Depth=1
	s_andn2_saveexec_b32 s8, s34
; %bb.50:                               ;   in Loop: Header=BB173_35 Depth=1
	v_cndmask_b32_e64 v139, 0, 0x7fefffff, s33
	v_cndmask_b32_e64 v138, 0, -1, s33
; %bb.51:                               ;   in Loop: Header=BB173_35 Depth=1
	s_or_b32 exec_lo, exec_lo, s8
	v_min_i32_e32 v136, s26, v222
	s_or_b32 s33, s0, s6
	v_mad_i64_i32 v[136:137], null, v136, s30, 0
	v_lshlrev_b64 v[140:141], 3, v[136:137]
	v_cndmask_b32_e64 v137, 0, 0x7fefffff, s33
	v_cndmask_b32_e64 v136, 0, -1, s33
	v_add_co_u32 v222, s8, s24, v140
	v_add_co_ci_u32_e64 v223, null, s25, v141, s8
	s_nor_b32 s8, s29, s33
	s_and_saveexec_b32 s33, s8
	s_cbranch_execz .LBB173_53
; %bb.52:                               ;   in Loop: Header=BB173_35 Depth=1
	v_add_co_u32 v136, s8, v222, v134
	v_add_co_ci_u32_e64 v137, null, v223, v135, s8
	global_load_dwordx2 v[136:137], v[136:137], off
	s_waitcnt vmcnt(0)
	v_mul_f64 v[136:137], s[20:21], v[136:137]
.LBB173_53:                             ;   in Loop: Header=BB173_35 Depth=1
	s_or_b32 exec_lo, exec_lo, s33
	s_or_b32 s8, s1, s6
	v_cndmask_b32_e64 v141, 0, 0x7fefffff, s8
	v_cndmask_b32_e64 v140, 0, -1, s8
	s_nor_b32 s8, s29, s8
	s_and_saveexec_b32 s33, s8
	s_cbranch_execz .LBB173_55
; %bb.54:                               ;   in Loop: Header=BB173_35 Depth=1
	v_add_co_u32 v140, s8, v222, v134
	v_add_co_ci_u32_e64 v141, null, v223, v135, s8
	global_load_dwordx2 v[140:141], v[140:141], off offset:512
	s_waitcnt vmcnt(0)
	v_mul_f64 v[140:141], s[20:21], v[140:141]
.LBB173_55:                             ;   in Loop: Header=BB173_35 Depth=1
	s_or_b32 exec_lo, exec_lo, s33
	s_or_b32 s8, s2, s6
	v_cndmask_b32_e64 v143, 0, 0x7fefffff, s8
	v_cndmask_b32_e64 v142, 0, -1, s8
	s_nor_b32 s8, s29, s8
	s_and_saveexec_b32 s33, s8
	s_cbranch_execz .LBB173_57
; %bb.56:                               ;   in Loop: Header=BB173_35 Depth=1
	v_add_co_u32 v142, s8, v222, v134
	v_add_co_ci_u32_e64 v143, null, v223, v135, s8
	global_load_dwordx2 v[142:143], v[142:143], off offset:1024
	s_waitcnt vmcnt(0)
	v_mul_f64 v[142:143], s[20:21], v[142:143]
.LBB173_57:                             ;   in Loop: Header=BB173_35 Depth=1
	s_or_b32 exec_lo, exec_lo, s33
	s_or_b32 s6, s3, s6
	v_cndmask_b32_e64 v145, 0, 0x7fefffff, s6
	v_cndmask_b32_e64 v144, 0, -1, s6
	s_nor_b32 s6, s29, s6
	s_and_saveexec_b32 s8, s6
	s_cbranch_execz .LBB173_34
; %bb.58:                               ;   in Loop: Header=BB173_35 Depth=1
	v_add_co_u32 v144, s6, v222, v134
	v_add_co_ci_u32_e64 v145, null, v223, v135, s6
	global_load_dwordx2 v[144:145], v[144:145], off offset:1536
	s_waitcnt vmcnt(0)
	v_mul_f64 v[144:145], s[20:21], v[144:145]
	s_branch .LBB173_34
.LBB173_59:
	s_clause 0x2
	s_load_dwordx2 s[0:1], s[4:5], 0x78
	s_load_dword s16, s[4:5], 0x58
	s_load_dword s14, s[4:5], 0x70
	ds_read_b128 v[70:73], v148 offset:18432
	ds_read_b128 v[66:69], v148 offset:18448
	;; [unrolled: 1-line block ×16, first 2 shown]
	v_add_nc_u32_e32 v145, s28, v1
	ds_read_b128 v[6:9], v148 offset:20224
	ds_read_b128 v[2:5], v148 offset:20240
	;; [unrolled: 1-line block ×16, first 2 shown]
	v_add_nc_u32_e32 v0, s15, v0
	v_cmp_gt_i32_e64 s8, s13, v145
	v_cndmask_b32_e64 v144, 0, 1, s9
	v_ashrrev_i32_e32 v1, 31, v0
	s_waitcnt lgkmcnt(0)
	s_mul_i32 s1, s1, s7
	v_mad_i64_i32 v[130:131], null, v145, s16, 0
	v_mad_i64_i32 v[132:133], null, v145, s14, 0
	s_mul_hi_u32 s2, s0, s7
	s_mul_i32 s0, s0, s7
	s_add_i32 s1, s2, s1
	s_lshl_b64 s[0:1], s[0:1], 3
	v_lshlrev_b64 v[130:131], 3, v[130:131]
	v_lshlrev_b64 v[132:133], 3, v[132:133]
	s_add_u32 s17, s18, s0
	s_addc_u32 s15, s19, s1
	v_cmp_gt_i32_e64 s0, s12, v0
	v_add_co_u32 v148, vcc_lo, s22, v130
	v_add_co_ci_u32_e64 v149, null, s23, v131, vcc_lo
	v_add_co_u32 v146, vcc_lo, s17, v132
	v_add_co_ci_u32_e64 v147, null, s15, v133, vcc_lo
	s_and_b32 s2, s0, s8
	s_and_saveexec_b32 s1, s2
	s_cbranch_execz .LBB173_64
; %bb.60:
	s_andn2_b32 vcc_lo, exec_lo, s9
	s_cbranch_vccnz .LBB173_62
; %bb.61:
	v_lshlrev_b64 v[130:131], 3, v[0:1]
	v_add_co_u32 v130, vcc_lo, v148, v130
	v_add_co_ci_u32_e64 v131, null, v149, v131, vcc_lo
	global_load_dwordx2 v[130:131], v[130:131], off
	s_waitcnt vmcnt(0)
	v_mul_f64 v[130:131], s[10:11], v[130:131]
	v_cvt_f32_f64_e32 v130, v[130:131]
	s_branch .LBB173_63
.LBB173_62:
	v_mov_b32_e32 v130, 0
.LBB173_63:
	v_add_f64 v[131:132], v[70:71], v[126:127]
	v_add_f64 v[133:134], v[72:73], v[128:129]
	;; [unrolled: 1-line block ×4, first 2 shown]
	v_cvt_f32_f64_e32 v131, v[131:132]
	v_cvt_f32_f64_e32 v132, v[133:134]
	;; [unrolled: 1-line block ×4, first 2 shown]
	v_min3_f32 v131, v131, v132, v221
	v_min_f32_e32 v132, v133, v134
	v_min3_f32 v130, v130, v132, v131
	v_lshlrev_b64 v[132:133], 3, v[0:1]
	v_cvt_f64_f32_e32 v[130:131], v130
	v_add_co_u32 v132, vcc_lo, v146, v132
	v_add_co_ci_u32_e64 v133, null, v147, v133, vcc_lo
	global_store_dwordx2 v[132:133], v[130:131], off
.LBB173_64:
	s_or_b32 exec_lo, exec_lo, s1
	v_add_nc_u32_e32 v130, 8, v0
	v_cmp_gt_i32_e64 s1, s12, v130
	v_ashrrev_i32_e32 v131, 31, v130
	s_and_b32 s3, s1, s8
	s_and_saveexec_b32 s2, s3
	s_cbranch_execz .LBB173_69
; %bb.65:
	v_cmp_ne_u32_e32 vcc_lo, 1, v144
	s_cbranch_vccnz .LBB173_67
; %bb.66:
	v_lshlrev_b64 v[132:133], 3, v[130:131]
	v_add_co_u32 v132, vcc_lo, v148, v132
	v_add_co_ci_u32_e64 v133, null, v149, v133, vcc_lo
	global_load_dwordx2 v[132:133], v[132:133], off
	s_waitcnt vmcnt(0)
	v_mul_f64 v[132:133], s[10:11], v[132:133]
	v_cvt_f32_f64_e32 v132, v[132:133]
	s_branch .LBB173_68
.LBB173_67:
	v_mov_b32_e32 v132, 0
.LBB173_68:
	v_add_f64 v[133:134], v[62:63], v[126:127]
	v_add_f64 v[135:136], v[64:65], v[128:129]
	v_add_f64 v[137:138], v[58:59], v[122:123]
	v_add_f64 v[139:140], v[60:61], v[124:125]
	v_cvt_f32_f64_e32 v133, v[133:134]
	v_cvt_f32_f64_e32 v134, v[135:136]
	v_cvt_f32_f64_e32 v135, v[137:138]
	v_cvt_f32_f64_e32 v136, v[139:140]
	v_min3_f32 v133, v133, v134, v220
	v_min_f32_e32 v134, v135, v136
	v_min3_f32 v132, v132, v134, v133
	v_lshlrev_b64 v[134:135], 3, v[130:131]
	v_cvt_f64_f32_e32 v[132:133], v132
	v_add_co_u32 v134, vcc_lo, v146, v134
	v_add_co_ci_u32_e64 v135, null, v147, v135, vcc_lo
	global_store_dwordx2 v[134:135], v[132:133], off
.LBB173_69:
	s_or_b32 exec_lo, exec_lo, s2
	v_add_nc_u32_e32 v132, 16, v0
	v_cmp_gt_i32_e64 s2, s12, v132
	v_ashrrev_i32_e32 v133, 31, v132
	s_and_b32 s4, s2, s8
	s_and_saveexec_b32 s3, s4
	s_cbranch_execz .LBB173_74
; %bb.70:
	v_cmp_ne_u32_e32 vcc_lo, 1, v144
	s_cbranch_vccnz .LBB173_72
; %bb.71:
	v_lshlrev_b64 v[134:135], 3, v[132:133]
	v_add_co_u32 v134, vcc_lo, v148, v134
	v_add_co_ci_u32_e64 v135, null, v149, v135, vcc_lo
	global_load_dwordx2 v[134:135], v[134:135], off
	s_waitcnt vmcnt(0)
	v_mul_f64 v[134:135], s[10:11], v[134:135]
	v_cvt_f32_f64_e32 v134, v[134:135]
	s_branch .LBB173_73
.LBB173_72:
	v_mov_b32_e32 v134, 0
.LBB173_73:
	v_add_f64 v[135:136], v[54:55], v[126:127]
	v_add_f64 v[137:138], v[56:57], v[128:129]
	v_add_f64 v[139:140], v[50:51], v[122:123]
	v_add_f64 v[141:142], v[52:53], v[124:125]
	v_cvt_f32_f64_e32 v135, v[135:136]
	v_cvt_f32_f64_e32 v136, v[137:138]
	v_cvt_f32_f64_e32 v137, v[139:140]
	v_cvt_f32_f64_e32 v138, v[141:142]
	v_min3_f32 v135, v135, v136, v219
	v_min_f32_e32 v136, v137, v138
	v_min3_f32 v134, v134, v136, v135
	v_lshlrev_b64 v[136:137], 3, v[132:133]
	v_cvt_f64_f32_e32 v[134:135], v134
	v_add_co_u32 v136, vcc_lo, v146, v136
	v_add_co_ci_u32_e64 v137, null, v147, v137, vcc_lo
	global_store_dwordx2 v[136:137], v[134:135], off
.LBB173_74:
	;; [unrolled: 39-line block ×7, first 2 shown]
	s_or_b32 exec_lo, exec_lo, s8
	v_add_nc_u32_e32 v126, 32, v145
	v_mad_i64_i32 v[122:123], null, v126, s16, 0
	v_mad_i64_i32 v[124:125], null, v126, s14, 0
	v_cmp_gt_i32_e64 s8, s13, v126
	v_lshlrev_b64 v[122:123], 3, v[122:123]
	s_and_b32 s12, s0, s8
	v_lshlrev_b64 v[126:127], 3, v[124:125]
	v_add_co_u32 v124, vcc_lo, s22, v122
	v_add_co_ci_u32_e64 v125, null, s23, v123, vcc_lo
	v_add_co_u32 v122, vcc_lo, s17, v126
	v_add_co_ci_u32_e64 v123, null, s15, v127, vcc_lo
	s_and_saveexec_b32 s9, s12
	s_cbranch_execnz .LBB173_107
; %bb.100:
	s_or_b32 exec_lo, exec_lo, s9
	s_and_b32 s12, s1, s8
	s_and_saveexec_b32 s9, s12
	s_cbranch_execnz .LBB173_111
.LBB173_101:
	s_or_b32 exec_lo, exec_lo, s9
	s_and_b32 s12, s2, s8
	s_and_saveexec_b32 s9, s12
	s_cbranch_execnz .LBB173_115
.LBB173_102:
	s_or_b32 exec_lo, exec_lo, s9
	s_and_b32 s12, s3, s8
	s_and_saveexec_b32 s9, s12
	s_cbranch_execnz .LBB173_119
.LBB173_103:
	s_or_b32 exec_lo, exec_lo, s9
	s_and_b32 s12, s4, s8
	s_and_saveexec_b32 s9, s12
	s_cbranch_execnz .LBB173_123
.LBB173_104:
	s_or_b32 exec_lo, exec_lo, s9
	s_and_b32 s12, s5, s8
	s_and_saveexec_b32 s9, s12
	s_cbranch_execnz .LBB173_127
.LBB173_105:
	s_or_b32 exec_lo, exec_lo, s9
	s_and_b32 s12, s6, s8
	s_and_saveexec_b32 s9, s12
	s_cbranch_execnz .LBB173_131
.LBB173_106:
	s_or_b32 exec_lo, exec_lo, s9
	s_and_b32 s9, s7, s8
	s_and_saveexec_b32 s8, s9
	s_cbranch_execnz .LBB173_135
	s_branch .LBB173_139
.LBB173_107:
	v_cmp_ne_u32_e32 vcc_lo, 1, v144
	s_cbranch_vccnz .LBB173_109
; %bb.108:
	v_lshlrev_b64 v[126:127], 3, v[0:1]
	v_add_co_u32 v126, vcc_lo, v124, v126
	v_add_co_ci_u32_e64 v127, null, v125, v127, vcc_lo
	global_load_dwordx2 v[126:127], v[126:127], off
	s_waitcnt vmcnt(0)
	v_mul_f64 v[126:127], s[10:11], v[126:127]
	v_cvt_f32_f64_e32 v126, v[126:127]
	s_branch .LBB173_110
.LBB173_109:
	v_mov_b32_e32 v126, 0
.LBB173_110:
	v_add_f64 v[127:128], v[70:71], v[118:119]
	v_add_f64 v[146:147], v[72:73], v[120:121]
	;; [unrolled: 1-line block ×4, first 2 shown]
	v_cvt_f32_f64_e32 v127, v[127:128]
	v_cvt_f32_f64_e32 v128, v[146:147]
	;; [unrolled: 1-line block ×4, first 2 shown]
	v_min3_f32 v127, v127, v128, v213
	v_min_f32_e32 v128, v129, v146
	v_min3_f32 v126, v126, v128, v127
	v_lshlrev_b64 v[128:129], 3, v[0:1]
	v_cvt_f64_f32_e32 v[126:127], v126
	v_add_co_u32 v128, vcc_lo, v122, v128
	v_add_co_ci_u32_e64 v129, null, v123, v129, vcc_lo
	global_store_dwordx2 v[128:129], v[126:127], off
	s_or_b32 exec_lo, exec_lo, s9
	s_and_b32 s12, s1, s8
	s_and_saveexec_b32 s9, s12
	s_cbranch_execz .LBB173_101
.LBB173_111:
	v_cmp_ne_u32_e32 vcc_lo, 1, v144
	s_cbranch_vccnz .LBB173_113
; %bb.112:
	v_lshlrev_b64 v[126:127], 3, v[130:131]
	v_add_co_u32 v126, vcc_lo, v124, v126
	v_add_co_ci_u32_e64 v127, null, v125, v127, vcc_lo
	global_load_dwordx2 v[126:127], v[126:127], off
	s_waitcnt vmcnt(0)
	v_mul_f64 v[126:127], s[10:11], v[126:127]
	v_cvt_f32_f64_e32 v126, v[126:127]
	s_branch .LBB173_114
.LBB173_113:
	v_mov_b32_e32 v126, 0
.LBB173_114:
	v_add_f64 v[127:128], v[62:63], v[118:119]
	v_add_f64 v[146:147], v[64:65], v[120:121]
	;; [unrolled: 1-line block ×4, first 2 shown]
	v_cvt_f32_f64_e32 v127, v[127:128]
	v_cvt_f32_f64_e32 v128, v[146:147]
	;; [unrolled: 1-line block ×4, first 2 shown]
	v_min3_f32 v127, v127, v128, v212
	v_min_f32_e32 v128, v129, v146
	v_min3_f32 v126, v126, v128, v127
	v_lshlrev_b64 v[128:129], 3, v[130:131]
	v_cvt_f64_f32_e32 v[126:127], v126
	v_add_co_u32 v128, vcc_lo, v122, v128
	v_add_co_ci_u32_e64 v129, null, v123, v129, vcc_lo
	global_store_dwordx2 v[128:129], v[126:127], off
	s_or_b32 exec_lo, exec_lo, s9
	s_and_b32 s12, s2, s8
	s_and_saveexec_b32 s9, s12
	s_cbranch_execz .LBB173_102
.LBB173_115:
	v_cmp_ne_u32_e32 vcc_lo, 1, v144
	s_cbranch_vccnz .LBB173_117
; %bb.116:
	v_lshlrev_b64 v[126:127], 3, v[132:133]
	v_add_co_u32 v126, vcc_lo, v124, v126
	v_add_co_ci_u32_e64 v127, null, v125, v127, vcc_lo
	global_load_dwordx2 v[126:127], v[126:127], off
	s_waitcnt vmcnt(0)
	v_mul_f64 v[126:127], s[10:11], v[126:127]
	v_cvt_f32_f64_e32 v126, v[126:127]
	s_branch .LBB173_118
.LBB173_117:
	v_mov_b32_e32 v126, 0
.LBB173_118:
	v_add_f64 v[127:128], v[54:55], v[118:119]
	v_add_f64 v[146:147], v[56:57], v[120:121]
	;; [unrolled: 1-line block ×4, first 2 shown]
	v_cvt_f32_f64_e32 v127, v[127:128]
	v_cvt_f32_f64_e32 v128, v[146:147]
	;; [unrolled: 1-line block ×4, first 2 shown]
	v_min3_f32 v127, v127, v128, v211
	v_min_f32_e32 v128, v129, v146
	v_min3_f32 v126, v126, v128, v127
	v_lshlrev_b64 v[128:129], 3, v[132:133]
	v_cvt_f64_f32_e32 v[126:127], v126
	v_add_co_u32 v128, vcc_lo, v122, v128
	v_add_co_ci_u32_e64 v129, null, v123, v129, vcc_lo
	global_store_dwordx2 v[128:129], v[126:127], off
	s_or_b32 exec_lo, exec_lo, s9
	s_and_b32 s12, s3, s8
	s_and_saveexec_b32 s9, s12
	s_cbranch_execz .LBB173_103
.LBB173_119:
	v_cmp_ne_u32_e32 vcc_lo, 1, v144
	s_cbranch_vccnz .LBB173_121
; %bb.120:
	v_lshlrev_b64 v[126:127], 3, v[134:135]
	v_add_co_u32 v126, vcc_lo, v124, v126
	v_add_co_ci_u32_e64 v127, null, v125, v127, vcc_lo
	global_load_dwordx2 v[126:127], v[126:127], off
	s_waitcnt vmcnt(0)
	v_mul_f64 v[126:127], s[10:11], v[126:127]
	v_cvt_f32_f64_e32 v126, v[126:127]
	s_branch .LBB173_122
.LBB173_121:
	v_mov_b32_e32 v126, 0
.LBB173_122:
	v_add_f64 v[127:128], v[46:47], v[118:119]
	v_add_f64 v[146:147], v[48:49], v[120:121]
	;; [unrolled: 1-line block ×4, first 2 shown]
	v_cvt_f32_f64_e32 v127, v[127:128]
	v_cvt_f32_f64_e32 v128, v[146:147]
	;; [unrolled: 1-line block ×4, first 2 shown]
	v_min3_f32 v127, v127, v128, v210
	v_min_f32_e32 v128, v129, v146
	v_min3_f32 v126, v126, v128, v127
	v_lshlrev_b64 v[128:129], 3, v[134:135]
	v_cvt_f64_f32_e32 v[126:127], v126
	v_add_co_u32 v128, vcc_lo, v122, v128
	v_add_co_ci_u32_e64 v129, null, v123, v129, vcc_lo
	global_store_dwordx2 v[128:129], v[126:127], off
	s_or_b32 exec_lo, exec_lo, s9
	s_and_b32 s12, s4, s8
	s_and_saveexec_b32 s9, s12
	s_cbranch_execz .LBB173_104
.LBB173_123:
	v_cmp_ne_u32_e32 vcc_lo, 1, v144
	s_cbranch_vccnz .LBB173_125
; %bb.124:
	v_lshlrev_b64 v[126:127], 3, v[136:137]
	v_add_co_u32 v126, vcc_lo, v124, v126
	v_add_co_ci_u32_e64 v127, null, v125, v127, vcc_lo
	global_load_dwordx2 v[126:127], v[126:127], off
	s_waitcnt vmcnt(0)
	v_mul_f64 v[126:127], s[10:11], v[126:127]
	v_cvt_f32_f64_e32 v126, v[126:127]
	s_branch .LBB173_126
.LBB173_125:
	v_mov_b32_e32 v126, 0
.LBB173_126:
	v_add_f64 v[127:128], v[38:39], v[118:119]
	v_add_f64 v[146:147], v[40:41], v[120:121]
	;; [unrolled: 1-line block ×4, first 2 shown]
	v_cvt_f32_f64_e32 v127, v[127:128]
	v_cvt_f32_f64_e32 v128, v[146:147]
	;; [unrolled: 1-line block ×4, first 2 shown]
	v_min3_f32 v127, v127, v128, v209
	v_min_f32_e32 v128, v129, v146
	v_min3_f32 v126, v126, v128, v127
	v_lshlrev_b64 v[128:129], 3, v[136:137]
	v_cvt_f64_f32_e32 v[126:127], v126
	v_add_co_u32 v128, vcc_lo, v122, v128
	v_add_co_ci_u32_e64 v129, null, v123, v129, vcc_lo
	global_store_dwordx2 v[128:129], v[126:127], off
	s_or_b32 exec_lo, exec_lo, s9
	s_and_b32 s12, s5, s8
	s_and_saveexec_b32 s9, s12
	s_cbranch_execz .LBB173_105
.LBB173_127:
	v_cmp_ne_u32_e32 vcc_lo, 1, v144
	s_cbranch_vccnz .LBB173_129
; %bb.128:
	v_lshlrev_b64 v[126:127], 3, v[138:139]
	v_add_co_u32 v126, vcc_lo, v124, v126
	v_add_co_ci_u32_e64 v127, null, v125, v127, vcc_lo
	global_load_dwordx2 v[126:127], v[126:127], off
	s_waitcnt vmcnt(0)
	v_mul_f64 v[126:127], s[10:11], v[126:127]
	v_cvt_f32_f64_e32 v126, v[126:127]
	s_branch .LBB173_130
.LBB173_129:
	v_mov_b32_e32 v126, 0
.LBB173_130:
	v_add_f64 v[127:128], v[30:31], v[118:119]
	v_add_f64 v[146:147], v[32:33], v[120:121]
	;; [unrolled: 1-line block ×4, first 2 shown]
	v_cvt_f32_f64_e32 v127, v[127:128]
	v_cvt_f32_f64_e32 v128, v[146:147]
	;; [unrolled: 1-line block ×4, first 2 shown]
	v_min3_f32 v127, v127, v128, v208
	v_min_f32_e32 v128, v129, v146
	v_min3_f32 v126, v126, v128, v127
	v_lshlrev_b64 v[128:129], 3, v[138:139]
	v_cvt_f64_f32_e32 v[126:127], v126
	v_add_co_u32 v128, vcc_lo, v122, v128
	v_add_co_ci_u32_e64 v129, null, v123, v129, vcc_lo
	global_store_dwordx2 v[128:129], v[126:127], off
	s_or_b32 exec_lo, exec_lo, s9
	s_and_b32 s12, s6, s8
	s_and_saveexec_b32 s9, s12
	s_cbranch_execz .LBB173_106
.LBB173_131:
	v_cmp_ne_u32_e32 vcc_lo, 1, v144
	s_cbranch_vccnz .LBB173_133
; %bb.132:
	v_lshlrev_b64 v[126:127], 3, v[140:141]
	v_add_co_u32 v126, vcc_lo, v124, v126
	v_add_co_ci_u32_e64 v127, null, v125, v127, vcc_lo
	global_load_dwordx2 v[126:127], v[126:127], off
	s_waitcnt vmcnt(0)
	v_mul_f64 v[126:127], s[10:11], v[126:127]
	v_cvt_f32_f64_e32 v126, v[126:127]
	s_branch .LBB173_134
.LBB173_133:
	v_mov_b32_e32 v126, 0
.LBB173_134:
	v_add_f64 v[127:128], v[22:23], v[118:119]
	v_add_f64 v[146:147], v[24:25], v[120:121]
	;; [unrolled: 1-line block ×4, first 2 shown]
	v_cvt_f32_f64_e32 v127, v[127:128]
	v_cvt_f32_f64_e32 v128, v[146:147]
	v_cvt_f32_f64_e32 v129, v[148:149]
	v_cvt_f32_f64_e32 v146, v[171:172]
	v_min3_f32 v127, v127, v128, v207
	v_min_f32_e32 v128, v129, v146
	v_min3_f32 v126, v126, v128, v127
	v_lshlrev_b64 v[128:129], 3, v[140:141]
	v_cvt_f64_f32_e32 v[126:127], v126
	v_add_co_u32 v128, vcc_lo, v122, v128
	v_add_co_ci_u32_e64 v129, null, v123, v129, vcc_lo
	global_store_dwordx2 v[128:129], v[126:127], off
	s_or_b32 exec_lo, exec_lo, s9
	s_and_b32 s9, s7, s8
	s_and_saveexec_b32 s8, s9
	s_cbranch_execz .LBB173_139
.LBB173_135:
	v_cmp_ne_u32_e32 vcc_lo, 1, v144
	s_cbranch_vccnz .LBB173_137
; %bb.136:
	v_lshlrev_b64 v[126:127], 3, v[142:143]
	v_add_co_u32 v124, vcc_lo, v124, v126
	v_add_co_ci_u32_e64 v125, null, v125, v127, vcc_lo
	global_load_dwordx2 v[124:125], v[124:125], off
	s_waitcnt vmcnt(0)
	v_mul_f64 v[124:125], s[10:11], v[124:125]
	v_cvt_f32_f64_e32 v124, v[124:125]
	s_branch .LBB173_138
.LBB173_137:
	v_mov_b32_e32 v124, 0
.LBB173_138:
	v_add_f64 v[118:119], v[6:7], v[118:119]
	v_add_f64 v[120:121], v[8:9], v[120:121]
	v_add_f64 v[114:115], v[2:3], v[114:115]
	v_add_f64 v[116:117], v[4:5], v[116:117]
	v_cvt_f32_f64_e32 v118, v[118:119]
	v_cvt_f32_f64_e32 v119, v[120:121]
	v_cvt_f32_f64_e32 v114, v[114:115]
	v_cvt_f32_f64_e32 v115, v[116:117]
	v_min3_f32 v116, v118, v119, v206
	v_min_f32_e32 v114, v114, v115
	v_min3_f32 v114, v124, v114, v116
	v_lshlrev_b64 v[116:117], 3, v[142:143]
	v_cvt_f64_f32_e32 v[114:115], v114
	v_add_co_u32 v116, vcc_lo, v122, v116
	v_add_co_ci_u32_e64 v117, null, v123, v117, vcc_lo
	global_store_dwordx2 v[116:117], v[114:115], off
.LBB173_139:
	s_or_b32 exec_lo, exec_lo, s8
	v_add_nc_u32_e32 v118, 64, v145
	v_mad_i64_i32 v[114:115], null, v118, s16, 0
	v_mad_i64_i32 v[116:117], null, v118, s14, 0
	v_cmp_gt_i32_e64 s8, s13, v118
	v_lshlrev_b64 v[114:115], 3, v[114:115]
	s_and_b32 s12, s0, s8
	v_lshlrev_b64 v[118:119], 3, v[116:117]
	v_add_co_u32 v116, vcc_lo, s22, v114
	v_add_co_ci_u32_e64 v117, null, s23, v115, vcc_lo
	v_add_co_u32 v114, vcc_lo, s17, v118
	v_add_co_ci_u32_e64 v115, null, s15, v119, vcc_lo
	s_and_saveexec_b32 s9, s12
	s_cbranch_execnz .LBB173_147
; %bb.140:
	s_or_b32 exec_lo, exec_lo, s9
	s_and_b32 s12, s1, s8
	s_and_saveexec_b32 s9, s12
	s_cbranch_execnz .LBB173_151
.LBB173_141:
	s_or_b32 exec_lo, exec_lo, s9
	s_and_b32 s12, s2, s8
	s_and_saveexec_b32 s9, s12
	s_cbranch_execnz .LBB173_155
.LBB173_142:
	s_or_b32 exec_lo, exec_lo, s9
	s_and_b32 s12, s3, s8
	s_and_saveexec_b32 s9, s12
	s_cbranch_execnz .LBB173_159
.LBB173_143:
	s_or_b32 exec_lo, exec_lo, s9
	s_and_b32 s12, s4, s8
	s_and_saveexec_b32 s9, s12
	s_cbranch_execnz .LBB173_163
.LBB173_144:
	s_or_b32 exec_lo, exec_lo, s9
	s_and_b32 s12, s5, s8
	s_and_saveexec_b32 s9, s12
	s_cbranch_execnz .LBB173_167
.LBB173_145:
	s_or_b32 exec_lo, exec_lo, s9
	s_and_b32 s12, s6, s8
	s_and_saveexec_b32 s9, s12
	s_cbranch_execnz .LBB173_171
.LBB173_146:
	s_or_b32 exec_lo, exec_lo, s9
	s_and_b32 s9, s7, s8
	s_and_saveexec_b32 s8, s9
	s_cbranch_execnz .LBB173_175
	s_branch .LBB173_179
.LBB173_147:
	v_cmp_ne_u32_e32 vcc_lo, 1, v144
	s_cbranch_vccnz .LBB173_149
; %bb.148:
	v_lshlrev_b64 v[118:119], 3, v[0:1]
	v_add_co_u32 v118, vcc_lo, v116, v118
	v_add_co_ci_u32_e64 v119, null, v117, v119, vcc_lo
	global_load_dwordx2 v[118:119], v[118:119], off
	s_waitcnt vmcnt(0)
	v_mul_f64 v[118:119], s[10:11], v[118:119]
	v_cvt_f32_f64_e32 v118, v[118:119]
	s_branch .LBB173_150
.LBB173_149:
	v_mov_b32_e32 v118, 0
.LBB173_150:
	v_add_f64 v[119:120], v[70:71], v[110:111]
	v_add_f64 v[121:122], v[72:73], v[112:113]
	;; [unrolled: 1-line block ×4, first 2 shown]
	v_cvt_f32_f64_e32 v119, v[119:120]
	v_cvt_f32_f64_e32 v120, v[121:122]
	v_cvt_f32_f64_e32 v121, v[123:124]
	v_cvt_f32_f64_e32 v122, v[125:126]
	v_min3_f32 v119, v119, v120, v205
	v_min_f32_e32 v120, v121, v122
	v_min3_f32 v118, v118, v120, v119
	v_lshlrev_b64 v[120:121], 3, v[0:1]
	v_cvt_f64_f32_e32 v[118:119], v118
	v_add_co_u32 v120, vcc_lo, v114, v120
	v_add_co_ci_u32_e64 v121, null, v115, v121, vcc_lo
	global_store_dwordx2 v[120:121], v[118:119], off
	s_or_b32 exec_lo, exec_lo, s9
	s_and_b32 s12, s1, s8
	s_and_saveexec_b32 s9, s12
	s_cbranch_execz .LBB173_141
.LBB173_151:
	v_cmp_ne_u32_e32 vcc_lo, 1, v144
	s_cbranch_vccnz .LBB173_153
; %bb.152:
	v_lshlrev_b64 v[118:119], 3, v[130:131]
	v_add_co_u32 v118, vcc_lo, v116, v118
	v_add_co_ci_u32_e64 v119, null, v117, v119, vcc_lo
	global_load_dwordx2 v[118:119], v[118:119], off
	s_waitcnt vmcnt(0)
	v_mul_f64 v[118:119], s[10:11], v[118:119]
	v_cvt_f32_f64_e32 v118, v[118:119]
	s_branch .LBB173_154
.LBB173_153:
	v_mov_b32_e32 v118, 0
.LBB173_154:
	v_add_f64 v[119:120], v[62:63], v[110:111]
	v_add_f64 v[121:122], v[64:65], v[112:113]
	;; [unrolled: 1-line block ×4, first 2 shown]
	v_cvt_f32_f64_e32 v119, v[119:120]
	v_cvt_f32_f64_e32 v120, v[121:122]
	;; [unrolled: 1-line block ×4, first 2 shown]
	v_min3_f32 v119, v119, v120, v204
	v_min_f32_e32 v120, v121, v122
	v_min3_f32 v118, v118, v120, v119
	v_lshlrev_b64 v[120:121], 3, v[130:131]
	v_cvt_f64_f32_e32 v[118:119], v118
	v_add_co_u32 v120, vcc_lo, v114, v120
	v_add_co_ci_u32_e64 v121, null, v115, v121, vcc_lo
	global_store_dwordx2 v[120:121], v[118:119], off
	s_or_b32 exec_lo, exec_lo, s9
	s_and_b32 s12, s2, s8
	s_and_saveexec_b32 s9, s12
	s_cbranch_execz .LBB173_142
.LBB173_155:
	v_cmp_ne_u32_e32 vcc_lo, 1, v144
	s_cbranch_vccnz .LBB173_157
; %bb.156:
	v_lshlrev_b64 v[118:119], 3, v[132:133]
	v_add_co_u32 v118, vcc_lo, v116, v118
	v_add_co_ci_u32_e64 v119, null, v117, v119, vcc_lo
	global_load_dwordx2 v[118:119], v[118:119], off
	s_waitcnt vmcnt(0)
	v_mul_f64 v[118:119], s[10:11], v[118:119]
	v_cvt_f32_f64_e32 v118, v[118:119]
	s_branch .LBB173_158
.LBB173_157:
	v_mov_b32_e32 v118, 0
.LBB173_158:
	v_add_f64 v[119:120], v[54:55], v[110:111]
	v_add_f64 v[121:122], v[56:57], v[112:113]
	;; [unrolled: 1-line block ×4, first 2 shown]
	v_cvt_f32_f64_e32 v119, v[119:120]
	v_cvt_f32_f64_e32 v120, v[121:122]
	;; [unrolled: 1-line block ×4, first 2 shown]
	v_min3_f32 v119, v119, v120, v203
	v_min_f32_e32 v120, v121, v122
	v_min3_f32 v118, v118, v120, v119
	v_lshlrev_b64 v[120:121], 3, v[132:133]
	v_cvt_f64_f32_e32 v[118:119], v118
	v_add_co_u32 v120, vcc_lo, v114, v120
	v_add_co_ci_u32_e64 v121, null, v115, v121, vcc_lo
	global_store_dwordx2 v[120:121], v[118:119], off
	s_or_b32 exec_lo, exec_lo, s9
	s_and_b32 s12, s3, s8
	s_and_saveexec_b32 s9, s12
	s_cbranch_execz .LBB173_143
.LBB173_159:
	v_cmp_ne_u32_e32 vcc_lo, 1, v144
	s_cbranch_vccnz .LBB173_161
; %bb.160:
	v_lshlrev_b64 v[118:119], 3, v[134:135]
	v_add_co_u32 v118, vcc_lo, v116, v118
	v_add_co_ci_u32_e64 v119, null, v117, v119, vcc_lo
	global_load_dwordx2 v[118:119], v[118:119], off
	s_waitcnt vmcnt(0)
	v_mul_f64 v[118:119], s[10:11], v[118:119]
	v_cvt_f32_f64_e32 v118, v[118:119]
	s_branch .LBB173_162
.LBB173_161:
	v_mov_b32_e32 v118, 0
.LBB173_162:
	v_add_f64 v[119:120], v[46:47], v[110:111]
	v_add_f64 v[121:122], v[48:49], v[112:113]
	;; [unrolled: 1-line block ×4, first 2 shown]
	v_cvt_f32_f64_e32 v119, v[119:120]
	v_cvt_f32_f64_e32 v120, v[121:122]
	v_cvt_f32_f64_e32 v121, v[123:124]
	v_cvt_f32_f64_e32 v122, v[125:126]
	v_min3_f32 v119, v119, v120, v202
	v_min_f32_e32 v120, v121, v122
	v_min3_f32 v118, v118, v120, v119
	v_lshlrev_b64 v[120:121], 3, v[134:135]
	v_cvt_f64_f32_e32 v[118:119], v118
	v_add_co_u32 v120, vcc_lo, v114, v120
	v_add_co_ci_u32_e64 v121, null, v115, v121, vcc_lo
	global_store_dwordx2 v[120:121], v[118:119], off
	s_or_b32 exec_lo, exec_lo, s9
	s_and_b32 s12, s4, s8
	s_and_saveexec_b32 s9, s12
	s_cbranch_execz .LBB173_144
.LBB173_163:
	v_cmp_ne_u32_e32 vcc_lo, 1, v144
	s_cbranch_vccnz .LBB173_165
; %bb.164:
	v_lshlrev_b64 v[118:119], 3, v[136:137]
	v_add_co_u32 v118, vcc_lo, v116, v118
	v_add_co_ci_u32_e64 v119, null, v117, v119, vcc_lo
	global_load_dwordx2 v[118:119], v[118:119], off
	s_waitcnt vmcnt(0)
	v_mul_f64 v[118:119], s[10:11], v[118:119]
	v_cvt_f32_f64_e32 v118, v[118:119]
	s_branch .LBB173_166
.LBB173_165:
	v_mov_b32_e32 v118, 0
.LBB173_166:
	v_add_f64 v[119:120], v[38:39], v[110:111]
	v_add_f64 v[121:122], v[40:41], v[112:113]
	;; [unrolled: 1-line block ×4, first 2 shown]
	v_cvt_f32_f64_e32 v119, v[119:120]
	v_cvt_f32_f64_e32 v120, v[121:122]
	;; [unrolled: 1-line block ×4, first 2 shown]
	v_min3_f32 v119, v119, v120, v201
	v_min_f32_e32 v120, v121, v122
	v_min3_f32 v118, v118, v120, v119
	v_lshlrev_b64 v[120:121], 3, v[136:137]
	v_cvt_f64_f32_e32 v[118:119], v118
	v_add_co_u32 v120, vcc_lo, v114, v120
	v_add_co_ci_u32_e64 v121, null, v115, v121, vcc_lo
	global_store_dwordx2 v[120:121], v[118:119], off
	s_or_b32 exec_lo, exec_lo, s9
	s_and_b32 s12, s5, s8
	s_and_saveexec_b32 s9, s12
	s_cbranch_execz .LBB173_145
.LBB173_167:
	v_cmp_ne_u32_e32 vcc_lo, 1, v144
	s_cbranch_vccnz .LBB173_169
; %bb.168:
	v_lshlrev_b64 v[118:119], 3, v[138:139]
	v_add_co_u32 v118, vcc_lo, v116, v118
	v_add_co_ci_u32_e64 v119, null, v117, v119, vcc_lo
	global_load_dwordx2 v[118:119], v[118:119], off
	s_waitcnt vmcnt(0)
	v_mul_f64 v[118:119], s[10:11], v[118:119]
	v_cvt_f32_f64_e32 v118, v[118:119]
	s_branch .LBB173_170
.LBB173_169:
	v_mov_b32_e32 v118, 0
.LBB173_170:
	v_add_f64 v[119:120], v[30:31], v[110:111]
	v_add_f64 v[121:122], v[32:33], v[112:113]
	;; [unrolled: 1-line block ×4, first 2 shown]
	v_cvt_f32_f64_e32 v119, v[119:120]
	v_cvt_f32_f64_e32 v120, v[121:122]
	;; [unrolled: 1-line block ×4, first 2 shown]
	v_min3_f32 v119, v119, v120, v200
	v_min_f32_e32 v120, v121, v122
	v_min3_f32 v118, v118, v120, v119
	v_lshlrev_b64 v[120:121], 3, v[138:139]
	v_cvt_f64_f32_e32 v[118:119], v118
	v_add_co_u32 v120, vcc_lo, v114, v120
	v_add_co_ci_u32_e64 v121, null, v115, v121, vcc_lo
	global_store_dwordx2 v[120:121], v[118:119], off
	s_or_b32 exec_lo, exec_lo, s9
	s_and_b32 s12, s6, s8
	s_and_saveexec_b32 s9, s12
	s_cbranch_execz .LBB173_146
.LBB173_171:
	v_cmp_ne_u32_e32 vcc_lo, 1, v144
	s_cbranch_vccnz .LBB173_173
; %bb.172:
	v_lshlrev_b64 v[118:119], 3, v[140:141]
	v_add_co_u32 v118, vcc_lo, v116, v118
	v_add_co_ci_u32_e64 v119, null, v117, v119, vcc_lo
	global_load_dwordx2 v[118:119], v[118:119], off
	s_waitcnt vmcnt(0)
	v_mul_f64 v[118:119], s[10:11], v[118:119]
	v_cvt_f32_f64_e32 v118, v[118:119]
	s_branch .LBB173_174
.LBB173_173:
	v_mov_b32_e32 v118, 0
.LBB173_174:
	v_add_f64 v[119:120], v[22:23], v[110:111]
	v_add_f64 v[121:122], v[24:25], v[112:113]
	;; [unrolled: 1-line block ×4, first 2 shown]
	v_cvt_f32_f64_e32 v119, v[119:120]
	v_cvt_f32_f64_e32 v120, v[121:122]
	;; [unrolled: 1-line block ×4, first 2 shown]
	v_min3_f32 v119, v119, v120, v199
	v_min_f32_e32 v120, v121, v122
	v_min3_f32 v118, v118, v120, v119
	v_lshlrev_b64 v[120:121], 3, v[140:141]
	v_cvt_f64_f32_e32 v[118:119], v118
	v_add_co_u32 v120, vcc_lo, v114, v120
	v_add_co_ci_u32_e64 v121, null, v115, v121, vcc_lo
	global_store_dwordx2 v[120:121], v[118:119], off
	s_or_b32 exec_lo, exec_lo, s9
	s_and_b32 s9, s7, s8
	s_and_saveexec_b32 s8, s9
	s_cbranch_execz .LBB173_179
.LBB173_175:
	v_cmp_ne_u32_e32 vcc_lo, 1, v144
	s_cbranch_vccnz .LBB173_177
; %bb.176:
	v_lshlrev_b64 v[118:119], 3, v[142:143]
	v_add_co_u32 v116, vcc_lo, v116, v118
	v_add_co_ci_u32_e64 v117, null, v117, v119, vcc_lo
	global_load_dwordx2 v[116:117], v[116:117], off
	s_waitcnt vmcnt(0)
	v_mul_f64 v[116:117], s[10:11], v[116:117]
	v_cvt_f32_f64_e32 v116, v[116:117]
	s_branch .LBB173_178
.LBB173_177:
	v_mov_b32_e32 v116, 0
.LBB173_178:
	v_add_f64 v[110:111], v[6:7], v[110:111]
	v_add_f64 v[112:113], v[8:9], v[112:113]
	;; [unrolled: 1-line block ×4, first 2 shown]
	v_cvt_f32_f64_e32 v110, v[110:111]
	v_cvt_f32_f64_e32 v111, v[112:113]
	;; [unrolled: 1-line block ×4, first 2 shown]
	v_min3_f32 v108, v110, v111, v198
	v_min_f32_e32 v106, v106, v107
	v_min3_f32 v106, v116, v106, v108
	v_lshlrev_b64 v[108:109], 3, v[142:143]
	v_cvt_f64_f32_e32 v[106:107], v106
	v_add_co_u32 v108, vcc_lo, v114, v108
	v_add_co_ci_u32_e64 v109, null, v115, v109, vcc_lo
	global_store_dwordx2 v[108:109], v[106:107], off
.LBB173_179:
	s_or_b32 exec_lo, exec_lo, s8
	v_add_nc_u32_e32 v110, 0x60, v145
	v_mad_i64_i32 v[106:107], null, v110, s16, 0
	v_mad_i64_i32 v[108:109], null, v110, s14, 0
	v_cmp_gt_i32_e64 s8, s13, v110
	v_lshlrev_b64 v[106:107], 3, v[106:107]
	s_and_b32 s12, s0, s8
	v_lshlrev_b64 v[110:111], 3, v[108:109]
	v_add_co_u32 v108, vcc_lo, s22, v106
	v_add_co_ci_u32_e64 v109, null, s23, v107, vcc_lo
	v_add_co_u32 v106, vcc_lo, s17, v110
	v_add_co_ci_u32_e64 v107, null, s15, v111, vcc_lo
	s_and_saveexec_b32 s9, s12
	s_cbranch_execnz .LBB173_187
; %bb.180:
	s_or_b32 exec_lo, exec_lo, s9
	s_and_b32 s12, s1, s8
	s_and_saveexec_b32 s9, s12
	s_cbranch_execnz .LBB173_191
.LBB173_181:
	s_or_b32 exec_lo, exec_lo, s9
	s_and_b32 s12, s2, s8
	s_and_saveexec_b32 s9, s12
	s_cbranch_execnz .LBB173_195
.LBB173_182:
	s_or_b32 exec_lo, exec_lo, s9
	s_and_b32 s12, s3, s8
	s_and_saveexec_b32 s9, s12
	s_cbranch_execnz .LBB173_199
.LBB173_183:
	s_or_b32 exec_lo, exec_lo, s9
	s_and_b32 s12, s4, s8
	s_and_saveexec_b32 s9, s12
	s_cbranch_execnz .LBB173_203
.LBB173_184:
	s_or_b32 exec_lo, exec_lo, s9
	s_and_b32 s12, s5, s8
	s_and_saveexec_b32 s9, s12
	s_cbranch_execnz .LBB173_207
.LBB173_185:
	s_or_b32 exec_lo, exec_lo, s9
	s_and_b32 s12, s6, s8
	s_and_saveexec_b32 s9, s12
	s_cbranch_execnz .LBB173_211
.LBB173_186:
	s_or_b32 exec_lo, exec_lo, s9
	s_and_b32 s9, s7, s8
	s_and_saveexec_b32 s8, s9
	s_cbranch_execnz .LBB173_215
	s_branch .LBB173_219
.LBB173_187:
	v_cmp_ne_u32_e32 vcc_lo, 1, v144
	s_cbranch_vccnz .LBB173_189
; %bb.188:
	v_lshlrev_b64 v[110:111], 3, v[0:1]
	v_add_co_u32 v110, vcc_lo, v108, v110
	v_add_co_ci_u32_e64 v111, null, v109, v111, vcc_lo
	global_load_dwordx2 v[110:111], v[110:111], off
	s_waitcnt vmcnt(0)
	v_mul_f64 v[110:111], s[10:11], v[110:111]
	v_cvt_f32_f64_e32 v110, v[110:111]
	s_branch .LBB173_190
.LBB173_189:
	v_mov_b32_e32 v110, 0
.LBB173_190:
	v_add_f64 v[111:112], v[70:71], v[102:103]
	v_add_f64 v[113:114], v[72:73], v[104:105]
	;; [unrolled: 1-line block ×4, first 2 shown]
	v_cvt_f32_f64_e32 v111, v[111:112]
	v_cvt_f32_f64_e32 v112, v[113:114]
	;; [unrolled: 1-line block ×4, first 2 shown]
	v_min3_f32 v111, v111, v112, v197
	v_min_f32_e32 v112, v113, v114
	v_min3_f32 v110, v110, v112, v111
	v_lshlrev_b64 v[112:113], 3, v[0:1]
	v_cvt_f64_f32_e32 v[110:111], v110
	v_add_co_u32 v112, vcc_lo, v106, v112
	v_add_co_ci_u32_e64 v113, null, v107, v113, vcc_lo
	global_store_dwordx2 v[112:113], v[110:111], off
	s_or_b32 exec_lo, exec_lo, s9
	s_and_b32 s12, s1, s8
	s_and_saveexec_b32 s9, s12
	s_cbranch_execz .LBB173_181
.LBB173_191:
	v_cmp_ne_u32_e32 vcc_lo, 1, v144
	s_cbranch_vccnz .LBB173_193
; %bb.192:
	v_lshlrev_b64 v[110:111], 3, v[130:131]
	v_add_co_u32 v110, vcc_lo, v108, v110
	v_add_co_ci_u32_e64 v111, null, v109, v111, vcc_lo
	global_load_dwordx2 v[110:111], v[110:111], off
	s_waitcnt vmcnt(0)
	v_mul_f64 v[110:111], s[10:11], v[110:111]
	v_cvt_f32_f64_e32 v110, v[110:111]
	s_branch .LBB173_194
.LBB173_193:
	v_mov_b32_e32 v110, 0
.LBB173_194:
	v_add_f64 v[111:112], v[62:63], v[102:103]
	v_add_f64 v[113:114], v[64:65], v[104:105]
	;; [unrolled: 1-line block ×4, first 2 shown]
	v_cvt_f32_f64_e32 v111, v[111:112]
	v_cvt_f32_f64_e32 v112, v[113:114]
	;; [unrolled: 1-line block ×4, first 2 shown]
	v_min3_f32 v111, v111, v112, v196
	v_min_f32_e32 v112, v113, v114
	v_min3_f32 v110, v110, v112, v111
	v_lshlrev_b64 v[112:113], 3, v[130:131]
	v_cvt_f64_f32_e32 v[110:111], v110
	v_add_co_u32 v112, vcc_lo, v106, v112
	v_add_co_ci_u32_e64 v113, null, v107, v113, vcc_lo
	global_store_dwordx2 v[112:113], v[110:111], off
	s_or_b32 exec_lo, exec_lo, s9
	s_and_b32 s12, s2, s8
	s_and_saveexec_b32 s9, s12
	s_cbranch_execz .LBB173_182
.LBB173_195:
	v_cmp_ne_u32_e32 vcc_lo, 1, v144
	s_cbranch_vccnz .LBB173_197
; %bb.196:
	v_lshlrev_b64 v[110:111], 3, v[132:133]
	v_add_co_u32 v110, vcc_lo, v108, v110
	v_add_co_ci_u32_e64 v111, null, v109, v111, vcc_lo
	global_load_dwordx2 v[110:111], v[110:111], off
	s_waitcnt vmcnt(0)
	v_mul_f64 v[110:111], s[10:11], v[110:111]
	v_cvt_f32_f64_e32 v110, v[110:111]
	s_branch .LBB173_198
.LBB173_197:
	v_mov_b32_e32 v110, 0
.LBB173_198:
	v_add_f64 v[111:112], v[54:55], v[102:103]
	v_add_f64 v[113:114], v[56:57], v[104:105]
	;; [unrolled: 1-line block ×4, first 2 shown]
	v_cvt_f32_f64_e32 v111, v[111:112]
	v_cvt_f32_f64_e32 v112, v[113:114]
	;; [unrolled: 1-line block ×4, first 2 shown]
	v_min3_f32 v111, v111, v112, v195
	v_min_f32_e32 v112, v113, v114
	v_min3_f32 v110, v110, v112, v111
	v_lshlrev_b64 v[112:113], 3, v[132:133]
	v_cvt_f64_f32_e32 v[110:111], v110
	v_add_co_u32 v112, vcc_lo, v106, v112
	v_add_co_ci_u32_e64 v113, null, v107, v113, vcc_lo
	global_store_dwordx2 v[112:113], v[110:111], off
	s_or_b32 exec_lo, exec_lo, s9
	s_and_b32 s12, s3, s8
	s_and_saveexec_b32 s9, s12
	s_cbranch_execz .LBB173_183
.LBB173_199:
	v_cmp_ne_u32_e32 vcc_lo, 1, v144
	s_cbranch_vccnz .LBB173_201
; %bb.200:
	v_lshlrev_b64 v[110:111], 3, v[134:135]
	v_add_co_u32 v110, vcc_lo, v108, v110
	v_add_co_ci_u32_e64 v111, null, v109, v111, vcc_lo
	global_load_dwordx2 v[110:111], v[110:111], off
	s_waitcnt vmcnt(0)
	v_mul_f64 v[110:111], s[10:11], v[110:111]
	v_cvt_f32_f64_e32 v110, v[110:111]
	s_branch .LBB173_202
.LBB173_201:
	v_mov_b32_e32 v110, 0
.LBB173_202:
	v_add_f64 v[111:112], v[46:47], v[102:103]
	v_add_f64 v[113:114], v[48:49], v[104:105]
	;; [unrolled: 1-line block ×4, first 2 shown]
	v_cvt_f32_f64_e32 v111, v[111:112]
	v_cvt_f32_f64_e32 v112, v[113:114]
	;; [unrolled: 1-line block ×4, first 2 shown]
	v_min3_f32 v111, v111, v112, v194
	v_min_f32_e32 v112, v113, v114
	v_min3_f32 v110, v110, v112, v111
	v_lshlrev_b64 v[112:113], 3, v[134:135]
	v_cvt_f64_f32_e32 v[110:111], v110
	v_add_co_u32 v112, vcc_lo, v106, v112
	v_add_co_ci_u32_e64 v113, null, v107, v113, vcc_lo
	global_store_dwordx2 v[112:113], v[110:111], off
	s_or_b32 exec_lo, exec_lo, s9
	s_and_b32 s12, s4, s8
	s_and_saveexec_b32 s9, s12
	s_cbranch_execz .LBB173_184
.LBB173_203:
	v_cmp_ne_u32_e32 vcc_lo, 1, v144
	s_cbranch_vccnz .LBB173_205
; %bb.204:
	v_lshlrev_b64 v[110:111], 3, v[136:137]
	v_add_co_u32 v110, vcc_lo, v108, v110
	v_add_co_ci_u32_e64 v111, null, v109, v111, vcc_lo
	global_load_dwordx2 v[110:111], v[110:111], off
	s_waitcnt vmcnt(0)
	v_mul_f64 v[110:111], s[10:11], v[110:111]
	v_cvt_f32_f64_e32 v110, v[110:111]
	s_branch .LBB173_206
.LBB173_205:
	v_mov_b32_e32 v110, 0
.LBB173_206:
	v_add_f64 v[111:112], v[38:39], v[102:103]
	v_add_f64 v[113:114], v[40:41], v[104:105]
	;; [unrolled: 1-line block ×4, first 2 shown]
	v_cvt_f32_f64_e32 v111, v[111:112]
	v_cvt_f32_f64_e32 v112, v[113:114]
	;; [unrolled: 1-line block ×4, first 2 shown]
	v_min3_f32 v111, v111, v112, v193
	v_min_f32_e32 v112, v113, v114
	v_min3_f32 v110, v110, v112, v111
	v_lshlrev_b64 v[112:113], 3, v[136:137]
	v_cvt_f64_f32_e32 v[110:111], v110
	v_add_co_u32 v112, vcc_lo, v106, v112
	v_add_co_ci_u32_e64 v113, null, v107, v113, vcc_lo
	global_store_dwordx2 v[112:113], v[110:111], off
	s_or_b32 exec_lo, exec_lo, s9
	s_and_b32 s12, s5, s8
	s_and_saveexec_b32 s9, s12
	s_cbranch_execz .LBB173_185
.LBB173_207:
	v_cmp_ne_u32_e32 vcc_lo, 1, v144
	s_cbranch_vccnz .LBB173_209
; %bb.208:
	v_lshlrev_b64 v[110:111], 3, v[138:139]
	v_add_co_u32 v110, vcc_lo, v108, v110
	v_add_co_ci_u32_e64 v111, null, v109, v111, vcc_lo
	global_load_dwordx2 v[110:111], v[110:111], off
	s_waitcnt vmcnt(0)
	v_mul_f64 v[110:111], s[10:11], v[110:111]
	v_cvt_f32_f64_e32 v110, v[110:111]
	s_branch .LBB173_210
.LBB173_209:
	v_mov_b32_e32 v110, 0
.LBB173_210:
	v_add_f64 v[111:112], v[30:31], v[102:103]
	v_add_f64 v[113:114], v[32:33], v[104:105]
	;; [unrolled: 1-line block ×4, first 2 shown]
	v_cvt_f32_f64_e32 v111, v[111:112]
	v_cvt_f32_f64_e32 v112, v[113:114]
	;; [unrolled: 1-line block ×4, first 2 shown]
	v_min3_f32 v111, v111, v112, v192
	v_min_f32_e32 v112, v113, v114
	v_min3_f32 v110, v110, v112, v111
	v_lshlrev_b64 v[112:113], 3, v[138:139]
	v_cvt_f64_f32_e32 v[110:111], v110
	v_add_co_u32 v112, vcc_lo, v106, v112
	v_add_co_ci_u32_e64 v113, null, v107, v113, vcc_lo
	global_store_dwordx2 v[112:113], v[110:111], off
	s_or_b32 exec_lo, exec_lo, s9
	s_and_b32 s12, s6, s8
	s_and_saveexec_b32 s9, s12
	s_cbranch_execz .LBB173_186
.LBB173_211:
	v_cmp_ne_u32_e32 vcc_lo, 1, v144
	s_cbranch_vccnz .LBB173_213
; %bb.212:
	v_lshlrev_b64 v[110:111], 3, v[140:141]
	v_add_co_u32 v110, vcc_lo, v108, v110
	v_add_co_ci_u32_e64 v111, null, v109, v111, vcc_lo
	global_load_dwordx2 v[110:111], v[110:111], off
	s_waitcnt vmcnt(0)
	v_mul_f64 v[110:111], s[10:11], v[110:111]
	v_cvt_f32_f64_e32 v110, v[110:111]
	s_branch .LBB173_214
.LBB173_213:
	v_mov_b32_e32 v110, 0
.LBB173_214:
	v_add_f64 v[111:112], v[22:23], v[102:103]
	v_add_f64 v[113:114], v[24:25], v[104:105]
	;; [unrolled: 1-line block ×4, first 2 shown]
	v_cvt_f32_f64_e32 v111, v[111:112]
	v_cvt_f32_f64_e32 v112, v[113:114]
	;; [unrolled: 1-line block ×4, first 2 shown]
	v_min3_f32 v111, v111, v112, v191
	v_min_f32_e32 v112, v113, v114
	v_min3_f32 v110, v110, v112, v111
	v_lshlrev_b64 v[112:113], 3, v[140:141]
	v_cvt_f64_f32_e32 v[110:111], v110
	v_add_co_u32 v112, vcc_lo, v106, v112
	v_add_co_ci_u32_e64 v113, null, v107, v113, vcc_lo
	global_store_dwordx2 v[112:113], v[110:111], off
	s_or_b32 exec_lo, exec_lo, s9
	s_and_b32 s9, s7, s8
	s_and_saveexec_b32 s8, s9
	s_cbranch_execz .LBB173_219
.LBB173_215:
	v_cmp_ne_u32_e32 vcc_lo, 1, v144
	s_cbranch_vccnz .LBB173_217
; %bb.216:
	v_lshlrev_b64 v[110:111], 3, v[142:143]
	v_add_co_u32 v108, vcc_lo, v108, v110
	v_add_co_ci_u32_e64 v109, null, v109, v111, vcc_lo
	global_load_dwordx2 v[108:109], v[108:109], off
	s_waitcnt vmcnt(0)
	v_mul_f64 v[108:109], s[10:11], v[108:109]
	v_cvt_f32_f64_e32 v108, v[108:109]
	s_branch .LBB173_218
.LBB173_217:
	v_mov_b32_e32 v108, 0
.LBB173_218:
	v_add_f64 v[102:103], v[6:7], v[102:103]
	v_add_f64 v[104:105], v[8:9], v[104:105]
	;; [unrolled: 1-line block ×4, first 2 shown]
	v_cvt_f32_f64_e32 v102, v[102:103]
	v_cvt_f32_f64_e32 v103, v[104:105]
	;; [unrolled: 1-line block ×4, first 2 shown]
	v_min3_f32 v100, v102, v103, v190
	v_min_f32_e32 v98, v98, v99
	v_min3_f32 v98, v108, v98, v100
	v_lshlrev_b64 v[100:101], 3, v[142:143]
	v_cvt_f64_f32_e32 v[98:99], v98
	v_add_co_u32 v100, vcc_lo, v106, v100
	v_add_co_ci_u32_e64 v101, null, v107, v101, vcc_lo
	global_store_dwordx2 v[100:101], v[98:99], off
.LBB173_219:
	s_or_b32 exec_lo, exec_lo, s8
	v_add_nc_u32_e32 v102, 0x80, v145
	v_mad_i64_i32 v[98:99], null, v102, s16, 0
	v_mad_i64_i32 v[100:101], null, v102, s14, 0
	v_cmp_gt_i32_e64 s8, s13, v102
	v_lshlrev_b64 v[98:99], 3, v[98:99]
	s_and_b32 s12, s0, s8
	v_lshlrev_b64 v[102:103], 3, v[100:101]
	v_add_co_u32 v100, vcc_lo, s22, v98
	v_add_co_ci_u32_e64 v101, null, s23, v99, vcc_lo
	v_add_co_u32 v98, vcc_lo, s17, v102
	v_add_co_ci_u32_e64 v99, null, s15, v103, vcc_lo
	s_and_saveexec_b32 s9, s12
	s_cbranch_execnz .LBB173_227
; %bb.220:
	s_or_b32 exec_lo, exec_lo, s9
	s_and_b32 s12, s1, s8
	s_and_saveexec_b32 s9, s12
	s_cbranch_execnz .LBB173_231
.LBB173_221:
	s_or_b32 exec_lo, exec_lo, s9
	s_and_b32 s12, s2, s8
	s_and_saveexec_b32 s9, s12
	s_cbranch_execnz .LBB173_235
.LBB173_222:
	s_or_b32 exec_lo, exec_lo, s9
	s_and_b32 s12, s3, s8
	s_and_saveexec_b32 s9, s12
	s_cbranch_execnz .LBB173_239
.LBB173_223:
	s_or_b32 exec_lo, exec_lo, s9
	s_and_b32 s12, s4, s8
	s_and_saveexec_b32 s9, s12
	s_cbranch_execnz .LBB173_243
.LBB173_224:
	s_or_b32 exec_lo, exec_lo, s9
	s_and_b32 s12, s5, s8
	s_and_saveexec_b32 s9, s12
	s_cbranch_execnz .LBB173_247
.LBB173_225:
	s_or_b32 exec_lo, exec_lo, s9
	s_and_b32 s12, s6, s8
	s_and_saveexec_b32 s9, s12
	s_cbranch_execnz .LBB173_251
.LBB173_226:
	s_or_b32 exec_lo, exec_lo, s9
	s_and_b32 s9, s7, s8
	s_and_saveexec_b32 s8, s9
	s_cbranch_execnz .LBB173_255
	s_branch .LBB173_259
.LBB173_227:
	v_cmp_ne_u32_e32 vcc_lo, 1, v144
	s_cbranch_vccnz .LBB173_229
; %bb.228:
	v_lshlrev_b64 v[102:103], 3, v[0:1]
	v_add_co_u32 v102, vcc_lo, v100, v102
	v_add_co_ci_u32_e64 v103, null, v101, v103, vcc_lo
	global_load_dwordx2 v[102:103], v[102:103], off
	s_waitcnt vmcnt(0)
	v_mul_f64 v[102:103], s[10:11], v[102:103]
	v_cvt_f32_f64_e32 v102, v[102:103]
	s_branch .LBB173_230
.LBB173_229:
	v_mov_b32_e32 v102, 0
.LBB173_230:
	v_add_f64 v[103:104], v[70:71], v[94:95]
	v_add_f64 v[105:106], v[72:73], v[96:97]
	;; [unrolled: 1-line block ×4, first 2 shown]
	v_cvt_f32_f64_e32 v103, v[103:104]
	v_cvt_f32_f64_e32 v104, v[105:106]
	v_cvt_f32_f64_e32 v105, v[107:108]
	v_cvt_f32_f64_e32 v106, v[109:110]
	v_min3_f32 v103, v103, v104, v189
	v_min_f32_e32 v104, v105, v106
	v_min3_f32 v102, v102, v104, v103
	v_lshlrev_b64 v[104:105], 3, v[0:1]
	v_cvt_f64_f32_e32 v[102:103], v102
	v_add_co_u32 v104, vcc_lo, v98, v104
	v_add_co_ci_u32_e64 v105, null, v99, v105, vcc_lo
	global_store_dwordx2 v[104:105], v[102:103], off
	s_or_b32 exec_lo, exec_lo, s9
	s_and_b32 s12, s1, s8
	s_and_saveexec_b32 s9, s12
	s_cbranch_execz .LBB173_221
.LBB173_231:
	v_cmp_ne_u32_e32 vcc_lo, 1, v144
	s_cbranch_vccnz .LBB173_233
; %bb.232:
	v_lshlrev_b64 v[102:103], 3, v[130:131]
	v_add_co_u32 v102, vcc_lo, v100, v102
	v_add_co_ci_u32_e64 v103, null, v101, v103, vcc_lo
	global_load_dwordx2 v[102:103], v[102:103], off
	s_waitcnt vmcnt(0)
	v_mul_f64 v[102:103], s[10:11], v[102:103]
	v_cvt_f32_f64_e32 v102, v[102:103]
	s_branch .LBB173_234
.LBB173_233:
	v_mov_b32_e32 v102, 0
.LBB173_234:
	v_add_f64 v[103:104], v[62:63], v[94:95]
	v_add_f64 v[105:106], v[64:65], v[96:97]
	;; [unrolled: 1-line block ×4, first 2 shown]
	v_cvt_f32_f64_e32 v103, v[103:104]
	v_cvt_f32_f64_e32 v104, v[105:106]
	;; [unrolled: 1-line block ×4, first 2 shown]
	v_min3_f32 v103, v103, v104, v188
	v_min_f32_e32 v104, v105, v106
	v_min3_f32 v102, v102, v104, v103
	v_lshlrev_b64 v[104:105], 3, v[130:131]
	v_cvt_f64_f32_e32 v[102:103], v102
	v_add_co_u32 v104, vcc_lo, v98, v104
	v_add_co_ci_u32_e64 v105, null, v99, v105, vcc_lo
	global_store_dwordx2 v[104:105], v[102:103], off
	s_or_b32 exec_lo, exec_lo, s9
	s_and_b32 s12, s2, s8
	s_and_saveexec_b32 s9, s12
	s_cbranch_execz .LBB173_222
.LBB173_235:
	v_cmp_ne_u32_e32 vcc_lo, 1, v144
	s_cbranch_vccnz .LBB173_237
; %bb.236:
	v_lshlrev_b64 v[102:103], 3, v[132:133]
	v_add_co_u32 v102, vcc_lo, v100, v102
	v_add_co_ci_u32_e64 v103, null, v101, v103, vcc_lo
	global_load_dwordx2 v[102:103], v[102:103], off
	s_waitcnt vmcnt(0)
	v_mul_f64 v[102:103], s[10:11], v[102:103]
	v_cvt_f32_f64_e32 v102, v[102:103]
	s_branch .LBB173_238
.LBB173_237:
	v_mov_b32_e32 v102, 0
.LBB173_238:
	v_add_f64 v[103:104], v[54:55], v[94:95]
	v_add_f64 v[105:106], v[56:57], v[96:97]
	;; [unrolled: 1-line block ×4, first 2 shown]
	v_cvt_f32_f64_e32 v103, v[103:104]
	v_cvt_f32_f64_e32 v104, v[105:106]
	;; [unrolled: 1-line block ×4, first 2 shown]
	v_min3_f32 v103, v103, v104, v187
	v_min_f32_e32 v104, v105, v106
	v_min3_f32 v102, v102, v104, v103
	v_lshlrev_b64 v[104:105], 3, v[132:133]
	v_cvt_f64_f32_e32 v[102:103], v102
	v_add_co_u32 v104, vcc_lo, v98, v104
	v_add_co_ci_u32_e64 v105, null, v99, v105, vcc_lo
	global_store_dwordx2 v[104:105], v[102:103], off
	s_or_b32 exec_lo, exec_lo, s9
	s_and_b32 s12, s3, s8
	s_and_saveexec_b32 s9, s12
	s_cbranch_execz .LBB173_223
.LBB173_239:
	v_cmp_ne_u32_e32 vcc_lo, 1, v144
	s_cbranch_vccnz .LBB173_241
; %bb.240:
	v_lshlrev_b64 v[102:103], 3, v[134:135]
	v_add_co_u32 v102, vcc_lo, v100, v102
	v_add_co_ci_u32_e64 v103, null, v101, v103, vcc_lo
	global_load_dwordx2 v[102:103], v[102:103], off
	s_waitcnt vmcnt(0)
	v_mul_f64 v[102:103], s[10:11], v[102:103]
	v_cvt_f32_f64_e32 v102, v[102:103]
	s_branch .LBB173_242
.LBB173_241:
	v_mov_b32_e32 v102, 0
.LBB173_242:
	v_add_f64 v[103:104], v[46:47], v[94:95]
	v_add_f64 v[105:106], v[48:49], v[96:97]
	;; [unrolled: 1-line block ×4, first 2 shown]
	v_cvt_f32_f64_e32 v103, v[103:104]
	v_cvt_f32_f64_e32 v104, v[105:106]
	;; [unrolled: 1-line block ×4, first 2 shown]
	v_min3_f32 v103, v103, v104, v186
	v_min_f32_e32 v104, v105, v106
	v_min3_f32 v102, v102, v104, v103
	v_lshlrev_b64 v[104:105], 3, v[134:135]
	v_cvt_f64_f32_e32 v[102:103], v102
	v_add_co_u32 v104, vcc_lo, v98, v104
	v_add_co_ci_u32_e64 v105, null, v99, v105, vcc_lo
	global_store_dwordx2 v[104:105], v[102:103], off
	s_or_b32 exec_lo, exec_lo, s9
	s_and_b32 s12, s4, s8
	s_and_saveexec_b32 s9, s12
	s_cbranch_execz .LBB173_224
.LBB173_243:
	v_cmp_ne_u32_e32 vcc_lo, 1, v144
	s_cbranch_vccnz .LBB173_245
; %bb.244:
	v_lshlrev_b64 v[102:103], 3, v[136:137]
	v_add_co_u32 v102, vcc_lo, v100, v102
	v_add_co_ci_u32_e64 v103, null, v101, v103, vcc_lo
	global_load_dwordx2 v[102:103], v[102:103], off
	s_waitcnt vmcnt(0)
	v_mul_f64 v[102:103], s[10:11], v[102:103]
	v_cvt_f32_f64_e32 v102, v[102:103]
	s_branch .LBB173_246
.LBB173_245:
	v_mov_b32_e32 v102, 0
.LBB173_246:
	v_add_f64 v[103:104], v[38:39], v[94:95]
	v_add_f64 v[105:106], v[40:41], v[96:97]
	;; [unrolled: 1-line block ×4, first 2 shown]
	v_cvt_f32_f64_e32 v103, v[103:104]
	v_cvt_f32_f64_e32 v104, v[105:106]
	;; [unrolled: 1-line block ×4, first 2 shown]
	v_min3_f32 v103, v103, v104, v185
	v_min_f32_e32 v104, v105, v106
	v_min3_f32 v102, v102, v104, v103
	v_lshlrev_b64 v[104:105], 3, v[136:137]
	v_cvt_f64_f32_e32 v[102:103], v102
	v_add_co_u32 v104, vcc_lo, v98, v104
	v_add_co_ci_u32_e64 v105, null, v99, v105, vcc_lo
	global_store_dwordx2 v[104:105], v[102:103], off
	s_or_b32 exec_lo, exec_lo, s9
	s_and_b32 s12, s5, s8
	s_and_saveexec_b32 s9, s12
	s_cbranch_execz .LBB173_225
.LBB173_247:
	v_cmp_ne_u32_e32 vcc_lo, 1, v144
	s_cbranch_vccnz .LBB173_249
; %bb.248:
	v_lshlrev_b64 v[102:103], 3, v[138:139]
	v_add_co_u32 v102, vcc_lo, v100, v102
	v_add_co_ci_u32_e64 v103, null, v101, v103, vcc_lo
	global_load_dwordx2 v[102:103], v[102:103], off
	s_waitcnt vmcnt(0)
	v_mul_f64 v[102:103], s[10:11], v[102:103]
	v_cvt_f32_f64_e32 v102, v[102:103]
	s_branch .LBB173_250
.LBB173_249:
	v_mov_b32_e32 v102, 0
.LBB173_250:
	v_add_f64 v[103:104], v[30:31], v[94:95]
	v_add_f64 v[105:106], v[32:33], v[96:97]
	;; [unrolled: 1-line block ×4, first 2 shown]
	v_cvt_f32_f64_e32 v103, v[103:104]
	v_cvt_f32_f64_e32 v104, v[105:106]
	v_cvt_f32_f64_e32 v105, v[107:108]
	v_cvt_f32_f64_e32 v106, v[109:110]
	v_min3_f32 v103, v103, v104, v184
	v_min_f32_e32 v104, v105, v106
	v_min3_f32 v102, v102, v104, v103
	v_lshlrev_b64 v[104:105], 3, v[138:139]
	v_cvt_f64_f32_e32 v[102:103], v102
	v_add_co_u32 v104, vcc_lo, v98, v104
	v_add_co_ci_u32_e64 v105, null, v99, v105, vcc_lo
	global_store_dwordx2 v[104:105], v[102:103], off
	s_or_b32 exec_lo, exec_lo, s9
	s_and_b32 s12, s6, s8
	s_and_saveexec_b32 s9, s12
	s_cbranch_execz .LBB173_226
.LBB173_251:
	v_cmp_ne_u32_e32 vcc_lo, 1, v144
	s_cbranch_vccnz .LBB173_253
; %bb.252:
	v_lshlrev_b64 v[102:103], 3, v[140:141]
	v_add_co_u32 v102, vcc_lo, v100, v102
	v_add_co_ci_u32_e64 v103, null, v101, v103, vcc_lo
	global_load_dwordx2 v[102:103], v[102:103], off
	s_waitcnt vmcnt(0)
	v_mul_f64 v[102:103], s[10:11], v[102:103]
	v_cvt_f32_f64_e32 v102, v[102:103]
	s_branch .LBB173_254
.LBB173_253:
	v_mov_b32_e32 v102, 0
.LBB173_254:
	v_add_f64 v[103:104], v[22:23], v[94:95]
	v_add_f64 v[105:106], v[24:25], v[96:97]
	v_add_f64 v[107:108], v[18:19], v[90:91]
	v_add_f64 v[109:110], v[20:21], v[92:93]
	v_cvt_f32_f64_e32 v103, v[103:104]
	v_cvt_f32_f64_e32 v104, v[105:106]
	;; [unrolled: 1-line block ×4, first 2 shown]
	v_min3_f32 v103, v103, v104, v183
	v_min_f32_e32 v104, v105, v106
	v_min3_f32 v102, v102, v104, v103
	v_lshlrev_b64 v[104:105], 3, v[140:141]
	v_cvt_f64_f32_e32 v[102:103], v102
	v_add_co_u32 v104, vcc_lo, v98, v104
	v_add_co_ci_u32_e64 v105, null, v99, v105, vcc_lo
	global_store_dwordx2 v[104:105], v[102:103], off
	s_or_b32 exec_lo, exec_lo, s9
	s_and_b32 s9, s7, s8
	s_and_saveexec_b32 s8, s9
	s_cbranch_execz .LBB173_259
.LBB173_255:
	v_cmp_ne_u32_e32 vcc_lo, 1, v144
	s_cbranch_vccnz .LBB173_257
; %bb.256:
	v_lshlrev_b64 v[102:103], 3, v[142:143]
	v_add_co_u32 v100, vcc_lo, v100, v102
	v_add_co_ci_u32_e64 v101, null, v101, v103, vcc_lo
	global_load_dwordx2 v[100:101], v[100:101], off
	s_waitcnt vmcnt(0)
	v_mul_f64 v[100:101], s[10:11], v[100:101]
	v_cvt_f32_f64_e32 v100, v[100:101]
	s_branch .LBB173_258
.LBB173_257:
	v_mov_b32_e32 v100, 0
.LBB173_258:
	v_add_f64 v[94:95], v[6:7], v[94:95]
	v_add_f64 v[96:97], v[8:9], v[96:97]
	;; [unrolled: 1-line block ×4, first 2 shown]
	v_cvt_f32_f64_e32 v94, v[94:95]
	v_cvt_f32_f64_e32 v95, v[96:97]
	v_cvt_f32_f64_e32 v90, v[90:91]
	v_cvt_f32_f64_e32 v91, v[92:93]
	v_min3_f32 v92, v94, v95, v182
	v_min_f32_e32 v90, v90, v91
	v_min3_f32 v90, v100, v90, v92
	v_lshlrev_b64 v[92:93], 3, v[142:143]
	v_cvt_f64_f32_e32 v[90:91], v90
	v_add_co_u32 v92, vcc_lo, v98, v92
	v_add_co_ci_u32_e64 v93, null, v99, v93, vcc_lo
	global_store_dwordx2 v[92:93], v[90:91], off
.LBB173_259:
	s_or_b32 exec_lo, exec_lo, s8
	v_add_nc_u32_e32 v94, 0xa0, v145
	v_mad_i64_i32 v[90:91], null, v94, s16, 0
	v_mad_i64_i32 v[92:93], null, v94, s14, 0
	v_cmp_gt_i32_e64 s8, s13, v94
	v_lshlrev_b64 v[90:91], 3, v[90:91]
	s_and_b32 s12, s0, s8
	v_lshlrev_b64 v[94:95], 3, v[92:93]
	v_add_co_u32 v92, vcc_lo, s22, v90
	v_add_co_ci_u32_e64 v93, null, s23, v91, vcc_lo
	v_add_co_u32 v90, vcc_lo, s17, v94
	v_add_co_ci_u32_e64 v91, null, s15, v95, vcc_lo
	s_and_saveexec_b32 s9, s12
	s_cbranch_execnz .LBB173_267
; %bb.260:
	s_or_b32 exec_lo, exec_lo, s9
	s_and_b32 s12, s1, s8
	s_and_saveexec_b32 s9, s12
	s_cbranch_execnz .LBB173_271
.LBB173_261:
	s_or_b32 exec_lo, exec_lo, s9
	s_and_b32 s12, s2, s8
	s_and_saveexec_b32 s9, s12
	s_cbranch_execnz .LBB173_275
.LBB173_262:
	s_or_b32 exec_lo, exec_lo, s9
	s_and_b32 s12, s3, s8
	s_and_saveexec_b32 s9, s12
	s_cbranch_execnz .LBB173_279
.LBB173_263:
	s_or_b32 exec_lo, exec_lo, s9
	s_and_b32 s12, s4, s8
	s_and_saveexec_b32 s9, s12
	s_cbranch_execnz .LBB173_283
.LBB173_264:
	s_or_b32 exec_lo, exec_lo, s9
	s_and_b32 s12, s5, s8
	s_and_saveexec_b32 s9, s12
	s_cbranch_execnz .LBB173_287
.LBB173_265:
	s_or_b32 exec_lo, exec_lo, s9
	s_and_b32 s12, s6, s8
	s_and_saveexec_b32 s9, s12
	s_cbranch_execnz .LBB173_291
.LBB173_266:
	s_or_b32 exec_lo, exec_lo, s9
	s_and_b32 s9, s7, s8
	s_and_saveexec_b32 s8, s9
	s_cbranch_execnz .LBB173_295
	s_branch .LBB173_299
.LBB173_267:
	v_cmp_ne_u32_e32 vcc_lo, 1, v144
	s_cbranch_vccnz .LBB173_269
; %bb.268:
	v_lshlrev_b64 v[94:95], 3, v[0:1]
	v_add_co_u32 v94, vcc_lo, v92, v94
	v_add_co_ci_u32_e64 v95, null, v93, v95, vcc_lo
	global_load_dwordx2 v[94:95], v[94:95], off
	s_waitcnt vmcnt(0)
	v_mul_f64 v[94:95], s[10:11], v[94:95]
	v_cvt_f32_f64_e32 v94, v[94:95]
	s_branch .LBB173_270
.LBB173_269:
	v_mov_b32_e32 v94, 0
.LBB173_270:
	v_add_f64 v[95:96], v[70:71], v[86:87]
	v_add_f64 v[97:98], v[72:73], v[88:89]
	;; [unrolled: 1-line block ×4, first 2 shown]
	v_cvt_f32_f64_e32 v95, v[95:96]
	v_cvt_f32_f64_e32 v96, v[97:98]
	v_cvt_f32_f64_e32 v97, v[99:100]
	v_cvt_f32_f64_e32 v98, v[101:102]
	v_min3_f32 v95, v95, v96, v181
	v_min_f32_e32 v96, v97, v98
	v_min3_f32 v94, v94, v96, v95
	v_lshlrev_b64 v[96:97], 3, v[0:1]
	v_cvt_f64_f32_e32 v[94:95], v94
	v_add_co_u32 v96, vcc_lo, v90, v96
	v_add_co_ci_u32_e64 v97, null, v91, v97, vcc_lo
	global_store_dwordx2 v[96:97], v[94:95], off
	s_or_b32 exec_lo, exec_lo, s9
	s_and_b32 s12, s1, s8
	s_and_saveexec_b32 s9, s12
	s_cbranch_execz .LBB173_261
.LBB173_271:
	v_cmp_ne_u32_e32 vcc_lo, 1, v144
	s_cbranch_vccnz .LBB173_273
; %bb.272:
	v_lshlrev_b64 v[94:95], 3, v[130:131]
	v_add_co_u32 v94, vcc_lo, v92, v94
	v_add_co_ci_u32_e64 v95, null, v93, v95, vcc_lo
	global_load_dwordx2 v[94:95], v[94:95], off
	s_waitcnt vmcnt(0)
	v_mul_f64 v[94:95], s[10:11], v[94:95]
	v_cvt_f32_f64_e32 v94, v[94:95]
	s_branch .LBB173_274
.LBB173_273:
	v_mov_b32_e32 v94, 0
.LBB173_274:
	v_add_f64 v[95:96], v[62:63], v[86:87]
	v_add_f64 v[97:98], v[64:65], v[88:89]
	v_add_f64 v[99:100], v[58:59], v[82:83]
	v_add_f64 v[101:102], v[60:61], v[84:85]
	v_cvt_f32_f64_e32 v95, v[95:96]
	v_cvt_f32_f64_e32 v96, v[97:98]
	;; [unrolled: 1-line block ×4, first 2 shown]
	v_min3_f32 v95, v95, v96, v176
	v_min_f32_e32 v96, v97, v98
	v_min3_f32 v94, v94, v96, v95
	v_lshlrev_b64 v[96:97], 3, v[130:131]
	v_cvt_f64_f32_e32 v[94:95], v94
	v_add_co_u32 v96, vcc_lo, v90, v96
	v_add_co_ci_u32_e64 v97, null, v91, v97, vcc_lo
	global_store_dwordx2 v[96:97], v[94:95], off
	s_or_b32 exec_lo, exec_lo, s9
	s_and_b32 s12, s2, s8
	s_and_saveexec_b32 s9, s12
	s_cbranch_execz .LBB173_262
.LBB173_275:
	v_cmp_ne_u32_e32 vcc_lo, 1, v144
	s_cbranch_vccnz .LBB173_277
; %bb.276:
	v_lshlrev_b64 v[94:95], 3, v[132:133]
	v_add_co_u32 v94, vcc_lo, v92, v94
	v_add_co_ci_u32_e64 v95, null, v93, v95, vcc_lo
	global_load_dwordx2 v[94:95], v[94:95], off
	s_waitcnt vmcnt(0)
	v_mul_f64 v[94:95], s[10:11], v[94:95]
	v_cvt_f32_f64_e32 v94, v[94:95]
	s_branch .LBB173_278
.LBB173_277:
	v_mov_b32_e32 v94, 0
.LBB173_278:
	v_add_f64 v[95:96], v[54:55], v[86:87]
	v_add_f64 v[97:98], v[56:57], v[88:89]
	;; [unrolled: 1-line block ×4, first 2 shown]
	v_cvt_f32_f64_e32 v95, v[95:96]
	v_cvt_f32_f64_e32 v96, v[97:98]
	;; [unrolled: 1-line block ×4, first 2 shown]
	v_min3_f32 v95, v95, v96, v174
	v_min_f32_e32 v96, v97, v98
	v_min3_f32 v94, v94, v96, v95
	v_lshlrev_b64 v[96:97], 3, v[132:133]
	v_cvt_f64_f32_e32 v[94:95], v94
	v_add_co_u32 v96, vcc_lo, v90, v96
	v_add_co_ci_u32_e64 v97, null, v91, v97, vcc_lo
	global_store_dwordx2 v[96:97], v[94:95], off
	s_or_b32 exec_lo, exec_lo, s9
	s_and_b32 s12, s3, s8
	s_and_saveexec_b32 s9, s12
	s_cbranch_execz .LBB173_263
.LBB173_279:
	v_cmp_ne_u32_e32 vcc_lo, 1, v144
	s_cbranch_vccnz .LBB173_281
; %bb.280:
	v_lshlrev_b64 v[94:95], 3, v[134:135]
	v_add_co_u32 v94, vcc_lo, v92, v94
	v_add_co_ci_u32_e64 v95, null, v93, v95, vcc_lo
	global_load_dwordx2 v[94:95], v[94:95], off
	s_waitcnt vmcnt(0)
	v_mul_f64 v[94:95], s[10:11], v[94:95]
	v_cvt_f32_f64_e32 v94, v[94:95]
	s_branch .LBB173_282
.LBB173_281:
	v_mov_b32_e32 v94, 0
.LBB173_282:
	v_add_f64 v[95:96], v[46:47], v[86:87]
	v_add_f64 v[97:98], v[48:49], v[88:89]
	;; [unrolled: 1-line block ×4, first 2 shown]
	v_cvt_f32_f64_e32 v95, v[95:96]
	v_cvt_f32_f64_e32 v96, v[97:98]
	;; [unrolled: 1-line block ×4, first 2 shown]
	v_min3_f32 v95, v95, v96, v170
	v_min_f32_e32 v96, v97, v98
	v_min3_f32 v94, v94, v96, v95
	v_lshlrev_b64 v[96:97], 3, v[134:135]
	v_cvt_f64_f32_e32 v[94:95], v94
	v_add_co_u32 v96, vcc_lo, v90, v96
	v_add_co_ci_u32_e64 v97, null, v91, v97, vcc_lo
	global_store_dwordx2 v[96:97], v[94:95], off
	s_or_b32 exec_lo, exec_lo, s9
	s_and_b32 s12, s4, s8
	s_and_saveexec_b32 s9, s12
	s_cbranch_execz .LBB173_264
.LBB173_283:
	v_cmp_ne_u32_e32 vcc_lo, 1, v144
	s_cbranch_vccnz .LBB173_285
; %bb.284:
	v_lshlrev_b64 v[94:95], 3, v[136:137]
	v_add_co_u32 v94, vcc_lo, v92, v94
	v_add_co_ci_u32_e64 v95, null, v93, v95, vcc_lo
	global_load_dwordx2 v[94:95], v[94:95], off
	s_waitcnt vmcnt(0)
	v_mul_f64 v[94:95], s[10:11], v[94:95]
	v_cvt_f32_f64_e32 v94, v[94:95]
	s_branch .LBB173_286
.LBB173_285:
	v_mov_b32_e32 v94, 0
.LBB173_286:
	v_add_f64 v[95:96], v[38:39], v[86:87]
	v_add_f64 v[97:98], v[40:41], v[88:89]
	;; [unrolled: 1-line block ×4, first 2 shown]
	v_cvt_f32_f64_e32 v95, v[95:96]
	v_cvt_f32_f64_e32 v96, v[97:98]
	;; [unrolled: 1-line block ×4, first 2 shown]
	v_min3_f32 v95, v95, v96, v169
	v_min_f32_e32 v96, v97, v98
	v_min3_f32 v94, v94, v96, v95
	v_lshlrev_b64 v[96:97], 3, v[136:137]
	v_cvt_f64_f32_e32 v[94:95], v94
	v_add_co_u32 v96, vcc_lo, v90, v96
	v_add_co_ci_u32_e64 v97, null, v91, v97, vcc_lo
	global_store_dwordx2 v[96:97], v[94:95], off
	s_or_b32 exec_lo, exec_lo, s9
	s_and_b32 s12, s5, s8
	s_and_saveexec_b32 s9, s12
	s_cbranch_execz .LBB173_265
.LBB173_287:
	v_cmp_ne_u32_e32 vcc_lo, 1, v144
	s_cbranch_vccnz .LBB173_289
; %bb.288:
	v_lshlrev_b64 v[94:95], 3, v[138:139]
	v_add_co_u32 v94, vcc_lo, v92, v94
	v_add_co_ci_u32_e64 v95, null, v93, v95, vcc_lo
	global_load_dwordx2 v[94:95], v[94:95], off
	s_waitcnt vmcnt(0)
	v_mul_f64 v[94:95], s[10:11], v[94:95]
	v_cvt_f32_f64_e32 v94, v[94:95]
	s_branch .LBB173_290
.LBB173_289:
	v_mov_b32_e32 v94, 0
.LBB173_290:
	v_add_f64 v[95:96], v[30:31], v[86:87]
	v_add_f64 v[97:98], v[32:33], v[88:89]
	;; [unrolled: 1-line block ×4, first 2 shown]
	v_cvt_f32_f64_e32 v95, v[95:96]
	v_cvt_f32_f64_e32 v96, v[97:98]
	;; [unrolled: 1-line block ×4, first 2 shown]
	v_min3_f32 v95, v95, v96, v168
	v_min_f32_e32 v96, v97, v98
	v_min3_f32 v94, v94, v96, v95
	v_lshlrev_b64 v[96:97], 3, v[138:139]
	v_cvt_f64_f32_e32 v[94:95], v94
	v_add_co_u32 v96, vcc_lo, v90, v96
	v_add_co_ci_u32_e64 v97, null, v91, v97, vcc_lo
	global_store_dwordx2 v[96:97], v[94:95], off
	s_or_b32 exec_lo, exec_lo, s9
	s_and_b32 s12, s6, s8
	s_and_saveexec_b32 s9, s12
	s_cbranch_execz .LBB173_266
.LBB173_291:
	v_cmp_ne_u32_e32 vcc_lo, 1, v144
	s_cbranch_vccnz .LBB173_293
; %bb.292:
	v_lshlrev_b64 v[94:95], 3, v[140:141]
	v_add_co_u32 v94, vcc_lo, v92, v94
	v_add_co_ci_u32_e64 v95, null, v93, v95, vcc_lo
	global_load_dwordx2 v[94:95], v[94:95], off
	s_waitcnt vmcnt(0)
	v_mul_f64 v[94:95], s[10:11], v[94:95]
	v_cvt_f32_f64_e32 v94, v[94:95]
	s_branch .LBB173_294
.LBB173_293:
	v_mov_b32_e32 v94, 0
.LBB173_294:
	v_add_f64 v[95:96], v[22:23], v[86:87]
	v_add_f64 v[97:98], v[24:25], v[88:89]
	;; [unrolled: 1-line block ×4, first 2 shown]
	v_cvt_f32_f64_e32 v95, v[95:96]
	v_cvt_f32_f64_e32 v96, v[97:98]
	;; [unrolled: 1-line block ×4, first 2 shown]
	v_min3_f32 v95, v95, v96, v167
	v_min_f32_e32 v96, v97, v98
	v_min3_f32 v94, v94, v96, v95
	v_lshlrev_b64 v[96:97], 3, v[140:141]
	v_cvt_f64_f32_e32 v[94:95], v94
	v_add_co_u32 v96, vcc_lo, v90, v96
	v_add_co_ci_u32_e64 v97, null, v91, v97, vcc_lo
	global_store_dwordx2 v[96:97], v[94:95], off
	s_or_b32 exec_lo, exec_lo, s9
	s_and_b32 s9, s7, s8
	s_and_saveexec_b32 s8, s9
	s_cbranch_execz .LBB173_299
.LBB173_295:
	v_cmp_ne_u32_e32 vcc_lo, 1, v144
	s_cbranch_vccnz .LBB173_297
; %bb.296:
	v_lshlrev_b64 v[94:95], 3, v[142:143]
	v_add_co_u32 v92, vcc_lo, v92, v94
	v_add_co_ci_u32_e64 v93, null, v93, v95, vcc_lo
	global_load_dwordx2 v[92:93], v[92:93], off
	s_waitcnt vmcnt(0)
	v_mul_f64 v[92:93], s[10:11], v[92:93]
	v_cvt_f32_f64_e32 v92, v[92:93]
	s_branch .LBB173_298
.LBB173_297:
	v_mov_b32_e32 v92, 0
.LBB173_298:
	v_add_f64 v[86:87], v[6:7], v[86:87]
	v_add_f64 v[88:89], v[8:9], v[88:89]
	;; [unrolled: 1-line block ×4, first 2 shown]
	v_cvt_f32_f64_e32 v86, v[86:87]
	v_cvt_f32_f64_e32 v87, v[88:89]
	;; [unrolled: 1-line block ×4, first 2 shown]
	v_min3_f32 v84, v86, v87, v166
	v_min_f32_e32 v82, v82, v83
	v_min3_f32 v82, v92, v82, v84
	v_lshlrev_b64 v[84:85], 3, v[142:143]
	v_cvt_f64_f32_e32 v[82:83], v82
	v_add_co_u32 v84, vcc_lo, v90, v84
	v_add_co_ci_u32_e64 v85, null, v91, v85, vcc_lo
	global_store_dwordx2 v[84:85], v[82:83], off
.LBB173_299:
	s_or_b32 exec_lo, exec_lo, s8
	v_add_nc_u32_e32 v86, 0xc0, v145
	v_mad_i64_i32 v[82:83], null, v86, s16, 0
	v_mad_i64_i32 v[84:85], null, v86, s14, 0
	v_cmp_gt_i32_e64 s8, s13, v86
	v_lshlrev_b64 v[82:83], 3, v[82:83]
	s_and_b32 s12, s0, s8
	v_lshlrev_b64 v[86:87], 3, v[84:85]
	v_add_co_u32 v84, vcc_lo, s22, v82
	v_add_co_ci_u32_e64 v85, null, s23, v83, vcc_lo
	v_add_co_u32 v82, vcc_lo, s17, v86
	v_add_co_ci_u32_e64 v83, null, s15, v87, vcc_lo
	s_and_saveexec_b32 s9, s12
	s_cbranch_execnz .LBB173_307
; %bb.300:
	s_or_b32 exec_lo, exec_lo, s9
	s_and_b32 s12, s1, s8
	s_and_saveexec_b32 s9, s12
	s_cbranch_execnz .LBB173_311
.LBB173_301:
	s_or_b32 exec_lo, exec_lo, s9
	s_and_b32 s12, s2, s8
	s_and_saveexec_b32 s9, s12
	s_cbranch_execnz .LBB173_315
.LBB173_302:
	s_or_b32 exec_lo, exec_lo, s9
	s_and_b32 s12, s3, s8
	s_and_saveexec_b32 s9, s12
	s_cbranch_execnz .LBB173_319
.LBB173_303:
	s_or_b32 exec_lo, exec_lo, s9
	s_and_b32 s12, s4, s8
	s_and_saveexec_b32 s9, s12
	s_cbranch_execnz .LBB173_323
.LBB173_304:
	s_or_b32 exec_lo, exec_lo, s9
	s_and_b32 s12, s5, s8
	s_and_saveexec_b32 s9, s12
	s_cbranch_execnz .LBB173_327
.LBB173_305:
	s_or_b32 exec_lo, exec_lo, s9
	s_and_b32 s12, s6, s8
	s_and_saveexec_b32 s9, s12
	s_cbranch_execnz .LBB173_331
.LBB173_306:
	s_or_b32 exec_lo, exec_lo, s9
	s_and_b32 s9, s7, s8
	s_and_saveexec_b32 s8, s9
	s_cbranch_execnz .LBB173_335
	s_branch .LBB173_339
.LBB173_307:
	v_cmp_ne_u32_e32 vcc_lo, 1, v144
	s_cbranch_vccnz .LBB173_309
; %bb.308:
	v_lshlrev_b64 v[86:87], 3, v[0:1]
	v_add_co_u32 v86, vcc_lo, v84, v86
	v_add_co_ci_u32_e64 v87, null, v85, v87, vcc_lo
	global_load_dwordx2 v[86:87], v[86:87], off
	s_waitcnt vmcnt(0)
	v_mul_f64 v[86:87], s[10:11], v[86:87]
	v_cvt_f32_f64_e32 v86, v[86:87]
	s_branch .LBB173_310
.LBB173_309:
	v_mov_b32_e32 v86, 0
.LBB173_310:
	v_add_f64 v[87:88], v[70:71], v[78:79]
	v_add_f64 v[89:90], v[72:73], v[80:81]
	;; [unrolled: 1-line block ×4, first 2 shown]
	v_cvt_f32_f64_e32 v87, v[87:88]
	v_cvt_f32_f64_e32 v88, v[89:90]
	v_cvt_f32_f64_e32 v89, v[91:92]
	v_cvt_f32_f64_e32 v90, v[93:94]
	v_min3_f32 v87, v87, v88, v165
	v_min_f32_e32 v88, v89, v90
	v_min3_f32 v86, v86, v88, v87
	v_lshlrev_b64 v[88:89], 3, v[0:1]
	v_cvt_f64_f32_e32 v[86:87], v86
	v_add_co_u32 v88, vcc_lo, v82, v88
	v_add_co_ci_u32_e64 v89, null, v83, v89, vcc_lo
	global_store_dwordx2 v[88:89], v[86:87], off
	s_or_b32 exec_lo, exec_lo, s9
	s_and_b32 s12, s1, s8
	s_and_saveexec_b32 s9, s12
	s_cbranch_execz .LBB173_301
.LBB173_311:
	v_cmp_ne_u32_e32 vcc_lo, 1, v144
	s_cbranch_vccnz .LBB173_313
; %bb.312:
	v_lshlrev_b64 v[86:87], 3, v[130:131]
	v_add_co_u32 v86, vcc_lo, v84, v86
	v_add_co_ci_u32_e64 v87, null, v85, v87, vcc_lo
	global_load_dwordx2 v[86:87], v[86:87], off
	s_waitcnt vmcnt(0)
	v_mul_f64 v[86:87], s[10:11], v[86:87]
	v_cvt_f32_f64_e32 v86, v[86:87]
	s_branch .LBB173_314
.LBB173_313:
	v_mov_b32_e32 v86, 0
.LBB173_314:
	v_add_f64 v[87:88], v[62:63], v[78:79]
	v_add_f64 v[89:90], v[64:65], v[80:81]
	;; [unrolled: 1-line block ×4, first 2 shown]
	v_cvt_f32_f64_e32 v87, v[87:88]
	v_cvt_f32_f64_e32 v88, v[89:90]
	;; [unrolled: 1-line block ×4, first 2 shown]
	v_min3_f32 v87, v87, v88, v164
	v_min_f32_e32 v88, v89, v90
	v_min3_f32 v86, v86, v88, v87
	v_lshlrev_b64 v[88:89], 3, v[130:131]
	v_cvt_f64_f32_e32 v[86:87], v86
	v_add_co_u32 v88, vcc_lo, v82, v88
	v_add_co_ci_u32_e64 v89, null, v83, v89, vcc_lo
	global_store_dwordx2 v[88:89], v[86:87], off
	s_or_b32 exec_lo, exec_lo, s9
	s_and_b32 s12, s2, s8
	s_and_saveexec_b32 s9, s12
	s_cbranch_execz .LBB173_302
.LBB173_315:
	v_cmp_ne_u32_e32 vcc_lo, 1, v144
	s_cbranch_vccnz .LBB173_317
; %bb.316:
	v_lshlrev_b64 v[86:87], 3, v[132:133]
	v_add_co_u32 v86, vcc_lo, v84, v86
	v_add_co_ci_u32_e64 v87, null, v85, v87, vcc_lo
	global_load_dwordx2 v[86:87], v[86:87], off
	s_waitcnt vmcnt(0)
	v_mul_f64 v[86:87], s[10:11], v[86:87]
	v_cvt_f32_f64_e32 v86, v[86:87]
	s_branch .LBB173_318
.LBB173_317:
	v_mov_b32_e32 v86, 0
.LBB173_318:
	v_add_f64 v[87:88], v[54:55], v[78:79]
	v_add_f64 v[89:90], v[56:57], v[80:81]
	;; [unrolled: 1-line block ×4, first 2 shown]
	v_cvt_f32_f64_e32 v87, v[87:88]
	v_cvt_f32_f64_e32 v88, v[89:90]
	;; [unrolled: 1-line block ×4, first 2 shown]
	v_min3_f32 v87, v87, v88, v163
	v_min_f32_e32 v88, v89, v90
	v_min3_f32 v86, v86, v88, v87
	v_lshlrev_b64 v[88:89], 3, v[132:133]
	v_cvt_f64_f32_e32 v[86:87], v86
	v_add_co_u32 v88, vcc_lo, v82, v88
	v_add_co_ci_u32_e64 v89, null, v83, v89, vcc_lo
	global_store_dwordx2 v[88:89], v[86:87], off
	s_or_b32 exec_lo, exec_lo, s9
	s_and_b32 s12, s3, s8
	s_and_saveexec_b32 s9, s12
	s_cbranch_execz .LBB173_303
.LBB173_319:
	v_cmp_ne_u32_e32 vcc_lo, 1, v144
	s_cbranch_vccnz .LBB173_321
; %bb.320:
	v_lshlrev_b64 v[86:87], 3, v[134:135]
	v_add_co_u32 v86, vcc_lo, v84, v86
	v_add_co_ci_u32_e64 v87, null, v85, v87, vcc_lo
	global_load_dwordx2 v[86:87], v[86:87], off
	s_waitcnt vmcnt(0)
	v_mul_f64 v[86:87], s[10:11], v[86:87]
	v_cvt_f32_f64_e32 v86, v[86:87]
	s_branch .LBB173_322
.LBB173_321:
	v_mov_b32_e32 v86, 0
.LBB173_322:
	v_add_f64 v[87:88], v[46:47], v[78:79]
	v_add_f64 v[89:90], v[48:49], v[80:81]
	;; [unrolled: 1-line block ×4, first 2 shown]
	v_cvt_f32_f64_e32 v87, v[87:88]
	v_cvt_f32_f64_e32 v88, v[89:90]
	;; [unrolled: 1-line block ×4, first 2 shown]
	v_min3_f32 v87, v87, v88, v162
	v_min_f32_e32 v88, v89, v90
	v_min3_f32 v86, v86, v88, v87
	v_lshlrev_b64 v[88:89], 3, v[134:135]
	v_cvt_f64_f32_e32 v[86:87], v86
	v_add_co_u32 v88, vcc_lo, v82, v88
	v_add_co_ci_u32_e64 v89, null, v83, v89, vcc_lo
	global_store_dwordx2 v[88:89], v[86:87], off
	s_or_b32 exec_lo, exec_lo, s9
	s_and_b32 s12, s4, s8
	s_and_saveexec_b32 s9, s12
	s_cbranch_execz .LBB173_304
.LBB173_323:
	v_cmp_ne_u32_e32 vcc_lo, 1, v144
	s_cbranch_vccnz .LBB173_325
; %bb.324:
	v_lshlrev_b64 v[86:87], 3, v[136:137]
	v_add_co_u32 v86, vcc_lo, v84, v86
	v_add_co_ci_u32_e64 v87, null, v85, v87, vcc_lo
	global_load_dwordx2 v[86:87], v[86:87], off
	s_waitcnt vmcnt(0)
	v_mul_f64 v[86:87], s[10:11], v[86:87]
	v_cvt_f32_f64_e32 v86, v[86:87]
	s_branch .LBB173_326
.LBB173_325:
	v_mov_b32_e32 v86, 0
.LBB173_326:
	v_add_f64 v[87:88], v[38:39], v[78:79]
	v_add_f64 v[89:90], v[40:41], v[80:81]
	;; [unrolled: 1-line block ×4, first 2 shown]
	v_cvt_f32_f64_e32 v87, v[87:88]
	v_cvt_f32_f64_e32 v88, v[89:90]
	;; [unrolled: 1-line block ×4, first 2 shown]
	v_min3_f32 v87, v87, v88, v161
	v_min_f32_e32 v88, v89, v90
	v_min3_f32 v86, v86, v88, v87
	v_lshlrev_b64 v[88:89], 3, v[136:137]
	v_cvt_f64_f32_e32 v[86:87], v86
	v_add_co_u32 v88, vcc_lo, v82, v88
	v_add_co_ci_u32_e64 v89, null, v83, v89, vcc_lo
	global_store_dwordx2 v[88:89], v[86:87], off
	s_or_b32 exec_lo, exec_lo, s9
	s_and_b32 s12, s5, s8
	s_and_saveexec_b32 s9, s12
	s_cbranch_execz .LBB173_305
.LBB173_327:
	v_cmp_ne_u32_e32 vcc_lo, 1, v144
	s_cbranch_vccnz .LBB173_329
; %bb.328:
	v_lshlrev_b64 v[86:87], 3, v[138:139]
	v_add_co_u32 v86, vcc_lo, v84, v86
	v_add_co_ci_u32_e64 v87, null, v85, v87, vcc_lo
	global_load_dwordx2 v[86:87], v[86:87], off
	s_waitcnt vmcnt(0)
	v_mul_f64 v[86:87], s[10:11], v[86:87]
	v_cvt_f32_f64_e32 v86, v[86:87]
	s_branch .LBB173_330
.LBB173_329:
	v_mov_b32_e32 v86, 0
.LBB173_330:
	v_add_f64 v[87:88], v[30:31], v[78:79]
	v_add_f64 v[89:90], v[32:33], v[80:81]
	;; [unrolled: 1-line block ×4, first 2 shown]
	v_cvt_f32_f64_e32 v87, v[87:88]
	v_cvt_f32_f64_e32 v88, v[89:90]
	;; [unrolled: 1-line block ×4, first 2 shown]
	v_min3_f32 v87, v87, v88, v160
	v_min_f32_e32 v88, v89, v90
	v_min3_f32 v86, v86, v88, v87
	v_lshlrev_b64 v[88:89], 3, v[138:139]
	v_cvt_f64_f32_e32 v[86:87], v86
	v_add_co_u32 v88, vcc_lo, v82, v88
	v_add_co_ci_u32_e64 v89, null, v83, v89, vcc_lo
	global_store_dwordx2 v[88:89], v[86:87], off
	s_or_b32 exec_lo, exec_lo, s9
	s_and_b32 s12, s6, s8
	s_and_saveexec_b32 s9, s12
	s_cbranch_execz .LBB173_306
.LBB173_331:
	v_cmp_ne_u32_e32 vcc_lo, 1, v144
	s_cbranch_vccnz .LBB173_333
; %bb.332:
	v_lshlrev_b64 v[86:87], 3, v[140:141]
	v_add_co_u32 v86, vcc_lo, v84, v86
	v_add_co_ci_u32_e64 v87, null, v85, v87, vcc_lo
	global_load_dwordx2 v[86:87], v[86:87], off
	s_waitcnt vmcnt(0)
	v_mul_f64 v[86:87], s[10:11], v[86:87]
	v_cvt_f32_f64_e32 v86, v[86:87]
	s_branch .LBB173_334
.LBB173_333:
	v_mov_b32_e32 v86, 0
.LBB173_334:
	v_add_f64 v[87:88], v[22:23], v[78:79]
	v_add_f64 v[89:90], v[24:25], v[80:81]
	;; [unrolled: 1-line block ×4, first 2 shown]
	v_cvt_f32_f64_e32 v87, v[87:88]
	v_cvt_f32_f64_e32 v88, v[89:90]
	;; [unrolled: 1-line block ×4, first 2 shown]
	v_min3_f32 v87, v87, v88, v159
	v_min_f32_e32 v88, v89, v90
	v_min3_f32 v86, v86, v88, v87
	v_lshlrev_b64 v[88:89], 3, v[140:141]
	v_cvt_f64_f32_e32 v[86:87], v86
	v_add_co_u32 v88, vcc_lo, v82, v88
	v_add_co_ci_u32_e64 v89, null, v83, v89, vcc_lo
	global_store_dwordx2 v[88:89], v[86:87], off
	s_or_b32 exec_lo, exec_lo, s9
	s_and_b32 s9, s7, s8
	s_and_saveexec_b32 s8, s9
	s_cbranch_execz .LBB173_339
.LBB173_335:
	v_cmp_ne_u32_e32 vcc_lo, 1, v144
	s_cbranch_vccnz .LBB173_337
; %bb.336:
	v_lshlrev_b64 v[86:87], 3, v[142:143]
	v_add_co_u32 v84, vcc_lo, v84, v86
	v_add_co_ci_u32_e64 v85, null, v85, v87, vcc_lo
	global_load_dwordx2 v[84:85], v[84:85], off
	s_waitcnt vmcnt(0)
	v_mul_f64 v[84:85], s[10:11], v[84:85]
	v_cvt_f32_f64_e32 v84, v[84:85]
	s_branch .LBB173_338
.LBB173_337:
	v_mov_b32_e32 v84, 0
.LBB173_338:
	v_add_f64 v[78:79], v[6:7], v[78:79]
	v_add_f64 v[80:81], v[8:9], v[80:81]
	;; [unrolled: 1-line block ×4, first 2 shown]
	v_cvt_f32_f64_e32 v78, v[78:79]
	v_cvt_f32_f64_e32 v79, v[80:81]
	;; [unrolled: 1-line block ×4, first 2 shown]
	v_min3_f32 v76, v78, v79, v158
	v_min_f32_e32 v74, v74, v75
	v_min3_f32 v74, v84, v74, v76
	v_lshlrev_b64 v[76:77], 3, v[142:143]
	v_cvt_f64_f32_e32 v[74:75], v74
	v_add_co_u32 v76, vcc_lo, v82, v76
	v_add_co_ci_u32_e64 v77, null, v83, v77, vcc_lo
	global_store_dwordx2 v[76:77], v[74:75], off
.LBB173_339:
	s_or_b32 exec_lo, exec_lo, s8
	v_add_nc_u32_e32 v78, 0xe0, v145
	v_mad_i64_i32 v[74:75], null, v78, s16, 0
	v_mad_i64_i32 v[76:77], null, v78, s14, 0
	v_cmp_gt_i32_e64 s8, s13, v78
	v_lshlrev_b64 v[74:75], 3, v[74:75]
	s_and_b32 s9, s0, s8
	v_lshlrev_b64 v[78:79], 3, v[76:77]
	v_add_co_u32 v76, vcc_lo, s22, v74
	v_add_co_ci_u32_e64 v77, null, s23, v75, vcc_lo
	v_add_co_u32 v74, vcc_lo, s17, v78
	v_add_co_ci_u32_e64 v75, null, s15, v79, vcc_lo
	s_and_saveexec_b32 s0, s9
	s_cbranch_execnz .LBB173_348
; %bb.340:
	s_or_b32 exec_lo, exec_lo, s0
	s_and_b32 s1, s1, s8
	s_and_saveexec_b32 s0, s1
	s_cbranch_execnz .LBB173_352
.LBB173_341:
	s_or_b32 exec_lo, exec_lo, s0
	s_and_b32 s1, s2, s8
	s_and_saveexec_b32 s0, s1
	s_cbranch_execnz .LBB173_356
.LBB173_342:
	s_or_b32 exec_lo, exec_lo, s0
	s_and_b32 s1, s3, s8
	s_and_saveexec_b32 s0, s1
	s_cbranch_execnz .LBB173_360
.LBB173_343:
	s_or_b32 exec_lo, exec_lo, s0
	s_and_b32 s1, s4, s8
	s_and_saveexec_b32 s0, s1
	s_cbranch_execnz .LBB173_364
.LBB173_344:
	s_or_b32 exec_lo, exec_lo, s0
	s_and_b32 s1, s5, s8
	s_and_saveexec_b32 s0, s1
	s_cbranch_execnz .LBB173_368
.LBB173_345:
	s_or_b32 exec_lo, exec_lo, s0
	s_and_b32 s1, s6, s8
	s_and_saveexec_b32 s0, s1
	s_cbranch_execnz .LBB173_372
.LBB173_346:
	s_or_b32 exec_lo, exec_lo, s0
	s_and_b32 s0, s7, s8
	s_and_saveexec_b32 s1, s0
	s_cbranch_execnz .LBB173_376
.LBB173_347:
	s_endpgm
.LBB173_348:
	v_cmp_ne_u32_e32 vcc_lo, 1, v144
	v_lshlrev_b64 v[0:1], 3, v[0:1]
	s_cbranch_vccnz .LBB173_350
; %bb.349:
	v_add_co_u32 v78, vcc_lo, v76, v0
	v_add_co_ci_u32_e64 v79, null, v77, v1, vcc_lo
	global_load_dwordx2 v[78:79], v[78:79], off
	s_waitcnt vmcnt(0)
	v_mul_f64 v[78:79], s[10:11], v[78:79]
	v_cvt_f32_f64_e32 v78, v[78:79]
	s_branch .LBB173_351
.LBB173_350:
	v_mov_b32_e32 v78, 0
.LBB173_351:
	v_add_f64 v[70:71], v[70:71], v[14:15]
	v_add_f64 v[72:73], v[72:73], v[16:17]
	;; [unrolled: 1-line block ×4, first 2 shown]
	v_add_co_u32 v0, vcc_lo, v74, v0
	v_add_co_ci_u32_e64 v1, null, v75, v1, vcc_lo
	v_cvt_f32_f64_e32 v70, v[70:71]
	v_cvt_f32_f64_e32 v71, v[72:73]
	;; [unrolled: 1-line block ×4, first 2 shown]
	v_min3_f32 v68, v70, v71, v157
	v_min_f32_e32 v66, v66, v67
	v_min3_f32 v66, v78, v66, v68
	v_cvt_f64_f32_e32 v[66:67], v66
	global_store_dwordx2 v[0:1], v[66:67], off
	s_or_b32 exec_lo, exec_lo, s0
	s_and_b32 s1, s1, s8
	s_and_saveexec_b32 s0, s1
	s_cbranch_execz .LBB173_341
.LBB173_352:
	v_cmp_ne_u32_e32 vcc_lo, 1, v144
	v_lshlrev_b64 v[0:1], 3, v[130:131]
	s_cbranch_vccnz .LBB173_354
; %bb.353:
	v_add_co_u32 v66, vcc_lo, v76, v0
	v_add_co_ci_u32_e64 v67, null, v77, v1, vcc_lo
	global_load_dwordx2 v[66:67], v[66:67], off
	s_waitcnt vmcnt(0)
	v_mul_f64 v[66:67], s[10:11], v[66:67]
	v_cvt_f32_f64_e32 v66, v[66:67]
	s_branch .LBB173_355
.LBB173_354:
	v_mov_b32_e32 v66, 0
.LBB173_355:
	v_add_f64 v[62:63], v[62:63], v[14:15]
	v_add_f64 v[64:65], v[64:65], v[16:17]
	;; [unrolled: 1-line block ×4, first 2 shown]
	v_add_co_u32 v0, vcc_lo, v74, v0
	v_add_co_ci_u32_e64 v1, null, v75, v1, vcc_lo
	v_cvt_f32_f64_e32 v62, v[62:63]
	v_cvt_f32_f64_e32 v63, v[64:65]
	v_cvt_f32_f64_e32 v58, v[58:59]
	v_cvt_f32_f64_e32 v59, v[60:61]
	v_min3_f32 v60, v62, v63, v156
	v_min_f32_e32 v58, v58, v59
	v_min3_f32 v58, v66, v58, v60
	v_cvt_f64_f32_e32 v[58:59], v58
	global_store_dwordx2 v[0:1], v[58:59], off
	s_or_b32 exec_lo, exec_lo, s0
	s_and_b32 s1, s2, s8
	s_and_saveexec_b32 s0, s1
	s_cbranch_execz .LBB173_342
.LBB173_356:
	v_cmp_ne_u32_e32 vcc_lo, 1, v144
	v_lshlrev_b64 v[0:1], 3, v[132:133]
	s_cbranch_vccnz .LBB173_358
; %bb.357:
	v_add_co_u32 v58, vcc_lo, v76, v0
	v_add_co_ci_u32_e64 v59, null, v77, v1, vcc_lo
	global_load_dwordx2 v[58:59], v[58:59], off
	s_waitcnt vmcnt(0)
	v_mul_f64 v[58:59], s[10:11], v[58:59]
	v_cvt_f32_f64_e32 v58, v[58:59]
	s_branch .LBB173_359
.LBB173_358:
	v_mov_b32_e32 v58, 0
.LBB173_359:
	v_add_f64 v[54:55], v[54:55], v[14:15]
	v_add_f64 v[56:57], v[56:57], v[16:17]
	;; [unrolled: 1-line block ×4, first 2 shown]
	v_add_co_u32 v0, vcc_lo, v74, v0
	v_add_co_ci_u32_e64 v1, null, v75, v1, vcc_lo
	v_cvt_f32_f64_e32 v54, v[54:55]
	v_cvt_f32_f64_e32 v55, v[56:57]
	;; [unrolled: 1-line block ×4, first 2 shown]
	v_min3_f32 v52, v54, v55, v155
	v_min_f32_e32 v50, v50, v51
	v_min3_f32 v50, v58, v50, v52
	v_cvt_f64_f32_e32 v[50:51], v50
	global_store_dwordx2 v[0:1], v[50:51], off
	s_or_b32 exec_lo, exec_lo, s0
	s_and_b32 s1, s3, s8
	s_and_saveexec_b32 s0, s1
	s_cbranch_execz .LBB173_343
.LBB173_360:
	v_cmp_ne_u32_e32 vcc_lo, 1, v144
	v_lshlrev_b64 v[0:1], 3, v[134:135]
	s_cbranch_vccnz .LBB173_362
; %bb.361:
	v_add_co_u32 v50, vcc_lo, v76, v0
	v_add_co_ci_u32_e64 v51, null, v77, v1, vcc_lo
	global_load_dwordx2 v[50:51], v[50:51], off
	s_waitcnt vmcnt(0)
	v_mul_f64 v[50:51], s[10:11], v[50:51]
	v_cvt_f32_f64_e32 v50, v[50:51]
	s_branch .LBB173_363
.LBB173_362:
	v_mov_b32_e32 v50, 0
.LBB173_363:
	v_add_f64 v[46:47], v[46:47], v[14:15]
	v_add_f64 v[48:49], v[48:49], v[16:17]
	;; [unrolled: 1-line block ×4, first 2 shown]
	v_add_co_u32 v0, vcc_lo, v74, v0
	v_add_co_ci_u32_e64 v1, null, v75, v1, vcc_lo
	v_cvt_f32_f64_e32 v46, v[46:47]
	v_cvt_f32_f64_e32 v47, v[48:49]
	;; [unrolled: 1-line block ×4, first 2 shown]
	v_min3_f32 v44, v46, v47, v154
	v_min_f32_e32 v42, v42, v43
	v_min3_f32 v42, v50, v42, v44
	v_cvt_f64_f32_e32 v[42:43], v42
	global_store_dwordx2 v[0:1], v[42:43], off
	s_or_b32 exec_lo, exec_lo, s0
	s_and_b32 s1, s4, s8
	s_and_saveexec_b32 s0, s1
	s_cbranch_execz .LBB173_344
.LBB173_364:
	v_cmp_ne_u32_e32 vcc_lo, 1, v144
	v_lshlrev_b64 v[0:1], 3, v[136:137]
	s_cbranch_vccnz .LBB173_366
; %bb.365:
	v_add_co_u32 v42, vcc_lo, v76, v0
	v_add_co_ci_u32_e64 v43, null, v77, v1, vcc_lo
	global_load_dwordx2 v[42:43], v[42:43], off
	s_waitcnt vmcnt(0)
	v_mul_f64 v[42:43], s[10:11], v[42:43]
	v_cvt_f32_f64_e32 v42, v[42:43]
	s_branch .LBB173_367
.LBB173_366:
	v_mov_b32_e32 v42, 0
.LBB173_367:
	v_add_f64 v[38:39], v[38:39], v[14:15]
	v_add_f64 v[40:41], v[40:41], v[16:17]
	;; [unrolled: 1-line block ×4, first 2 shown]
	v_add_co_u32 v0, vcc_lo, v74, v0
	v_add_co_ci_u32_e64 v1, null, v75, v1, vcc_lo
	v_cvt_f32_f64_e32 v38, v[38:39]
	v_cvt_f32_f64_e32 v39, v[40:41]
	;; [unrolled: 1-line block ×4, first 2 shown]
	v_min3_f32 v36, v38, v39, v153
	v_min_f32_e32 v34, v34, v35
	v_min3_f32 v34, v42, v34, v36
	v_cvt_f64_f32_e32 v[34:35], v34
	global_store_dwordx2 v[0:1], v[34:35], off
	s_or_b32 exec_lo, exec_lo, s0
	s_and_b32 s1, s5, s8
	s_and_saveexec_b32 s0, s1
	s_cbranch_execz .LBB173_345
.LBB173_368:
	v_cmp_ne_u32_e32 vcc_lo, 1, v144
	v_lshlrev_b64 v[0:1], 3, v[138:139]
	s_cbranch_vccnz .LBB173_370
; %bb.369:
	v_add_co_u32 v34, vcc_lo, v76, v0
	v_add_co_ci_u32_e64 v35, null, v77, v1, vcc_lo
	global_load_dwordx2 v[34:35], v[34:35], off
	s_waitcnt vmcnt(0)
	v_mul_f64 v[34:35], s[10:11], v[34:35]
	v_cvt_f32_f64_e32 v34, v[34:35]
	s_branch .LBB173_371
.LBB173_370:
	v_mov_b32_e32 v34, 0
.LBB173_371:
	v_add_f64 v[30:31], v[30:31], v[14:15]
	v_add_f64 v[32:33], v[32:33], v[16:17]
	;; [unrolled: 1-line block ×4, first 2 shown]
	v_add_co_u32 v0, vcc_lo, v74, v0
	v_add_co_ci_u32_e64 v1, null, v75, v1, vcc_lo
	v_cvt_f32_f64_e32 v30, v[30:31]
	v_cvt_f32_f64_e32 v31, v[32:33]
	v_cvt_f32_f64_e32 v26, v[26:27]
	v_cvt_f32_f64_e32 v27, v[28:29]
	v_min3_f32 v28, v30, v31, v152
	v_min_f32_e32 v26, v26, v27
	v_min3_f32 v26, v34, v26, v28
	v_cvt_f64_f32_e32 v[26:27], v26
	global_store_dwordx2 v[0:1], v[26:27], off
	s_or_b32 exec_lo, exec_lo, s0
	s_and_b32 s1, s6, s8
	s_and_saveexec_b32 s0, s1
	s_cbranch_execz .LBB173_346
.LBB173_372:
	v_cmp_ne_u32_e32 vcc_lo, 1, v144
	v_lshlrev_b64 v[0:1], 3, v[140:141]
	s_cbranch_vccnz .LBB173_374
; %bb.373:
	v_add_co_u32 v26, vcc_lo, v76, v0
	v_add_co_ci_u32_e64 v27, null, v77, v1, vcc_lo
	global_load_dwordx2 v[26:27], v[26:27], off
	s_waitcnt vmcnt(0)
	v_mul_f64 v[26:27], s[10:11], v[26:27]
	v_cvt_f32_f64_e32 v26, v[26:27]
	s_branch .LBB173_375
.LBB173_374:
	v_mov_b32_e32 v26, 0
.LBB173_375:
	v_add_f64 v[22:23], v[22:23], v[14:15]
	v_add_f64 v[24:25], v[24:25], v[16:17]
	;; [unrolled: 1-line block ×4, first 2 shown]
	v_add_co_u32 v0, vcc_lo, v74, v0
	v_add_co_ci_u32_e64 v1, null, v75, v1, vcc_lo
	v_cvt_f32_f64_e32 v22, v[22:23]
	v_cvt_f32_f64_e32 v23, v[24:25]
	;; [unrolled: 1-line block ×4, first 2 shown]
	v_min3_f32 v20, v22, v23, v151
	v_min_f32_e32 v18, v18, v19
	v_min3_f32 v18, v26, v18, v20
	v_cvt_f64_f32_e32 v[18:19], v18
	global_store_dwordx2 v[0:1], v[18:19], off
	s_or_b32 exec_lo, exec_lo, s0
	s_and_b32 s0, s7, s8
	s_and_saveexec_b32 s1, s0
	s_cbranch_execz .LBB173_347
.LBB173_376:
	v_cmp_ne_u32_e32 vcc_lo, 1, v144
	v_lshlrev_b64 v[0:1], 3, v[142:143]
	s_cbranch_vccnz .LBB173_378
; %bb.377:
	v_add_co_u32 v18, vcc_lo, v76, v0
	v_add_co_ci_u32_e64 v19, null, v77, v1, vcc_lo
	global_load_dwordx2 v[18:19], v[18:19], off
	s_waitcnt vmcnt(0)
	v_mul_f64 v[18:19], s[10:11], v[18:19]
	v_cvt_f32_f64_e32 v18, v[18:19]
	s_branch .LBB173_379
.LBB173_378:
	v_mov_b32_e32 v18, 0
.LBB173_379:
	v_add_f64 v[6:7], v[6:7], v[14:15]
	v_add_f64 v[8:9], v[8:9], v[16:17]
	;; [unrolled: 1-line block ×4, first 2 shown]
	v_add_co_u32 v0, vcc_lo, v74, v0
	v_add_co_ci_u32_e64 v1, null, v75, v1, vcc_lo
	v_cvt_f32_f64_e32 v6, v[6:7]
	v_cvt_f32_f64_e32 v7, v[8:9]
	;; [unrolled: 1-line block ×4, first 2 shown]
	v_min3_f32 v4, v6, v7, v150
	v_min_f32_e32 v2, v2, v3
	v_min3_f32 v2, v18, v2, v4
	v_cvt_f64_f32_e32 v[2:3], v2
	global_store_dwordx2 v[0:1], v[2:3], off
	s_endpgm
	.section	.rodata,"a",@progbits
	.p2align	6, 0x0
	.amdhsa_kernel _ZN12_GLOBAL__N_120geam_min_plus_kernelId15HIP_vector_typeIdLj2EEdLi8ELi32ELi64ELi256ELi4ELi64ELi4ELi64ELi4ELc78ELc84ELb0ELb1ELb1EdKddEEviiiT16_PT17_ilS6_ilS4_S6_ilPT18_ili26rocblas_geam_ex_operation_
		.amdhsa_group_segment_fixed_size 20480
		.amdhsa_private_segment_fixed_size 0
		.amdhsa_kernarg_size 136
		.amdhsa_user_sgpr_count 6
		.amdhsa_user_sgpr_private_segment_buffer 1
		.amdhsa_user_sgpr_dispatch_ptr 0
		.amdhsa_user_sgpr_queue_ptr 0
		.amdhsa_user_sgpr_kernarg_segment_ptr 1
		.amdhsa_user_sgpr_dispatch_id 0
		.amdhsa_user_sgpr_flat_scratch_init 0
		.amdhsa_user_sgpr_private_segment_size 0
		.amdhsa_wavefront_size32 1
		.amdhsa_uses_dynamic_stack 0
		.amdhsa_system_sgpr_private_segment_wavefront_offset 0
		.amdhsa_system_sgpr_workgroup_id_x 1
		.amdhsa_system_sgpr_workgroup_id_y 0
		.amdhsa_system_sgpr_workgroup_id_z 1
		.amdhsa_system_sgpr_workgroup_info 0
		.amdhsa_system_vgpr_workitem_id 1
		.amdhsa_next_free_vgpr 226
		.amdhsa_next_free_sgpr 35
		.amdhsa_reserve_vcc 1
		.amdhsa_reserve_flat_scratch 0
		.amdhsa_float_round_mode_32 0
		.amdhsa_float_round_mode_16_64 0
		.amdhsa_float_denorm_mode_32 3
		.amdhsa_float_denorm_mode_16_64 3
		.amdhsa_dx10_clamp 1
		.amdhsa_ieee_mode 1
		.amdhsa_fp16_overflow 0
		.amdhsa_workgroup_processor_mode 1
		.amdhsa_memory_ordered 1
		.amdhsa_forward_progress 1
		.amdhsa_shared_vgpr_count 0
		.amdhsa_exception_fp_ieee_invalid_op 0
		.amdhsa_exception_fp_denorm_src 0
		.amdhsa_exception_fp_ieee_div_zero 0
		.amdhsa_exception_fp_ieee_overflow 0
		.amdhsa_exception_fp_ieee_underflow 0
		.amdhsa_exception_fp_ieee_inexact 0
		.amdhsa_exception_int_div_zero 0
	.end_amdhsa_kernel
	.section	.text._ZN12_GLOBAL__N_120geam_min_plus_kernelId15HIP_vector_typeIdLj2EEdLi8ELi32ELi64ELi256ELi4ELi64ELi4ELi64ELi4ELc78ELc84ELb0ELb1ELb1EdKddEEviiiT16_PT17_ilS6_ilS4_S6_ilPT18_ili26rocblas_geam_ex_operation_,"axG",@progbits,_ZN12_GLOBAL__N_120geam_min_plus_kernelId15HIP_vector_typeIdLj2EEdLi8ELi32ELi64ELi256ELi4ELi64ELi4ELi64ELi4ELc78ELc84ELb0ELb1ELb1EdKddEEviiiT16_PT17_ilS6_ilS4_S6_ilPT18_ili26rocblas_geam_ex_operation_,comdat
.Lfunc_end173:
	.size	_ZN12_GLOBAL__N_120geam_min_plus_kernelId15HIP_vector_typeIdLj2EEdLi8ELi32ELi64ELi256ELi4ELi64ELi4ELi64ELi4ELc78ELc84ELb0ELb1ELb1EdKddEEviiiT16_PT17_ilS6_ilS4_S6_ilPT18_ili26rocblas_geam_ex_operation_, .Lfunc_end173-_ZN12_GLOBAL__N_120geam_min_plus_kernelId15HIP_vector_typeIdLj2EEdLi8ELi32ELi64ELi256ELi4ELi64ELi4ELi64ELi4ELc78ELc84ELb0ELb1ELb1EdKddEEviiiT16_PT17_ilS6_ilS4_S6_ilPT18_ili26rocblas_geam_ex_operation_
                                        ; -- End function
	.set _ZN12_GLOBAL__N_120geam_min_plus_kernelId15HIP_vector_typeIdLj2EEdLi8ELi32ELi64ELi256ELi4ELi64ELi4ELi64ELi4ELc78ELc84ELb0ELb1ELb1EdKddEEviiiT16_PT17_ilS6_ilS4_S6_ilPT18_ili26rocblas_geam_ex_operation_.num_vgpr, 226
	.set _ZN12_GLOBAL__N_120geam_min_plus_kernelId15HIP_vector_typeIdLj2EEdLi8ELi32ELi64ELi256ELi4ELi64ELi4ELi64ELi4ELc78ELc84ELb0ELb1ELb1EdKddEEviiiT16_PT17_ilS6_ilS4_S6_ilPT18_ili26rocblas_geam_ex_operation_.num_agpr, 0
	.set _ZN12_GLOBAL__N_120geam_min_plus_kernelId15HIP_vector_typeIdLj2EEdLi8ELi32ELi64ELi256ELi4ELi64ELi4ELi64ELi4ELc78ELc84ELb0ELb1ELb1EdKddEEviiiT16_PT17_ilS6_ilS4_S6_ilPT18_ili26rocblas_geam_ex_operation_.numbered_sgpr, 35
	.set _ZN12_GLOBAL__N_120geam_min_plus_kernelId15HIP_vector_typeIdLj2EEdLi8ELi32ELi64ELi256ELi4ELi64ELi4ELi64ELi4ELc78ELc84ELb0ELb1ELb1EdKddEEviiiT16_PT17_ilS6_ilS4_S6_ilPT18_ili26rocblas_geam_ex_operation_.num_named_barrier, 0
	.set _ZN12_GLOBAL__N_120geam_min_plus_kernelId15HIP_vector_typeIdLj2EEdLi8ELi32ELi64ELi256ELi4ELi64ELi4ELi64ELi4ELc78ELc84ELb0ELb1ELb1EdKddEEviiiT16_PT17_ilS6_ilS4_S6_ilPT18_ili26rocblas_geam_ex_operation_.private_seg_size, 0
	.set _ZN12_GLOBAL__N_120geam_min_plus_kernelId15HIP_vector_typeIdLj2EEdLi8ELi32ELi64ELi256ELi4ELi64ELi4ELi64ELi4ELc78ELc84ELb0ELb1ELb1EdKddEEviiiT16_PT17_ilS6_ilS4_S6_ilPT18_ili26rocblas_geam_ex_operation_.uses_vcc, 1
	.set _ZN12_GLOBAL__N_120geam_min_plus_kernelId15HIP_vector_typeIdLj2EEdLi8ELi32ELi64ELi256ELi4ELi64ELi4ELi64ELi4ELc78ELc84ELb0ELb1ELb1EdKddEEviiiT16_PT17_ilS6_ilS4_S6_ilPT18_ili26rocblas_geam_ex_operation_.uses_flat_scratch, 0
	.set _ZN12_GLOBAL__N_120geam_min_plus_kernelId15HIP_vector_typeIdLj2EEdLi8ELi32ELi64ELi256ELi4ELi64ELi4ELi64ELi4ELc78ELc84ELb0ELb1ELb1EdKddEEviiiT16_PT17_ilS6_ilS4_S6_ilPT18_ili26rocblas_geam_ex_operation_.has_dyn_sized_stack, 0
	.set _ZN12_GLOBAL__N_120geam_min_plus_kernelId15HIP_vector_typeIdLj2EEdLi8ELi32ELi64ELi256ELi4ELi64ELi4ELi64ELi4ELc78ELc84ELb0ELb1ELb1EdKddEEviiiT16_PT17_ilS6_ilS4_S6_ilPT18_ili26rocblas_geam_ex_operation_.has_recursion, 0
	.set _ZN12_GLOBAL__N_120geam_min_plus_kernelId15HIP_vector_typeIdLj2EEdLi8ELi32ELi64ELi256ELi4ELi64ELi4ELi64ELi4ELc78ELc84ELb0ELb1ELb1EdKddEEviiiT16_PT17_ilS6_ilS4_S6_ilPT18_ili26rocblas_geam_ex_operation_.has_indirect_call, 0
	.section	.AMDGPU.csdata,"",@progbits
; Kernel info:
; codeLenInByte = 29728
; TotalNumSgprs: 37
; NumVgprs: 226
; ScratchSize: 0
; MemoryBound: 0
; FloatMode: 240
; IeeeMode: 1
; LDSByteSize: 20480 bytes/workgroup (compile time only)
; SGPRBlocks: 0
; VGPRBlocks: 28
; NumSGPRsForWavesPerEU: 37
; NumVGPRsForWavesPerEU: 226
; Occupancy: 4
; WaveLimiterHint : 0
; COMPUTE_PGM_RSRC2:SCRATCH_EN: 0
; COMPUTE_PGM_RSRC2:USER_SGPR: 6
; COMPUTE_PGM_RSRC2:TRAP_HANDLER: 0
; COMPUTE_PGM_RSRC2:TGID_X_EN: 1
; COMPUTE_PGM_RSRC2:TGID_Y_EN: 0
; COMPUTE_PGM_RSRC2:TGID_Z_EN: 1
; COMPUTE_PGM_RSRC2:TIDIG_COMP_CNT: 1
	.section	.text._ZN12_GLOBAL__N_120geam_min_plus_kernelId15HIP_vector_typeIdLj2EEdLi8ELi32ELi64ELi256ELi4ELi4ELi64ELi64ELi4ELc84ELc84ELb0ELb0ELb1EPKdS3_dEEviiiT16_PT17_ilS7_ilS5_S7_ilPT18_ili26rocblas_geam_ex_operation_,"axG",@progbits,_ZN12_GLOBAL__N_120geam_min_plus_kernelId15HIP_vector_typeIdLj2EEdLi8ELi32ELi64ELi256ELi4ELi4ELi64ELi64ELi4ELc84ELc84ELb0ELb0ELb1EPKdS3_dEEviiiT16_PT17_ilS7_ilS5_S7_ilPT18_ili26rocblas_geam_ex_operation_,comdat
	.globl	_ZN12_GLOBAL__N_120geam_min_plus_kernelId15HIP_vector_typeIdLj2EEdLi8ELi32ELi64ELi256ELi4ELi4ELi64ELi64ELi4ELc84ELc84ELb0ELb0ELb1EPKdS3_dEEviiiT16_PT17_ilS7_ilS5_S7_ilPT18_ili26rocblas_geam_ex_operation_ ; -- Begin function _ZN12_GLOBAL__N_120geam_min_plus_kernelId15HIP_vector_typeIdLj2EEdLi8ELi32ELi64ELi256ELi4ELi4ELi64ELi64ELi4ELc84ELc84ELb0ELb0ELb1EPKdS3_dEEviiiT16_PT17_ilS7_ilS5_S7_ilPT18_ili26rocblas_geam_ex_operation_
	.p2align	8
	.type	_ZN12_GLOBAL__N_120geam_min_plus_kernelId15HIP_vector_typeIdLj2EEdLi8ELi32ELi64ELi256ELi4ELi4ELi64ELi64ELi4ELc84ELc84ELb0ELb0ELb1EPKdS3_dEEviiiT16_PT17_ilS7_ilS5_S7_ilPT18_ili26rocblas_geam_ex_operation_,@function
_ZN12_GLOBAL__N_120geam_min_plus_kernelId15HIP_vector_typeIdLj2EEdLi8ELi32ELi64ELi256ELi4ELi4ELi64ELi64ELi4ELc84ELc84ELb0ELb0ELb1EPKdS3_dEEviiiT16_PT17_ilS7_ilS5_S7_ilPT18_ili26rocblas_geam_ex_operation_: ; @_ZN12_GLOBAL__N_120geam_min_plus_kernelId15HIP_vector_typeIdLj2EEdLi8ELi32ELi64ELi256ELi4ELi4ELi64ELi64ELi4ELc84ELc84ELb0ELb0ELb1EPKdS3_dEEviiiT16_PT17_ilS7_ilS5_S7_ilPT18_ili26rocblas_geam_ex_operation_
; %bb.0:
	s_clause 0x1
	s_load_dwordx4 s[12:15], s[4:5], 0x10
	s_load_dwordx4 s[0:3], s[4:5], 0x28
	s_mov_b32 s16, s7
	s_mov_b32 s17, 0
	s_load_dwordx2 s[24:25], s[4:5], 0x50
	s_lshl_b64 s[20:21], s[16:17], 3
	s_mov_b64 s[22:23], 0
	s_waitcnt lgkmcnt(0)
	s_add_u32 s8, s12, s20
	s_addc_u32 s9, s13, s21
	s_load_dwordx2 s[18:19], s[8:9], 0x0
	s_load_dwordx4 s[8:11], s[4:5], 0x40
	s_waitcnt lgkmcnt(0)
	v_cmp_eq_f64_e64 s12, s[18:19], 0
	v_cmp_neq_f64_e64 s7, s[18:19], 0
	s_add_u32 s10, s10, s20
	s_addc_u32 s11, s11, s21
	s_mov_b64 s[20:21], 0
	s_and_b32 vcc_lo, exec_lo, s12
	s_cbranch_vccnz .LBB174_2
; %bb.1:
	s_mul_i32 s1, s1, s16
	s_mul_hi_u32 s12, s0, s16
	s_mul_i32 s0, s0, s16
	s_add_i32 s1, s12, s1
	s_lshl_b64 s[0:1], s[0:1], 3
	s_add_u32 s22, s14, s0
	s_addc_u32 s23, s15, s1
.LBB174_2:
	s_load_dwordx2 s[12:13], s[10:11], 0x0
	v_cndmask_b32_e64 v2, 0, 1, s7
	s_andn2_b32 vcc_lo, exec_lo, s7
	v_cmp_ne_u32_e64 s1, 1, v2
	s_cbranch_vccnz .LBB174_4
; %bb.3:
	s_mul_i32 s0, s9, s16
	s_mul_hi_u32 s7, s8, s16
	s_mul_i32 s8, s8, s16
	s_add_i32 s9, s7, s0
	s_lshl_b64 s[8:9], s[8:9], 3
	s_add_u32 s20, s2, s8
	s_addc_u32 s21, s3, s9
.LBB174_4:
	s_waitcnt lgkmcnt(0)
	v_cmp_eq_f64_e64 s0, s[12:13], 0
	s_load_dwordx4 s[8:11], s[4:5], 0x60
	s_mov_b64 s[2:3], 0
	s_and_b32 s0, exec_lo, s0
	s_mov_b32 vcc_lo, s0
	s_cbranch_vccnz .LBB174_6
; %bb.5:
	s_waitcnt lgkmcnt(0)
	s_mul_i32 s2, s9, s16
	s_mul_hi_u32 s3, s8, s16
	s_add_i32 s3, s3, s2
	s_mul_i32 s2, s8, s16
	s_lshl_b64 s[2:3], s[2:3], 3
	s_add_u32 s2, s24, s2
	s_addc_u32 s3, s25, s3
.LBB174_6:
	s_waitcnt lgkmcnt(0)
	s_clause 0x1
	s_load_dword s8, s[4:5], 0x0
	s_load_dword s7, s[4:5], 0x20
	v_lshl_add_u32 v6, v1, 3, v0
	v_and_b32_e32 v7, 3, v0
	v_mov_b32_e32 v4, 0
	v_mov_b32_e32 v5, 0
	v_lshrrev_b32_e32 v78, 2, v6
	v_lshlrev_b32_e32 v76, 3, v7
	s_waitcnt lgkmcnt(0)
	s_add_i32 s8, s8, -1
	s_ashr_i32 s9, s8, 31
	s_lshr_b32 s9, s9, 26
	s_add_i32 s8, s8, s9
	s_ashr_i32 s8, s8, 6
	s_add_i32 s14, s8, 1
	s_not_b32 s8, s8
	v_cvt_f32_u32_e32 v2, s14
	v_rcp_iflag_f32_e32 v2, v2
	v_mul_f32_e32 v2, 0x4f7ffffe, v2
	v_cvt_u32_f32_e32 v2, v2
	v_readfirstlane_b32 s9, v2
	v_mov_b32_e32 v2, 0
	v_mov_b32_e32 v3, 0
	s_mul_i32 s8, s8, s9
	s_mul_hi_u32 s8, s9, s8
	s_add_i32 s9, s9, s8
	s_mul_hi_u32 s8, s6, s9
	s_mul_i32 s9, s8, s14
	s_add_i32 s15, s8, 1
	s_sub_i32 s9, s6, s9
	s_sub_i32 s17, s9, s14
	s_cmp_ge_u32 s9, s14
	s_cselect_b32 s8, s15, s8
	s_cselect_b32 s9, s17, s9
	s_add_i32 s15, s8, 1
	s_cmp_ge_u32 s9, s14
	s_cselect_b32 s9, s15, s8
	s_and_b32 vcc_lo, exec_lo, s1
	s_mul_i32 s17, s9, s14
	s_sub_i32 s8, s6, s17
	s_lshl_b32 s14, s8, 6
	v_add_nc_u32_e32 v14, s14, v78
	s_cbranch_vccnz .LBB174_8
; %bb.7:
	v_mad_i64_i32 v[4:5], null, v14, s7, 0
	v_lshlrev_b64 v[4:5], 3, v[4:5]
	v_add_co_u32 v4, vcc_lo, s22, v4
	v_add_co_ci_u32_e64 v5, null, s23, v5, vcc_lo
	v_add_co_u32 v4, vcc_lo, v4, v76
	v_add_co_ci_u32_e64 v5, null, 0, v5, vcc_lo
	global_load_dwordx2 v[4:5], v[4:5], off
	s_waitcnt vmcnt(0)
	v_mul_f64 v[4:5], s[18:19], v[4:5]
.LBB174_8:
	s_load_dword s8, s[4:5], 0x38
	v_lshrrev_b32_e32 v77, 6, v6
	v_and_b32_e32 v79, 63, v6
	s_lshl_b32 s15, s9, 8
	s_waitcnt lgkmcnt(0)
	v_mad_i64_i32 v[7:8], null, s8, v77, 0
	s_ashr_i32 s9, s8, 31
	v_lshlrev_b64 v[9:10], 3, v[7:8]
	v_or_b32_e32 v8, s15, v79
	v_mov_b32_e32 v6, 0
	v_mov_b32_e32 v7, 0
	v_add_co_u32 v15, vcc_lo, s20, v9
	v_add_co_ci_u32_e64 v16, null, s21, v10, vcc_lo
	v_ashrrev_i32_e32 v9, 31, v8
	s_and_b32 vcc_lo, exec_lo, s1
	s_cbranch_vccnz .LBB174_10
; %bb.9:
	v_lshlrev_b64 v[2:3], 3, v[8:9]
	v_add_co_u32 v2, vcc_lo, v15, v2
	v_add_co_ci_u32_e64 v3, null, v16, v3, vcc_lo
	s_clause 0x1
	global_load_dwordx2 v[6:7], v[2:3], off
	global_load_dwordx2 v[10:11], v[2:3], off offset:512
	s_waitcnt vmcnt(1)
	v_mul_f64 v[2:3], s[18:19], v[6:7]
	s_waitcnt vmcnt(0)
	v_mul_f64 v[6:7], s[18:19], v[10:11]
.LBB174_10:
	v_mov_b32_e32 v66, 0
	v_mov_b32_e32 v10, 0
	v_mov_b32_e32 v12, 0
	v_mov_b32_e32 v67, 0
	v_mov_b32_e32 v11, 0
	v_mov_b32_e32 v13, 0
	s_and_b32 vcc_lo, exec_lo, s1
	s_cbranch_vccnz .LBB174_12
; %bb.11:
	v_lshlrev_b64 v[10:11], 3, v[8:9]
	v_add_co_u32 v10, vcc_lo, v15, v10
	v_add_co_ci_u32_e64 v11, null, v16, v11, vcc_lo
	s_clause 0x1
	global_load_dwordx2 v[12:13], v[10:11], off offset:1024
	global_load_dwordx2 v[15:16], v[10:11], off offset:1536
	s_waitcnt vmcnt(1)
	v_mul_f64 v[10:11], s[18:19], v[12:13]
	s_waitcnt vmcnt(0)
	v_mul_f64 v[12:13], s[18:19], v[15:16]
.LBB174_12:
	s_and_b32 vcc_lo, exec_lo, s1
	s_cbranch_vccnz .LBB174_14
; %bb.13:
	v_mad_i64_i32 v[14:15], null, v14, s7, 0
	v_lshlrev_b64 v[14:15], 3, v[14:15]
	v_add_co_u32 v14, vcc_lo, s22, v14
	v_add_co_ci_u32_e64 v15, null, s23, v15, vcc_lo
	v_add_co_u32 v14, vcc_lo, v14, v76
	v_add_co_ci_u32_e64 v15, null, 0, v15, vcc_lo
	global_load_dwordx2 v[14:15], v[14:15], off offset:32
	s_waitcnt vmcnt(0)
	v_mul_f64 v[66:67], s[18:19], v[14:15]
.LBB174_14:
	v_add_nc_u32_e32 v14, 4, v77
	v_mov_b32_e32 v68, 0
	v_mov_b32_e32 v70, 0
	;; [unrolled: 1-line block ×4, first 2 shown]
	v_mad_i64_i32 v[14:15], null, s8, v14, 0
	v_mov_b32_e32 v71, 0
	v_mov_b32_e32 v73, 0
	v_lshlrev_b64 v[14:15], 3, v[14:15]
	v_add_co_u32 v14, vcc_lo, s20, v14
	v_add_co_ci_u32_e64 v15, null, s21, v15, vcc_lo
	s_and_b32 vcc_lo, exec_lo, s1
	s_cbranch_vccnz .LBB174_16
; %bb.15:
	v_lshlrev_b64 v[16:17], 3, v[8:9]
	v_add_co_u32 v16, vcc_lo, v14, v16
	v_add_co_ci_u32_e64 v17, null, v15, v17, vcc_lo
	s_clause 0x1
	global_load_dwordx2 v[18:19], v[16:17], off
	global_load_dwordx2 v[16:17], v[16:17], off offset:512
	s_waitcnt vmcnt(1)
	v_mul_f64 v[70:71], s[18:19], v[18:19]
	s_waitcnt vmcnt(0)
	v_mul_f64 v[72:73], s[18:19], v[16:17]
.LBB174_16:
	v_mov_b32_e32 v74, 0
	v_mov_b32_e32 v75, 0
	s_and_b32 vcc_lo, exec_lo, s1
	s_cbranch_vccnz .LBB174_18
; %bb.17:
	v_lshlrev_b64 v[8:9], 3, v[8:9]
	v_add_co_u32 v8, vcc_lo, v14, v8
	v_add_co_ci_u32_e64 v9, null, v15, v9, vcc_lo
	s_clause 0x1
	global_load_dwordx2 v[14:15], v[8:9], off offset:1024
	global_load_dwordx2 v[8:9], v[8:9], off offset:1536
	s_waitcnt vmcnt(1)
	v_mul_f64 v[68:69], s[18:19], v[14:15]
	s_waitcnt vmcnt(0)
	v_mul_f64 v[74:75], s[18:19], v[8:9]
.LBB174_18:
	v_lshl_or_b32 v80, v78, 5, v76
	v_lshlrev_b32_e32 v147, 5, v0
	v_lshlrev_b32_e32 v146, 5, v1
	s_load_dword s24, s[4:5], 0x8
	ds_write_b64 v80, v[4:5] offset:16384
	v_lshlrev_b32_e32 v4, 5, v79
	v_lshl_add_u32 v148, v77, 3, v4
	ds_write2st64_b64 v148, v[2:3], v[6:7] offset1:4
	ds_write2st64_b64 v148, v[10:11], v[12:13] offset0:8 offset1:12
	s_waitcnt lgkmcnt(0)
	s_barrier
	buffer_gl0_inv
	ds_read_b128 v[10:13], v147 offset:16640
	ds_read_b128 v[14:17], v147 offset:16896
	;; [unrolled: 1-line block ×16, first 2 shown]
	ds_read_b128 v[85:88], v146
	ds_read_b128 v[6:9], v146 offset:16
	s_cmp_lt_i32 s24, 9
	s_waitcnt lgkmcnt(1)
	v_add_f64 v[89:90], v[83:84], v[87:88]
	v_add_f64 v[91:92], v[81:82], v[85:86]
	s_waitcnt lgkmcnt(0)
	v_add_f64 v[149:150], v[4:5], v[8:9]
	v_add_f64 v[151:152], v[2:3], v[6:7]
	v_cvt_f32_f64_e32 v89, v[89:90]
	v_cvt_f32_f64_e32 v91, v[91:92]
	;; [unrolled: 1-line block ×4, first 2 shown]
	v_min3_f32 v144, v91, v89, 0x7f800000
	v_add_f64 v[89:90], v[12:13], v[87:88]
	v_add_f64 v[91:92], v[10:11], v[85:86]
	v_min3_f32 v222, v145, v149, v144
	v_cvt_f32_f64_e32 v89, v[89:90]
	v_cvt_f32_f64_e32 v91, v[91:92]
	v_min3_f32 v143, v91, v89, 0x7f800000
	v_add_f64 v[89:90], v[16:17], v[87:88]
	v_add_f64 v[91:92], v[14:15], v[85:86]
	v_cvt_f32_f64_e32 v89, v[89:90]
	v_cvt_f32_f64_e32 v91, v[91:92]
	v_min3_f32 v142, v91, v89, 0x7f800000
	v_add_f64 v[89:90], v[20:21], v[87:88]
	v_add_f64 v[91:92], v[18:19], v[85:86]
	;; [unrolled: 5-line block ×5, first 2 shown]
	v_add_f64 v[87:88], v[36:37], v[87:88]
	v_add_f64 v[85:86], v[34:35], v[85:86]
	v_cvt_f32_f64_e32 v89, v[89:90]
	v_cvt_f32_f64_e32 v91, v[91:92]
	v_cvt_f32_f64_e32 v85, v[85:86]
	v_cvt_f32_f64_e32 v86, v[87:88]
	v_add_f64 v[87:88], v[81:82], v[38:39]
	v_min3_f32 v138, v91, v89, 0x7f800000
	v_min3_f32 v137, v85, v86, 0x7f800000
	v_add_f64 v[85:86], v[83:84], v[40:41]
	v_cvt_f32_f64_e32 v87, v[87:88]
	v_cvt_f32_f64_e32 v85, v[85:86]
	v_min3_f32 v136, v87, v85, 0x7f800000
	v_add_f64 v[85:86], v[12:13], v[40:41]
	v_add_f64 v[87:88], v[10:11], v[38:39]
	v_cvt_f32_f64_e32 v85, v[85:86]
	v_cvt_f32_f64_e32 v87, v[87:88]
	v_min3_f32 v135, v87, v85, 0x7f800000
	v_add_f64 v[85:86], v[16:17], v[40:41]
	;; [unrolled: 5-line block ×6, first 2 shown]
	v_add_f64 v[87:88], v[30:31], v[38:39]
	v_add_f64 v[40:41], v[36:37], v[40:41]
	;; [unrolled: 1-line block ×3, first 2 shown]
	v_cvt_f32_f64_e32 v85, v[85:86]
	v_cvt_f32_f64_e32 v87, v[87:88]
	;; [unrolled: 1-line block ×4, first 2 shown]
	v_add_f64 v[40:41], v[81:82], v[42:43]
	v_min3_f32 v130, v87, v85, 0x7f800000
	v_min3_f32 v129, v38, v39, 0x7f800000
	v_add_f64 v[38:39], v[83:84], v[44:45]
	v_cvt_f32_f64_e32 v40, v[40:41]
	v_cvt_f32_f64_e32 v38, v[38:39]
	v_min3_f32 v128, v40, v38, 0x7f800000
	v_add_f64 v[38:39], v[12:13], v[44:45]
	v_add_f64 v[40:41], v[10:11], v[42:43]
	v_cvt_f32_f64_e32 v38, v[38:39]
	v_cvt_f32_f64_e32 v40, v[40:41]
	v_min3_f32 v127, v40, v38, 0x7f800000
	v_add_f64 v[38:39], v[16:17], v[44:45]
	;; [unrolled: 5-line block ×33, first 2 shown]
	v_add_f64 v[40:41], v[10:11], v[58:59]
	v_add_f64 v[12:13], v[12:13], v[64:65]
	;; [unrolled: 1-line block ×3, first 2 shown]
	v_cvt_f32_f64_e32 v38, v[38:39]
	v_cvt_f32_f64_e32 v40, v[40:41]
	;; [unrolled: 1-line block ×4, first 2 shown]
	v_add_f64 v[12:13], v[14:15], v[62:63]
	v_min3_f32 v95, v40, v38, 0x7f800000
	v_add_f64 v[38:39], v[16:17], v[60:61]
	v_add_f64 v[40:41], v[14:15], v[58:59]
	v_min3_f32 v87, v10, v11, 0x7f800000
	v_add_f64 v[10:11], v[16:17], v[64:65]
	v_cvt_f32_f64_e32 v12, v[12:13]
	v_cvt_f32_f64_e32 v38, v[38:39]
	;; [unrolled: 1-line block ×4, first 2 shown]
	v_min3_f32 v94, v40, v38, 0x7f800000
	v_add_f64 v[38:39], v[20:21], v[60:61]
	v_add_f64 v[40:41], v[18:19], v[58:59]
	v_min3_f32 v86, v12, v10, 0x7f800000
	v_add_f64 v[10:11], v[20:21], v[64:65]
	v_add_f64 v[12:13], v[18:19], v[62:63]
	v_cvt_f32_f64_e32 v38, v[38:39]
	v_cvt_f32_f64_e32 v40, v[40:41]
	;; [unrolled: 1-line block ×4, first 2 shown]
	v_min3_f32 v93, v40, v38, 0x7f800000
	v_add_f64 v[38:39], v[24:25], v[60:61]
	v_add_f64 v[40:41], v[22:23], v[58:59]
	v_min3_f32 v85, v12, v10, 0x7f800000
	v_add_f64 v[10:11], v[24:25], v[64:65]
	v_add_f64 v[12:13], v[22:23], v[62:63]
	v_cvt_f32_f64_e32 v38, v[38:39]
	v_cvt_f32_f64_e32 v40, v[40:41]
	;; [unrolled: 1-line block ×4, first 2 shown]
	v_min3_f32 v92, v40, v38, 0x7f800000
	v_add_f64 v[38:39], v[28:29], v[60:61]
	v_add_f64 v[40:41], v[26:27], v[58:59]
	v_cvt_f32_f64_e32 v38, v[38:39]
	v_cvt_f32_f64_e32 v40, v[40:41]
	v_min3_f32 v91, v40, v38, 0x7f800000
	v_add_f64 v[38:39], v[32:33], v[60:61]
	v_add_f64 v[40:41], v[30:31], v[58:59]
	v_cvt_f32_f64_e32 v38, v[38:39]
	v_cvt_f32_f64_e32 v40, v[40:41]
	;; [unrolled: 5-line block ×3, first 2 shown]
	v_min3_f32 v89, v40, v38, 0x7f800000
	v_add_f64 v[38:39], v[83:84], v[64:65]
	v_min3_f32 v84, v12, v10, 0x7f800000
	v_add_f64 v[10:11], v[28:29], v[64:65]
	v_add_f64 v[12:13], v[26:27], v[62:63]
	;; [unrolled: 1-line block ×3, first 2 shown]
	v_cvt_f32_f64_e32 v38, v[38:39]
	v_cvt_f32_f64_e32 v10, v[10:11]
	;; [unrolled: 1-line block ×4, first 2 shown]
	v_min3_f32 v83, v12, v10, 0x7f800000
	v_add_f64 v[10:11], v[32:33], v[64:65]
	v_add_f64 v[12:13], v[30:31], v[62:63]
	v_min3_f32 v88, v40, v38, 0x7f800000
	v_cvt_f32_f64_e32 v10, v[10:11]
	v_cvt_f32_f64_e32 v12, v[12:13]
	v_min3_f32 v82, v12, v10, 0x7f800000
	v_add_f64 v[10:11], v[36:37], v[64:65]
	v_add_f64 v[12:13], v[34:35], v[62:63]
	v_cvt_f32_f64_e32 v10, v[10:11]
	v_cvt_f32_f64_e32 v12, v[12:13]
	v_min3_f32 v81, v12, v10, 0x7f800000
	ds_read_b128 v[34:37], v147 offset:16656
	ds_read_b128 v[30:33], v147 offset:16912
	;; [unrolled: 1-line block ×14, first 2 shown]
	ds_write_b64 v80, v[66:67] offset:18432
	ds_write2st64_b64 v148, v[70:71], v[72:73] offset0:16 offset1:20
	ds_write2st64_b64 v148, v[68:69], v[74:75] offset0:24 offset1:28
	s_waitcnt lgkmcnt(0)
	s_barrier
	buffer_gl0_inv
	v_add_f64 v[144:145], v[36:37], v[8:9]
	v_add_f64 v[149:150], v[34:35], v[6:7]
	v_cvt_f32_f64_e32 v144, v[144:145]
	v_cvt_f32_f64_e32 v149, v[149:150]
	v_min3_f32 v221, v149, v144, v143
	v_add_f64 v[143:144], v[32:33], v[8:9]
	v_add_f64 v[149:150], v[30:31], v[6:7]
	v_cvt_f32_f64_e32 v143, v[143:144]
	v_cvt_f32_f64_e32 v145, v[149:150]
	v_min3_f32 v220, v145, v143, v142
	;; [unrolled: 5-line block ×5, first 2 shown]
	v_add_f64 v[139:140], v[16:17], v[8:9]
	v_add_f64 v[141:142], v[14:15], v[6:7]
	;; [unrolled: 1-line block ×4, first 2 shown]
	v_cvt_f32_f64_e32 v139, v[139:140]
	v_cvt_f32_f64_e32 v141, v[141:142]
	;; [unrolled: 1-line block ×4, first 2 shown]
	v_add_f64 v[8:9], v[2:3], v[62:63]
	v_min3_f32 v217, v141, v139, v138
	v_min3_f32 v214, v6, v7, v137
	v_add_f64 v[6:7], v[4:5], v[64:65]
	v_cvt_f32_f64_e32 v8, v[8:9]
	v_cvt_f32_f64_e32 v6, v[6:7]
	v_min3_f32 v215, v8, v6, v136
	v_add_f64 v[6:7], v[36:37], v[64:65]
	v_add_f64 v[8:9], v[34:35], v[62:63]
	v_cvt_f32_f64_e32 v6, v[6:7]
	v_cvt_f32_f64_e32 v8, v[8:9]
	v_min3_f32 v212, v8, v6, v135
	v_add_f64 v[6:7], v[32:33], v[64:65]
	;; [unrolled: 5-line block ×40, first 2 shown]
	v_add_f64 v[8:9], v[2:3], v[42:43]
	v_add_f64 v[4:5], v[4:5], v[40:41]
	v_add_f64 v[2:3], v[2:3], v[38:39]
	v_cvt_f32_f64_e32 v6, v[6:7]
	v_cvt_f32_f64_e32 v8, v[8:9]
	;; [unrolled: 1-line block ×4, first 2 shown]
	v_add_f64 v[4:5], v[34:35], v[38:39]
	v_min3_f32 v171, v8, v6, v96
	v_add_f64 v[6:7], v[36:37], v[44:45]
	v_add_f64 v[8:9], v[34:35], v[42:43]
	v_min3_f32 v156, v2, v3, v88
	v_add_f64 v[2:3], v[36:37], v[40:41]
	v_cvt_f32_f64_e32 v4, v[4:5]
	v_cvt_f32_f64_e32 v6, v[6:7]
	v_cvt_f32_f64_e32 v8, v[8:9]
	v_cvt_f32_f64_e32 v2, v[2:3]
	v_min3_f32 v162, v8, v6, v95
	v_add_f64 v[6:7], v[32:33], v[44:45]
	v_add_f64 v[8:9], v[30:31], v[42:43]
	v_min3_f32 v155, v4, v2, v87
	v_add_f64 v[2:3], v[32:33], v[40:41]
	v_add_f64 v[4:5], v[30:31], v[38:39]
	v_cvt_f32_f64_e32 v6, v[6:7]
	v_cvt_f32_f64_e32 v8, v[8:9]
	v_cvt_f32_f64_e32 v2, v[2:3]
	v_cvt_f32_f64_e32 v4, v[4:5]
	v_min3_f32 v163, v8, v6, v94
	v_add_f64 v[6:7], v[28:29], v[44:45]
	v_add_f64 v[8:9], v[26:27], v[42:43]
	v_min3_f32 v154, v4, v2, v86
	v_add_f64 v[2:3], v[28:29], v[40:41]
	;; [unrolled: 10-line block ×6, first 2 shown]
	v_add_f64 v[4:5], v[10:11], v[38:39]
	v_cvt_f32_f64_e32 v6, v[6:7]
	v_cvt_f32_f64_e32 v8, v[8:9]
	;; [unrolled: 1-line block ×4, first 2 shown]
	v_min3_f32 v157, v8, v6, v89
	v_min3_f32 v149, v4, v2, v81
	s_cbranch_scc1 .LBB174_33
; %bb.19:
	v_lshl_add_u32 v2, s6, 6, v78
	s_lshl_b32 s6, s17, 6
	v_add_nc_u32_e32 v4, s15, v79
	v_add_nc_u32_e32 v6, 12, v77
	;; [unrolled: 1-line block ×3, first 2 shown]
	v_subrev_nc_u32_e32 v2, s6, v2
	v_add_nc_u32_e32 v164, 0x4000, v80
	v_ashrrev_i32_e32 v5, 31, v4
	v_mad_i64_i32 v[6:7], null, v6, s8, 0
	v_mad_i64_i32 v[2:3], null, s7, v2, 0
	v_mad_i64_i32 v[8:9], null, v8, s8, 0
	v_lshlrev_b64 v[130:131], 3, v[4:5]
	v_or_b32_e32 v165, 0x4000, v147
	v_add_nc_u32_e32 v166, 0x4800, v80
	v_or_b32_e32 v167, 0x2000, v148
	v_lshlrev_b64 v[2:3], 3, v[2:3]
	v_lshl_add_u32 v169, v0, 5, 0x4800
	v_lshl_or_b32 v170, v1, 5, 0x2000
	s_add_i32 s17, s24, -8
	s_lshl_b64 s[6:7], s[8:9], 6
	s_mov_b32 s8, 0
	v_add_co_u32 v4, vcc_lo, v2, v76
	v_add_co_ci_u32_e64 v5, null, 0, v3, vcc_lo
	v_lshlrev_b64 v[2:3], 3, v[6:7]
	v_add_co_u32 v6, vcc_lo, s22, v4
	v_add_co_ci_u32_e64 v7, null, s23, v5, vcc_lo
	v_lshlrev_b64 v[4:5], 3, v[8:9]
	v_add_co_u32 v132, vcc_lo, v6, 64
	v_add_co_ci_u32_e64 v133, null, 0, v7, vcc_lo
	v_add_co_u32 v172, vcc_lo, s20, v2
	v_add_co_ci_u32_e64 v173, null, s21, v3, vcc_lo
	;; [unrolled: 2-line block ×3, first 2 shown]
	s_branch .LBB174_21
.LBB174_20:                             ;   in Loop: Header=BB174_21 Depth=1
	v_add_f64 v[144:145], v[100:101], v[128:129]
	v_add_f64 v[223:224], v[98:99], v[126:127]
	;; [unrolled: 1-line block ×3, first 2 shown]
	v_add_co_u32 v132, vcc_lo, v132, 64
	v_add_co_ci_u32_e64 v133, null, 0, v133, vcc_lo
	v_add_co_u32 v172, vcc_lo, v172, s6
	v_add_co_ci_u32_e64 v173, null, s7, v173, vcc_lo
	;; [unrolled: 2-line block ×3, first 2 shown]
	s_add_i32 s8, s8, 8
	s_cmp_ge_i32 s8, s17
	v_cvt_f32_f64_e32 v144, v[144:145]
	v_cvt_f32_f64_e32 v223, v[223:224]
	v_min3_f32 v222, v223, v144, v222
	v_add_f64 v[144:145], v[96:97], v[128:129]
	v_add_f64 v[223:224], v[94:95], v[126:127]
	v_cvt_f32_f64_e32 v144, v[144:145]
	v_cvt_f32_f64_e32 v223, v[223:224]
	v_min3_f32 v221, v223, v144, v221
	v_add_f64 v[144:145], v[92:93], v[128:129]
	v_add_f64 v[223:224], v[90:91], v[126:127]
	;; [unrolled: 5-line block ×5, first 2 shown]
	v_add_f64 v[126:127], v[66:67], v[126:127]
	v_cvt_f32_f64_e32 v144, v[144:145]
	v_cvt_f32_f64_e32 v223, v[223:224]
	;; [unrolled: 1-line block ×4, first 2 shown]
	v_min3_f32 v144, v223, v144, v216
	v_add_f64 v[223:224], v[72:73], v[128:129]
	v_add_f64 v[128:129], v[68:69], v[128:129]
	v_cvt_f32_f64_e32 v216, v[223:224]
	v_cvt_f32_f64_e32 v127, v[128:129]
	v_min3_f32 v145, v145, v216, v217
	v_min3_f32 v126, v126, v127, v214
	v_add_f64 v[127:128], v[100:101], v[124:125]
	v_add_f64 v[216:217], v[98:99], v[122:123]
	v_cvt_f32_f64_e32 v127, v[127:128]
	v_cvt_f32_f64_e32 v129, v[216:217]
	v_min3_f32 v127, v129, v127, v215
	v_add_f64 v[128:129], v[96:97], v[124:125]
	v_add_f64 v[214:215], v[94:95], v[122:123]
	v_cvt_f32_f64_e32 v128, v[128:129]
	v_cvt_f32_f64_e32 v214, v[214:215]
	v_min3_f32 v212, v214, v128, v212
	v_add_f64 v[128:129], v[92:93], v[124:125]
	v_add_f64 v[214:215], v[90:91], v[122:123]
	v_cvt_f32_f64_e32 v128, v[128:129]
	v_cvt_f32_f64_e32 v214, v[214:215]
	v_min3_f32 v213, v214, v128, v213
	v_add_f64 v[128:129], v[88:89], v[124:125]
	v_add_f64 v[214:215], v[86:87], v[122:123]
	v_cvt_f32_f64_e32 v128, v[128:129]
	v_cvt_f32_f64_e32 v214, v[214:215]
	v_min3_f32 v210, v214, v128, v210
	v_add_f64 v[128:129], v[84:85], v[124:125]
	v_add_f64 v[214:215], v[82:83], v[122:123]
	v_cvt_f32_f64_e32 v128, v[128:129]
	v_cvt_f32_f64_e32 v214, v[214:215]
	v_min3_f32 v211, v214, v128, v211
	v_add_f64 v[128:129], v[80:81], v[124:125]
	v_add_f64 v[214:215], v[78:79], v[122:123]
	v_cvt_f32_f64_e32 v128, v[128:129]
	v_cvt_f32_f64_e32 v214, v[214:215]
	v_min3_f32 v208, v214, v128, v208
	v_add_f64 v[128:129], v[72:73], v[124:125]
	v_add_f64 v[214:215], v[70:71], v[122:123]
	;; [unrolled: 1-line block ×4, first 2 shown]
	v_cvt_f32_f64_e32 v128, v[128:129]
	v_cvt_f32_f64_e32 v214, v[214:215]
	;; [unrolled: 1-line block ×4, first 2 shown]
	v_add_f64 v[124:125], v[98:99], v[118:119]
	v_min3_f32 v209, v214, v128, v209
	v_add_f64 v[128:129], v[86:87], v[110:111]
	v_min3_f32 v214, v122, v123, v206
	v_add_f64 v[122:123], v[100:101], v[120:121]
	v_cvt_f32_f64_e32 v124, v[124:125]
	v_cvt_f32_f64_e32 v122, v[122:123]
	v_min3_f32 v206, v124, v122, v207
	v_add_f64 v[122:123], v[96:97], v[120:121]
	v_add_f64 v[124:125], v[94:95], v[118:119]
	v_cvt_f32_f64_e32 v122, v[122:123]
	v_cvt_f32_f64_e32 v124, v[124:125]
	v_min3_f32 v204, v124, v122, v204
	v_add_f64 v[122:123], v[92:93], v[120:121]
	;; [unrolled: 5-line block ×6, first 2 shown]
	v_add_f64 v[124:125], v[70:71], v[118:119]
	v_add_f64 v[120:121], v[68:69], v[120:121]
	;; [unrolled: 1-line block ×3, first 2 shown]
	v_cvt_f32_f64_e32 v122, v[122:123]
	v_cvt_f32_f64_e32 v124, v[124:125]
	v_cvt_f32_f64_e32 v118, v[118:119]
	v_cvt_f32_f64_e32 v119, v[120:121]
	v_add_f64 v[120:121], v[98:99], v[114:115]
	v_min3_f32 v201, v124, v122, v201
	v_min3_f32 v198, v118, v119, v198
	v_add_f64 v[118:119], v[100:101], v[116:117]
	v_cvt_f32_f64_e32 v120, v[120:121]
	v_cvt_f32_f64_e32 v118, v[118:119]
	v_min3_f32 v199, v120, v118, v199
	v_add_f64 v[118:119], v[96:97], v[116:117]
	v_add_f64 v[120:121], v[94:95], v[114:115]
	v_cvt_f32_f64_e32 v118, v[118:119]
	v_cvt_f32_f64_e32 v120, v[120:121]
	v_min3_f32 v196, v120, v118, v196
	v_add_f64 v[118:119], v[92:93], v[116:117]
	;; [unrolled: 5-line block ×3, first 2 shown]
	v_add_f64 v[120:121], v[86:87], v[114:115]
	v_cvt_f32_f64_e32 v118, v[118:119]
	v_cvt_f32_f64_e32 v120, v[120:121]
	v_add_f64 v[121:122], v[82:83], v[114:115]
	v_min3_f32 v118, v120, v118, v195
	v_add_f64 v[119:120], v[84:85], v[116:117]
	v_cvt_f32_f64_e32 v121, v[121:122]
	v_add_f64 v[122:123], v[78:79], v[114:115]
	v_cvt_f32_f64_e32 v119, v[119:120]
	v_cvt_f32_f64_e32 v122, v[122:123]
	v_add_f64 v[123:124], v[70:71], v[114:115]
	v_add_f64 v[114:115], v[66:67], v[114:115]
	v_min3_f32 v119, v121, v119, v194
	v_add_f64 v[120:121], v[80:81], v[116:117]
	v_cvt_f32_f64_e32 v123, v[123:124]
	v_cvt_f32_f64_e32 v114, v[114:115]
	v_add_f64 v[124:125], v[94:95], v[110:111]
	v_cvt_f32_f64_e32 v120, v[120:121]
	v_min3_f32 v120, v122, v120, v192
	v_add_f64 v[121:122], v[72:73], v[116:117]
	v_add_f64 v[116:117], v[68:69], v[116:117]
	v_cvt_f32_f64_e32 v121, v[121:122]
	v_cvt_f32_f64_e32 v115, v[116:117]
	v_add_f64 v[116:117], v[100:101], v[112:113]
	v_min3_f32 v121, v123, v121, v193
	v_add_f64 v[122:123], v[98:99], v[110:111]
	v_min3_f32 v115, v114, v115, v190
	v_cvt_f32_f64_e32 v116, v[116:117]
	v_cvt_f32_f64_e32 v114, v[122:123]
	v_add_f64 v[122:123], v[96:97], v[112:113]
	v_min3_f32 v116, v114, v116, v191
	v_cvt_f32_f64_e32 v114, v[124:125]
	v_cvt_f32_f64_e32 v117, v[122:123]
	v_add_f64 v[122:123], v[92:93], v[112:113]
	v_add_f64 v[124:125], v[90:91], v[110:111]
	v_min3_f32 v117, v114, v117, v188
	v_cvt_f32_f64_e32 v122, v[122:123]
	v_cvt_f32_f64_e32 v114, v[124:125]
	v_add_f64 v[123:124], v[88:89], v[112:113]
	v_min3_f32 v122, v114, v122, v189
	v_cvt_f32_f64_e32 v114, v[128:129]
	v_cvt_f32_f64_e32 v123, v[123:124]
	v_add_f64 v[124:125], v[84:85], v[112:113]
	v_add_f64 v[128:129], v[82:83], v[110:111]
	v_min3_f32 v123, v114, v123, v186
	v_cvt_f32_f64_e32 v124, v[124:125]
	v_cvt_f32_f64_e32 v114, v[128:129]
	v_add_f64 v[128:129], v[80:81], v[112:113]
	v_min3_f32 v124, v114, v124, v187
	v_add_f64 v[186:187], v[78:79], v[110:111]
	v_cvt_f32_f64_e32 v125, v[128:129]
	v_add_f64 v[128:129], v[72:73], v[112:113]
	v_add_f64 v[112:113], v[68:69], v[112:113]
	v_cvt_f32_f64_e32 v114, v[186:187]
	v_add_f64 v[186:187], v[70:71], v[110:111]
	v_add_f64 v[110:111], v[66:67], v[110:111]
	v_cvt_f32_f64_e32 v128, v[128:129]
	v_min3_f32 v125, v114, v125, v184
	v_cvt_f32_f64_e32 v114, v[186:187]
	v_cvt_f32_f64_e32 v110, v[110:111]
	v_cvt_f32_f64_e32 v111, v[112:113]
	v_min3_f32 v114, v114, v128, v185
	v_add_f64 v[128:129], v[98:99], v[106:107]
	v_min3_f32 v112, v110, v111, v182
	v_add_f64 v[110:111], v[100:101], v[108:109]
	v_cvt_f32_f64_e32 v113, v[128:129]
	v_add_f64 v[128:129], v[94:95], v[106:107]
	v_cvt_f32_f64_e32 v110, v[110:111]
	v_cvt_f32_f64_e32 v128, v[128:129]
	v_min3_f32 v113, v113, v110, v183
	v_add_f64 v[110:111], v[96:97], v[108:109]
	v_add_f64 v[182:183], v[90:91], v[106:107]
	v_cvt_f32_f64_e32 v110, v[110:111]
	v_cvt_f32_f64_e32 v129, v[182:183]
	v_min3_f32 v128, v128, v110, v180
	v_add_f64 v[110:111], v[92:93], v[108:109]
	v_cvt_f32_f64_e32 v110, v[110:111]
	v_min3_f32 v129, v129, v110, v181
	v_add_f64 v[110:111], v[88:89], v[108:109]
	v_add_f64 v[180:181], v[86:87], v[106:107]
	v_cvt_f32_f64_e32 v110, v[110:111]
	v_cvt_f32_f64_e32 v180, v[180:181]
	v_min3_f32 v178, v180, v110, v178
	v_add_f64 v[110:111], v[84:85], v[108:109]
	v_add_f64 v[180:181], v[82:83], v[106:107]
	v_cvt_f32_f64_e32 v110, v[110:111]
	;; [unrolled: 5-line block ×3, first 2 shown]
	v_cvt_f32_f64_e32 v180, v[180:181]
	v_min3_f32 v176, v180, v110, v176
	v_add_f64 v[110:111], v[72:73], v[108:109]
	v_add_f64 v[180:181], v[70:71], v[106:107]
	;; [unrolled: 1-line block ×4, first 2 shown]
	v_cvt_f32_f64_e32 v110, v[110:111]
	v_cvt_f32_f64_e32 v180, v[180:181]
	;; [unrolled: 1-line block ×4, first 2 shown]
	v_add_f64 v[108:109], v[98:99], v[102:103]
	v_add_f64 v[98:99], v[98:99], v[74:75]
	v_min3_f32 v177, v180, v110, v177
	v_min3_f32 v168, v106, v107, v168
	v_add_f64 v[106:107], v[100:101], v[104:105]
	v_cvt_f32_f64_e32 v108, v[108:109]
	v_add_f64 v[100:101], v[100:101], v[76:77]
	v_cvt_f32_f64_e32 v98, v[98:99]
	v_cvt_f32_f64_e32 v106, v[106:107]
	v_cvt_f32_f64_e32 v99, v[100:101]
	v_min3_f32 v171, v108, v106, v171
	v_add_f64 v[106:107], v[96:97], v[104:105]
	v_add_f64 v[108:109], v[94:95], v[102:103]
	v_add_f64 v[94:95], v[94:95], v[74:75]
	v_add_f64 v[96:97], v[96:97], v[76:77]
	v_min3_f32 v98, v98, v99, v156
	v_add_f64 v[99:100], v[10:11], v[46:47]
	v_cvt_f32_f64_e32 v106, v[106:107]
	v_cvt_f32_f64_e32 v108, v[108:109]
	v_add_f64 v[109:110], v[90:91], v[102:103]
	v_add_f64 v[90:91], v[90:91], v[74:75]
	v_cvt_f32_f64_e32 v94, v[94:95]
	v_cvt_f32_f64_e32 v95, v[96:97]
	v_min3_f32 v106, v108, v106, v162
	v_add_f64 v[107:108], v[92:93], v[104:105]
	v_cvt_f32_f64_e32 v109, v[109:110]
	v_add_f64 v[110:111], v[86:87], v[102:103]
	v_add_f64 v[86:87], v[86:87], v[74:75]
	;; [unrolled: 1-line block ×3, first 2 shown]
	v_cvt_f32_f64_e32 v90, v[90:91]
	v_min3_f32 v94, v94, v95, v155
	v_add_f64 v[95:96], v[6:7], v[50:51]
	v_cvt_f32_f64_e32 v107, v[107:108]
	v_cvt_f32_f64_e32 v110, v[110:111]
	;; [unrolled: 1-line block ×4, first 2 shown]
	v_min3_f32 v107, v109, v107, v163
	v_add_f64 v[108:109], v[88:89], v[104:105]
	v_add_f64 v[162:163], v[82:83], v[102:103]
	;; [unrolled: 1-line block ×4, first 2 shown]
	v_min3_f32 v90, v90, v91, v154
	v_add_f64 v[91:92], v[26:27], v[50:51]
	v_cvt_f32_f64_e32 v108, v[108:109]
	v_cvt_f32_f64_e32 v111, v[162:163]
	v_add_f64 v[162:163], v[70:71], v[102:103]
	v_add_f64 v[70:71], v[70:71], v[74:75]
	v_cvt_f32_f64_e32 v82, v[82:83]
	v_cvt_f32_f64_e32 v87, v[88:89]
	v_min3_f32 v108, v110, v108, v160
	v_add_f64 v[109:110], v[84:85], v[104:105]
	v_add_f64 v[84:85], v[84:85], v[76:77]
	v_cvt_f32_f64_e32 v70, v[70:71]
	v_min3_f32 v86, v86, v87, v152
	v_add_f64 v[87:88], v[14:15], v[54:55]
	v_cvt_f32_f64_e32 v109, v[109:110]
	v_cvt_f32_f64_e32 v83, v[84:85]
	v_min3_f32 v109, v111, v109, v161
	v_add_f64 v[110:111], v[80:81], v[104:105]
	v_add_f64 v[160:161], v[78:79], v[102:103]
	;; [unrolled: 1-line block ×7, first 2 shown]
	v_min3_f32 v82, v82, v83, v153
	v_add_f64 v[83:84], v[10:11], v[58:59]
	v_cvt_f32_f64_e32 v110, v[110:111]
	v_cvt_f32_f64_e32 v160, v[160:161]
	;; [unrolled: 1-line block ×7, first 2 shown]
	v_min3_f32 v110, v160, v110, v158
	v_add_f64 v[160:161], v[72:73], v[104:105]
	v_add_f64 v[104:105], v[68:69], v[104:105]
	;; [unrolled: 1-line block ×5, first 2 shown]
	v_min3_f32 v78, v78, v79, v150
	v_add_f64 v[79:80], v[26:27], v[58:59]
	v_cvt_f32_f64_e32 v158, v[160:161]
	v_cvt_f32_f64_e32 v103, v[104:105]
	;; [unrolled: 1-line block ×4, first 2 shown]
	v_add_f64 v[68:69], v[34:35], v[62:63]
	v_min3_f32 v111, v111, v158, v159
	v_min3_f32 v102, v102, v103, v157
	;; [unrolled: 1-line block ×3, first 2 shown]
	v_add_f64 v[66:67], v[36:37], v[64:65]
	v_cvt_f32_f64_e32 v68, v[68:69]
	v_min3_f32 v71, v70, v71, v151
	v_add_f64 v[69:70], v[30:31], v[62:63]
	v_cvt_f32_f64_e32 v66, v[66:67]
	v_cvt_f32_f64_e32 v69, v[69:70]
	;; [unrolled: 1-line block ×3, first 2 shown]
	v_add_f64 v[74:75], v[18:19], v[62:63]
	v_min3_f32 v66, v68, v66, v222
	v_add_f64 v[67:68], v[32:33], v[64:65]
	v_cvt_f32_f64_e32 v72, v[74:75]
	v_add_f64 v[74:75], v[16:17], v[64:65]
	v_cvt_f32_f64_e32 v67, v[67:68]
	v_min3_f32 v67, v69, v67, v221
	v_add_f64 v[68:69], v[28:29], v[64:65]
	v_cvt_f32_f64_e32 v68, v[68:69]
	v_min3_f32 v68, v70, v68, v220
	v_add_f64 v[69:70], v[20:21], v[64:65]
	v_cvt_f32_f64_e32 v69, v[69:70]
	v_cvt_f32_f64_e32 v70, v[76:77]
	v_add_f64 v[76:77], v[10:11], v[62:63]
	v_min3_f32 v69, v72, v69, v218
	v_cvt_f32_f64_e32 v72, v[74:75]
	v_add_f64 v[74:75], v[12:13], v[64:65]
	v_min3_f32 v70, v70, v72, v219
	v_cvt_f32_f64_e32 v72, v[76:77]
	v_cvt_f32_f64_e32 v74, v[74:75]
	v_add_f64 v[76:77], v[6:7], v[62:63]
	v_add_f64 v[62:63], v[2:3], v[62:63]
	v_min3_f32 v72, v72, v74, v144
	v_add_f64 v[74:75], v[8:9], v[64:65]
	v_add_f64 v[64:65], v[4:5], v[64:65]
	v_cvt_f32_f64_e32 v76, v[76:77]
	v_cvt_f32_f64_e32 v62, v[62:63]
	;; [unrolled: 1-line block ×4, first 2 shown]
	v_min3_f32 v74, v76, v74, v145
	v_min3_f32 v62, v62, v63, v126
	v_add_f64 v[63:64], v[36:37], v[60:61]
	v_add_f64 v[75:76], v[34:35], v[58:59]
	v_cvt_f32_f64_e32 v63, v[63:64]
	v_cvt_f32_f64_e32 v65, v[75:76]
	v_add_f64 v[75:76], v[30:31], v[58:59]
	v_min3_f32 v63, v65, v63, v127
	v_add_f64 v[64:65], v[32:33], v[60:61]
	v_cvt_f32_f64_e32 v75, v[75:76]
	v_cvt_f32_f64_e32 v64, v[64:65]
	;; [unrolled: 1-line block ×3, first 2 shown]
	v_add_f64 v[79:80], v[18:19], v[58:59]
	v_min3_f32 v64, v75, v64, v212
	v_add_f64 v[75:76], v[28:29], v[60:61]
	v_cvt_f32_f64_e32 v77, v[79:80]
	v_add_f64 v[79:80], v[14:15], v[58:59]
	v_cvt_f32_f64_e32 v75, v[75:76]
	v_cvt_f32_f64_e32 v79, v[79:80]
	v_min3_f32 v65, v65, v75, v213
	v_add_f64 v[75:76], v[20:21], v[60:61]
	v_cvt_f32_f64_e32 v75, v[75:76]
	v_min3_f32 v75, v77, v75, v210
	v_add_f64 v[76:77], v[16:17], v[60:61]
	v_cvt_f32_f64_e32 v76, v[76:77]
	v_cvt_f32_f64_e32 v77, v[83:84]
	v_add_f64 v[83:84], v[6:7], v[58:59]
	v_add_f64 v[58:59], v[2:3], v[58:59]
	v_min3_f32 v76, v79, v76, v211
	v_add_f64 v[79:80], v[12:13], v[60:61]
	v_cvt_f32_f64_e32 v81, v[83:84]
	v_cvt_f32_f64_e32 v58, v[58:59]
	v_add_f64 v[83:84], v[26:27], v[54:55]
	v_cvt_f32_f64_e32 v79, v[79:80]
	v_min3_f32 v77, v77, v79, v208
	v_add_f64 v[79:80], v[8:9], v[60:61]
	v_add_f64 v[60:61], v[4:5], v[60:61]
	v_cvt_f32_f64_e32 v79, v[79:80]
	v_cvt_f32_f64_e32 v59, v[60:61]
	v_min3_f32 v79, v81, v79, v209
	v_min3_f32 v58, v58, v59, v214
	v_add_f64 v[59:60], v[36:37], v[56:57]
	v_add_f64 v[80:81], v[34:35], v[54:55]
	v_cvt_f32_f64_e32 v59, v[59:60]
	v_cvt_f32_f64_e32 v61, v[80:81]
	v_add_f64 v[80:81], v[30:31], v[54:55]
	v_min3_f32 v59, v61, v59, v206
	v_add_f64 v[60:61], v[32:33], v[56:57]
	v_cvt_f32_f64_e32 v80, v[80:81]
	v_cvt_f32_f64_e32 v60, v[60:61]
	;; [unrolled: 1-line block ×3, first 2 shown]
	v_add_f64 v[83:84], v[18:19], v[54:55]
	v_min3_f32 v60, v80, v60, v204
	v_add_f64 v[80:81], v[28:29], v[56:57]
	v_cvt_f32_f64_e32 v83, v[83:84]
	v_cvt_f32_f64_e32 v80, v[80:81]
	v_min3_f32 v61, v61, v80, v205
	v_add_f64 v[80:81], v[20:21], v[56:57]
	v_cvt_f32_f64_e32 v80, v[80:81]
	v_cvt_f32_f64_e32 v81, v[87:88]
	v_add_f64 v[87:88], v[10:11], v[54:55]
	v_min3_f32 v80, v83, v80, v202
	v_add_f64 v[83:84], v[16:17], v[56:57]
	v_cvt_f32_f64_e32 v85, v[87:88]
	v_add_f64 v[87:88], v[6:7], v[54:55]
	v_add_f64 v[54:55], v[2:3], v[54:55]
	v_cvt_f32_f64_e32 v83, v[83:84]
	v_cvt_f32_f64_e32 v87, v[87:88]
	;; [unrolled: 1-line block ×3, first 2 shown]
	v_min3_f32 v81, v81, v83, v203
	v_add_f64 v[83:84], v[12:13], v[56:57]
	v_cvt_f32_f64_e32 v83, v[83:84]
	v_min3_f32 v83, v85, v83, v200
	v_add_f64 v[84:85], v[8:9], v[56:57]
	v_add_f64 v[56:57], v[4:5], v[56:57]
	v_cvt_f32_f64_e32 v84, v[84:85]
	v_cvt_f32_f64_e32 v55, v[56:57]
	v_min3_f32 v84, v87, v84, v201
	v_min3_f32 v54, v54, v55, v198
	v_add_f64 v[55:56], v[36:37], v[52:53]
	v_add_f64 v[87:88], v[34:35], v[50:51]
	v_cvt_f32_f64_e32 v55, v[55:56]
	v_cvt_f32_f64_e32 v57, v[87:88]
	v_add_f64 v[87:88], v[30:31], v[50:51]
	v_min3_f32 v55, v57, v55, v199
	v_add_f64 v[56:57], v[32:33], v[52:53]
	v_cvt_f32_f64_e32 v85, v[87:88]
	v_add_f64 v[87:88], v[28:29], v[52:53]
	v_cvt_f32_f64_e32 v56, v[56:57]
	v_cvt_f32_f64_e32 v57, v[91:92]
	v_add_f64 v[91:92], v[18:19], v[50:51]
	v_min3_f32 v56, v85, v56, v196
	v_cvt_f32_f64_e32 v85, v[87:88]
	v_add_f64 v[87:88], v[20:21], v[52:53]
	v_min3_f32 v57, v57, v85, v197
	v_cvt_f32_f64_e32 v85, v[91:92]
	v_cvt_f32_f64_e32 v87, v[87:88]
	v_add_f64 v[91:92], v[14:15], v[50:51]
	v_min3_f32 v85, v85, v87, v118
	v_add_f64 v[87:88], v[16:17], v[52:53]
	v_cvt_f32_f64_e32 v89, v[91:92]
	v_add_f64 v[91:92], v[10:11], v[50:51]
	v_add_f64 v[50:51], v[2:3], v[50:51]
	v_cvt_f32_f64_e32 v87, v[87:88]
	v_cvt_f32_f64_e32 v91, v[91:92]
	;; [unrolled: 1-line block ×3, first 2 shown]
	v_min3_f32 v87, v89, v87, v119
	v_add_f64 v[88:89], v[12:13], v[52:53]
	v_cvt_f32_f64_e32 v88, v[88:89]
	v_cvt_f32_f64_e32 v89, v[95:96]
	v_add_f64 v[95:96], v[26:27], v[46:47]
	v_min3_f32 v88, v91, v88, v120
	v_add_f64 v[91:92], v[8:9], v[52:53]
	v_add_f64 v[52:53], v[4:5], v[52:53]
	v_cvt_f32_f64_e32 v91, v[91:92]
	v_cvt_f32_f64_e32 v51, v[52:53]
	v_min3_f32 v89, v89, v91, v121
	v_min3_f32 v50, v50, v51, v115
	v_add_f64 v[51:52], v[36:37], v[48:49]
	v_add_f64 v[91:92], v[34:35], v[46:47]
	v_cvt_f32_f64_e32 v51, v[51:52]
	v_cvt_f32_f64_e32 v53, v[91:92]
	v_add_f64 v[91:92], v[30:31], v[46:47]
	v_min3_f32 v51, v53, v51, v116
	v_add_f64 v[52:53], v[32:33], v[48:49]
	v_cvt_f32_f64_e32 v91, v[91:92]
	v_cvt_f32_f64_e32 v52, v[52:53]
	;; [unrolled: 1-line block ×3, first 2 shown]
	v_add_f64 v[95:96], v[18:19], v[46:47]
	v_min3_f32 v52, v91, v52, v117
	v_add_f64 v[91:92], v[28:29], v[48:49]
	v_cvt_f32_f64_e32 v93, v[95:96]
	v_add_f64 v[95:96], v[14:15], v[46:47]
	v_cvt_f32_f64_e32 v91, v[91:92]
	v_cvt_f32_f64_e32 v95, v[95:96]
	v_min3_f32 v53, v53, v91, v122
	v_add_f64 v[91:92], v[20:21], v[48:49]
	v_cvt_f32_f64_e32 v91, v[91:92]
	v_min3_f32 v91, v93, v91, v123
	v_add_f64 v[92:93], v[16:17], v[48:49]
	v_cvt_f32_f64_e32 v92, v[92:93]
	v_cvt_f32_f64_e32 v93, v[99:100]
	v_add_f64 v[99:100], v[6:7], v[46:47]
	v_add_f64 v[46:47], v[2:3], v[46:47]
	v_min3_f32 v92, v95, v92, v124
	v_add_f64 v[95:96], v[12:13], v[48:49]
	v_cvt_f32_f64_e32 v46, v[46:47]
	v_cvt_f32_f64_e32 v95, v[95:96]
	v_min3_f32 v144, v93, v95, v125
	v_add_f64 v[95:96], v[8:9], v[48:49]
	v_add_f64 v[48:49], v[4:5], v[48:49]
	v_cvt_f32_f64_e32 v93, v[99:100]
	v_add_f64 v[99:100], v[26:27], v[42:43]
	v_cvt_f32_f64_e32 v95, v[95:96]
	v_cvt_f32_f64_e32 v47, v[48:49]
	v_min3_f32 v145, v93, v95, v114
	v_min3_f32 v46, v46, v47, v112
	v_add_f64 v[47:48], v[36:37], v[44:45]
	v_add_f64 v[95:96], v[34:35], v[42:43]
	v_cvt_f32_f64_e32 v47, v[47:48]
	v_cvt_f32_f64_e32 v49, v[95:96]
	v_add_f64 v[95:96], v[30:31], v[42:43]
	v_min3_f32 v47, v49, v47, v113
	v_add_f64 v[48:49], v[32:33], v[44:45]
	v_cvt_f32_f64_e32 v93, v[95:96]
	v_add_f64 v[95:96], v[28:29], v[44:45]
	v_cvt_f32_f64_e32 v48, v[48:49]
	v_cvt_f32_f64_e32 v49, v[99:100]
	v_add_f64 v[99:100], v[18:19], v[42:43]
	v_min3_f32 v48, v93, v48, v128
	v_cvt_f32_f64_e32 v93, v[95:96]
	v_add_f64 v[95:96], v[20:21], v[44:45]
	v_min3_f32 v49, v49, v93, v129
	v_cvt_f32_f64_e32 v93, v[99:100]
	v_cvt_f32_f64_e32 v95, v[95:96]
	v_add_f64 v[99:100], v[14:15], v[42:43]
	v_min3_f32 v149, v93, v95, v178
	v_add_f64 v[95:96], v[16:17], v[44:45]
	v_cvt_f32_f64_e32 v93, v[99:100]
	v_add_f64 v[99:100], v[10:11], v[42:43]
	v_cvt_f32_f64_e32 v95, v[95:96]
	v_min3_f32 v150, v93, v95, v179
	v_add_f64 v[95:96], v[12:13], v[44:45]
	v_cvt_f32_f64_e32 v93, v[99:100]
	v_add_f64 v[99:100], v[6:7], v[42:43]
	v_add_f64 v[42:43], v[2:3], v[42:43]
	v_cvt_f32_f64_e32 v95, v[95:96]
	v_cvt_f32_f64_e32 v42, v[42:43]
	v_min3_f32 v151, v93, v95, v176
	v_add_f64 v[95:96], v[8:9], v[44:45]
	v_add_f64 v[44:45], v[4:5], v[44:45]
	v_cvt_f32_f64_e32 v93, v[99:100]
	v_add_f64 v[99:100], v[26:27], v[38:39]
	v_add_f64 v[26:27], v[26:27], v[22:23]
	v_cvt_f32_f64_e32 v95, v[95:96]
	v_cvt_f32_f64_e32 v43, v[44:45]
	;; [unrolled: 1-line block ×3, first 2 shown]
	v_min3_f32 v152, v93, v95, v177
	v_min3_f32 v42, v42, v43, v168
	v_add_f64 v[43:44], v[36:37], v[40:41]
	v_add_f64 v[95:96], v[34:35], v[38:39]
	;; [unrolled: 1-line block ×4, first 2 shown]
	v_cvt_f32_f64_e32 v43, v[43:44]
	v_cvt_f32_f64_e32 v45, v[95:96]
	v_add_f64 v[95:96], v[30:31], v[38:39]
	v_add_f64 v[30:31], v[30:31], v[22:23]
	v_cvt_f32_f64_e32 v34, v[34:35]
	v_cvt_f32_f64_e32 v35, v[36:37]
	v_min3_f32 v43, v45, v43, v171
	v_add_f64 v[44:45], v[32:33], v[40:41]
	v_cvt_f32_f64_e32 v93, v[95:96]
	v_add_f64 v[95:96], v[28:29], v[40:41]
	v_add_f64 v[32:33], v[32:33], v[24:25]
	;; [unrolled: 1-line block ×3, first 2 shown]
	v_cvt_f32_f64_e32 v30, v[30:31]
	v_min3_f32 v192, v34, v35, v98
	v_cvt_f32_f64_e32 v44, v[44:45]
	v_cvt_f32_f64_e32 v45, v[99:100]
	v_add_f64 v[99:100], v[18:19], v[38:39]
	v_add_f64 v[18:19], v[18:19], v[22:23]
	v_cvt_f32_f64_e32 v31, v[32:33]
	v_cvt_f32_f64_e32 v27, v[28:29]
	v_min3_f32 v44, v93, v44, v106
	v_cvt_f32_f64_e32 v93, v[95:96]
	v_add_f64 v[95:96], v[20:21], v[40:41]
	v_add_f64 v[20:21], v[20:21], v[24:25]
	v_cvt_f32_f64_e32 v18, v[18:19]
	v_min3_f32 v193, v30, v31, v94
	v_min3_f32 v194, v26, v27, v90
	v_min3_f32 v45, v45, v93, v107
	v_cvt_f32_f64_e32 v93, v[99:100]
	v_cvt_f32_f64_e32 v95, v[95:96]
	v_add_f64 v[99:100], v[14:15], v[38:39]
	v_add_f64 v[14:15], v[14:15], v[22:23]
	v_cvt_f32_f64_e32 v19, v[20:21]
	v_min3_f32 v153, v93, v95, v108
	v_add_f64 v[95:96], v[16:17], v[40:41]
	v_cvt_f32_f64_e32 v93, v[99:100]
	v_add_f64 v[99:100], v[10:11], v[38:39]
	v_add_f64 v[16:17], v[16:17], v[24:25]
	;; [unrolled: 1-line block ×3, first 2 shown]
	v_cvt_f32_f64_e32 v14, v[14:15]
	v_min3_f32 v195, v18, v19, v86
	v_cvt_f32_f64_e32 v95, v[95:96]
	v_cvt_f32_f64_e32 v15, v[16:17]
	;; [unrolled: 1-line block ×3, first 2 shown]
	v_min3_f32 v154, v93, v95, v109
	v_add_f64 v[95:96], v[12:13], v[40:41]
	v_cvt_f32_f64_e32 v93, v[99:100]
	v_add_f64 v[99:100], v[6:7], v[38:39]
	v_add_f64 v[38:39], v[2:3], v[38:39]
	;; [unrolled: 1-line block ×5, first 2 shown]
	v_min3_f32 v196, v14, v15, v82
	v_cvt_f32_f64_e32 v95, v[95:96]
	v_cvt_f32_f64_e32 v38, v[38:39]
	;; [unrolled: 1-line block ×5, first 2 shown]
	v_min3_f32 v155, v93, v95, v110
	v_add_f64 v[95:96], v[8:9], v[40:41]
	v_add_f64 v[40:41], v[4:5], v[40:41]
	;; [unrolled: 1-line block ×4, first 2 shown]
	v_cvt_f32_f64_e32 v93, v[99:100]
	v_min3_f32 v197, v10, v11, v78
	v_cvt_f32_f64_e32 v95, v[95:96]
	v_cvt_f32_f64_e32 v39, v[40:41]
	;; [unrolled: 1-line block ×4, first 2 shown]
	v_min3_f32 v168, v93, v95, v111
	v_min3_f32 v171, v38, v39, v102
	;; [unrolled: 1-line block ×4, first 2 shown]
	ds_read_b128 v[6:9], v165 offset:256
	ds_read_b128 v[10:13], v165 offset:512
	;; [unrolled: 1-line block ×14, first 2 shown]
	ds_read_b128 v[97:100], v146
	ds_read_b128 v[34:37], v146 offset:16
	ds_read_b128 v[188:191], v165
	ds_read_b128 v[2:5], v165 offset:16
	s_waitcnt lgkmcnt(1)
	v_add_f64 v[101:102], v[190:191], v[99:100]
	v_add_f64 v[103:104], v[188:189], v[97:98]
	v_cvt_f32_f64_e32 v73, v[101:102]
	v_cvt_f32_f64_e32 v71, v[103:104]
	v_add_f64 v[101:102], v[8:9], v[99:100]
	v_add_f64 v[103:104], v[6:7], v[97:98]
	v_min3_f32 v129, v71, v73, v66
	v_cvt_f32_f64_e32 v71, v[101:102]
	v_cvt_f32_f64_e32 v66, v[103:104]
	v_add_f64 v[101:102], v[10:11], v[97:98]
	v_min3_f32 v128, v66, v71, v67
	v_add_f64 v[66:67], v[12:13], v[99:100]
	v_cvt_f32_f64_e32 v71, v[101:102]
	v_add_f64 v[101:102], v[14:15], v[97:98]
	v_cvt_f32_f64_e32 v66, v[66:67]
	v_min3_f32 v127, v71, v66, v68
	v_add_f64 v[66:67], v[16:17], v[99:100]
	v_cvt_f32_f64_e32 v68, v[101:102]
	v_cvt_f32_f64_e32 v66, v[66:67]
	v_min3_f32 v126, v68, v66, v69
	v_add_f64 v[66:67], v[20:21], v[99:100]
	v_add_f64 v[68:69], v[18:19], v[97:98]
	v_cvt_f32_f64_e32 v66, v[66:67]
	v_cvt_f32_f64_e32 v68, v[68:69]
	v_min3_f32 v125, v68, v66, v70
	v_add_f64 v[66:67], v[24:25], v[99:100]
	;; [unrolled: 5-line block ×11, first 2 shown]
	v_add_f64 v[64:65], v[26:27], v[38:39]
	v_add_f64 v[40:41], v[32:33], v[40:41]
	;; [unrolled: 1-line block ×3, first 2 shown]
	v_cvt_f32_f64_e32 v62, v[62:63]
	v_cvt_f32_f64_e32 v64, v[64:65]
	;; [unrolled: 1-line block ×4, first 2 shown]
	v_add_f64 v[40:41], v[188:189], v[93:94]
	v_min3_f32 v115, v64, v62, v79
	v_min3_f32 v114, v38, v39, v58
	v_add_f64 v[38:39], v[190:191], v[95:96]
	v_cvt_f32_f64_e32 v40, v[40:41]
	v_cvt_f32_f64_e32 v38, v[38:39]
	v_min3_f32 v113, v40, v38, v59
	v_add_f64 v[38:39], v[8:9], v[95:96]
	v_add_f64 v[40:41], v[6:7], v[93:94]
	v_cvt_f32_f64_e32 v38, v[38:39]
	v_cvt_f32_f64_e32 v40, v[40:41]
	v_min3_f32 v112, v40, v38, v60
	v_add_f64 v[38:39], v[12:13], v[95:96]
	;; [unrolled: 5-line block ×23, first 2 shown]
	v_add_f64 v[40:41], v[30:31], v[160:161]
	s_waitcnt lgkmcnt(0)
	v_add_f64 v[144:145], v[4:5], v[36:37]
	v_cvt_f32_f64_e32 v38, v[38:39]
	v_cvt_f32_f64_e32 v40, v[40:41]
	;; [unrolled: 1-line block ×3, first 2 shown]
	v_min3_f32 v90, v40, v38, v46
	v_add_f64 v[38:39], v[190:191], v[178:179]
	v_add_f64 v[40:41], v[188:189], v[176:177]
	v_cvt_f32_f64_e32 v38, v[38:39]
	v_cvt_f32_f64_e32 v40, v[40:41]
	v_min3_f32 v89, v40, v38, v47
	v_add_f64 v[38:39], v[8:9], v[178:179]
	v_add_f64 v[40:41], v[6:7], v[176:177]
	v_cvt_f32_f64_e32 v38, v[38:39]
	v_cvt_f32_f64_e32 v40, v[40:41]
	;; [unrolled: 5-line block ×5, first 2 shown]
	v_min3_f32 v85, v40, v38, v150
	v_add_f64 v[38:39], v[24:25], v[178:179]
	v_add_f64 v[40:41], v[22:23], v[176:177]
	;; [unrolled: 1-line block ×3, first 2 shown]
	v_cvt_f32_f64_e32 v38, v[38:39]
	v_cvt_f32_f64_e32 v40, v[40:41]
	v_cvt_f32_f64_e32 v149, v[149:150]
	v_min3_f32 v84, v40, v38, v151
	v_add_f64 v[38:39], v[28:29], v[178:179]
	v_add_f64 v[40:41], v[26:27], v[176:177]
	v_min3_f32 v222, v149, v144, v129
	v_cvt_f32_f64_e32 v38, v[38:39]
	v_cvt_f32_f64_e32 v40, v[40:41]
	v_min3_f32 v83, v40, v38, v152
	v_add_f64 v[38:39], v[32:33], v[178:179]
	v_add_f64 v[40:41], v[30:31], v[176:177]
	v_cvt_f32_f64_e32 v38, v[38:39]
	v_cvt_f32_f64_e32 v40, v[40:41]
	v_min3_f32 v82, v40, v38, v42
	v_add_f64 v[38:39], v[190:191], v[182:183]
	v_add_f64 v[40:41], v[188:189], v[180:181]
	;; [unrolled: 5-line block ×3, first 2 shown]
	v_add_f64 v[8:9], v[8:9], v[186:187]
	v_add_f64 v[6:7], v[6:7], v[184:185]
	v_cvt_f32_f64_e32 v38, v[38:39]
	v_cvt_f32_f64_e32 v40, v[40:41]
	;; [unrolled: 1-line block ×4, first 2 shown]
	v_add_f64 v[8:9], v[10:11], v[184:185]
	v_min3_f32 v80, v40, v38, v44
	v_add_f64 v[38:39], v[12:13], v[182:183]
	v_add_f64 v[40:41], v[10:11], v[180:181]
	v_min3_f32 v72, v6, v7, v193
	v_add_f64 v[6:7], v[12:13], v[186:187]
	v_cvt_f32_f64_e32 v8, v[8:9]
	v_cvt_f32_f64_e32 v38, v[38:39]
	v_cvt_f32_f64_e32 v40, v[40:41]
	v_cvt_f32_f64_e32 v6, v[6:7]
	v_min3_f32 v79, v40, v38, v45
	v_add_f64 v[38:39], v[16:17], v[182:183]
	v_add_f64 v[40:41], v[14:15], v[180:181]
	v_min3_f32 v71, v8, v6, v194
	v_add_f64 v[6:7], v[16:17], v[186:187]
	v_add_f64 v[8:9], v[14:15], v[184:185]
	v_cvt_f32_f64_e32 v38, v[38:39]
	v_cvt_f32_f64_e32 v40, v[40:41]
	v_cvt_f32_f64_e32 v6, v[6:7]
	v_cvt_f32_f64_e32 v8, v[8:9]
	v_min3_f32 v78, v40, v38, v153
	v_add_f64 v[38:39], v[20:21], v[182:183]
	v_add_f64 v[40:41], v[18:19], v[180:181]
	v_min3_f32 v70, v8, v6, v195
	v_add_f64 v[6:7], v[20:21], v[186:187]
	;; [unrolled: 10-line block ×5, first 2 shown]
	v_add_f64 v[8:9], v[30:31], v[184:185]
	v_cvt_f32_f64_e32 v38, v[38:39]
	v_cvt_f32_f64_e32 v40, v[40:41]
	;; [unrolled: 1-line block ×4, first 2 shown]
	v_min3_f32 v74, v40, v38, v171
	v_add_f64 v[38:39], v[190:191], v[186:187]
	v_add_f64 v[40:41], v[188:189], v[184:185]
	v_min3_f32 v66, v8, v6, v199
	v_cvt_f32_f64_e32 v38, v[38:39]
	v_cvt_f32_f64_e32 v40, v[40:41]
	v_min3_f32 v73, v40, v38, v192
	ds_read_b128 v[22:25], v165 offset:272
	ds_read_b128 v[18:21], v165 offset:528
	;; [unrolled: 1-line block ×14, first 2 shown]
	ds_write_b64 v166, v[134:135]
	ds_write2st64_b64 v167, v[138:139], v[140:141] offset1:4
	ds_write2st64_b64 v167, v[136:137], v[142:143] offset0:8 offset1:12
	s_waitcnt lgkmcnt(0)
	s_barrier
	buffer_gl0_inv
	v_add_f64 v[144:145], v[24:25], v[36:37]
	v_add_f64 v[149:150], v[22:23], v[34:35]
	v_cvt_f32_f64_e32 v144, v[144:145]
	v_cvt_f32_f64_e32 v129, v[149:150]
	v_min3_f32 v221, v129, v144, v128
	v_add_f64 v[128:129], v[20:21], v[36:37]
	v_add_f64 v[144:145], v[18:19], v[34:35]
	v_cvt_f32_f64_e32 v128, v[128:129]
	v_cvt_f32_f64_e32 v144, v[144:145]
	v_min3_f32 v220, v144, v128, v127
	;; [unrolled: 5-line block ×5, first 2 shown]
	v_add_f64 v[124:125], v[32:33], v[36:37]
	v_add_f64 v[126:127], v[30:31], v[34:35]
	;; [unrolled: 1-line block ×4, first 2 shown]
	v_cvt_f32_f64_e32 v124, v[124:125]
	v_cvt_f32_f64_e32 v126, v[126:127]
	v_cvt_f32_f64_e32 v34, v[34:35]
	v_cvt_f32_f64_e32 v35, v[36:37]
	v_add_f64 v[36:37], v[2:3], v[62:63]
	v_min3_f32 v217, v126, v124, v123
	v_min3_f32 v214, v34, v35, v122
	v_add_f64 v[34:35], v[4:5], v[64:65]
	v_cvt_f32_f64_e32 v36, v[36:37]
	v_cvt_f32_f64_e32 v34, v[34:35]
	v_min3_f32 v215, v36, v34, v121
	v_add_f64 v[34:35], v[24:25], v[64:65]
	v_add_f64 v[36:37], v[22:23], v[62:63]
	v_cvt_f32_f64_e32 v34, v[34:35]
	v_cvt_f32_f64_e32 v36, v[36:37]
	v_min3_f32 v212, v36, v34, v120
	v_add_f64 v[34:35], v[20:21], v[64:65]
	;; [unrolled: 5-line block ×40, first 2 shown]
	v_add_f64 v[36:37], v[2:3], v[42:43]
	v_add_f64 v[4:5], v[4:5], v[40:41]
	;; [unrolled: 1-line block ×3, first 2 shown]
	v_cvt_f32_f64_e32 v34, v[34:35]
	v_cvt_f32_f64_e32 v36, v[36:37]
	;; [unrolled: 1-line block ×4, first 2 shown]
	v_add_f64 v[4:5], v[22:23], v[38:39]
	v_min3_f32 v171, v36, v34, v81
	v_add_f64 v[34:35], v[24:25], v[44:45]
	v_add_f64 v[36:37], v[22:23], v[42:43]
	v_min3_f32 v156, v2, v3, v73
	v_add_f64 v[2:3], v[24:25], v[40:41]
	v_cvt_f32_f64_e32 v4, v[4:5]
	v_cvt_f32_f64_e32 v34, v[34:35]
	v_cvt_f32_f64_e32 v36, v[36:37]
	v_cvt_f32_f64_e32 v2, v[2:3]
	v_min3_f32 v162, v36, v34, v80
	v_add_f64 v[34:35], v[20:21], v[44:45]
	v_add_f64 v[36:37], v[18:19], v[42:43]
	v_min3_f32 v155, v4, v2, v72
	v_add_f64 v[2:3], v[20:21], v[40:41]
	v_add_f64 v[4:5], v[18:19], v[38:39]
	v_cvt_f32_f64_e32 v34, v[34:35]
	v_cvt_f32_f64_e32 v36, v[36:37]
	v_cvt_f32_f64_e32 v2, v[2:3]
	v_cvt_f32_f64_e32 v4, v[4:5]
	v_min3_f32 v163, v36, v34, v79
	v_add_f64 v[34:35], v[16:17], v[44:45]
	v_add_f64 v[36:37], v[14:15], v[42:43]
	v_min3_f32 v154, v4, v2, v71
	v_add_f64 v[2:3], v[16:17], v[40:41]
	;; [unrolled: 10-line block ×6, first 2 shown]
	v_add_f64 v[4:5], v[26:27], v[38:39]
	v_cvt_f32_f64_e32 v34, v[34:35]
	v_cvt_f32_f64_e32 v36, v[36:37]
	;; [unrolled: 1-line block ×4, first 2 shown]
	v_min3_f32 v157, v36, v34, v74
	v_min3_f32 v149, v4, v2, v66
	s_cbranch_scc1 .LBB174_33
.LBB174_21:                             ; =>This Inner Loop Header: Depth=1
	v_mov_b32_e32 v138, 0
	v_mov_b32_e32 v136, 0
	;; [unrolled: 1-line block ×4, first 2 shown]
	s_and_b32 vcc_lo, exec_lo, s1
	s_cbranch_vccnz .LBB174_23
; %bb.22:                               ;   in Loop: Header=BB174_21 Depth=1
	global_load_dwordx2 v[2:3], v[132:133], off
	s_waitcnt vmcnt(0)
	v_mul_f64 v[136:137], s[18:19], v[2:3]
.LBB174_23:                             ;   in Loop: Header=BB174_21 Depth=1
	v_mov_b32_e32 v140, 0
	v_mov_b32_e32 v141, 0
	s_and_b32 vcc_lo, exec_lo, s1
	s_cbranch_vccnz .LBB174_25
; %bb.24:                               ;   in Loop: Header=BB174_21 Depth=1
	v_add_co_u32 v2, vcc_lo, v174, v130
	v_add_co_ci_u32_e64 v3, null, v175, v131, vcc_lo
	s_clause 0x1
	global_load_dwordx2 v[4:5], v[2:3], off
	global_load_dwordx2 v[2:3], v[2:3], off offset:512
	s_waitcnt vmcnt(1)
	v_mul_f64 v[138:139], s[18:19], v[4:5]
	s_waitcnt vmcnt(0)
	v_mul_f64 v[140:141], s[18:19], v[2:3]
.LBB174_25:                             ;   in Loop: Header=BB174_21 Depth=1
	v_mov_b32_e32 v134, 0
	v_mov_b32_e32 v142, 0
	;; [unrolled: 1-line block ×6, first 2 shown]
	s_and_b32 vcc_lo, exec_lo, s1
	s_cbranch_vccnz .LBB174_27
; %bb.26:                               ;   in Loop: Header=BB174_21 Depth=1
	v_add_co_u32 v2, vcc_lo, v174, v130
	v_add_co_ci_u32_e64 v3, null, v175, v131, vcc_lo
	s_clause 0x1
	global_load_dwordx2 v[4:5], v[2:3], off offset:1024
	global_load_dwordx2 v[2:3], v[2:3], off offset:1536
	s_waitcnt vmcnt(1)
	v_mul_f64 v[142:143], s[18:19], v[4:5]
	s_waitcnt vmcnt(0)
	v_mul_f64 v[144:145], s[18:19], v[2:3]
.LBB174_27:                             ;   in Loop: Header=BB174_21 Depth=1
	ds_read_b128 v[126:129], v170
	ds_read_b128 v[62:65], v170 offset:16
	ds_read_b128 v[98:101], v169
	ds_read_b128 v[34:37], v169 offset:16
	ds_read_b128 v[94:97], v169 offset:256
	;; [unrolled: 1-line block ×29, first 2 shown]
	s_and_b32 vcc_lo, exec_lo, s1
	ds_write_b64 v164, v[136:137]
	ds_write2st64_b64 v148, v[138:139], v[140:141] offset1:4
	ds_write2st64_b64 v148, v[142:143], v[144:145] offset0:8 offset1:12
	s_waitcnt lgkmcnt(0)
	s_barrier
	buffer_gl0_inv
	s_cbranch_vccnz .LBB174_29
; %bb.28:                               ;   in Loop: Header=BB174_21 Depth=1
	global_load_dwordx2 v[134:135], v[132:133], off offset:32
	s_waitcnt vmcnt(0)
	v_mul_f64 v[134:135], s[18:19], v[134:135]
.LBB174_29:                             ;   in Loop: Header=BB174_21 Depth=1
	v_mov_b32_e32 v136, 0
	v_mov_b32_e32 v138, 0
	;; [unrolled: 1-line block ×6, first 2 shown]
	s_and_b32 vcc_lo, exec_lo, s1
	s_cbranch_vccnz .LBB174_31
; %bb.30:                               ;   in Loop: Header=BB174_21 Depth=1
	v_add_co_u32 v138, vcc_lo, v172, v130
	v_add_co_ci_u32_e64 v139, null, v173, v131, vcc_lo
	s_clause 0x1
	global_load_dwordx2 v[140:141], v[138:139], off
	global_load_dwordx2 v[142:143], v[138:139], off offset:512
	s_waitcnt vmcnt(1)
	v_mul_f64 v[138:139], s[18:19], v[140:141]
	s_waitcnt vmcnt(0)
	v_mul_f64 v[140:141], s[18:19], v[142:143]
.LBB174_31:                             ;   in Loop: Header=BB174_21 Depth=1
	v_mov_b32_e32 v142, 0
	v_mov_b32_e32 v143, 0
	s_and_b32 vcc_lo, exec_lo, s1
	s_cbranch_vccnz .LBB174_20
; %bb.32:                               ;   in Loop: Header=BB174_21 Depth=1
	v_add_co_u32 v136, vcc_lo, v172, v130
	v_add_co_ci_u32_e64 v137, null, v173, v131, vcc_lo
	s_clause 0x1
	global_load_dwordx2 v[142:143], v[136:137], off offset:1024
	global_load_dwordx2 v[144:145], v[136:137], off offset:1536
	s_waitcnt vmcnt(1)
	v_mul_f64 v[136:137], s[18:19], v[142:143]
	s_waitcnt vmcnt(0)
	v_mul_f64 v[142:143], s[18:19], v[144:145]
	s_branch .LBB174_20
.LBB174_33:
	ds_read_b128 v[124:127], v146 offset:8192
	ds_read_b128 v[68:71], v147 offset:18432
	;; [unrolled: 1-line block ×4, first 2 shown]
	s_clause 0x2
	s_load_dwordx2 s[8:9], s[4:5], 0x78
	s_load_dword s6, s[4:5], 0x70
	s_load_dword s1, s[4:5], 0x58
	v_add_nc_u32_e32 v144, s15, v1
	v_add_nc_u32_e32 v138, s14, v0
	v_ashrrev_i32_e32 v139, 31, v138
	v_add_nc_u32_e32 v0, 8, v138
	v_lshlrev_b64 v[130:131], 3, v[138:139]
	v_ashrrev_i32_e32 v1, 31, v0
	s_waitcnt lgkmcnt(0)
	v_add_f64 v[2:3], v[68:69], v[124:125]
	v_add_f64 v[4:5], v[70:71], v[126:127]
	;; [unrolled: 1-line block ×4, first 2 shown]
	s_mul_i32 s5, s9, s16
	s_mul_hi_u32 s7, s8, s16
	s_mul_i32 s4, s8, s16
	s_add_i32 s5, s7, s5
	s_mov_b32 s7, -1
	s_lshl_b64 s[4:5], s[4:5], 3
	s_add_u32 s4, s10, s4
	s_addc_u32 s5, s11, s5
	v_cvt_f32_f64_e32 v10, v[2:3]
	v_cvt_f32_f64_e32 v11, v[4:5]
	;; [unrolled: 1-line block ×4, first 2 shown]
	v_mad_i64_i32 v[2:3], null, v144, s6, 0
	v_mad_i64_i32 v[4:5], null, v144, s1, 0
	v_lshlrev_b64 v[2:3], 3, v[2:3]
	v_lshlrev_b64 v[4:5], 3, v[4:5]
	v_add_co_u32 v145, vcc_lo, s4, v2
	v_add_co_ci_u32_e64 v148, null, s5, v3, vcc_lo
	v_add_co_u32 v164, vcc_lo, s2, v4
	v_min3_f32 v8, v10, v11, v222
	v_add_co_ci_u32_e64 v165, null, s3, v5, vcc_lo
	s_mov_b32 vcc_lo, s0
	v_min3_f32 v2, v6, v7, v8
	v_max_f32_e32 v2, v2, v2
	s_cbranch_vccz .LBB174_35
; %bb.34:
	v_min_f32_e32 v3, 0, v2
	v_add_co_u32 v5, vcc_lo, v145, v130
	v_add_co_ci_u32_e64 v6, null, v148, v131, vcc_lo
	v_cvt_f64_f32_e32 v[3:4], v3
	s_mov_b32 s7, 0
	global_store_dwordx2 v[5:6], v[3:4], off
.LBB174_35:
	ds_read_b128 v[60:63], v147 offset:18688
	ds_read_b128 v[52:55], v147 offset:18704
	;; [unrolled: 1-line block ×4, first 2 shown]
	v_lshlrev_b64 v[128:129], 3, v[0:1]
	v_mov_b32_e32 v8, 0
	s_andn2_b32 vcc_lo, exec_lo, s7
	s_cbranch_vccnz .LBB174_37
; %bb.36:
	v_add_co_u32 v0, vcc_lo, v164, v130
	v_add_co_ci_u32_e64 v1, null, v165, v131, vcc_lo
	global_load_dwordx2 v[0:1], v[0:1], off
	s_waitcnt vmcnt(0)
	v_mul_f64 v[0:1], s[12:13], v[0:1]
	v_cvt_f32_f64_e32 v0, v[0:1]
	v_min_f32_e32 v0, v0, v2
	v_add_co_u32 v2, vcc_lo, v145, v130
	v_add_co_ci_u32_e64 v3, null, v148, v131, vcc_lo
	v_cvt_f64_f32_e32 v[0:1], v0
	v_add_co_u32 v4, vcc_lo, v164, v128
	v_add_co_ci_u32_e64 v5, null, v165, v129, vcc_lo
	global_store_dwordx2 v[2:3], v[0:1], off
	global_load_dwordx2 v[0:1], v[4:5], off
	s_waitcnt vmcnt(0)
	v_mul_f64 v[0:1], s[12:13], v[0:1]
	v_cvt_f32_f64_e32 v8, v[0:1]
.LBB174_37:
	s_waitcnt lgkmcnt(3)
	v_add_f64 v[0:1], v[60:61], v[124:125]
	v_add_f64 v[2:3], v[62:63], v[126:127]
	s_waitcnt lgkmcnt(2)
	v_add_f64 v[4:5], v[52:53], v[120:121]
	v_add_f64 v[6:7], v[54:55], v[122:123]
	s_waitcnt lgkmcnt(1)
	v_add_f64 v[9:10], v[50:51], v[126:127]
	v_add_f64 v[11:12], v[48:49], v[124:125]
	s_waitcnt lgkmcnt(0)
	v_add_f64 v[13:14], v[38:39], v[122:123]
	v_add_f64 v[72:73], v[36:37], v[120:121]
	v_add_nc_u32_e32 v134, 16, v138
	v_add_co_u32 v141, vcc_lo, v145, v128
	v_add_co_ci_u32_e64 v142, null, v148, v129, vcc_lo
	v_ashrrev_i32_e32 v135, 31, v134
	s_mov_b32 s7, -1
	s_mov_b32 vcc_lo, s0
	v_cvt_f32_f64_e32 v15, v[0:1]
	v_cvt_f32_f64_e32 v74, v[2:3]
	;; [unrolled: 1-line block ×8, first 2 shown]
	ds_read_b128 v[56:59], v147 offset:19200
	ds_read_b128 v[44:47], v147 offset:19216
	;; [unrolled: 1-line block ×18, first 2 shown]
	v_min3_f32 v9, v15, v74, v221
	v_min_f32_e32 v10, v75, v76
	v_min3_f32 v133, v132, v133, v220
	v_add_nc_u32_e32 v132, 24, v138
	v_min3_f32 v8, v8, v10, v9
	v_min3_f32 v143, v136, v137, v133
	v_lshlrev_b64 v[136:137], 3, v[134:135]
	v_ashrrev_i32_e32 v133, 31, v132
	v_cvt_f64_f32_e32 v[139:140], v8
	ds_read_b128 v[84:87], v146 offset:13312
	ds_read_b128 v[80:83], v146 offset:13328
	ds_read_b128 v[76:79], v146 offset:14336
	ds_read_b128 v[72:75], v146 offset:14352
	ds_read_b128 v[8:11], v146 offset:15360
	ds_read_b128 v[12:15], v146 offset:15376
	v_max_f32_e32 v135, v143, v143
	global_store_dwordx2 v[141:142], v[139:140], off
	s_cbranch_vccz .LBB174_39
; %bb.38:
	v_min_f32_e32 v134, 0, v135
	v_add_co_u32 v141, vcc_lo, v145, v136
	v_add_co_ci_u32_e64 v142, null, v148, v137, vcc_lo
	v_cvt_f64_f32_e32 v[139:140], v134
	s_mov_b32 s7, 0
	global_store_dwordx2 v[141:142], v[139:140], off
.LBB174_39:
	v_lshlrev_b64 v[132:133], 3, v[132:133]
	v_mov_b32_e32 v134, 0
	s_andn2_b32 vcc_lo, exec_lo, s7
	s_cbranch_vccnz .LBB174_41
; %bb.40:
	v_add_co_u32 v139, vcc_lo, v164, v136
	v_add_co_ci_u32_e64 v140, null, v165, v137, vcc_lo
	global_load_dwordx2 v[139:140], v[139:140], off
	s_waitcnt vmcnt(0)
	v_mul_f64 v[139:140], s[12:13], v[139:140]
	v_cvt_f32_f64_e32 v134, v[139:140]
	v_add_co_u32 v139, vcc_lo, v145, v136
	v_add_co_ci_u32_e64 v140, null, v148, v137, vcc_lo
	v_add_co_u32 v141, vcc_lo, v164, v132
	v_add_co_ci_u32_e64 v142, null, v165, v133, vcc_lo
	v_min_f32_e32 v134, v134, v135
	v_cvt_f64_f32_e32 v[134:135], v134
	global_store_dwordx2 v[139:140], v[134:135], off
	global_load_dwordx2 v[134:135], v[141:142], off
	s_waitcnt vmcnt(0)
	v_mul_f64 v[134:135], s[12:13], v[134:135]
	v_cvt_f32_f64_e32 v134, v[134:135]
.LBB174_41:
	s_waitcnt lgkmcnt(23)
	v_add_f64 v[139:140], v[56:57], v[124:125]
	v_add_f64 v[141:142], v[58:59], v[126:127]
	s_waitcnt lgkmcnt(22)
	v_add_f64 v[146:147], v[44:45], v[120:121]
	v_add_f64 v[166:167], v[46:47], v[122:123]
	s_waitcnt lgkmcnt(21)
	v_add_f64 v[169:170], v[42:43], v[126:127]
	v_add_f64 v[172:173], v[40:41], v[124:125]
	s_waitcnt lgkmcnt(20)
	v_add_f64 v[174:175], v[32:33], v[120:121]
	s_mov_b32 s7, -1
	v_cvt_f32_f64_e32 v135, v[139:140]
	v_cvt_f32_f64_e32 v141, v[141:142]
	;; [unrolled: 1-line block ×4, first 2 shown]
	v_add_f64 v[139:140], v[34:35], v[122:123]
	v_cvt_f32_f64_e32 v166, v[172:173]
	v_cvt_f32_f64_e32 v167, v[169:170]
	;; [unrolled: 1-line block ×3, first 2 shown]
	v_min3_f32 v135, v135, v141, v218
	v_min_f32_e32 v141, v142, v143
	v_cvt_f32_f64_e32 v142, v[139:140]
	v_add_nc_u32_e32 v139, 32, v138
	v_min3_f32 v134, v134, v141, v135
	v_min3_f32 v135, v166, v167, v219
	v_ashrrev_i32_e32 v140, 31, v139
	v_add_co_u32 v166, vcc_lo, v145, v132
	v_cvt_f64_f32_e32 v[146:147], v134
	v_add_nc_u32_e32 v134, 40, v138
	v_lshlrev_b64 v[140:141], 3, v[139:140]
	v_add_co_ci_u32_e64 v167, null, v148, v133, vcc_lo
	s_mov_b32 vcc_lo, s0
	v_min3_f32 v142, v169, v142, v135
	v_ashrrev_i32_e32 v135, 31, v134
	v_max_f32_e32 v142, v142, v142
	global_store_dwordx2 v[166:167], v[146:147], off
	s_cbranch_vccz .LBB174_43
; %bb.42:
	v_min_f32_e32 v139, 0, v142
	v_add_co_u32 v166, vcc_lo, v145, v140
	v_add_co_ci_u32_e64 v167, null, v148, v141, vcc_lo
	v_cvt_f64_f32_e32 v[146:147], v139
	s_mov_b32 s7, 0
	global_store_dwordx2 v[166:167], v[146:147], off
.LBB174_43:
	v_lshlrev_b64 v[134:135], 3, v[134:135]
	v_mov_b32_e32 v139, 0
	s_andn2_b32 vcc_lo, exec_lo, s7
	s_cbranch_vccnz .LBB174_45
; %bb.44:
	v_add_co_u32 v146, vcc_lo, v164, v140
	v_add_co_ci_u32_e64 v147, null, v165, v141, vcc_lo
	global_load_dwordx2 v[146:147], v[146:147], off
	s_waitcnt vmcnt(0)
	v_mul_f64 v[146:147], s[12:13], v[146:147]
	v_cvt_f32_f64_e32 v139, v[146:147]
	v_add_co_u32 v146, vcc_lo, v145, v140
	v_add_co_ci_u32_e64 v147, null, v148, v141, vcc_lo
	v_add_co_u32 v166, vcc_lo, v164, v134
	v_add_co_ci_u32_e64 v167, null, v165, v135, vcc_lo
	v_min_f32_e32 v139, v139, v142
	v_cvt_f64_f32_e32 v[142:143], v139
	global_store_dwordx2 v[146:147], v[142:143], off
	global_load_dwordx2 v[142:143], v[166:167], off
	s_waitcnt vmcnt(0)
	v_mul_f64 v[142:143], s[12:13], v[142:143]
	v_cvt_f32_f64_e32 v139, v[142:143]
.LBB174_45:
	s_waitcnt lgkmcnt(19)
	v_add_f64 v[142:143], v[28:29], v[124:125]
	v_add_f64 v[146:147], v[30:31], v[126:127]
	s_waitcnt lgkmcnt(18)
	v_add_f64 v[166:167], v[24:25], v[120:121]
	v_add_f64 v[169:170], v[26:27], v[122:123]
	;; [unrolled: 3-line block ×3, first 2 shown]
	s_waitcnt lgkmcnt(16)
	v_add_f64 v[218:219], v[16:17], v[120:121]
	s_mov_b32 s7, -1
	v_cvt_f32_f64_e32 v220, v[142:143]
	v_cvt_f32_f64_e32 v146, v[146:147]
	v_cvt_f32_f64_e32 v147, v[166:167]
	v_cvt_f32_f64_e32 v166, v[169:170]
	v_add_f64 v[142:143], v[18:19], v[122:123]
	v_cvt_f32_f64_e32 v169, v[174:175]
	v_cvt_f32_f64_e32 v170, v[172:173]
	;; [unrolled: 1-line block ×3, first 2 shown]
	v_min3_f32 v146, v220, v146, v216
	v_min_f32_e32 v147, v147, v166
	v_cvt_f32_f64_e32 v173, v[142:143]
	v_add_nc_u32_e32 v142, 48, v138
	v_add_nc_u32_e32 v138, 56, v138
	v_min3_f32 v139, v139, v147, v146
	v_ashrrev_i32_e32 v143, 31, v142
	v_cvt_f64_f32_e32 v[166:167], v139
	v_min3_f32 v139, v169, v170, v217
	v_add_co_u32 v169, vcc_lo, v145, v134
	v_lshlrev_b64 v[142:143], 3, v[142:143]
	v_add_co_ci_u32_e64 v170, null, v148, v135, vcc_lo
	s_mov_b32 vcc_lo, s0
	v_min3_f32 v146, v172, v173, v139
	v_ashrrev_i32_e32 v139, 31, v138
	v_max_f32_e32 v147, v146, v146
	global_store_dwordx2 v[169:170], v[166:167], off
	s_cbranch_vccz .LBB174_47
; %bb.46:
	v_min_f32_e32 v146, 0, v147
	v_add_co_u32 v169, vcc_lo, v145, v142
	v_add_co_ci_u32_e64 v170, null, v148, v143, vcc_lo
	v_cvt_f64_f32_e32 v[166:167], v146
	s_mov_b32 s7, 0
	global_store_dwordx2 v[169:170], v[166:167], off
.LBB174_47:
	v_lshlrev_b64 v[138:139], 3, v[138:139]
	v_mov_b32_e32 v146, 0
	s_andn2_b32 vcc_lo, exec_lo, s7
	s_cbranch_vccnz .LBB174_49
; %bb.48:
	v_add_co_u32 v166, vcc_lo, v164, v142
	v_add_co_ci_u32_e64 v167, null, v165, v143, vcc_lo
	global_load_dwordx2 v[166:167], v[166:167], off
	s_waitcnt vmcnt(0)
	v_mul_f64 v[166:167], s[12:13], v[166:167]
	v_cvt_f32_f64_e32 v146, v[166:167]
	v_add_co_u32 v166, vcc_lo, v145, v142
	v_add_co_ci_u32_e64 v167, null, v148, v143, vcc_lo
	v_add_co_u32 v164, vcc_lo, v164, v138
	v_add_co_ci_u32_e64 v165, null, v165, v139, vcc_lo
	v_min_f32_e32 v146, v146, v147
	v_cvt_f64_f32_e32 v[146:147], v146
	global_store_dwordx2 v[166:167], v[146:147], off
	global_load_dwordx2 v[146:147], v[164:165], off
	s_waitcnt vmcnt(0)
	v_mul_f64 v[146:147], s[12:13], v[146:147]
	v_cvt_f32_f64_e32 v146, v[146:147]
.LBB174_49:
	s_waitcnt lgkmcnt(15)
	v_add_f64 v[124:125], v[0:1], v[124:125]
	v_add_f64 v[126:127], v[2:3], v[126:127]
	s_waitcnt lgkmcnt(14)
	v_add_f64 v[120:121], v[4:5], v[120:121]
	v_add_f64 v[122:123], v[6:7], v[122:123]
	;; [unrolled: 3-line block ×3, first 2 shown]
	v_add_co_u32 v145, vcc_lo, v145, v138
	s_mov_b32 s7, -1
	v_cvt_f32_f64_e32 v124, v[124:125]
	v_cvt_f32_f64_e32 v125, v[126:127]
	;; [unrolled: 1-line block ×4, first 2 shown]
	s_waitcnt lgkmcnt(12)
	v_add_f64 v[120:121], v[64:65], v[112:113]
	v_add_f64 v[122:123], v[66:67], v[114:115]
	v_cvt_f32_f64_e32 v147, v[166:167]
	v_cvt_f32_f64_e32 v164, v[164:165]
	v_add_nc_u32_e32 v165, 32, v144
	v_min3_f32 v124, v124, v125, v214
	v_min_f32_e32 v125, v126, v127
	v_cvt_f32_f64_e32 v166, v[120:121]
	v_cvt_f32_f64_e32 v167, v[122:123]
	v_mad_i64_i32 v[120:121], null, v165, s6, 0
	v_min3_f32 v122, v146, v125, v124
	v_min3_f32 v124, v147, v164, v215
	v_add_co_ci_u32_e64 v146, null, v148, v139, vcc_lo
	v_cvt_f64_f32_e32 v[126:127], v122
	v_mad_i64_i32 v[122:123], null, v165, s1, 0
	v_lshlrev_b64 v[120:121], 3, v[120:121]
	v_add_co_u32 v120, vcc_lo, s4, v120
	v_lshlrev_b64 v[122:123], 3, v[122:123]
	v_add_co_ci_u32_e64 v121, null, s5, v121, vcc_lo
	v_min3_f32 v124, v166, v167, v124
	v_add_co_u32 v122, vcc_lo, s2, v122
	v_add_co_ci_u32_e64 v123, null, s3, v123, vcc_lo
	v_max_f32_e32 v125, v124, v124
	s_mov_b32 vcc_lo, s0
	global_store_dwordx2 v[145:146], v[126:127], off
	s_cbranch_vccz .LBB174_51
; %bb.50:
	v_min_f32_e32 v124, 0, v125
	v_add_co_u32 v145, vcc_lo, v120, v130
	v_add_co_ci_u32_e64 v146, null, v121, v131, vcc_lo
	v_cvt_f64_f32_e32 v[126:127], v124
	s_mov_b32 s7, 0
	global_store_dwordx2 v[145:146], v[126:127], off
.LBB174_51:
	v_mov_b32_e32 v124, 0
	s_andn2_b32 vcc_lo, exec_lo, s7
	s_cbranch_vccnz .LBB174_53
; %bb.52:
	v_add_co_u32 v126, vcc_lo, v122, v130
	v_add_co_ci_u32_e64 v127, null, v123, v131, vcc_lo
	global_load_dwordx2 v[126:127], v[126:127], off
	s_waitcnt vmcnt(0)
	v_mul_f64 v[126:127], s[12:13], v[126:127]
	v_cvt_f32_f64_e32 v124, v[126:127]
	v_add_co_u32 v126, vcc_lo, v120, v130
	v_add_co_ci_u32_e64 v127, null, v121, v131, vcc_lo
	v_add_co_u32 v145, vcc_lo, v122, v128
	v_add_co_ci_u32_e64 v146, null, v123, v129, vcc_lo
	v_min_f32_e32 v124, v124, v125
	v_cvt_f64_f32_e32 v[124:125], v124
	global_store_dwordx2 v[126:127], v[124:125], off
	global_load_dwordx2 v[124:125], v[145:146], off
	s_waitcnt vmcnt(0)
	v_mul_f64 v[124:125], s[12:13], v[124:125]
	v_cvt_f32_f64_e32 v124, v[124:125]
.LBB174_53:
	v_add_f64 v[125:126], v[60:61], v[116:117]
	v_add_f64 v[145:146], v[62:63], v[118:119]
	v_add_f64 v[147:148], v[52:53], v[112:113]
	v_add_f64 v[164:165], v[54:55], v[114:115]
	v_add_f64 v[166:167], v[50:51], v[118:119]
	v_add_f64 v[169:170], v[48:49], v[116:117]
	v_add_f64 v[172:173], v[36:37], v[112:113]
	s_mov_b32 s7, -1
	v_cvt_f32_f64_e32 v127, v[125:126]
	v_cvt_f32_f64_e32 v145, v[145:146]
	v_cvt_f32_f64_e32 v146, v[147:148]
	v_cvt_f32_f64_e32 v147, v[164:165]
	v_add_f64 v[125:126], v[38:39], v[114:115]
	v_cvt_f32_f64_e32 v148, v[169:170]
	v_cvt_f32_f64_e32 v164, v[166:167]
	v_cvt_f32_f64_e32 v165, v[172:173]
	v_min3_f32 v127, v127, v145, v212
	v_min_f32_e32 v145, v146, v147
	v_cvt_f32_f64_e32 v125, v[125:126]
	v_min3_f32 v124, v124, v145, v127
	v_add_co_u32 v145, vcc_lo, v120, v128
	v_add_co_ci_u32_e64 v146, null, v121, v129, vcc_lo
	v_cvt_f64_f32_e32 v[126:127], v124
	v_min3_f32 v124, v148, v164, v213
	s_mov_b32 vcc_lo, s0
	v_min3_f32 v124, v165, v125, v124
	v_max_f32_e32 v125, v124, v124
	global_store_dwordx2 v[145:146], v[126:127], off
	s_cbranch_vccz .LBB174_55
; %bb.54:
	v_min_f32_e32 v124, 0, v125
	v_add_co_u32 v145, vcc_lo, v120, v136
	v_add_co_ci_u32_e64 v146, null, v121, v137, vcc_lo
	v_cvt_f64_f32_e32 v[126:127], v124
	s_mov_b32 s7, 0
	global_store_dwordx2 v[145:146], v[126:127], off
.LBB174_55:
	v_mov_b32_e32 v124, 0
	s_andn2_b32 vcc_lo, exec_lo, s7
	s_cbranch_vccnz .LBB174_57
; %bb.56:
	v_add_co_u32 v126, vcc_lo, v122, v136
	v_add_co_ci_u32_e64 v127, null, v123, v137, vcc_lo
	global_load_dwordx2 v[126:127], v[126:127], off
	s_waitcnt vmcnt(0)
	v_mul_f64 v[126:127], s[12:13], v[126:127]
	v_cvt_f32_f64_e32 v124, v[126:127]
	v_add_co_u32 v126, vcc_lo, v120, v136
	v_add_co_ci_u32_e64 v127, null, v121, v137, vcc_lo
	v_add_co_u32 v145, vcc_lo, v122, v132
	v_add_co_ci_u32_e64 v146, null, v123, v133, vcc_lo
	v_min_f32_e32 v124, v124, v125
	v_cvt_f64_f32_e32 v[124:125], v124
	global_store_dwordx2 v[126:127], v[124:125], off
	global_load_dwordx2 v[124:125], v[145:146], off
	s_waitcnt vmcnt(0)
	v_mul_f64 v[124:125], s[12:13], v[124:125]
	v_cvt_f32_f64_e32 v124, v[124:125]
.LBB174_57:
	v_add_f64 v[125:126], v[56:57], v[116:117]
	v_add_f64 v[145:146], v[58:59], v[118:119]
	v_add_f64 v[147:148], v[44:45], v[112:113]
	v_add_f64 v[164:165], v[46:47], v[114:115]
	v_add_f64 v[166:167], v[42:43], v[118:119]
	v_add_f64 v[169:170], v[40:41], v[116:117]
	v_add_f64 v[172:173], v[32:33], v[112:113]
	s_mov_b32 s7, -1
	v_cvt_f32_f64_e32 v127, v[125:126]
	v_cvt_f32_f64_e32 v145, v[145:146]
	v_cvt_f32_f64_e32 v146, v[147:148]
	v_cvt_f32_f64_e32 v147, v[164:165]
	v_add_f64 v[125:126], v[34:35], v[114:115]
	v_cvt_f32_f64_e32 v148, v[169:170]
	v_cvt_f32_f64_e32 v164, v[166:167]
	v_cvt_f32_f64_e32 v165, v[172:173]
	v_min3_f32 v127, v127, v145, v210
	v_min_f32_e32 v145, v146, v147
	v_cvt_f32_f64_e32 v125, v[125:126]
	v_min3_f32 v124, v124, v145, v127
	v_add_co_u32 v145, vcc_lo, v120, v132
	v_add_co_ci_u32_e64 v146, null, v121, v133, vcc_lo
	v_cvt_f64_f32_e32 v[126:127], v124
	v_min3_f32 v124, v148, v164, v211
	s_mov_b32 vcc_lo, s0
	v_min3_f32 v124, v165, v125, v124
	v_max_f32_e32 v125, v124, v124
	;; [unrolled: 59-line block ×3, first 2 shown]
	global_store_dwordx2 v[145:146], v[126:127], off
	s_cbranch_vccz .LBB174_63
; %bb.62:
	v_min_f32_e32 v124, 0, v125
	v_add_co_u32 v145, vcc_lo, v120, v142
	v_add_co_ci_u32_e64 v146, null, v121, v143, vcc_lo
	v_cvt_f64_f32_e32 v[126:127], v124
	s_mov_b32 s7, 0
	global_store_dwordx2 v[145:146], v[126:127], off
.LBB174_63:
	v_mov_b32_e32 v124, 0
	s_andn2_b32 vcc_lo, exec_lo, s7
	s_cbranch_vccnz .LBB174_65
; %bb.64:
	v_add_co_u32 v126, vcc_lo, v122, v142
	v_add_co_ci_u32_e64 v127, null, v123, v143, vcc_lo
	global_load_dwordx2 v[126:127], v[126:127], off
	s_waitcnt vmcnt(0)
	v_mul_f64 v[126:127], s[12:13], v[126:127]
	v_cvt_f32_f64_e32 v124, v[126:127]
	v_add_co_u32 v126, vcc_lo, v120, v142
	v_add_co_ci_u32_e64 v127, null, v121, v143, vcc_lo
	v_add_co_u32 v122, vcc_lo, v122, v138
	v_add_co_ci_u32_e64 v123, null, v123, v139, vcc_lo
	v_min_f32_e32 v124, v124, v125
	v_cvt_f64_f32_e32 v[124:125], v124
	global_store_dwordx2 v[126:127], v[124:125], off
	global_load_dwordx2 v[122:123], v[122:123], off
	s_waitcnt vmcnt(0)
	v_mul_f64 v[122:123], s[12:13], v[122:123]
	v_cvt_f32_f64_e32 v124, v[122:123]
.LBB174_65:
	v_add_f64 v[116:117], v[0:1], v[116:117]
	v_add_f64 v[118:119], v[2:3], v[118:119]
	;; [unrolled: 1-line block ×4, first 2 shown]
	s_waitcnt lgkmcnt(11)
	v_add_f64 v[122:123], v[70:71], v[110:111]
	v_add_f64 v[125:126], v[68:69], v[108:109]
	v_add_co_u32 v120, vcc_lo, v120, v138
	v_add_co_ci_u32_e64 v121, null, v121, v139, vcc_lo
	s_mov_b32 s7, -1
	v_cvt_f32_f64_e32 v116, v[116:117]
	v_cvt_f32_f64_e32 v117, v[118:119]
	;; [unrolled: 1-line block ×4, first 2 shown]
	s_waitcnt lgkmcnt(10)
	v_add_f64 v[112:113], v[64:65], v[104:105]
	v_add_f64 v[114:115], v[66:67], v[106:107]
	v_cvt_f32_f64_e32 v125, v[125:126]
	v_cvt_f32_f64_e32 v122, v[122:123]
	v_add_nc_u32_e32 v123, 64, v144
	v_min3_f32 v116, v116, v117, v206
	v_min_f32_e32 v117, v118, v119
	v_cvt_f32_f64_e32 v126, v[112:113]
	v_cvt_f32_f64_e32 v127, v[114:115]
	v_mad_i64_i32 v[112:113], null, v123, s6, 0
	v_min3_f32 v114, v124, v117, v116
	v_min3_f32 v116, v125, v122, v207
	v_cvt_f64_f32_e32 v[118:119], v114
	v_mad_i64_i32 v[114:115], null, v123, s1, 0
	v_lshlrev_b64 v[112:113], 3, v[112:113]
	v_add_co_u32 v112, vcc_lo, s4, v112
	v_lshlrev_b64 v[114:115], 3, v[114:115]
	v_add_co_ci_u32_e64 v113, null, s5, v113, vcc_lo
	v_min3_f32 v116, v126, v127, v116
	v_add_co_u32 v114, vcc_lo, s2, v114
	v_add_co_ci_u32_e64 v115, null, s3, v115, vcc_lo
	v_max_f32_e32 v117, v116, v116
	s_mov_b32 vcc_lo, s0
	global_store_dwordx2 v[120:121], v[118:119], off
	s_cbranch_vccz .LBB174_67
; %bb.66:
	v_min_f32_e32 v116, 0, v117
	v_add_co_u32 v120, vcc_lo, v112, v130
	v_add_co_ci_u32_e64 v121, null, v113, v131, vcc_lo
	v_cvt_f64_f32_e32 v[118:119], v116
	s_mov_b32 s7, 0
	global_store_dwordx2 v[120:121], v[118:119], off
.LBB174_67:
	v_mov_b32_e32 v116, 0
	s_andn2_b32 vcc_lo, exec_lo, s7
	s_cbranch_vccnz .LBB174_69
; %bb.68:
	v_add_co_u32 v118, vcc_lo, v114, v130
	v_add_co_ci_u32_e64 v119, null, v115, v131, vcc_lo
	global_load_dwordx2 v[118:119], v[118:119], off
	s_waitcnt vmcnt(0)
	v_mul_f64 v[118:119], s[12:13], v[118:119]
	v_cvt_f32_f64_e32 v116, v[118:119]
	v_add_co_u32 v118, vcc_lo, v112, v130
	v_add_co_ci_u32_e64 v119, null, v113, v131, vcc_lo
	v_add_co_u32 v120, vcc_lo, v114, v128
	v_add_co_ci_u32_e64 v121, null, v115, v129, vcc_lo
	v_min_f32_e32 v116, v116, v117
	v_cvt_f64_f32_e32 v[116:117], v116
	global_store_dwordx2 v[118:119], v[116:117], off
	global_load_dwordx2 v[116:117], v[120:121], off
	s_waitcnt vmcnt(0)
	v_mul_f64 v[116:117], s[12:13], v[116:117]
	v_cvt_f32_f64_e32 v116, v[116:117]
.LBB174_69:
	v_add_f64 v[117:118], v[60:61], v[108:109]
	v_add_f64 v[119:120], v[62:63], v[110:111]
	v_add_f64 v[121:122], v[52:53], v[104:105]
	v_add_f64 v[123:124], v[54:55], v[106:107]
	v_add_f64 v[125:126], v[50:51], v[110:111]
	v_add_f64 v[145:146], v[48:49], v[108:109]
	v_add_f64 v[147:148], v[36:37], v[104:105]
	s_mov_b32 s7, -1
	v_cvt_f32_f64_e32 v127, v[117:118]
	v_cvt_f32_f64_e32 v119, v[119:120]
	v_cvt_f32_f64_e32 v120, v[121:122]
	v_cvt_f32_f64_e32 v121, v[123:124]
	v_add_f64 v[117:118], v[38:39], v[106:107]
	v_cvt_f32_f64_e32 v122, v[145:146]
	v_cvt_f32_f64_e32 v123, v[125:126]
	v_cvt_f32_f64_e32 v124, v[147:148]
	v_min3_f32 v119, v127, v119, v204
	v_min_f32_e32 v120, v120, v121
	v_cvt_f32_f64_e32 v117, v[117:118]
	v_min3_f32 v116, v116, v120, v119
	v_add_co_u32 v120, vcc_lo, v112, v128
	v_add_co_ci_u32_e64 v121, null, v113, v129, vcc_lo
	v_cvt_f64_f32_e32 v[118:119], v116
	v_min3_f32 v116, v122, v123, v205
	s_mov_b32 vcc_lo, s0
	v_min3_f32 v116, v124, v117, v116
	v_max_f32_e32 v117, v116, v116
	global_store_dwordx2 v[120:121], v[118:119], off
	s_cbranch_vccz .LBB174_71
; %bb.70:
	v_min_f32_e32 v116, 0, v117
	v_add_co_u32 v120, vcc_lo, v112, v136
	v_add_co_ci_u32_e64 v121, null, v113, v137, vcc_lo
	v_cvt_f64_f32_e32 v[118:119], v116
	s_mov_b32 s7, 0
	global_store_dwordx2 v[120:121], v[118:119], off
.LBB174_71:
	v_mov_b32_e32 v116, 0
	s_andn2_b32 vcc_lo, exec_lo, s7
	s_cbranch_vccnz .LBB174_73
; %bb.72:
	v_add_co_u32 v118, vcc_lo, v114, v136
	v_add_co_ci_u32_e64 v119, null, v115, v137, vcc_lo
	global_load_dwordx2 v[118:119], v[118:119], off
	s_waitcnt vmcnt(0)
	v_mul_f64 v[118:119], s[12:13], v[118:119]
	v_cvt_f32_f64_e32 v116, v[118:119]
	v_add_co_u32 v118, vcc_lo, v112, v136
	v_add_co_ci_u32_e64 v119, null, v113, v137, vcc_lo
	v_add_co_u32 v120, vcc_lo, v114, v132
	v_add_co_ci_u32_e64 v121, null, v115, v133, vcc_lo
	v_min_f32_e32 v116, v116, v117
	v_cvt_f64_f32_e32 v[116:117], v116
	global_store_dwordx2 v[118:119], v[116:117], off
	global_load_dwordx2 v[116:117], v[120:121], off
	s_waitcnt vmcnt(0)
	v_mul_f64 v[116:117], s[12:13], v[116:117]
	v_cvt_f32_f64_e32 v116, v[116:117]
.LBB174_73:
	v_add_f64 v[117:118], v[56:57], v[108:109]
	v_add_f64 v[119:120], v[58:59], v[110:111]
	v_add_f64 v[121:122], v[44:45], v[104:105]
	v_add_f64 v[123:124], v[46:47], v[106:107]
	v_add_f64 v[125:126], v[42:43], v[110:111]
	v_add_f64 v[145:146], v[40:41], v[108:109]
	v_add_f64 v[147:148], v[32:33], v[104:105]
	s_mov_b32 s7, -1
	v_cvt_f32_f64_e32 v127, v[117:118]
	v_cvt_f32_f64_e32 v119, v[119:120]
	v_cvt_f32_f64_e32 v120, v[121:122]
	v_cvt_f32_f64_e32 v121, v[123:124]
	v_add_f64 v[117:118], v[34:35], v[106:107]
	v_cvt_f32_f64_e32 v122, v[145:146]
	v_cvt_f32_f64_e32 v123, v[125:126]
	v_cvt_f32_f64_e32 v124, v[147:148]
	v_min3_f32 v119, v127, v119, v202
	v_min_f32_e32 v120, v120, v121
	v_cvt_f32_f64_e32 v117, v[117:118]
	v_min3_f32 v116, v116, v120, v119
	v_add_co_u32 v120, vcc_lo, v112, v132
	v_add_co_ci_u32_e64 v121, null, v113, v133, vcc_lo
	v_cvt_f64_f32_e32 v[118:119], v116
	v_min3_f32 v116, v122, v123, v203
	s_mov_b32 vcc_lo, s0
	v_min3_f32 v116, v124, v117, v116
	v_max_f32_e32 v117, v116, v116
	global_store_dwordx2 v[120:121], v[118:119], off
	s_cbranch_vccz .LBB174_75
; %bb.74:
	v_min_f32_e32 v116, 0, v117
	v_add_co_u32 v120, vcc_lo, v112, v140
	v_add_co_ci_u32_e64 v121, null, v113, v141, vcc_lo
	v_cvt_f64_f32_e32 v[118:119], v116
	s_mov_b32 s7, 0
	global_store_dwordx2 v[120:121], v[118:119], off
.LBB174_75:
	v_mov_b32_e32 v116, 0
	s_andn2_b32 vcc_lo, exec_lo, s7
	s_cbranch_vccnz .LBB174_77
; %bb.76:
	v_add_co_u32 v118, vcc_lo, v114, v140
	v_add_co_ci_u32_e64 v119, null, v115, v141, vcc_lo
	global_load_dwordx2 v[118:119], v[118:119], off
	s_waitcnt vmcnt(0)
	v_mul_f64 v[118:119], s[12:13], v[118:119]
	v_cvt_f32_f64_e32 v116, v[118:119]
	v_add_co_u32 v118, vcc_lo, v112, v140
	v_add_co_ci_u32_e64 v119, null, v113, v141, vcc_lo
	v_add_co_u32 v120, vcc_lo, v114, v134
	v_add_co_ci_u32_e64 v121, null, v115, v135, vcc_lo
	v_min_f32_e32 v116, v116, v117
	v_cvt_f64_f32_e32 v[116:117], v116
	global_store_dwordx2 v[118:119], v[116:117], off
	global_load_dwordx2 v[116:117], v[120:121], off
	s_waitcnt vmcnt(0)
	v_mul_f64 v[116:117], s[12:13], v[116:117]
	v_cvt_f32_f64_e32 v116, v[116:117]
.LBB174_77:
	v_add_f64 v[117:118], v[28:29], v[108:109]
	v_add_f64 v[119:120], v[30:31], v[110:111]
	v_add_f64 v[121:122], v[24:25], v[104:105]
	v_add_f64 v[123:124], v[26:27], v[106:107]
	v_add_f64 v[125:126], v[22:23], v[110:111]
	v_add_f64 v[145:146], v[20:21], v[108:109]
	v_add_f64 v[147:148], v[16:17], v[104:105]
	s_mov_b32 s7, -1
	v_cvt_f32_f64_e32 v127, v[117:118]
	v_cvt_f32_f64_e32 v119, v[119:120]
	v_cvt_f32_f64_e32 v120, v[121:122]
	v_cvt_f32_f64_e32 v121, v[123:124]
	v_add_f64 v[117:118], v[18:19], v[106:107]
	v_cvt_f32_f64_e32 v122, v[145:146]
	v_cvt_f32_f64_e32 v123, v[125:126]
	v_cvt_f32_f64_e32 v124, v[147:148]
	v_min3_f32 v119, v127, v119, v200
	v_min_f32_e32 v120, v120, v121
	v_cvt_f32_f64_e32 v117, v[117:118]
	v_min3_f32 v116, v116, v120, v119
	v_add_co_u32 v120, vcc_lo, v112, v134
	v_add_co_ci_u32_e64 v121, null, v113, v135, vcc_lo
	v_cvt_f64_f32_e32 v[118:119], v116
	v_min3_f32 v116, v122, v123, v201
	s_mov_b32 vcc_lo, s0
	v_min3_f32 v116, v124, v117, v116
	v_max_f32_e32 v117, v116, v116
	global_store_dwordx2 v[120:121], v[118:119], off
	s_cbranch_vccz .LBB174_79
; %bb.78:
	v_min_f32_e32 v116, 0, v117
	v_add_co_u32 v120, vcc_lo, v112, v142
	v_add_co_ci_u32_e64 v121, null, v113, v143, vcc_lo
	v_cvt_f64_f32_e32 v[118:119], v116
	s_mov_b32 s7, 0
	global_store_dwordx2 v[120:121], v[118:119], off
.LBB174_79:
	v_mov_b32_e32 v116, 0
	s_andn2_b32 vcc_lo, exec_lo, s7
	s_cbranch_vccnz .LBB174_81
; %bb.80:
	v_add_co_u32 v118, vcc_lo, v114, v142
	v_add_co_ci_u32_e64 v119, null, v115, v143, vcc_lo
	global_load_dwordx2 v[118:119], v[118:119], off
	s_waitcnt vmcnt(0)
	v_mul_f64 v[118:119], s[12:13], v[118:119]
	v_cvt_f32_f64_e32 v116, v[118:119]
	v_add_co_u32 v118, vcc_lo, v112, v142
	v_add_co_ci_u32_e64 v119, null, v113, v143, vcc_lo
	v_add_co_u32 v114, vcc_lo, v114, v138
	v_add_co_ci_u32_e64 v115, null, v115, v139, vcc_lo
	v_min_f32_e32 v116, v116, v117
	v_cvt_f64_f32_e32 v[116:117], v116
	global_store_dwordx2 v[118:119], v[116:117], off
	global_load_dwordx2 v[114:115], v[114:115], off
	s_waitcnt vmcnt(0)
	v_mul_f64 v[114:115], s[12:13], v[114:115]
	v_cvt_f32_f64_e32 v116, v[114:115]
.LBB174_81:
	v_add_f64 v[108:109], v[0:1], v[108:109]
	v_add_f64 v[110:111], v[2:3], v[110:111]
	;; [unrolled: 1-line block ×4, first 2 shown]
	s_waitcnt lgkmcnt(9)
	v_add_f64 v[114:115], v[70:71], v[102:103]
	v_add_f64 v[117:118], v[68:69], v[100:101]
	v_add_co_u32 v112, vcc_lo, v112, v138
	v_add_co_ci_u32_e64 v113, null, v113, v139, vcc_lo
	s_mov_b32 s7, -1
	v_cvt_f32_f64_e32 v108, v[108:109]
	v_cvt_f32_f64_e32 v109, v[110:111]
	;; [unrolled: 1-line block ×4, first 2 shown]
	s_waitcnt lgkmcnt(8)
	v_add_f64 v[104:105], v[64:65], v[96:97]
	v_add_f64 v[106:107], v[66:67], v[98:99]
	v_cvt_f32_f64_e32 v117, v[117:118]
	v_cvt_f32_f64_e32 v114, v[114:115]
	v_add_nc_u32_e32 v115, 0x60, v144
	v_min3_f32 v108, v108, v109, v198
	v_min_f32_e32 v109, v110, v111
	v_cvt_f32_f64_e32 v118, v[104:105]
	v_cvt_f32_f64_e32 v119, v[106:107]
	v_mad_i64_i32 v[104:105], null, v115, s6, 0
	v_min3_f32 v106, v116, v109, v108
	v_min3_f32 v108, v117, v114, v199
	v_cvt_f64_f32_e32 v[110:111], v106
	v_mad_i64_i32 v[106:107], null, v115, s1, 0
	v_lshlrev_b64 v[104:105], 3, v[104:105]
	v_add_co_u32 v104, vcc_lo, s4, v104
	v_lshlrev_b64 v[106:107], 3, v[106:107]
	v_add_co_ci_u32_e64 v105, null, s5, v105, vcc_lo
	v_min3_f32 v108, v118, v119, v108
	v_add_co_u32 v106, vcc_lo, s2, v106
	v_add_co_ci_u32_e64 v107, null, s3, v107, vcc_lo
	v_max_f32_e32 v109, v108, v108
	s_mov_b32 vcc_lo, s0
	global_store_dwordx2 v[112:113], v[110:111], off
	s_cbranch_vccz .LBB174_83
; %bb.82:
	v_min_f32_e32 v108, 0, v109
	v_add_co_u32 v112, vcc_lo, v104, v130
	v_add_co_ci_u32_e64 v113, null, v105, v131, vcc_lo
	v_cvt_f64_f32_e32 v[110:111], v108
	s_mov_b32 s7, 0
	global_store_dwordx2 v[112:113], v[110:111], off
.LBB174_83:
	v_mov_b32_e32 v108, 0
	s_andn2_b32 vcc_lo, exec_lo, s7
	s_cbranch_vccnz .LBB174_85
; %bb.84:
	v_add_co_u32 v110, vcc_lo, v106, v130
	v_add_co_ci_u32_e64 v111, null, v107, v131, vcc_lo
	global_load_dwordx2 v[110:111], v[110:111], off
	s_waitcnt vmcnt(0)
	v_mul_f64 v[110:111], s[12:13], v[110:111]
	v_cvt_f32_f64_e32 v108, v[110:111]
	v_add_co_u32 v110, vcc_lo, v104, v130
	v_add_co_ci_u32_e64 v111, null, v105, v131, vcc_lo
	v_add_co_u32 v112, vcc_lo, v106, v128
	v_add_co_ci_u32_e64 v113, null, v107, v129, vcc_lo
	v_min_f32_e32 v108, v108, v109
	v_cvt_f64_f32_e32 v[108:109], v108
	global_store_dwordx2 v[110:111], v[108:109], off
	global_load_dwordx2 v[108:109], v[112:113], off
	s_waitcnt vmcnt(0)
	v_mul_f64 v[108:109], s[12:13], v[108:109]
	v_cvt_f32_f64_e32 v108, v[108:109]
.LBB174_85:
	v_add_f64 v[109:110], v[60:61], v[100:101]
	v_add_f64 v[111:112], v[62:63], v[102:103]
	v_add_f64 v[113:114], v[52:53], v[96:97]
	v_add_f64 v[115:116], v[54:55], v[98:99]
	v_add_f64 v[117:118], v[50:51], v[102:103]
	v_add_f64 v[119:120], v[48:49], v[100:101]
	v_add_f64 v[121:122], v[36:37], v[96:97]
	s_mov_b32 s7, -1
	v_cvt_f32_f64_e32 v123, v[109:110]
	v_cvt_f32_f64_e32 v111, v[111:112]
	v_cvt_f32_f64_e32 v112, v[113:114]
	v_cvt_f32_f64_e32 v113, v[115:116]
	v_add_f64 v[109:110], v[38:39], v[98:99]
	v_cvt_f32_f64_e32 v114, v[119:120]
	v_cvt_f32_f64_e32 v115, v[117:118]
	v_cvt_f32_f64_e32 v116, v[121:122]
	v_min3_f32 v111, v123, v111, v196
	v_min_f32_e32 v112, v112, v113
	v_cvt_f32_f64_e32 v109, v[109:110]
	v_min3_f32 v108, v108, v112, v111
	v_add_co_u32 v112, vcc_lo, v104, v128
	v_add_co_ci_u32_e64 v113, null, v105, v129, vcc_lo
	v_cvt_f64_f32_e32 v[110:111], v108
	v_min3_f32 v108, v114, v115, v197
	s_mov_b32 vcc_lo, s0
	v_min3_f32 v108, v116, v109, v108
	v_max_f32_e32 v109, v108, v108
	global_store_dwordx2 v[112:113], v[110:111], off
	s_cbranch_vccz .LBB174_87
; %bb.86:
	v_min_f32_e32 v108, 0, v109
	v_add_co_u32 v112, vcc_lo, v104, v136
	v_add_co_ci_u32_e64 v113, null, v105, v137, vcc_lo
	v_cvt_f64_f32_e32 v[110:111], v108
	s_mov_b32 s7, 0
	global_store_dwordx2 v[112:113], v[110:111], off
.LBB174_87:
	v_mov_b32_e32 v108, 0
	s_andn2_b32 vcc_lo, exec_lo, s7
	s_cbranch_vccnz .LBB174_89
; %bb.88:
	v_add_co_u32 v110, vcc_lo, v106, v136
	v_add_co_ci_u32_e64 v111, null, v107, v137, vcc_lo
	global_load_dwordx2 v[110:111], v[110:111], off
	s_waitcnt vmcnt(0)
	v_mul_f64 v[110:111], s[12:13], v[110:111]
	v_cvt_f32_f64_e32 v108, v[110:111]
	v_add_co_u32 v110, vcc_lo, v104, v136
	v_add_co_ci_u32_e64 v111, null, v105, v137, vcc_lo
	v_add_co_u32 v112, vcc_lo, v106, v132
	v_add_co_ci_u32_e64 v113, null, v107, v133, vcc_lo
	v_min_f32_e32 v108, v108, v109
	v_cvt_f64_f32_e32 v[108:109], v108
	global_store_dwordx2 v[110:111], v[108:109], off
	global_load_dwordx2 v[108:109], v[112:113], off
	s_waitcnt vmcnt(0)
	v_mul_f64 v[108:109], s[12:13], v[108:109]
	v_cvt_f32_f64_e32 v108, v[108:109]
.LBB174_89:
	v_add_f64 v[109:110], v[56:57], v[100:101]
	v_add_f64 v[111:112], v[58:59], v[102:103]
	v_add_f64 v[113:114], v[44:45], v[96:97]
	v_add_f64 v[115:116], v[46:47], v[98:99]
	v_add_f64 v[117:118], v[42:43], v[102:103]
	v_add_f64 v[119:120], v[40:41], v[100:101]
	v_add_f64 v[121:122], v[32:33], v[96:97]
	s_mov_b32 s7, -1
	v_cvt_f32_f64_e32 v123, v[109:110]
	v_cvt_f32_f64_e32 v111, v[111:112]
	v_cvt_f32_f64_e32 v112, v[113:114]
	v_cvt_f32_f64_e32 v113, v[115:116]
	v_add_f64 v[109:110], v[34:35], v[98:99]
	v_cvt_f32_f64_e32 v114, v[119:120]
	v_cvt_f32_f64_e32 v115, v[117:118]
	v_cvt_f32_f64_e32 v116, v[121:122]
	v_min3_f32 v111, v123, v111, v195
	v_min_f32_e32 v112, v112, v113
	v_cvt_f32_f64_e32 v109, v[109:110]
	v_min3_f32 v108, v108, v112, v111
	v_add_co_u32 v112, vcc_lo, v104, v132
	v_add_co_ci_u32_e64 v113, null, v105, v133, vcc_lo
	v_cvt_f64_f32_e32 v[110:111], v108
	v_min3_f32 v108, v114, v115, v194
	s_mov_b32 vcc_lo, s0
	v_min3_f32 v108, v116, v109, v108
	v_max_f32_e32 v109, v108, v108
	;; [unrolled: 59-line block ×3, first 2 shown]
	global_store_dwordx2 v[112:113], v[110:111], off
	s_cbranch_vccz .LBB174_95
; %bb.94:
	v_min_f32_e32 v108, 0, v109
	v_add_co_u32 v112, vcc_lo, v104, v142
	v_add_co_ci_u32_e64 v113, null, v105, v143, vcc_lo
	v_cvt_f64_f32_e32 v[110:111], v108
	s_mov_b32 s7, 0
	global_store_dwordx2 v[112:113], v[110:111], off
.LBB174_95:
	v_mov_b32_e32 v108, 0
	s_andn2_b32 vcc_lo, exec_lo, s7
	s_cbranch_vccnz .LBB174_97
; %bb.96:
	v_add_co_u32 v110, vcc_lo, v106, v142
	v_add_co_ci_u32_e64 v111, null, v107, v143, vcc_lo
	global_load_dwordx2 v[110:111], v[110:111], off
	s_waitcnt vmcnt(0)
	v_mul_f64 v[110:111], s[12:13], v[110:111]
	v_cvt_f32_f64_e32 v108, v[110:111]
	v_add_co_u32 v110, vcc_lo, v104, v142
	v_add_co_ci_u32_e64 v111, null, v105, v143, vcc_lo
	v_add_co_u32 v106, vcc_lo, v106, v138
	v_add_co_ci_u32_e64 v107, null, v107, v139, vcc_lo
	v_min_f32_e32 v108, v108, v109
	v_cvt_f64_f32_e32 v[108:109], v108
	global_store_dwordx2 v[110:111], v[108:109], off
	global_load_dwordx2 v[106:107], v[106:107], off
	s_waitcnt vmcnt(0)
	v_mul_f64 v[106:107], s[12:13], v[106:107]
	v_cvt_f32_f64_e32 v108, v[106:107]
.LBB174_97:
	v_add_f64 v[100:101], v[0:1], v[100:101]
	v_add_f64 v[102:103], v[2:3], v[102:103]
	;; [unrolled: 1-line block ×4, first 2 shown]
	s_waitcnt lgkmcnt(7)
	v_add_f64 v[106:107], v[70:71], v[94:95]
	v_add_f64 v[109:110], v[68:69], v[92:93]
	v_add_co_u32 v104, vcc_lo, v104, v138
	v_add_co_ci_u32_e64 v105, null, v105, v139, vcc_lo
	s_mov_b32 s7, -1
	v_cvt_f32_f64_e32 v100, v[100:101]
	v_cvt_f32_f64_e32 v101, v[102:103]
	;; [unrolled: 1-line block ×4, first 2 shown]
	s_waitcnt lgkmcnt(6)
	v_add_f64 v[96:97], v[64:65], v[88:89]
	v_add_f64 v[98:99], v[66:67], v[90:91]
	v_cvt_f32_f64_e32 v109, v[109:110]
	v_cvt_f32_f64_e32 v106, v[106:107]
	v_add_nc_u32_e32 v107, 0x80, v144
	v_min3_f32 v100, v100, v101, v190
	v_min_f32_e32 v101, v102, v103
	v_cvt_f32_f64_e32 v110, v[96:97]
	v_cvt_f32_f64_e32 v111, v[98:99]
	v_mad_i64_i32 v[96:97], null, v107, s6, 0
	v_min3_f32 v98, v108, v101, v100
	v_min3_f32 v100, v109, v106, v191
	v_cvt_f64_f32_e32 v[102:103], v98
	v_mad_i64_i32 v[98:99], null, v107, s1, 0
	v_lshlrev_b64 v[96:97], 3, v[96:97]
	v_add_co_u32 v96, vcc_lo, s4, v96
	v_lshlrev_b64 v[98:99], 3, v[98:99]
	v_add_co_ci_u32_e64 v97, null, s5, v97, vcc_lo
	v_min3_f32 v100, v110, v111, v100
	v_add_co_u32 v98, vcc_lo, s2, v98
	v_add_co_ci_u32_e64 v99, null, s3, v99, vcc_lo
	v_max_f32_e32 v101, v100, v100
	s_mov_b32 vcc_lo, s0
	global_store_dwordx2 v[104:105], v[102:103], off
	s_cbranch_vccz .LBB174_99
; %bb.98:
	v_min_f32_e32 v100, 0, v101
	v_add_co_u32 v104, vcc_lo, v96, v130
	v_add_co_ci_u32_e64 v105, null, v97, v131, vcc_lo
	v_cvt_f64_f32_e32 v[102:103], v100
	s_mov_b32 s7, 0
	global_store_dwordx2 v[104:105], v[102:103], off
.LBB174_99:
	v_mov_b32_e32 v100, 0
	s_andn2_b32 vcc_lo, exec_lo, s7
	s_cbranch_vccnz .LBB174_101
; %bb.100:
	v_add_co_u32 v102, vcc_lo, v98, v130
	v_add_co_ci_u32_e64 v103, null, v99, v131, vcc_lo
	global_load_dwordx2 v[102:103], v[102:103], off
	s_waitcnt vmcnt(0)
	v_mul_f64 v[102:103], s[12:13], v[102:103]
	v_cvt_f32_f64_e32 v100, v[102:103]
	v_add_co_u32 v102, vcc_lo, v96, v130
	v_add_co_ci_u32_e64 v103, null, v97, v131, vcc_lo
	v_add_co_u32 v104, vcc_lo, v98, v128
	v_add_co_ci_u32_e64 v105, null, v99, v129, vcc_lo
	v_min_f32_e32 v100, v100, v101
	v_cvt_f64_f32_e32 v[100:101], v100
	global_store_dwordx2 v[102:103], v[100:101], off
	global_load_dwordx2 v[100:101], v[104:105], off
	s_waitcnt vmcnt(0)
	v_mul_f64 v[100:101], s[12:13], v[100:101]
	v_cvt_f32_f64_e32 v100, v[100:101]
.LBB174_101:
	v_add_f64 v[101:102], v[60:61], v[92:93]
	v_add_f64 v[103:104], v[62:63], v[94:95]
	v_add_f64 v[105:106], v[52:53], v[88:89]
	v_add_f64 v[107:108], v[54:55], v[90:91]
	v_add_f64 v[109:110], v[50:51], v[94:95]
	v_add_f64 v[111:112], v[48:49], v[92:93]
	v_add_f64 v[113:114], v[36:37], v[88:89]
	s_mov_b32 s7, -1
	v_cvt_f32_f64_e32 v115, v[101:102]
	v_cvt_f32_f64_e32 v103, v[103:104]
	v_cvt_f32_f64_e32 v104, v[105:106]
	v_cvt_f32_f64_e32 v105, v[107:108]
	v_add_f64 v[101:102], v[38:39], v[90:91]
	v_cvt_f32_f64_e32 v106, v[111:112]
	v_cvt_f32_f64_e32 v107, v[109:110]
	v_cvt_f32_f64_e32 v108, v[113:114]
	v_min3_f32 v103, v115, v103, v188
	v_min_f32_e32 v104, v104, v105
	v_cvt_f32_f64_e32 v101, v[101:102]
	v_min3_f32 v100, v100, v104, v103
	v_add_co_u32 v104, vcc_lo, v96, v128
	v_add_co_ci_u32_e64 v105, null, v97, v129, vcc_lo
	v_cvt_f64_f32_e32 v[102:103], v100
	v_min3_f32 v100, v106, v107, v189
	s_mov_b32 vcc_lo, s0
	v_min3_f32 v100, v108, v101, v100
	v_max_f32_e32 v101, v100, v100
	global_store_dwordx2 v[104:105], v[102:103], off
	s_cbranch_vccz .LBB174_103
; %bb.102:
	v_min_f32_e32 v100, 0, v101
	v_add_co_u32 v104, vcc_lo, v96, v136
	v_add_co_ci_u32_e64 v105, null, v97, v137, vcc_lo
	v_cvt_f64_f32_e32 v[102:103], v100
	s_mov_b32 s7, 0
	global_store_dwordx2 v[104:105], v[102:103], off
.LBB174_103:
	v_mov_b32_e32 v100, 0
	s_andn2_b32 vcc_lo, exec_lo, s7
	s_cbranch_vccnz .LBB174_105
; %bb.104:
	v_add_co_u32 v102, vcc_lo, v98, v136
	v_add_co_ci_u32_e64 v103, null, v99, v137, vcc_lo
	global_load_dwordx2 v[102:103], v[102:103], off
	s_waitcnt vmcnt(0)
	v_mul_f64 v[102:103], s[12:13], v[102:103]
	v_cvt_f32_f64_e32 v100, v[102:103]
	v_add_co_u32 v102, vcc_lo, v96, v136
	v_add_co_ci_u32_e64 v103, null, v97, v137, vcc_lo
	v_add_co_u32 v104, vcc_lo, v98, v132
	v_add_co_ci_u32_e64 v105, null, v99, v133, vcc_lo
	v_min_f32_e32 v100, v100, v101
	v_cvt_f64_f32_e32 v[100:101], v100
	global_store_dwordx2 v[102:103], v[100:101], off
	global_load_dwordx2 v[100:101], v[104:105], off
	s_waitcnt vmcnt(0)
	v_mul_f64 v[100:101], s[12:13], v[100:101]
	v_cvt_f32_f64_e32 v100, v[100:101]
.LBB174_105:
	v_add_f64 v[101:102], v[56:57], v[92:93]
	v_add_f64 v[103:104], v[58:59], v[94:95]
	v_add_f64 v[105:106], v[44:45], v[88:89]
	v_add_f64 v[107:108], v[46:47], v[90:91]
	v_add_f64 v[109:110], v[42:43], v[94:95]
	v_add_f64 v[111:112], v[40:41], v[92:93]
	v_add_f64 v[113:114], v[32:33], v[88:89]
	s_mov_b32 s7, -1
	v_cvt_f32_f64_e32 v115, v[101:102]
	v_cvt_f32_f64_e32 v103, v[103:104]
	v_cvt_f32_f64_e32 v104, v[105:106]
	v_cvt_f32_f64_e32 v105, v[107:108]
	v_add_f64 v[101:102], v[34:35], v[90:91]
	v_cvt_f32_f64_e32 v106, v[111:112]
	v_cvt_f32_f64_e32 v107, v[109:110]
	v_cvt_f32_f64_e32 v108, v[113:114]
	v_min3_f32 v103, v115, v103, v186
	v_min_f32_e32 v104, v104, v105
	v_cvt_f32_f64_e32 v101, v[101:102]
	v_min3_f32 v100, v100, v104, v103
	v_add_co_u32 v104, vcc_lo, v96, v132
	v_add_co_ci_u32_e64 v105, null, v97, v133, vcc_lo
	v_cvt_f64_f32_e32 v[102:103], v100
	v_min3_f32 v100, v106, v107, v187
	s_mov_b32 vcc_lo, s0
	v_min3_f32 v100, v108, v101, v100
	v_max_f32_e32 v101, v100, v100
	;; [unrolled: 59-line block ×3, first 2 shown]
	global_store_dwordx2 v[104:105], v[102:103], off
	s_cbranch_vccz .LBB174_111
; %bb.110:
	v_min_f32_e32 v100, 0, v101
	v_add_co_u32 v104, vcc_lo, v96, v142
	v_add_co_ci_u32_e64 v105, null, v97, v143, vcc_lo
	v_cvt_f64_f32_e32 v[102:103], v100
	s_mov_b32 s7, 0
	global_store_dwordx2 v[104:105], v[102:103], off
.LBB174_111:
	v_mov_b32_e32 v100, 0
	s_andn2_b32 vcc_lo, exec_lo, s7
	s_cbranch_vccnz .LBB174_113
; %bb.112:
	v_add_co_u32 v102, vcc_lo, v98, v142
	v_add_co_ci_u32_e64 v103, null, v99, v143, vcc_lo
	global_load_dwordx2 v[102:103], v[102:103], off
	s_waitcnt vmcnt(0)
	v_mul_f64 v[102:103], s[12:13], v[102:103]
	v_cvt_f32_f64_e32 v100, v[102:103]
	v_add_co_u32 v102, vcc_lo, v96, v142
	v_add_co_ci_u32_e64 v103, null, v97, v143, vcc_lo
	v_add_co_u32 v98, vcc_lo, v98, v138
	v_add_co_ci_u32_e64 v99, null, v99, v139, vcc_lo
	v_min_f32_e32 v100, v100, v101
	v_cvt_f64_f32_e32 v[100:101], v100
	global_store_dwordx2 v[102:103], v[100:101], off
	global_load_dwordx2 v[98:99], v[98:99], off
	s_waitcnt vmcnt(0)
	v_mul_f64 v[98:99], s[12:13], v[98:99]
	v_cvt_f32_f64_e32 v100, v[98:99]
.LBB174_113:
	v_add_f64 v[92:93], v[0:1], v[92:93]
	v_add_f64 v[94:95], v[2:3], v[94:95]
	;; [unrolled: 1-line block ×4, first 2 shown]
	s_waitcnt lgkmcnt(5)
	v_add_f64 v[98:99], v[70:71], v[86:87]
	v_add_f64 v[101:102], v[68:69], v[84:85]
	v_add_co_u32 v96, vcc_lo, v96, v138
	v_add_co_ci_u32_e64 v97, null, v97, v139, vcc_lo
	s_mov_b32 s7, -1
	v_cvt_f32_f64_e32 v92, v[92:93]
	v_cvt_f32_f64_e32 v93, v[94:95]
	;; [unrolled: 1-line block ×4, first 2 shown]
	s_waitcnt lgkmcnt(4)
	v_add_f64 v[88:89], v[64:65], v[80:81]
	v_add_f64 v[90:91], v[66:67], v[82:83]
	v_cvt_f32_f64_e32 v101, v[101:102]
	v_cvt_f32_f64_e32 v98, v[98:99]
	v_add_nc_u32_e32 v99, 0xa0, v144
	v_min3_f32 v92, v92, v93, v182
	v_min_f32_e32 v93, v94, v95
	v_cvt_f32_f64_e32 v102, v[88:89]
	v_cvt_f32_f64_e32 v103, v[90:91]
	v_mad_i64_i32 v[88:89], null, v99, s6, 0
	v_min3_f32 v90, v100, v93, v92
	v_min3_f32 v92, v101, v98, v183
	v_cvt_f64_f32_e32 v[94:95], v90
	v_mad_i64_i32 v[90:91], null, v99, s1, 0
	v_lshlrev_b64 v[88:89], 3, v[88:89]
	v_add_co_u32 v88, vcc_lo, s4, v88
	v_lshlrev_b64 v[90:91], 3, v[90:91]
	v_add_co_ci_u32_e64 v89, null, s5, v89, vcc_lo
	v_min3_f32 v92, v102, v103, v92
	v_add_co_u32 v90, vcc_lo, s2, v90
	v_add_co_ci_u32_e64 v91, null, s3, v91, vcc_lo
	v_max_f32_e32 v93, v92, v92
	s_mov_b32 vcc_lo, s0
	global_store_dwordx2 v[96:97], v[94:95], off
	s_cbranch_vccz .LBB174_115
; %bb.114:
	v_min_f32_e32 v92, 0, v93
	v_add_co_u32 v96, vcc_lo, v88, v130
	v_add_co_ci_u32_e64 v97, null, v89, v131, vcc_lo
	v_cvt_f64_f32_e32 v[94:95], v92
	s_mov_b32 s7, 0
	global_store_dwordx2 v[96:97], v[94:95], off
.LBB174_115:
	v_mov_b32_e32 v92, 0
	s_andn2_b32 vcc_lo, exec_lo, s7
	s_cbranch_vccnz .LBB174_117
; %bb.116:
	v_add_co_u32 v94, vcc_lo, v90, v130
	v_add_co_ci_u32_e64 v95, null, v91, v131, vcc_lo
	global_load_dwordx2 v[94:95], v[94:95], off
	s_waitcnt vmcnt(0)
	v_mul_f64 v[94:95], s[12:13], v[94:95]
	v_cvt_f32_f64_e32 v92, v[94:95]
	v_add_co_u32 v94, vcc_lo, v88, v130
	v_add_co_ci_u32_e64 v95, null, v89, v131, vcc_lo
	v_add_co_u32 v96, vcc_lo, v90, v128
	v_add_co_ci_u32_e64 v97, null, v91, v129, vcc_lo
	v_min_f32_e32 v92, v92, v93
	v_cvt_f64_f32_e32 v[92:93], v92
	global_store_dwordx2 v[94:95], v[92:93], off
	global_load_dwordx2 v[92:93], v[96:97], off
	s_waitcnt vmcnt(0)
	v_mul_f64 v[92:93], s[12:13], v[92:93]
	v_cvt_f32_f64_e32 v92, v[92:93]
.LBB174_117:
	v_add_f64 v[93:94], v[60:61], v[84:85]
	v_add_f64 v[95:96], v[62:63], v[86:87]
	v_add_f64 v[97:98], v[52:53], v[80:81]
	v_add_f64 v[99:100], v[54:55], v[82:83]
	v_add_f64 v[101:102], v[50:51], v[86:87]
	v_add_f64 v[103:104], v[48:49], v[84:85]
	v_add_f64 v[105:106], v[36:37], v[80:81]
	s_mov_b32 s7, -1
	v_cvt_f32_f64_e32 v107, v[93:94]
	v_cvt_f32_f64_e32 v95, v[95:96]
	v_cvt_f32_f64_e32 v96, v[97:98]
	v_cvt_f32_f64_e32 v97, v[99:100]
	v_add_f64 v[93:94], v[38:39], v[82:83]
	v_cvt_f32_f64_e32 v98, v[103:104]
	v_cvt_f32_f64_e32 v99, v[101:102]
	v_cvt_f32_f64_e32 v100, v[105:106]
	v_min3_f32 v95, v107, v95, v180
	v_min_f32_e32 v96, v96, v97
	v_cvt_f32_f64_e32 v93, v[93:94]
	v_min3_f32 v92, v92, v96, v95
	v_add_co_u32 v96, vcc_lo, v88, v128
	v_add_co_ci_u32_e64 v97, null, v89, v129, vcc_lo
	v_cvt_f64_f32_e32 v[94:95], v92
	v_min3_f32 v92, v98, v99, v181
	s_mov_b32 vcc_lo, s0
	v_min3_f32 v92, v100, v93, v92
	v_max_f32_e32 v93, v92, v92
	global_store_dwordx2 v[96:97], v[94:95], off
	s_cbranch_vccz .LBB174_119
; %bb.118:
	v_min_f32_e32 v92, 0, v93
	v_add_co_u32 v96, vcc_lo, v88, v136
	v_add_co_ci_u32_e64 v97, null, v89, v137, vcc_lo
	v_cvt_f64_f32_e32 v[94:95], v92
	s_mov_b32 s7, 0
	global_store_dwordx2 v[96:97], v[94:95], off
.LBB174_119:
	v_mov_b32_e32 v92, 0
	s_andn2_b32 vcc_lo, exec_lo, s7
	s_cbranch_vccnz .LBB174_121
; %bb.120:
	v_add_co_u32 v94, vcc_lo, v90, v136
	v_add_co_ci_u32_e64 v95, null, v91, v137, vcc_lo
	global_load_dwordx2 v[94:95], v[94:95], off
	s_waitcnt vmcnt(0)
	v_mul_f64 v[94:95], s[12:13], v[94:95]
	v_cvt_f32_f64_e32 v92, v[94:95]
	v_add_co_u32 v94, vcc_lo, v88, v136
	v_add_co_ci_u32_e64 v95, null, v89, v137, vcc_lo
	v_add_co_u32 v96, vcc_lo, v90, v132
	v_add_co_ci_u32_e64 v97, null, v91, v133, vcc_lo
	v_min_f32_e32 v92, v92, v93
	v_cvt_f64_f32_e32 v[92:93], v92
	global_store_dwordx2 v[94:95], v[92:93], off
	global_load_dwordx2 v[92:93], v[96:97], off
	s_waitcnt vmcnt(0)
	v_mul_f64 v[92:93], s[12:13], v[92:93]
	v_cvt_f32_f64_e32 v92, v[92:93]
.LBB174_121:
	v_add_f64 v[93:94], v[56:57], v[84:85]
	v_add_f64 v[95:96], v[58:59], v[86:87]
	v_add_f64 v[97:98], v[44:45], v[80:81]
	v_add_f64 v[99:100], v[46:47], v[82:83]
	v_add_f64 v[101:102], v[42:43], v[86:87]
	v_add_f64 v[103:104], v[40:41], v[84:85]
	v_add_f64 v[105:106], v[32:33], v[80:81]
	s_mov_b32 s7, -1
	v_cvt_f32_f64_e32 v107, v[93:94]
	v_cvt_f32_f64_e32 v95, v[95:96]
	v_cvt_f32_f64_e32 v96, v[97:98]
	v_cvt_f32_f64_e32 v97, v[99:100]
	v_add_f64 v[93:94], v[34:35], v[82:83]
	v_cvt_f32_f64_e32 v98, v[103:104]
	v_cvt_f32_f64_e32 v99, v[101:102]
	v_cvt_f32_f64_e32 v100, v[105:106]
	v_min3_f32 v95, v107, v95, v178
	v_min_f32_e32 v96, v96, v97
	v_cvt_f32_f64_e32 v93, v[93:94]
	v_min3_f32 v92, v92, v96, v95
	v_add_co_u32 v96, vcc_lo, v88, v132
	v_add_co_ci_u32_e64 v97, null, v89, v133, vcc_lo
	v_cvt_f64_f32_e32 v[94:95], v92
	v_min3_f32 v92, v98, v99, v179
	s_mov_b32 vcc_lo, s0
	v_min3_f32 v92, v100, v93, v92
	v_max_f32_e32 v93, v92, v92
	;; [unrolled: 59-line block ×3, first 2 shown]
	global_store_dwordx2 v[96:97], v[94:95], off
	s_cbranch_vccz .LBB174_127
; %bb.126:
	v_min_f32_e32 v92, 0, v93
	v_add_co_u32 v96, vcc_lo, v88, v142
	v_add_co_ci_u32_e64 v97, null, v89, v143, vcc_lo
	v_cvt_f64_f32_e32 v[94:95], v92
	s_mov_b32 s7, 0
	global_store_dwordx2 v[96:97], v[94:95], off
.LBB174_127:
	v_mov_b32_e32 v92, 0
	s_andn2_b32 vcc_lo, exec_lo, s7
	s_cbranch_vccnz .LBB174_129
; %bb.128:
	v_add_co_u32 v94, vcc_lo, v90, v142
	v_add_co_ci_u32_e64 v95, null, v91, v143, vcc_lo
	global_load_dwordx2 v[94:95], v[94:95], off
	s_waitcnt vmcnt(0)
	v_mul_f64 v[94:95], s[12:13], v[94:95]
	v_cvt_f32_f64_e32 v92, v[94:95]
	v_add_co_u32 v94, vcc_lo, v88, v142
	v_add_co_ci_u32_e64 v95, null, v89, v143, vcc_lo
	v_add_co_u32 v90, vcc_lo, v90, v138
	v_add_co_ci_u32_e64 v91, null, v91, v139, vcc_lo
	v_min_f32_e32 v92, v92, v93
	v_cvt_f64_f32_e32 v[92:93], v92
	global_store_dwordx2 v[94:95], v[92:93], off
	global_load_dwordx2 v[90:91], v[90:91], off
	s_waitcnt vmcnt(0)
	v_mul_f64 v[90:91], s[12:13], v[90:91]
	v_cvt_f32_f64_e32 v92, v[90:91]
.LBB174_129:
	v_add_f64 v[84:85], v[0:1], v[84:85]
	v_add_f64 v[86:87], v[2:3], v[86:87]
	;; [unrolled: 1-line block ×4, first 2 shown]
	s_waitcnt lgkmcnt(3)
	v_add_f64 v[90:91], v[70:71], v[78:79]
	v_add_f64 v[93:94], v[68:69], v[76:77]
	v_add_co_u32 v88, vcc_lo, v88, v138
	v_add_co_ci_u32_e64 v89, null, v89, v139, vcc_lo
	s_mov_b32 s7, -1
	v_cvt_f32_f64_e32 v84, v[84:85]
	v_cvt_f32_f64_e32 v85, v[86:87]
	;; [unrolled: 1-line block ×4, first 2 shown]
	s_waitcnt lgkmcnt(2)
	v_add_f64 v[80:81], v[64:65], v[72:73]
	v_add_f64 v[82:83], v[66:67], v[74:75]
	v_cvt_f32_f64_e32 v93, v[93:94]
	v_cvt_f32_f64_e32 v90, v[90:91]
	v_add_nc_u32_e32 v91, 0xc0, v144
	v_min3_f32 v84, v84, v85, v168
	v_min_f32_e32 v85, v86, v87
	v_cvt_f32_f64_e32 v94, v[80:81]
	v_cvt_f32_f64_e32 v95, v[82:83]
	v_mad_i64_i32 v[80:81], null, v91, s6, 0
	v_min3_f32 v82, v92, v85, v84
	v_min3_f32 v84, v93, v90, v171
	v_cvt_f64_f32_e32 v[86:87], v82
	v_mad_i64_i32 v[82:83], null, v91, s1, 0
	v_lshlrev_b64 v[80:81], 3, v[80:81]
	v_add_co_u32 v80, vcc_lo, s4, v80
	v_lshlrev_b64 v[82:83], 3, v[82:83]
	v_add_co_ci_u32_e64 v81, null, s5, v81, vcc_lo
	v_min3_f32 v84, v94, v95, v84
	v_add_co_u32 v82, vcc_lo, s2, v82
	v_add_co_ci_u32_e64 v83, null, s3, v83, vcc_lo
	v_max_f32_e32 v85, v84, v84
	s_mov_b32 vcc_lo, s0
	global_store_dwordx2 v[88:89], v[86:87], off
	s_cbranch_vccz .LBB174_131
; %bb.130:
	v_min_f32_e32 v84, 0, v85
	v_add_co_u32 v88, vcc_lo, v80, v130
	v_add_co_ci_u32_e64 v89, null, v81, v131, vcc_lo
	v_cvt_f64_f32_e32 v[86:87], v84
	s_mov_b32 s7, 0
	global_store_dwordx2 v[88:89], v[86:87], off
.LBB174_131:
	v_mov_b32_e32 v84, 0
	s_andn2_b32 vcc_lo, exec_lo, s7
	s_cbranch_vccnz .LBB174_133
; %bb.132:
	v_add_co_u32 v86, vcc_lo, v82, v130
	v_add_co_ci_u32_e64 v87, null, v83, v131, vcc_lo
	global_load_dwordx2 v[86:87], v[86:87], off
	s_waitcnt vmcnt(0)
	v_mul_f64 v[86:87], s[12:13], v[86:87]
	v_cvt_f32_f64_e32 v84, v[86:87]
	v_add_co_u32 v86, vcc_lo, v80, v130
	v_add_co_ci_u32_e64 v87, null, v81, v131, vcc_lo
	v_add_co_u32 v88, vcc_lo, v82, v128
	v_add_co_ci_u32_e64 v89, null, v83, v129, vcc_lo
	v_min_f32_e32 v84, v84, v85
	v_cvt_f64_f32_e32 v[84:85], v84
	global_store_dwordx2 v[86:87], v[84:85], off
	global_load_dwordx2 v[84:85], v[88:89], off
	s_waitcnt vmcnt(0)
	v_mul_f64 v[84:85], s[12:13], v[84:85]
	v_cvt_f32_f64_e32 v84, v[84:85]
.LBB174_133:
	v_add_f64 v[85:86], v[60:61], v[76:77]
	v_add_f64 v[87:88], v[62:63], v[78:79]
	v_add_f64 v[89:90], v[52:53], v[72:73]
	v_add_f64 v[91:92], v[54:55], v[74:75]
	v_add_f64 v[93:94], v[50:51], v[78:79]
	v_add_f64 v[95:96], v[48:49], v[76:77]
	v_add_f64 v[97:98], v[36:37], v[72:73]
	s_mov_b32 s7, -1
	v_cvt_f32_f64_e32 v99, v[85:86]
	v_cvt_f32_f64_e32 v87, v[87:88]
	v_cvt_f32_f64_e32 v88, v[89:90]
	v_cvt_f32_f64_e32 v89, v[91:92]
	v_add_f64 v[85:86], v[38:39], v[74:75]
	v_cvt_f32_f64_e32 v90, v[95:96]
	v_cvt_f32_f64_e32 v91, v[93:94]
	v_cvt_f32_f64_e32 v92, v[97:98]
	v_min3_f32 v87, v99, v87, v162
	v_min_f32_e32 v88, v88, v89
	v_cvt_f32_f64_e32 v85, v[85:86]
	v_min3_f32 v84, v84, v88, v87
	v_add_co_u32 v88, vcc_lo, v80, v128
	v_add_co_ci_u32_e64 v89, null, v81, v129, vcc_lo
	v_cvt_f64_f32_e32 v[86:87], v84
	v_min3_f32 v84, v90, v91, v163
	s_mov_b32 vcc_lo, s0
	v_min3_f32 v84, v92, v85, v84
	v_max_f32_e32 v85, v84, v84
	global_store_dwordx2 v[88:89], v[86:87], off
	s_cbranch_vccz .LBB174_135
; %bb.134:
	v_min_f32_e32 v84, 0, v85
	v_add_co_u32 v88, vcc_lo, v80, v136
	v_add_co_ci_u32_e64 v89, null, v81, v137, vcc_lo
	v_cvt_f64_f32_e32 v[86:87], v84
	s_mov_b32 s7, 0
	global_store_dwordx2 v[88:89], v[86:87], off
.LBB174_135:
	v_mov_b32_e32 v84, 0
	s_andn2_b32 vcc_lo, exec_lo, s7
	s_cbranch_vccnz .LBB174_137
; %bb.136:
	v_add_co_u32 v86, vcc_lo, v82, v136
	v_add_co_ci_u32_e64 v87, null, v83, v137, vcc_lo
	global_load_dwordx2 v[86:87], v[86:87], off
	s_waitcnt vmcnt(0)
	v_mul_f64 v[86:87], s[12:13], v[86:87]
	v_cvt_f32_f64_e32 v84, v[86:87]
	v_add_co_u32 v86, vcc_lo, v80, v136
	v_add_co_ci_u32_e64 v87, null, v81, v137, vcc_lo
	v_add_co_u32 v88, vcc_lo, v82, v132
	v_add_co_ci_u32_e64 v89, null, v83, v133, vcc_lo
	v_min_f32_e32 v84, v84, v85
	v_cvt_f64_f32_e32 v[84:85], v84
	global_store_dwordx2 v[86:87], v[84:85], off
	global_load_dwordx2 v[84:85], v[88:89], off
	s_waitcnt vmcnt(0)
	v_mul_f64 v[84:85], s[12:13], v[84:85]
	v_cvt_f32_f64_e32 v84, v[84:85]
.LBB174_137:
	v_add_f64 v[85:86], v[56:57], v[76:77]
	v_add_f64 v[87:88], v[58:59], v[78:79]
	v_add_f64 v[89:90], v[44:45], v[72:73]
	v_add_f64 v[91:92], v[46:47], v[74:75]
	v_add_f64 v[93:94], v[42:43], v[78:79]
	v_add_f64 v[95:96], v[40:41], v[76:77]
	v_add_f64 v[97:98], v[32:33], v[72:73]
	s_mov_b32 s7, -1
	v_cvt_f32_f64_e32 v99, v[85:86]
	v_cvt_f32_f64_e32 v87, v[87:88]
	v_cvt_f32_f64_e32 v88, v[89:90]
	v_cvt_f32_f64_e32 v89, v[91:92]
	v_add_f64 v[85:86], v[34:35], v[74:75]
	v_cvt_f32_f64_e32 v90, v[95:96]
	v_cvt_f32_f64_e32 v91, v[93:94]
	v_cvt_f32_f64_e32 v92, v[97:98]
	v_min3_f32 v87, v99, v87, v160
	v_min_f32_e32 v88, v88, v89
	v_cvt_f32_f64_e32 v85, v[85:86]
	v_min3_f32 v84, v84, v88, v87
	v_add_co_u32 v88, vcc_lo, v80, v132
	v_add_co_ci_u32_e64 v89, null, v81, v133, vcc_lo
	v_cvt_f64_f32_e32 v[86:87], v84
	v_min3_f32 v84, v90, v91, v161
	s_mov_b32 vcc_lo, s0
	v_min3_f32 v84, v92, v85, v84
	v_max_f32_e32 v85, v84, v84
	;; [unrolled: 59-line block ×3, first 2 shown]
	global_store_dwordx2 v[88:89], v[86:87], off
	s_cbranch_vccz .LBB174_143
; %bb.142:
	v_min_f32_e32 v84, 0, v85
	v_add_co_u32 v88, vcc_lo, v80, v142
	v_add_co_ci_u32_e64 v89, null, v81, v143, vcc_lo
	v_cvt_f64_f32_e32 v[86:87], v84
	s_mov_b32 s7, 0
	global_store_dwordx2 v[88:89], v[86:87], off
.LBB174_143:
	v_mov_b32_e32 v84, 0
	s_andn2_b32 vcc_lo, exec_lo, s7
	s_cbranch_vccnz .LBB174_145
; %bb.144:
	v_add_co_u32 v86, vcc_lo, v82, v142
	v_add_co_ci_u32_e64 v87, null, v83, v143, vcc_lo
	global_load_dwordx2 v[86:87], v[86:87], off
	s_waitcnt vmcnt(0)
	v_mul_f64 v[86:87], s[12:13], v[86:87]
	v_cvt_f32_f64_e32 v84, v[86:87]
	v_add_co_u32 v86, vcc_lo, v80, v142
	v_add_co_ci_u32_e64 v87, null, v81, v143, vcc_lo
	v_add_co_u32 v82, vcc_lo, v82, v138
	v_add_co_ci_u32_e64 v83, null, v83, v139, vcc_lo
	v_min_f32_e32 v84, v84, v85
	v_cvt_f64_f32_e32 v[84:85], v84
	global_store_dwordx2 v[86:87], v[84:85], off
	global_load_dwordx2 v[82:83], v[82:83], off
	s_waitcnt vmcnt(0)
	v_mul_f64 v[82:83], s[12:13], v[82:83]
	v_cvt_f32_f64_e32 v84, v[82:83]
.LBB174_145:
	v_add_f64 v[76:77], v[0:1], v[76:77]
	v_add_f64 v[78:79], v[2:3], v[78:79]
	;; [unrolled: 1-line block ×4, first 2 shown]
	s_waitcnt lgkmcnt(1)
	v_add_f64 v[70:71], v[70:71], v[10:11]
	v_add_f64 v[68:69], v[68:69], v[8:9]
	s_waitcnt lgkmcnt(0)
	v_add_f64 v[64:65], v[64:65], v[12:13]
	v_add_f64 v[66:67], v[66:67], v[14:15]
	v_cvt_f32_f64_e32 v76, v[76:77]
	v_cvt_f32_f64_e32 v77, v[78:79]
	;; [unrolled: 1-line block ×8, first 2 shown]
	v_min3_f32 v70, v76, v77, v157
	v_min_f32_e32 v71, v72, v73
	v_add_nc_u32_e32 v72, 0xe0, v144
	v_min3_f32 v68, v68, v69, v156
	v_min3_f32 v66, v84, v71, v70
	v_mad_i64_i32 v[64:65], null, v72, s6, 0
	v_min3_f32 v68, v74, v75, v68
	v_cvt_f64_f32_e32 v[70:71], v66
	v_mad_i64_i32 v[66:67], null, v72, s1, 0
	v_add_co_u32 v72, vcc_lo, v80, v138
	v_lshlrev_b64 v[64:65], 3, v[64:65]
	v_add_co_ci_u32_e64 v73, null, v81, v139, vcc_lo
	v_max_f32_e32 v69, v68, v68
	v_lshlrev_b64 v[66:67], 3, v[66:67]
	s_mov_b32 s1, -1
	v_add_co_u32 v64, vcc_lo, s4, v64
	v_add_co_ci_u32_e64 v65, null, s5, v65, vcc_lo
	v_add_co_u32 v66, vcc_lo, s2, v66
	v_add_co_ci_u32_e64 v67, null, s3, v67, vcc_lo
	s_mov_b32 vcc_lo, s0
	global_store_dwordx2 v[72:73], v[70:71], off
	s_cbranch_vccz .LBB174_147
; %bb.146:
	v_min_f32_e32 v68, 0, v69
	v_add_co_u32 v72, vcc_lo, v64, v130
	v_add_co_ci_u32_e64 v73, null, v65, v131, vcc_lo
	v_cvt_f64_f32_e32 v[70:71], v68
	s_mov_b32 s1, 0
	global_store_dwordx2 v[72:73], v[70:71], off
.LBB174_147:
	v_mov_b32_e32 v68, 0
	s_andn2_b32 vcc_lo, exec_lo, s1
	s_cbranch_vccnz .LBB174_149
; %bb.148:
	v_add_co_u32 v70, vcc_lo, v66, v130
	v_add_co_ci_u32_e64 v71, null, v67, v131, vcc_lo
	global_load_dwordx2 v[70:71], v[70:71], off
	s_waitcnt vmcnt(0)
	v_mul_f64 v[70:71], s[12:13], v[70:71]
	v_cvt_f32_f64_e32 v68, v[70:71]
	v_add_co_u32 v70, vcc_lo, v64, v130
	v_add_co_ci_u32_e64 v71, null, v65, v131, vcc_lo
	v_add_co_u32 v72, vcc_lo, v66, v128
	v_add_co_ci_u32_e64 v73, null, v67, v129, vcc_lo
	v_min_f32_e32 v68, v68, v69
	v_cvt_f64_f32_e32 v[68:69], v68
	global_store_dwordx2 v[70:71], v[68:69], off
	global_load_dwordx2 v[68:69], v[72:73], off
	s_waitcnt vmcnt(0)
	v_mul_f64 v[68:69], s[12:13], v[68:69]
	v_cvt_f32_f64_e32 v68, v[68:69]
.LBB174_149:
	v_add_f64 v[60:61], v[60:61], v[8:9]
	v_add_f64 v[62:63], v[62:63], v[10:11]
	;; [unrolled: 1-line block ×8, first 2 shown]
	s_mov_b32 s1, -1
	v_cvt_f32_f64_e32 v60, v[60:61]
	v_cvt_f32_f64_e32 v61, v[62:63]
	;; [unrolled: 1-line block ×8, first 2 shown]
	v_min3_f32 v37, v60, v61, v155
	v_min_f32_e32 v50, v52, v53
	v_min3_f32 v37, v68, v50, v37
	v_cvt_f64_f32_e32 v[38:39], v37
	v_min3_f32 v37, v48, v49, v154
	v_add_co_u32 v48, vcc_lo, v64, v128
	v_add_co_ci_u32_e64 v49, null, v65, v129, vcc_lo
	v_min3_f32 v36, v36, v51, v37
	s_mov_b32 vcc_lo, s0
	v_max_f32_e32 v37, v36, v36
	global_store_dwordx2 v[48:49], v[38:39], off
	s_cbranch_vccz .LBB174_151
; %bb.150:
	v_min_f32_e32 v36, 0, v37
	v_add_co_u32 v48, vcc_lo, v64, v136
	v_add_co_ci_u32_e64 v49, null, v65, v137, vcc_lo
	v_cvt_f64_f32_e32 v[38:39], v36
	s_mov_b32 s1, 0
	global_store_dwordx2 v[48:49], v[38:39], off
.LBB174_151:
	v_mov_b32_e32 v36, 0
	s_andn2_b32 vcc_lo, exec_lo, s1
	s_cbranch_vccnz .LBB174_153
; %bb.152:
	v_add_co_u32 v38, vcc_lo, v66, v136
	v_add_co_ci_u32_e64 v39, null, v67, v137, vcc_lo
	global_load_dwordx2 v[38:39], v[38:39], off
	s_waitcnt vmcnt(0)
	v_mul_f64 v[38:39], s[12:13], v[38:39]
	v_cvt_f32_f64_e32 v36, v[38:39]
	v_add_co_u32 v38, vcc_lo, v64, v136
	v_add_co_ci_u32_e64 v39, null, v65, v137, vcc_lo
	v_add_co_u32 v48, vcc_lo, v66, v132
	v_add_co_ci_u32_e64 v49, null, v67, v133, vcc_lo
	v_min_f32_e32 v36, v36, v37
	v_cvt_f64_f32_e32 v[36:37], v36
	global_store_dwordx2 v[38:39], v[36:37], off
	global_load_dwordx2 v[36:37], v[48:49], off
	s_waitcnt vmcnt(0)
	v_mul_f64 v[36:37], s[12:13], v[36:37]
	v_cvt_f32_f64_e32 v36, v[36:37]
.LBB174_153:
	v_add_f64 v[37:38], v[56:57], v[8:9]
	v_add_f64 v[48:49], v[58:59], v[10:11]
	v_add_f64 v[44:45], v[44:45], v[12:13]
	v_add_f64 v[46:47], v[46:47], v[14:15]
	v_add_f64 v[42:43], v[42:43], v[10:11]
	v_add_f64 v[39:40], v[40:41], v[8:9]
	v_add_f64 v[32:33], v[32:33], v[12:13]
	v_add_f64 v[34:35], v[34:35], v[14:15]
	s_mov_b32 s1, -1
	v_cvt_f32_f64_e32 v37, v[37:38]
	v_cvt_f32_f64_e32 v38, v[48:49]
	;; [unrolled: 1-line block ×7, first 2 shown]
	v_min3_f32 v33, v37, v38, v152
	v_cvt_f32_f64_e32 v38, v[34:35]
	v_min_f32_e32 v37, v41, v44
	v_min3_f32 v33, v36, v37, v33
	v_add_co_u32 v36, vcc_lo, v64, v132
	v_add_co_ci_u32_e64 v37, null, v65, v133, vcc_lo
	v_cvt_f64_f32_e32 v[34:35], v33
	v_min3_f32 v33, v39, v40, v153
	s_mov_b32 vcc_lo, s0
	v_min3_f32 v32, v32, v38, v33
	v_max_f32_e32 v33, v32, v32
	global_store_dwordx2 v[36:37], v[34:35], off
	s_cbranch_vccz .LBB174_155
; %bb.154:
	v_min_f32_e32 v32, 0, v33
	v_add_co_u32 v36, vcc_lo, v64, v140
	v_add_co_ci_u32_e64 v37, null, v65, v141, vcc_lo
	v_cvt_f64_f32_e32 v[34:35], v32
	s_mov_b32 s1, 0
	global_store_dwordx2 v[36:37], v[34:35], off
.LBB174_155:
	v_mov_b32_e32 v32, 0
	s_andn2_b32 vcc_lo, exec_lo, s1
	s_cbranch_vccnz .LBB174_157
; %bb.156:
	v_add_co_u32 v34, vcc_lo, v66, v140
	v_add_co_ci_u32_e64 v35, null, v67, v141, vcc_lo
	global_load_dwordx2 v[34:35], v[34:35], off
	s_waitcnt vmcnt(0)
	v_mul_f64 v[34:35], s[12:13], v[34:35]
	v_cvt_f32_f64_e32 v32, v[34:35]
	v_add_co_u32 v34, vcc_lo, v64, v140
	v_add_co_ci_u32_e64 v35, null, v65, v141, vcc_lo
	v_add_co_u32 v36, vcc_lo, v66, v134
	v_add_co_ci_u32_e64 v37, null, v67, v135, vcc_lo
	v_min_f32_e32 v32, v32, v33
	v_cvt_f64_f32_e32 v[32:33], v32
	global_store_dwordx2 v[34:35], v[32:33], off
	global_load_dwordx2 v[32:33], v[36:37], off
	s_waitcnt vmcnt(0)
	v_mul_f64 v[32:33], s[12:13], v[32:33]
	v_cvt_f32_f64_e32 v32, v[32:33]
.LBB174_157:
	v_add_f64 v[28:29], v[28:29], v[8:9]
	v_add_f64 v[30:31], v[30:31], v[10:11]
	;; [unrolled: 1-line block ×8, first 2 shown]
	s_mov_b32 s1, -1
	v_cvt_f32_f64_e32 v28, v[28:29]
	v_cvt_f32_f64_e32 v29, v[30:31]
	;; [unrolled: 1-line block ×8, first 2 shown]
	v_min3_f32 v17, v28, v29, v150
	v_min_f32_e32 v22, v24, v25
	v_min3_f32 v17, v32, v22, v17
	v_cvt_f64_f32_e32 v[18:19], v17
	v_min3_f32 v17, v20, v21, v151
	v_add_co_u32 v20, vcc_lo, v64, v134
	v_add_co_ci_u32_e64 v21, null, v65, v135, vcc_lo
	v_min3_f32 v16, v16, v23, v17
	s_mov_b32 vcc_lo, s0
	v_max_f32_e32 v17, v16, v16
	global_store_dwordx2 v[20:21], v[18:19], off
	s_cbranch_vccz .LBB174_159
; %bb.158:
	v_min_f32_e32 v16, 0, v17
	v_add_co_u32 v20, vcc_lo, v64, v142
	v_add_co_ci_u32_e64 v21, null, v65, v143, vcc_lo
	v_cvt_f64_f32_e32 v[18:19], v16
	s_mov_b32 s1, 0
	global_store_dwordx2 v[20:21], v[18:19], off
.LBB174_159:
	v_mov_b32_e32 v16, 0
	s_andn2_b32 vcc_lo, exec_lo, s1
	s_cbranch_vccnz .LBB174_161
; %bb.160:
	v_add_co_u32 v18, vcc_lo, v66, v142
	v_add_co_ci_u32_e64 v19, null, v67, v143, vcc_lo
	global_load_dwordx2 v[18:19], v[18:19], off
	s_waitcnt vmcnt(0)
	v_mul_f64 v[18:19], s[12:13], v[18:19]
	v_cvt_f32_f64_e32 v16, v[18:19]
	v_add_co_u32 v18, vcc_lo, v64, v142
	v_add_co_ci_u32_e64 v19, null, v65, v143, vcc_lo
	v_add_co_u32 v20, vcc_lo, v66, v138
	v_add_co_ci_u32_e64 v21, null, v67, v139, vcc_lo
	v_min_f32_e32 v16, v16, v17
	v_cvt_f64_f32_e32 v[16:17], v16
	global_store_dwordx2 v[18:19], v[16:17], off
	global_load_dwordx2 v[16:17], v[20:21], off
	s_waitcnt vmcnt(0)
	v_mul_f64 v[16:17], s[12:13], v[16:17]
	v_cvt_f32_f64_e32 v16, v[16:17]
.LBB174_161:
	v_add_f64 v[4:5], v[4:5], v[12:13]
	v_add_f64 v[6:7], v[6:7], v[14:15]
	;; [unrolled: 1-line block ×4, first 2 shown]
	v_cvt_f32_f64_e32 v4, v[4:5]
	v_cvt_f32_f64_e32 v5, v[6:7]
	;; [unrolled: 1-line block ×4, first 2 shown]
	v_min_f32_e32 v2, v4, v5
	v_min3_f32 v0, v0, v1, v149
	v_min3_f32 v0, v16, v2, v0
	v_add_co_u32 v2, vcc_lo, v64, v138
	v_add_co_ci_u32_e64 v3, null, v65, v139, vcc_lo
	v_cvt_f64_f32_e32 v[0:1], v0
	global_store_dwordx2 v[2:3], v[0:1], off
	s_endpgm
	.section	.rodata,"a",@progbits
	.p2align	6, 0x0
	.amdhsa_kernel _ZN12_GLOBAL__N_120geam_min_plus_kernelId15HIP_vector_typeIdLj2EEdLi8ELi32ELi64ELi256ELi4ELi4ELi64ELi64ELi4ELc84ELc84ELb0ELb0ELb1EPKdS3_dEEviiiT16_PT17_ilS7_ilS5_S7_ilPT18_ili26rocblas_geam_ex_operation_
		.amdhsa_group_segment_fixed_size 20480
		.amdhsa_private_segment_fixed_size 0
		.amdhsa_kernarg_size 136
		.amdhsa_user_sgpr_count 6
		.amdhsa_user_sgpr_private_segment_buffer 1
		.amdhsa_user_sgpr_dispatch_ptr 0
		.amdhsa_user_sgpr_queue_ptr 0
		.amdhsa_user_sgpr_kernarg_segment_ptr 1
		.amdhsa_user_sgpr_dispatch_id 0
		.amdhsa_user_sgpr_flat_scratch_init 0
		.amdhsa_user_sgpr_private_segment_size 0
		.amdhsa_wavefront_size32 1
		.amdhsa_uses_dynamic_stack 0
		.amdhsa_system_sgpr_private_segment_wavefront_offset 0
		.amdhsa_system_sgpr_workgroup_id_x 1
		.amdhsa_system_sgpr_workgroup_id_y 0
		.amdhsa_system_sgpr_workgroup_id_z 1
		.amdhsa_system_sgpr_workgroup_info 0
		.amdhsa_system_vgpr_workitem_id 1
		.amdhsa_next_free_vgpr 227
		.amdhsa_next_free_sgpr 26
		.amdhsa_reserve_vcc 1
		.amdhsa_reserve_flat_scratch 0
		.amdhsa_float_round_mode_32 0
		.amdhsa_float_round_mode_16_64 0
		.amdhsa_float_denorm_mode_32 3
		.amdhsa_float_denorm_mode_16_64 3
		.amdhsa_dx10_clamp 1
		.amdhsa_ieee_mode 1
		.amdhsa_fp16_overflow 0
		.amdhsa_workgroup_processor_mode 1
		.amdhsa_memory_ordered 1
		.amdhsa_forward_progress 1
		.amdhsa_shared_vgpr_count 0
		.amdhsa_exception_fp_ieee_invalid_op 0
		.amdhsa_exception_fp_denorm_src 0
		.amdhsa_exception_fp_ieee_div_zero 0
		.amdhsa_exception_fp_ieee_overflow 0
		.amdhsa_exception_fp_ieee_underflow 0
		.amdhsa_exception_fp_ieee_inexact 0
		.amdhsa_exception_int_div_zero 0
	.end_amdhsa_kernel
	.section	.text._ZN12_GLOBAL__N_120geam_min_plus_kernelId15HIP_vector_typeIdLj2EEdLi8ELi32ELi64ELi256ELi4ELi4ELi64ELi64ELi4ELc84ELc84ELb0ELb0ELb1EPKdS3_dEEviiiT16_PT17_ilS7_ilS5_S7_ilPT18_ili26rocblas_geam_ex_operation_,"axG",@progbits,_ZN12_GLOBAL__N_120geam_min_plus_kernelId15HIP_vector_typeIdLj2EEdLi8ELi32ELi64ELi256ELi4ELi4ELi64ELi64ELi4ELc84ELc84ELb0ELb0ELb1EPKdS3_dEEviiiT16_PT17_ilS7_ilS5_S7_ilPT18_ili26rocblas_geam_ex_operation_,comdat
.Lfunc_end174:
	.size	_ZN12_GLOBAL__N_120geam_min_plus_kernelId15HIP_vector_typeIdLj2EEdLi8ELi32ELi64ELi256ELi4ELi4ELi64ELi64ELi4ELc84ELc84ELb0ELb0ELb1EPKdS3_dEEviiiT16_PT17_ilS7_ilS5_S7_ilPT18_ili26rocblas_geam_ex_operation_, .Lfunc_end174-_ZN12_GLOBAL__N_120geam_min_plus_kernelId15HIP_vector_typeIdLj2EEdLi8ELi32ELi64ELi256ELi4ELi4ELi64ELi64ELi4ELc84ELc84ELb0ELb0ELb1EPKdS3_dEEviiiT16_PT17_ilS7_ilS5_S7_ilPT18_ili26rocblas_geam_ex_operation_
                                        ; -- End function
	.set _ZN12_GLOBAL__N_120geam_min_plus_kernelId15HIP_vector_typeIdLj2EEdLi8ELi32ELi64ELi256ELi4ELi4ELi64ELi64ELi4ELc84ELc84ELb0ELb0ELb1EPKdS3_dEEviiiT16_PT17_ilS7_ilS5_S7_ilPT18_ili26rocblas_geam_ex_operation_.num_vgpr, 227
	.set _ZN12_GLOBAL__N_120geam_min_plus_kernelId15HIP_vector_typeIdLj2EEdLi8ELi32ELi64ELi256ELi4ELi4ELi64ELi64ELi4ELc84ELc84ELb0ELb0ELb1EPKdS3_dEEviiiT16_PT17_ilS7_ilS5_S7_ilPT18_ili26rocblas_geam_ex_operation_.num_agpr, 0
	.set _ZN12_GLOBAL__N_120geam_min_plus_kernelId15HIP_vector_typeIdLj2EEdLi8ELi32ELi64ELi256ELi4ELi4ELi64ELi64ELi4ELc84ELc84ELb0ELb0ELb1EPKdS3_dEEviiiT16_PT17_ilS7_ilS5_S7_ilPT18_ili26rocblas_geam_ex_operation_.numbered_sgpr, 26
	.set _ZN12_GLOBAL__N_120geam_min_plus_kernelId15HIP_vector_typeIdLj2EEdLi8ELi32ELi64ELi256ELi4ELi4ELi64ELi64ELi4ELc84ELc84ELb0ELb0ELb1EPKdS3_dEEviiiT16_PT17_ilS7_ilS5_S7_ilPT18_ili26rocblas_geam_ex_operation_.num_named_barrier, 0
	.set _ZN12_GLOBAL__N_120geam_min_plus_kernelId15HIP_vector_typeIdLj2EEdLi8ELi32ELi64ELi256ELi4ELi4ELi64ELi64ELi4ELc84ELc84ELb0ELb0ELb1EPKdS3_dEEviiiT16_PT17_ilS7_ilS5_S7_ilPT18_ili26rocblas_geam_ex_operation_.private_seg_size, 0
	.set _ZN12_GLOBAL__N_120geam_min_plus_kernelId15HIP_vector_typeIdLj2EEdLi8ELi32ELi64ELi256ELi4ELi4ELi64ELi64ELi4ELc84ELc84ELb0ELb0ELb1EPKdS3_dEEviiiT16_PT17_ilS7_ilS5_S7_ilPT18_ili26rocblas_geam_ex_operation_.uses_vcc, 1
	.set _ZN12_GLOBAL__N_120geam_min_plus_kernelId15HIP_vector_typeIdLj2EEdLi8ELi32ELi64ELi256ELi4ELi4ELi64ELi64ELi4ELc84ELc84ELb0ELb0ELb1EPKdS3_dEEviiiT16_PT17_ilS7_ilS5_S7_ilPT18_ili26rocblas_geam_ex_operation_.uses_flat_scratch, 0
	.set _ZN12_GLOBAL__N_120geam_min_plus_kernelId15HIP_vector_typeIdLj2EEdLi8ELi32ELi64ELi256ELi4ELi4ELi64ELi64ELi4ELc84ELc84ELb0ELb0ELb1EPKdS3_dEEviiiT16_PT17_ilS7_ilS5_S7_ilPT18_ili26rocblas_geam_ex_operation_.has_dyn_sized_stack, 0
	.set _ZN12_GLOBAL__N_120geam_min_plus_kernelId15HIP_vector_typeIdLj2EEdLi8ELi32ELi64ELi256ELi4ELi4ELi64ELi64ELi4ELc84ELc84ELb0ELb0ELb1EPKdS3_dEEviiiT16_PT17_ilS7_ilS5_S7_ilPT18_ili26rocblas_geam_ex_operation_.has_recursion, 0
	.set _ZN12_GLOBAL__N_120geam_min_plus_kernelId15HIP_vector_typeIdLj2EEdLi8ELi32ELi64ELi256ELi4ELi4ELi64ELi64ELi4ELc84ELc84ELb0ELb0ELb1EPKdS3_dEEviiiT16_PT17_ilS7_ilS5_S7_ilPT18_ili26rocblas_geam_ex_operation_.has_indirect_call, 0
	.section	.AMDGPU.csdata,"",@progbits
; Kernel info:
; codeLenInByte = 27200
; TotalNumSgprs: 28
; NumVgprs: 227
; ScratchSize: 0
; MemoryBound: 1
; FloatMode: 240
; IeeeMode: 1
; LDSByteSize: 20480 bytes/workgroup (compile time only)
; SGPRBlocks: 0
; VGPRBlocks: 28
; NumSGPRsForWavesPerEU: 28
; NumVGPRsForWavesPerEU: 227
; Occupancy: 4
; WaveLimiterHint : 1
; COMPUTE_PGM_RSRC2:SCRATCH_EN: 0
; COMPUTE_PGM_RSRC2:USER_SGPR: 6
; COMPUTE_PGM_RSRC2:TRAP_HANDLER: 0
; COMPUTE_PGM_RSRC2:TGID_X_EN: 1
; COMPUTE_PGM_RSRC2:TGID_Y_EN: 0
; COMPUTE_PGM_RSRC2:TGID_Z_EN: 1
; COMPUTE_PGM_RSRC2:TIDIG_COMP_CNT: 1
	.section	.text._ZN12_GLOBAL__N_120geam_min_plus_kernelId15HIP_vector_typeIdLj2EEdLi8ELi32ELi64ELi256ELi4ELi4ELi64ELi64ELi4ELc84ELc84ELb1ELb0ELb1EdKddEEviiiT16_PT17_ilS6_ilS4_S6_ilPT18_ili26rocblas_geam_ex_operation_,"axG",@progbits,_ZN12_GLOBAL__N_120geam_min_plus_kernelId15HIP_vector_typeIdLj2EEdLi8ELi32ELi64ELi256ELi4ELi4ELi64ELi64ELi4ELc84ELc84ELb1ELb0ELb1EdKddEEviiiT16_PT17_ilS6_ilS4_S6_ilPT18_ili26rocblas_geam_ex_operation_,comdat
	.globl	_ZN12_GLOBAL__N_120geam_min_plus_kernelId15HIP_vector_typeIdLj2EEdLi8ELi32ELi64ELi256ELi4ELi4ELi64ELi64ELi4ELc84ELc84ELb1ELb0ELb1EdKddEEviiiT16_PT17_ilS6_ilS4_S6_ilPT18_ili26rocblas_geam_ex_operation_ ; -- Begin function _ZN12_GLOBAL__N_120geam_min_plus_kernelId15HIP_vector_typeIdLj2EEdLi8ELi32ELi64ELi256ELi4ELi4ELi64ELi64ELi4ELc84ELc84ELb1ELb0ELb1EdKddEEviiiT16_PT17_ilS6_ilS4_S6_ilPT18_ili26rocblas_geam_ex_operation_
	.p2align	8
	.type	_ZN12_GLOBAL__N_120geam_min_plus_kernelId15HIP_vector_typeIdLj2EEdLi8ELi32ELi64ELi256ELi4ELi4ELi64ELi64ELi4ELc84ELc84ELb1ELb0ELb1EdKddEEviiiT16_PT17_ilS6_ilS4_S6_ilPT18_ili26rocblas_geam_ex_operation_,@function
_ZN12_GLOBAL__N_120geam_min_plus_kernelId15HIP_vector_typeIdLj2EEdLi8ELi32ELi64ELi256ELi4ELi4ELi64ELi64ELi4ELc84ELc84ELb1ELb0ELb1EdKddEEviiiT16_PT17_ilS6_ilS4_S6_ilPT18_ili26rocblas_geam_ex_operation_: ; @_ZN12_GLOBAL__N_120geam_min_plus_kernelId15HIP_vector_typeIdLj2EEdLi8ELi32ELi64ELi256ELi4ELi4ELi64ELi64ELi4ELc84ELc84ELb1ELb0ELb1EdKddEEviiiT16_PT17_ilS6_ilS4_S6_ilPT18_ili26rocblas_geam_ex_operation_
; %bb.0:
	s_clause 0x1
	s_load_dwordx4 s[0:3], s[4:5], 0x10
	s_load_dwordx4 s[8:11], s[4:5], 0x28
	s_mov_b64 s[14:15], 0
	s_waitcnt lgkmcnt(0)
	v_cmp_eq_f64_e64 s12, s[0:1], 0
	s_and_b32 vcc_lo, exec_lo, s12
	s_cbranch_vccnz .LBB175_2
; %bb.1:
	s_mul_i32 s0, s9, s7
	s_mul_hi_u32 s1, s8, s7
	s_add_i32 s1, s1, s0
	s_mul_i32 s0, s8, s7
	s_lshl_b64 s[0:1], s[0:1], 3
	s_add_u32 s14, s2, s0
	s_addc_u32 s15, s3, s1
.LBB175_2:
	s_clause 0x1
	s_load_dwordx4 s[0:3], s[4:5], 0x40
	s_load_dwordx2 s[18:19], s[4:5], 0x50
	s_andn2_b32 vcc_lo, exec_lo, s12
	s_mov_b32 s8, -1
	s_cbranch_vccnz .LBB175_4
; %bb.3:
	s_mov_b32 s8, 0
.LBB175_4:
	s_mov_b64 s[12:13], 0
	s_andn2_b32 vcc_lo, exec_lo, s8
	s_mov_b64 s[16:17], 0
	s_cbranch_vccnz .LBB175_6
; %bb.5:
	s_waitcnt lgkmcnt(0)
	s_mul_i32 s1, s1, s7
	s_mul_hi_u32 s8, s0, s7
	s_mul_i32 s0, s0, s7
	s_add_i32 s1, s8, s1
	s_lshl_b64 s[0:1], s[0:1], 3
	s_add_u32 s16, s10, s0
	s_addc_u32 s17, s11, s1
.LBB175_6:
	s_waitcnt lgkmcnt(0)
	v_cmp_eq_f64_e64 s0, s[2:3], 0
	s_load_dwordx4 s[8:11], s[4:5], 0x60
	s_and_b32 s0, exec_lo, s0
	s_mov_b32 vcc_lo, s0
	s_cbranch_vccnz .LBB175_8
; %bb.7:
	s_waitcnt lgkmcnt(0)
	s_mul_i32 s1, s9, s7
	s_mul_hi_u32 s9, s8, s7
	s_mul_i32 s8, s8, s7
	s_add_i32 s9, s9, s1
	s_lshl_b64 s[8:9], s[8:9], 3
	s_add_u32 s12, s18, s8
	s_addc_u32 s13, s19, s9
.LBB175_8:
	s_clause 0x1
	s_load_dword s1, s[4:5], 0x0
	s_load_dword s18, s[4:5], 0x8
	s_waitcnt lgkmcnt(0)
	s_clause 0x1
	s_load_dword s9, s[4:5], 0x20
	s_load_dword s8, s[4:5], 0x38
	v_and_b32_e32 v4, 3, v0
	v_lshlrev_b32_e32 v80, 5, v0
	v_lshlrev_b32_e32 v132, 5, v1
	;; [unrolled: 1-line block ×3, first 2 shown]
	s_add_i32 s1, s1, -1
	s_ashr_i32 s19, s1, 31
	s_lshr_b32 s19, s19, 26
	s_add_i32 s1, s1, s19
	s_ashr_i32 s1, s1, 6
	s_add_i32 s19, s1, 1
	s_not_b32 s1, s1
	v_cvt_f32_u32_e32 v2, s19
	v_rcp_iflag_f32_e32 v2, v2
	v_mul_f32_e32 v2, 0x4f7ffffe, v2
	v_cvt_u32_f32_e32 v2, v2
	v_readfirstlane_b32 s20, v2
	v_lshl_add_u32 v2, v1, 3, v0
	s_mul_i32 s1, s1, s20
	v_lshrrev_b32_e32 v14, 2, v2
	s_mul_hi_u32 s1, s20, s1
	v_and_b32_e32 v15, 63, v2
	s_add_i32 s20, s20, s1
	v_lshrrev_b32_e32 v88, 6, v2
	s_mul_hi_u32 s1, s6, s20
	v_lshl_or_b32 v84, v14, 5, v89
	s_mul_i32 s20, s1, s19
	s_add_i32 s21, s1, 1
	s_sub_i32 s20, s6, s20
	s_waitcnt lgkmcnt(0)
	v_mad_i64_i32 v[7:8], null, s8, v88, 0
	s_sub_i32 s22, s20, s19
	s_cmp_ge_u32 s20, s19
	s_cselect_b32 s1, s21, s1
	s_cselect_b32 s20, s22, s20
	s_add_i32 s21, s1, 1
	s_cmp_ge_u32 s20, s19
	v_lshlrev_b64 v[7:8], 3, v[7:8]
	s_cselect_b32 s20, s21, s1
	s_mul_i32 s1, s20, s19
	s_sub_i32 s1, s6, s1
	s_lshl_b32 s6, s20, 8
	s_lshl_b32 s1, s1, 6
	v_or_b32_e32 v6, s6, v15
	v_add_nc_u32_e32 v2, s1, v14
	s_cmp_lt_i32 s18, 9
	v_mad_i64_i32 v[2:3], null, v2, s9, 0
	v_lshlrev_b64 v[68:69], 3, v[2:3]
	v_add_co_u32 v2, vcc_lo, s14, v68
	v_add_co_ci_u32_e64 v3, null, s15, v69, vcc_lo
	v_add_co_u32 v2, vcc_lo, v2, v89
	v_add_co_ci_u32_e64 v3, null, 0, v3, vcc_lo
	v_add_co_u32 v9, vcc_lo, s16, v7
	v_ashrrev_i32_e32 v7, 31, v6
	v_add_co_ci_u32_e64 v8, null, s17, v8, vcc_lo
	global_load_dwordx2 v[4:5], v[2:3], off
	v_lshlrev_b64 v[66:67], 3, v[6:7]
	v_add_co_u32 v6, vcc_lo, v9, v66
	v_add_co_ci_u32_e64 v7, null, v8, v67, vcc_lo
	s_clause 0x3
	global_load_dwordx2 v[8:9], v[6:7], off
	global_load_dwordx2 v[10:11], v[6:7], off offset:512
	global_load_dwordx2 v[12:13], v[6:7], off offset:1024
	;; [unrolled: 1-line block ×4, first 2 shown]
	v_add_nc_u32_e32 v2, 4, v88
	v_mad_i64_i32 v[2:3], null, s8, v2, 0
	v_lshlrev_b64 v[2:3], 3, v[2:3]
	v_add_co_u32 v2, vcc_lo, s16, v2
	v_add_co_ci_u32_e64 v3, null, s17, v3, vcc_lo
	v_add_co_u32 v2, vcc_lo, v2, v66
	v_add_co_ci_u32_e64 v3, null, v3, v67, vcc_lo
	s_clause 0x3
	global_load_dwordx2 v[76:77], v[2:3], off
	global_load_dwordx2 v[78:79], v[2:3], off offset:512
	global_load_dwordx2 v[70:71], v[2:3], off offset:1024
	;; [unrolled: 1-line block ×3, first 2 shown]
	v_lshlrev_b32_e32 v2, 5, v15
	v_lshl_add_u32 v81, v88, 3, v2
	s_waitcnt vmcnt(9)
	ds_write_b64 v84, v[4:5] offset:16384
	s_waitcnt vmcnt(7)
	ds_write2st64_b64 v81, v[8:9], v[10:11] offset1:4
	s_waitcnt vmcnt(5)
	ds_write2st64_b64 v81, v[12:13], v[6:7] offset0:8 offset1:12
	s_waitcnt vmcnt(0) lgkmcnt(0)
	s_barrier
	buffer_gl0_inv
	ds_read_b128 v[10:13], v80 offset:16640
	ds_read_b128 v[14:17], v80 offset:16896
	;; [unrolled: 1-line block ×16, first 2 shown]
	ds_read_b128 v[94:97], v132
	ds_read_b128 v[6:9], v132 offset:16
	s_waitcnt lgkmcnt(1)
	v_add_f64 v[82:83], v[152:153], v[96:97]
	v_add_f64 v[85:86], v[150:151], v[94:95]
	v_cvt_f32_f64_e32 v82, v[82:83]
	v_cvt_f32_f64_e32 v85, v[85:86]
	v_min3_f32 v93, v85, v82, 0x7f800000
	v_add_f64 v[82:83], v[12:13], v[96:97]
	v_add_f64 v[85:86], v[10:11], v[94:95]
	v_cvt_f32_f64_e32 v82, v[82:83]
	v_cvt_f32_f64_e32 v85, v[85:86]
	v_min3_f32 v92, v85, v82, 0x7f800000
	;; [unrolled: 5-line block ×14, first 2 shown]
	v_add_f64 v[82:83], v[32:33], v[40:41]
	v_add_f64 v[85:86], v[30:31], v[38:39]
	;; [unrolled: 1-line block ×4, first 2 shown]
	v_cvt_f32_f64_e32 v82, v[82:83]
	v_cvt_f32_f64_e32 v85, v[85:86]
	v_cvt_f32_f64_e32 v38, v[38:39]
	v_cvt_f32_f64_e32 v39, v[40:41]
	v_add_f64 v[40:41], v[150:151], v[42:43]
	v_min3_f32 v140, v85, v82, 0x7f800000
	v_min3_f32 v139, v38, v39, 0x7f800000
	v_add_f64 v[38:39], v[152:153], v[44:45]
	v_cvt_f32_f64_e32 v40, v[40:41]
	v_cvt_f32_f64_e32 v38, v[38:39]
	v_min3_f32 v138, v40, v38, 0x7f800000
	v_add_f64 v[38:39], v[12:13], v[44:45]
	v_add_f64 v[40:41], v[10:11], v[42:43]
	v_cvt_f32_f64_e32 v38, v[38:39]
	v_cvt_f32_f64_e32 v40, v[40:41]
	v_min3_f32 v137, v40, v38, 0x7f800000
	v_add_f64 v[38:39], v[16:17], v[44:45]
	;; [unrolled: 5-line block ×33, first 2 shown]
	v_add_f64 v[40:41], v[10:11], v[58:59]
	v_add_f64 v[12:13], v[12:13], v[64:65]
	;; [unrolled: 1-line block ×3, first 2 shown]
	v_cvt_f32_f64_e32 v38, v[38:39]
	v_cvt_f32_f64_e32 v40, v[40:41]
	;; [unrolled: 1-line block ×4, first 2 shown]
	v_add_f64 v[12:13], v[14:15], v[62:63]
	v_min3_f32 v101, v40, v38, 0x7f800000
	v_add_f64 v[38:39], v[16:17], v[60:61]
	v_add_f64 v[40:41], v[14:15], v[58:59]
	v_min3_f32 v91, v10, v11, 0x7f800000
	v_add_f64 v[10:11], v[16:17], v[64:65]
	v_cvt_f32_f64_e32 v12, v[12:13]
	v_cvt_f32_f64_e32 v38, v[38:39]
	v_cvt_f32_f64_e32 v40, v[40:41]
	v_cvt_f32_f64_e32 v10, v[10:11]
	v_min3_f32 v100, v40, v38, 0x7f800000
	v_add_f64 v[38:39], v[20:21], v[60:61]
	v_add_f64 v[40:41], v[18:19], v[58:59]
	v_min3_f32 v90, v12, v10, 0x7f800000
	v_add_f64 v[10:11], v[20:21], v[64:65]
	v_add_f64 v[12:13], v[18:19], v[62:63]
	v_cvt_f32_f64_e32 v38, v[38:39]
	v_cvt_f32_f64_e32 v40, v[40:41]
	v_cvt_f32_f64_e32 v10, v[10:11]
	v_cvt_f32_f64_e32 v12, v[12:13]
	v_min3_f32 v99, v40, v38, 0x7f800000
	v_add_f64 v[38:39], v[24:25], v[60:61]
	v_add_f64 v[40:41], v[22:23], v[58:59]
	v_min3_f32 v87, v12, v10, 0x7f800000
	v_add_f64 v[10:11], v[24:25], v[64:65]
	;; [unrolled: 10-line block ×5, first 2 shown]
	v_add_f64 v[12:13], v[34:35], v[62:63]
	v_cvt_f32_f64_e32 v38, v[38:39]
	v_cvt_f32_f64_e32 v40, v[40:41]
	;; [unrolled: 1-line block ×4, first 2 shown]
	v_min3_f32 v95, v40, v38, 0x7f800000
	v_add_f64 v[38:39], v[152:153], v[64:65]
	v_add_f64 v[40:41], v[150:151], v[62:63]
	s_waitcnt lgkmcnt(0)
	v_add_f64 v[150:151], v[4:5], v[8:9]
	v_add_f64 v[152:153], v[2:3], v[6:7]
	v_min3_f32 v82, v12, v10, 0x7f800000
	v_cvt_f32_f64_e32 v38, v[38:39]
	v_cvt_f32_f64_e32 v40, v[40:41]
	v_cvt_f32_f64_e32 v150, v[150:151]
	v_cvt_f32_f64_e32 v152, v[152:153]
	v_min3_f32 v94, v40, v38, 0x7f800000
	ds_read_b128 v[34:37], v80 offset:16656
	ds_read_b128 v[30:33], v80 offset:16912
	;; [unrolled: 1-line block ×14, first 2 shown]
	v_min3_f32 v93, v152, v150, v93
	ds_write_b64 v84, v[74:75] offset:18432
	ds_write2st64_b64 v81, v[76:77], v[78:79] offset0:16 offset1:20
	ds_write2st64_b64 v81, v[70:71], v[72:73] offset0:24 offset1:28
	s_waitcnt lgkmcnt(0)
	s_barrier
	buffer_gl0_inv
	v_add_f64 v[150:151], v[36:37], v[8:9]
	v_add_f64 v[152:153], v[34:35], v[6:7]
	v_cvt_f32_f64_e32 v150, v[150:151]
	v_cvt_f32_f64_e32 v152, v[152:153]
	v_min3_f32 v92, v152, v150, v92
	v_add_f64 v[150:151], v[32:33], v[8:9]
	v_add_f64 v[152:153], v[30:31], v[6:7]
	v_cvt_f32_f64_e32 v150, v[150:151]
	v_cvt_f32_f64_e32 v152, v[152:153]
	v_min3_f32 v133, v152, v150, v133
	;; [unrolled: 5-line block ×5, first 2 shown]
	v_add_f64 v[150:151], v[16:17], v[8:9]
	v_add_f64 v[152:153], v[14:15], v[6:7]
	;; [unrolled: 1-line block ×4, first 2 shown]
	v_cvt_f32_f64_e32 v150, v[150:151]
	v_cvt_f32_f64_e32 v152, v[152:153]
	;; [unrolled: 1-line block ×4, first 2 shown]
	v_add_f64 v[8:9], v[2:3], v[62:63]
	v_min3_f32 v143, v152, v150, v143
	v_min3_f32 v199, v6, v7, v149
	v_add_f64 v[6:7], v[4:5], v[64:65]
	v_cvt_f32_f64_e32 v8, v[8:9]
	v_cvt_f32_f64_e32 v6, v[6:7]
	v_min3_f32 v200, v8, v6, v148
	v_add_f64 v[6:7], v[36:37], v[64:65]
	v_add_f64 v[8:9], v[34:35], v[62:63]
	v_cvt_f32_f64_e32 v6, v[6:7]
	v_cvt_f32_f64_e32 v8, v[8:9]
	v_min3_f32 v197, v8, v6, v147
	v_add_f64 v[6:7], v[32:33], v[64:65]
	v_add_f64 v[8:9], v[30:31], v[62:63]
	v_cvt_f32_f64_e32 v6, v[6:7]
	v_cvt_f32_f64_e32 v8, v[8:9]
	v_min3_f32 v198, v8, v6, v146
	v_add_f64 v[6:7], v[28:29], v[64:65]
	v_add_f64 v[8:9], v[26:27], v[62:63]
	v_cvt_f32_f64_e32 v6, v[6:7]
	v_cvt_f32_f64_e32 v8, v[8:9]
	v_min3_f32 v195, v8, v6, v145
	v_add_f64 v[6:7], v[24:25], v[64:65]
	v_add_f64 v[8:9], v[22:23], v[62:63]
	v_cvt_f32_f64_e32 v6, v[6:7]
	v_cvt_f32_f64_e32 v8, v[8:9]
	v_min3_f32 v196, v8, v6, v144
	v_add_f64 v[6:7], v[20:21], v[64:65]
	v_add_f64 v[8:9], v[18:19], v[62:63]
	v_cvt_f32_f64_e32 v6, v[6:7]
	v_cvt_f32_f64_e32 v8, v[8:9]
	v_min3_f32 v193, v8, v6, v141
	v_add_f64 v[6:7], v[16:17], v[64:65]
	v_add_f64 v[8:9], v[14:15], v[62:63]
	v_cvt_f32_f64_e32 v6, v[6:7]
	v_cvt_f32_f64_e32 v8, v[8:9]
	v_min3_f32 v194, v8, v6, v140
	v_add_f64 v[6:7], v[12:13], v[64:65]
	v_add_f64 v[8:9], v[10:11], v[62:63]
	v_cvt_f32_f64_e32 v6, v[6:7]
	v_cvt_f32_f64_e32 v8, v[8:9]
	v_min3_f32 v191, v8, v6, v139
	v_add_f64 v[6:7], v[4:5], v[60:61]
	v_add_f64 v[8:9], v[2:3], v[58:59]
	v_cvt_f32_f64_e32 v6, v[6:7]
	v_cvt_f32_f64_e32 v8, v[8:9]
	v_min3_f32 v192, v8, v6, v138
	v_add_f64 v[6:7], v[36:37], v[60:61]
	v_add_f64 v[8:9], v[34:35], v[58:59]
	v_cvt_f32_f64_e32 v6, v[6:7]
	v_cvt_f32_f64_e32 v8, v[8:9]
	v_min3_f32 v189, v8, v6, v137
	v_add_f64 v[6:7], v[32:33], v[60:61]
	v_add_f64 v[8:9], v[30:31], v[58:59]
	v_cvt_f32_f64_e32 v6, v[6:7]
	v_cvt_f32_f64_e32 v8, v[8:9]
	v_min3_f32 v190, v8, v6, v136
	v_add_f64 v[6:7], v[28:29], v[60:61]
	v_add_f64 v[8:9], v[26:27], v[58:59]
	v_cvt_f32_f64_e32 v6, v[6:7]
	v_cvt_f32_f64_e32 v8, v[8:9]
	v_min3_f32 v187, v8, v6, v131
	v_add_f64 v[6:7], v[24:25], v[60:61]
	v_add_f64 v[8:9], v[22:23], v[58:59]
	v_cvt_f32_f64_e32 v6, v[6:7]
	v_cvt_f32_f64_e32 v8, v[8:9]
	v_min3_f32 v188, v8, v6, v130
	v_add_f64 v[6:7], v[20:21], v[60:61]
	v_add_f64 v[8:9], v[18:19], v[58:59]
	v_cvt_f32_f64_e32 v6, v[6:7]
	v_cvt_f32_f64_e32 v8, v[8:9]
	v_min3_f32 v185, v8, v6, v129
	v_add_f64 v[6:7], v[16:17], v[60:61]
	v_add_f64 v[8:9], v[14:15], v[58:59]
	v_cvt_f32_f64_e32 v6, v[6:7]
	v_cvt_f32_f64_e32 v8, v[8:9]
	v_min3_f32 v186, v8, v6, v128
	v_add_f64 v[6:7], v[12:13], v[60:61]
	v_add_f64 v[8:9], v[10:11], v[58:59]
	v_cvt_f32_f64_e32 v6, v[6:7]
	v_cvt_f32_f64_e32 v8, v[8:9]
	v_min3_f32 v183, v8, v6, v127
	v_add_f64 v[6:7], v[4:5], v[56:57]
	v_add_f64 v[8:9], v[2:3], v[54:55]
	v_cvt_f32_f64_e32 v6, v[6:7]
	v_cvt_f32_f64_e32 v8, v[8:9]
	v_min3_f32 v184, v8, v6, v126
	v_add_f64 v[6:7], v[36:37], v[56:57]
	v_add_f64 v[8:9], v[34:35], v[54:55]
	v_cvt_f32_f64_e32 v6, v[6:7]
	v_cvt_f32_f64_e32 v8, v[8:9]
	v_min3_f32 v181, v8, v6, v125
	v_add_f64 v[6:7], v[32:33], v[56:57]
	v_add_f64 v[8:9], v[30:31], v[54:55]
	v_cvt_f32_f64_e32 v6, v[6:7]
	v_cvt_f32_f64_e32 v8, v[8:9]
	v_min3_f32 v182, v8, v6, v124
	v_add_f64 v[6:7], v[28:29], v[56:57]
	v_add_f64 v[8:9], v[26:27], v[54:55]
	v_cvt_f32_f64_e32 v6, v[6:7]
	v_cvt_f32_f64_e32 v8, v[8:9]
	v_min3_f32 v179, v8, v6, v123
	v_add_f64 v[6:7], v[24:25], v[56:57]
	v_add_f64 v[8:9], v[22:23], v[54:55]
	v_cvt_f32_f64_e32 v6, v[6:7]
	v_cvt_f32_f64_e32 v8, v[8:9]
	v_min3_f32 v180, v8, v6, v122
	v_add_f64 v[6:7], v[20:21], v[56:57]
	v_add_f64 v[8:9], v[18:19], v[54:55]
	v_cvt_f32_f64_e32 v6, v[6:7]
	v_cvt_f32_f64_e32 v8, v[8:9]
	v_min3_f32 v177, v8, v6, v121
	v_add_f64 v[6:7], v[16:17], v[56:57]
	v_add_f64 v[8:9], v[14:15], v[54:55]
	v_cvt_f32_f64_e32 v6, v[6:7]
	v_cvt_f32_f64_e32 v8, v[8:9]
	v_min3_f32 v178, v8, v6, v120
	v_add_f64 v[6:7], v[12:13], v[56:57]
	v_add_f64 v[8:9], v[10:11], v[54:55]
	v_cvt_f32_f64_e32 v6, v[6:7]
	v_cvt_f32_f64_e32 v8, v[8:9]
	v_min3_f32 v175, v8, v6, v119
	v_add_f64 v[6:7], v[4:5], v[52:53]
	v_add_f64 v[8:9], v[2:3], v[50:51]
	v_cvt_f32_f64_e32 v6, v[6:7]
	v_cvt_f32_f64_e32 v8, v[8:9]
	v_min3_f32 v176, v8, v6, v118
	v_add_f64 v[6:7], v[36:37], v[52:53]
	v_add_f64 v[8:9], v[34:35], v[50:51]
	v_cvt_f32_f64_e32 v6, v[6:7]
	v_cvt_f32_f64_e32 v8, v[8:9]
	v_min3_f32 v173, v8, v6, v117
	v_add_f64 v[6:7], v[32:33], v[52:53]
	v_add_f64 v[8:9], v[30:31], v[50:51]
	v_cvt_f32_f64_e32 v6, v[6:7]
	v_cvt_f32_f64_e32 v8, v[8:9]
	v_min3_f32 v174, v8, v6, v116
	v_add_f64 v[6:7], v[28:29], v[52:53]
	v_add_f64 v[8:9], v[26:27], v[50:51]
	v_cvt_f32_f64_e32 v6, v[6:7]
	v_cvt_f32_f64_e32 v8, v[8:9]
	v_min3_f32 v171, v8, v6, v115
	v_add_f64 v[6:7], v[24:25], v[52:53]
	v_add_f64 v[8:9], v[22:23], v[50:51]
	v_cvt_f32_f64_e32 v6, v[6:7]
	v_cvt_f32_f64_e32 v8, v[8:9]
	v_min3_f32 v172, v8, v6, v114
	v_add_f64 v[6:7], v[20:21], v[52:53]
	v_add_f64 v[8:9], v[18:19], v[50:51]
	v_cvt_f32_f64_e32 v6, v[6:7]
	v_cvt_f32_f64_e32 v8, v[8:9]
	v_min3_f32 v169, v8, v6, v113
	v_add_f64 v[6:7], v[16:17], v[52:53]
	v_add_f64 v[8:9], v[14:15], v[50:51]
	v_cvt_f32_f64_e32 v6, v[6:7]
	v_cvt_f32_f64_e32 v8, v[8:9]
	v_min3_f32 v170, v8, v6, v112
	v_add_f64 v[6:7], v[12:13], v[52:53]
	v_add_f64 v[8:9], v[10:11], v[50:51]
	v_cvt_f32_f64_e32 v6, v[6:7]
	v_cvt_f32_f64_e32 v8, v[8:9]
	v_min3_f32 v167, v8, v6, v111
	v_add_f64 v[6:7], v[4:5], v[48:49]
	v_add_f64 v[8:9], v[2:3], v[46:47]
	v_cvt_f32_f64_e32 v6, v[6:7]
	v_cvt_f32_f64_e32 v8, v[8:9]
	v_min3_f32 v168, v8, v6, v110
	v_add_f64 v[6:7], v[36:37], v[48:49]
	v_add_f64 v[8:9], v[34:35], v[46:47]
	v_cvt_f32_f64_e32 v6, v[6:7]
	v_cvt_f32_f64_e32 v8, v[8:9]
	v_min3_f32 v165, v8, v6, v109
	v_add_f64 v[6:7], v[32:33], v[48:49]
	v_add_f64 v[8:9], v[30:31], v[46:47]
	v_cvt_f32_f64_e32 v6, v[6:7]
	v_cvt_f32_f64_e32 v8, v[8:9]
	v_min3_f32 v166, v8, v6, v108
	v_add_f64 v[6:7], v[28:29], v[48:49]
	v_add_f64 v[8:9], v[26:27], v[46:47]
	v_cvt_f32_f64_e32 v6, v[6:7]
	v_cvt_f32_f64_e32 v8, v[8:9]
	v_min3_f32 v163, v8, v6, v107
	v_add_f64 v[6:7], v[24:25], v[48:49]
	v_add_f64 v[8:9], v[22:23], v[46:47]
	v_cvt_f32_f64_e32 v6, v[6:7]
	v_cvt_f32_f64_e32 v8, v[8:9]
	v_min3_f32 v164, v8, v6, v106
	v_add_f64 v[6:7], v[20:21], v[48:49]
	v_add_f64 v[8:9], v[18:19], v[46:47]
	v_cvt_f32_f64_e32 v6, v[6:7]
	v_cvt_f32_f64_e32 v8, v[8:9]
	v_min3_f32 v161, v8, v6, v105
	v_add_f64 v[6:7], v[16:17], v[48:49]
	v_add_f64 v[8:9], v[14:15], v[46:47]
	v_cvt_f32_f64_e32 v6, v[6:7]
	v_cvt_f32_f64_e32 v8, v[8:9]
	v_min3_f32 v162, v8, v6, v104
	v_add_f64 v[6:7], v[12:13], v[48:49]
	v_add_f64 v[8:9], v[10:11], v[46:47]
	v_cvt_f32_f64_e32 v6, v[6:7]
	v_cvt_f32_f64_e32 v8, v[8:9]
	v_min3_f32 v159, v8, v6, v103
	v_add_f64 v[6:7], v[4:5], v[44:45]
	v_add_f64 v[8:9], v[2:3], v[42:43]
	v_add_f64 v[4:5], v[4:5], v[40:41]
	;; [unrolled: 1-line block ×3, first 2 shown]
	v_cvt_f32_f64_e32 v6, v[6:7]
	v_cvt_f32_f64_e32 v8, v[8:9]
	;; [unrolled: 1-line block ×4, first 2 shown]
	v_add_f64 v[4:5], v[34:35], v[38:39]
	v_min3_f32 v160, v8, v6, v102
	v_add_f64 v[6:7], v[36:37], v[44:45]
	v_add_f64 v[8:9], v[34:35], v[42:43]
	v_min3_f32 v152, v2, v3, v94
	v_add_f64 v[2:3], v[36:37], v[40:41]
	v_cvt_f32_f64_e32 v4, v[4:5]
	v_cvt_f32_f64_e32 v6, v[6:7]
	v_cvt_f32_f64_e32 v8, v[8:9]
	v_cvt_f32_f64_e32 v2, v[2:3]
	v_min3_f32 v157, v8, v6, v101
	v_add_f64 v[6:7], v[32:33], v[44:45]
	v_add_f64 v[8:9], v[30:31], v[42:43]
	v_min3_f32 v149, v4, v2, v91
	v_add_f64 v[2:3], v[32:33], v[40:41]
	v_add_f64 v[4:5], v[30:31], v[38:39]
	v_cvt_f32_f64_e32 v6, v[6:7]
	v_cvt_f32_f64_e32 v8, v[8:9]
	v_cvt_f32_f64_e32 v2, v[2:3]
	v_cvt_f32_f64_e32 v4, v[4:5]
	v_min3_f32 v158, v8, v6, v100
	v_add_f64 v[6:7], v[28:29], v[44:45]
	v_add_f64 v[8:9], v[26:27], v[42:43]
	v_min3_f32 v150, v4, v2, v90
	v_add_f64 v[2:3], v[28:29], v[40:41]
	;; [unrolled: 10-line block ×6, first 2 shown]
	v_add_f64 v[4:5], v[10:11], v[38:39]
	v_cvt_f32_f64_e32 v6, v[6:7]
	v_cvt_f32_f64_e32 v8, v[8:9]
	;; [unrolled: 1-line block ×4, first 2 shown]
	v_min3_f32 v151, v8, v6, v95
	v_min3_f32 v144, v4, v2, v82
	s_cbranch_scc1 .LBB175_11
; %bb.9:
	v_add_nc_u32_e32 v2, 12, v88
	v_add_nc_u32_e32 v4, 8, v88
	v_add_co_u32 v6, vcc_lo, v68, v89
	v_add_co_ci_u32_e64 v7, null, 0, v69, vcc_lo
	v_mad_i64_i32 v[2:3], null, v2, s8, 0
	v_mad_i64_i32 v[4:5], null, v4, s8, 0
	v_add_co_u32 v6, vcc_lo, s14, v6
	v_add_co_ci_u32_e64 v7, null, s15, v7, vcc_lo
	v_lshlrev_b64 v[2:3], 3, v[2:3]
	v_add_co_u32 v68, vcc_lo, v6, 64
	v_lshlrev_b64 v[4:5], 3, v[4:5]
	v_add_co_ci_u32_e64 v69, null, 0, v7, vcc_lo
	v_add_co_u32 v88, vcc_lo, s16, v2
	v_add_co_ci_u32_e64 v89, null, s17, v3, vcc_lo
	v_add_co_u32 v90, vcc_lo, s16, v4
	v_add_nc_u32_e32 v82, 0x4000, v84
	v_or_b32_e32 v83, 0x4000, v80
	v_add_nc_u32_e32 v84, 0x4800, v84
	v_or_b32_e32 v85, 0x2000, v81
	v_lshl_add_u32 v86, v0, 5, 0x4800
	v_lshl_or_b32 v87, v1, 5, 0x2000
	v_add_co_ci_u32_e64 v91, null, s17, v5, vcc_lo
	s_ashr_i32 s9, s8, 31
	s_add_i32 s14, s18, -8
	s_lshl_b64 s[8:9], s[8:9], 6
	s_mov_b32 s15, 0
.LBB175_10:                             ; =>This Inner Loop Header: Depth=1
	v_add_co_u32 v2, vcc_lo, v90, v66
	v_add_co_ci_u32_e64 v3, null, v91, v67, vcc_lo
	global_load_dwordx2 v[78:79], v[68:69], off
	s_add_i32 s15, s15, 8
	s_clause 0x3
	global_load_dwordx2 v[74:75], v[2:3], off
	global_load_dwordx2 v[76:77], v[2:3], off offset:512
	global_load_dwordx2 v[70:71], v[2:3], off offset:1024
	;; [unrolled: 1-line block ×3, first 2 shown]
	ds_read_b128 v[10:13], v86 offset:256
	ds_read_b128 v[14:17], v86 offset:512
	;; [unrolled: 1-line block ×14, first 2 shown]
	ds_read_b128 v[94:97], v87
	ds_read_b128 v[6:9], v87 offset:16
	ds_read_b128 v[209:212], v86
	ds_read_b128 v[2:5], v86 offset:16
	s_cmp_ge_i32 s15, s14
	s_waitcnt lgkmcnt(1)
	v_add_f64 v[98:99], v[211:212], v[96:97]
	v_add_f64 v[100:101], v[209:210], v[94:95]
	v_cvt_f32_f64_e32 v98, v[98:99]
	v_cvt_f32_f64_e32 v100, v[100:101]
	v_min3_f32 v208, v100, v98, v93
	v_add_f64 v[98:99], v[12:13], v[96:97]
	v_add_f64 v[100:101], v[10:11], v[94:95]
	v_cvt_f32_f64_e32 v98, v[98:99]
	v_cvt_f32_f64_e32 v93, v[100:101]
	v_min3_f32 v207, v93, v98, v92
	;; [unrolled: 5-line block ×6, first 2 shown]
	v_add_f64 v[92:93], v[32:33], v[96:97]
	v_add_f64 v[98:99], v[30:31], v[94:95]
	;; [unrolled: 1-line block ×3, first 2 shown]
	v_cvt_f32_f64_e32 v92, v[92:93]
	v_cvt_f32_f64_e32 v98, v[98:99]
	;; [unrolled: 1-line block ×3, first 2 shown]
	v_min3_f32 v202, v98, v92, v143
	v_add_f64 v[92:93], v[36:37], v[96:97]
	v_cvt_f32_f64_e32 v92, v[92:93]
	v_min3_f32 v201, v94, v92, v199
	v_add_f64 v[92:93], v[211:212], v[40:41]
	v_add_f64 v[94:95], v[209:210], v[38:39]
	v_cvt_f32_f64_e32 v92, v[92:93]
	v_cvt_f32_f64_e32 v94, v[94:95]
	v_min3_f32 v200, v94, v92, v200
	v_add_f64 v[92:93], v[12:13], v[40:41]
	v_add_f64 v[94:95], v[10:11], v[38:39]
	v_cvt_f32_f64_e32 v92, v[92:93]
	;; [unrolled: 5-line block ×6, first 2 shown]
	v_cvt_f32_f64_e32 v94, v[94:95]
	v_min3_f32 v143, v94, v92, v193
	v_add_f64 v[92:93], v[32:33], v[40:41]
	v_add_f64 v[94:95], v[30:31], v[38:39]
	;; [unrolled: 1-line block ×4, first 2 shown]
	v_cvt_f32_f64_e32 v92, v[92:93]
	v_cvt_f32_f64_e32 v94, v[94:95]
	;; [unrolled: 1-line block ×4, first 2 shown]
	v_add_f64 v[40:41], v[209:210], v[42:43]
	v_min3_f32 v142, v94, v92, v194
	v_min3_f32 v141, v38, v39, v191
	v_add_f64 v[38:39], v[211:212], v[44:45]
	v_cvt_f32_f64_e32 v40, v[40:41]
	v_cvt_f32_f64_e32 v38, v[38:39]
	v_min3_f32 v140, v40, v38, v192
	v_add_f64 v[38:39], v[12:13], v[44:45]
	v_add_f64 v[40:41], v[10:11], v[42:43]
	v_cvt_f32_f64_e32 v38, v[38:39]
	v_cvt_f32_f64_e32 v40, v[40:41]
	v_min3_f32 v139, v40, v38, v189
	v_add_f64 v[38:39], v[16:17], v[44:45]
	;; [unrolled: 5-line block ×33, first 2 shown]
	v_add_f64 v[40:41], v[10:11], v[58:59]
	v_add_f64 v[12:13], v[12:13], v[64:65]
	;; [unrolled: 1-line block ×3, first 2 shown]
	v_cvt_f32_f64_e32 v38, v[38:39]
	v_cvt_f32_f64_e32 v40, v[40:41]
	;; [unrolled: 1-line block ×4, first 2 shown]
	v_add_f64 v[12:13], v[14:15], v[62:63]
	v_min3_f32 v106, v40, v38, v157
	v_add_f64 v[38:39], v[16:17], v[60:61]
	v_add_f64 v[40:41], v[14:15], v[58:59]
	v_min3_f32 v98, v10, v11, v149
	v_add_f64 v[10:11], v[16:17], v[64:65]
	v_cvt_f32_f64_e32 v12, v[12:13]
	v_cvt_f32_f64_e32 v38, v[38:39]
	v_cvt_f32_f64_e32 v40, v[40:41]
	v_cvt_f32_f64_e32 v10, v[10:11]
	v_min3_f32 v105, v40, v38, v158
	v_add_f64 v[38:39], v[20:21], v[60:61]
	v_add_f64 v[40:41], v[18:19], v[58:59]
	v_min3_f32 v97, v12, v10, v150
	v_add_f64 v[10:11], v[20:21], v[64:65]
	v_add_f64 v[12:13], v[18:19], v[62:63]
	v_cvt_f32_f64_e32 v38, v[38:39]
	v_cvt_f32_f64_e32 v40, v[40:41]
	v_cvt_f32_f64_e32 v10, v[10:11]
	v_cvt_f32_f64_e32 v12, v[12:13]
	v_min3_f32 v104, v40, v38, v155
	v_add_f64 v[38:39], v[24:25], v[60:61]
	v_add_f64 v[40:41], v[22:23], v[58:59]
	v_min3_f32 v96, v12, v10, v147
	v_add_f64 v[10:11], v[24:25], v[64:65]
	;; [unrolled: 10-line block ×5, first 2 shown]
	v_add_f64 v[12:13], v[34:35], v[62:63]
	s_waitcnt lgkmcnt(0)
	v_add_f64 v[146:147], v[2:3], v[6:7]
	v_cvt_f32_f64_e32 v38, v[38:39]
	v_cvt_f32_f64_e32 v40, v[40:41]
	v_cvt_f32_f64_e32 v10, v[10:11]
	v_cvt_f32_f64_e32 v12, v[12:13]
	v_cvt_f32_f64_e32 v146, v[146:147]
	v_min3_f32 v100, v40, v38, v151
	v_add_f64 v[38:39], v[211:212], v[64:65]
	v_add_f64 v[40:41], v[209:210], v[62:63]
	v_min3_f32 v92, v12, v10, v144
	v_add_f64 v[144:145], v[4:5], v[8:9]
	v_cvt_f32_f64_e32 v38, v[38:39]
	v_cvt_f32_f64_e32 v40, v[40:41]
	;; [unrolled: 1-line block ×3, first 2 shown]
	v_min3_f32 v99, v40, v38, v152
	ds_read_b128 v[34:37], v86 offset:272
	ds_read_b128 v[30:33], v86 offset:528
	;; [unrolled: 1-line block ×14, first 2 shown]
	v_min3_f32 v144, v146, v144, v208
	s_waitcnt vmcnt(4)
	ds_write_b64 v82, v[78:79]
	s_waitcnt vmcnt(2)
	ds_write2st64_b64 v81, v[74:75], v[76:77] offset1:4
	s_waitcnt vmcnt(0)
	ds_write2st64_b64 v81, v[70:71], v[72:73] offset0:8 offset1:12
	s_waitcnt lgkmcnt(0)
	s_barrier
	buffer_gl0_inv
	global_load_dwordx2 v[78:79], v[68:69], off offset:32
	v_add_f64 v[145:146], v[36:37], v[8:9]
	v_add_f64 v[147:148], v[34:35], v[6:7]
	v_cvt_f32_f64_e32 v145, v[145:146]
	v_cvt_f32_f64_e32 v147, v[147:148]
	v_add_f64 v[148:149], v[30:31], v[6:7]
	v_min3_f32 v145, v147, v145, v207
	v_add_f64 v[146:147], v[32:33], v[8:9]
	v_cvt_f32_f64_e32 v148, v[148:149]
	v_add_f64 v[149:150], v[26:27], v[6:7]
	v_cvt_f32_f64_e32 v146, v[146:147]
	v_cvt_f32_f64_e32 v149, v[149:150]
	v_add_f64 v[150:151], v[22:23], v[6:7]
	v_min3_f32 v146, v148, v146, v206
	v_add_f64 v[147:148], v[28:29], v[8:9]
	v_cvt_f32_f64_e32 v150, v[150:151]
	v_add_f64 v[151:152], v[18:19], v[6:7]
	v_cvt_f32_f64_e32 v147, v[147:148]
	v_cvt_f32_f64_e32 v151, v[151:152]
	v_add_f64 v[152:153], v[14:15], v[6:7]
	v_add_f64 v[6:7], v[10:11], v[6:7]
	v_min3_f32 v147, v149, v147, v205
	v_add_f64 v[148:149], v[24:25], v[8:9]
	v_cvt_f32_f64_e32 v152, v[152:153]
	v_cvt_f32_f64_e32 v6, v[6:7]
	v_add_f64 v[153:154], v[30:31], v[62:63]
	v_cvt_f32_f64_e32 v148, v[148:149]
	v_min3_f32 v148, v150, v148, v204
	v_add_f64 v[149:150], v[20:21], v[8:9]
	v_cvt_f32_f64_e32 v149, v[149:150]
	v_min3_f32 v149, v151, v149, v203
	v_add_f64 v[150:151], v[16:17], v[8:9]
	v_add_f64 v[8:9], v[12:13], v[8:9]
	v_cvt_f32_f64_e32 v150, v[150:151]
	v_cvt_f32_f64_e32 v7, v[8:9]
	v_min3_f32 v150, v152, v150, v202
	v_min3_f32 v6, v6, v7, v201
	v_add_f64 v[7:8], v[4:5], v[64:65]
	v_add_f64 v[151:152], v[2:3], v[62:63]
	v_cvt_f32_f64_e32 v7, v[7:8]
	v_cvt_f32_f64_e32 v9, v[151:152]
	v_add_f64 v[151:152], v[34:35], v[62:63]
	v_min3_f32 v7, v9, v7, v200
	v_add_f64 v[8:9], v[36:37], v[64:65]
	v_cvt_f32_f64_e32 v151, v[151:152]
	v_cvt_f32_f64_e32 v8, v[8:9]
	;; [unrolled: 1-line block ×3, first 2 shown]
	v_add_f64 v[153:154], v[26:27], v[62:63]
	v_min3_f32 v8, v151, v8, v199
	v_add_f64 v[151:152], v[32:33], v[64:65]
	v_cvt_f32_f64_e32 v153, v[153:154]
	v_add_f64 v[154:155], v[22:23], v[62:63]
	v_cvt_f32_f64_e32 v151, v[151:152]
	v_cvt_f32_f64_e32 v154, v[154:155]
	v_min3_f32 v9, v9, v151, v198
	v_add_f64 v[151:152], v[28:29], v[64:65]
	v_cvt_f32_f64_e32 v151, v[151:152]
	v_min3_f32 v151, v153, v151, v197
	v_add_f64 v[152:153], v[24:25], v[64:65]
	;; [unrolled: 3-line block ×3, first 2 shown]
	v_add_f64 v[154:155], v[18:19], v[62:63]
	v_cvt_f32_f64_e32 v152, v[152:153]
	v_cvt_f32_f64_e32 v154, v[154:155]
	v_min3_f32 v158, v154, v152, v143
	v_add_f64 v[152:153], v[16:17], v[64:65]
	v_add_f64 v[154:155], v[14:15], v[62:63]
	;; [unrolled: 1-line block ×4, first 2 shown]
	v_cvt_f32_f64_e32 v152, v[152:153]
	v_cvt_f32_f64_e32 v143, v[154:155]
	v_cvt_f32_f64_e32 v62, v[62:63]
	v_cvt_f32_f64_e32 v63, v[64:65]
	v_min3_f32 v159, v143, v152, v142
	v_min3_f32 v62, v62, v63, v141
	v_add_f64 v[63:64], v[4:5], v[60:61]
	v_add_f64 v[141:142], v[2:3], v[58:59]
	v_cvt_f32_f64_e32 v63, v[63:64]
	v_cvt_f32_f64_e32 v65, v[141:142]
	v_min3_f32 v63, v65, v63, v140
	v_add_f64 v[64:65], v[36:37], v[60:61]
	v_add_f64 v[140:141], v[34:35], v[58:59]
	v_cvt_f32_f64_e32 v64, v[64:65]
	v_cvt_f32_f64_e32 v140, v[140:141]
	v_add_f64 v[141:142], v[30:31], v[58:59]
	v_min3_f32 v64, v140, v64, v139
	v_add_f64 v[139:140], v[32:33], v[60:61]
	v_cvt_f32_f64_e32 v65, v[141:142]
	v_cvt_f32_f64_e32 v139, v[139:140]
	v_add_f64 v[140:141], v[26:27], v[58:59]
	v_min3_f32 v65, v65, v139, v138
	v_add_f64 v[138:139], v[28:29], v[60:61]
	v_cvt_f32_f64_e32 v140, v[140:141]
	v_cvt_f32_f64_e32 v138, v[138:139]
	v_min3_f32 v137, v140, v138, v137
	v_add_f64 v[138:139], v[24:25], v[60:61]
	v_add_f64 v[140:141], v[22:23], v[58:59]
	v_cvt_f32_f64_e32 v138, v[138:139]
	v_cvt_f32_f64_e32 v140, v[140:141]
	v_min3_f32 v136, v140, v138, v136
	v_add_f64 v[138:139], v[20:21], v[60:61]
	v_add_f64 v[140:141], v[18:19], v[58:59]
	v_cvt_f32_f64_e32 v138, v[138:139]
	v_cvt_f32_f64_e32 v140, v[140:141]
	v_add_f64 v[141:142], v[14:15], v[58:59]
	v_add_f64 v[58:59], v[10:11], v[58:59]
	v_min3_f32 v138, v140, v138, v135
	v_add_f64 v[139:140], v[16:17], v[60:61]
	v_add_f64 v[60:61], v[12:13], v[60:61]
	v_cvt_f32_f64_e32 v135, v[141:142]
	v_cvt_f32_f64_e32 v58, v[58:59]
	;; [unrolled: 1-line block ×4, first 2 shown]
	v_min3_f32 v139, v135, v139, v134
	v_min3_f32 v58, v58, v59, v133
	v_add_f64 v[59:60], v[4:5], v[56:57]
	v_add_f64 v[133:134], v[2:3], v[54:55]
	v_cvt_f32_f64_e32 v59, v[59:60]
	v_cvt_f32_f64_e32 v61, v[133:134]
	v_add_f64 v[133:134], v[34:35], v[54:55]
	v_min3_f32 v59, v61, v59, v131
	v_add_f64 v[60:61], v[36:37], v[56:57]
	v_cvt_f32_f64_e32 v131, v[133:134]
	v_add_f64 v[133:134], v[30:31], v[54:55]
	v_cvt_f32_f64_e32 v60, v[60:61]
	v_cvt_f32_f64_e32 v61, v[133:134]
	v_add_f64 v[133:134], v[26:27], v[54:55]
	v_min3_f32 v60, v131, v60, v130
	v_add_f64 v[130:131], v[32:33], v[56:57]
	v_cvt_f32_f64_e32 v130, v[130:131]
	v_cvt_f32_f64_e32 v131, v[133:134]
	v_add_f64 v[133:134], v[22:23], v[54:55]
	v_min3_f32 v61, v61, v130, v129
	v_add_f64 v[129:130], v[28:29], v[56:57]
	v_cvt_f32_f64_e32 v129, v[129:130]
	v_min3_f32 v128, v131, v129, v128
	v_add_f64 v[129:130], v[24:25], v[56:57]
	v_cvt_f32_f64_e32 v131, v[133:134]
	v_add_f64 v[133:134], v[18:19], v[54:55]
	v_cvt_f32_f64_e32 v129, v[129:130]
	v_min3_f32 v127, v131, v129, v127
	v_add_f64 v[129:130], v[20:21], v[56:57]
	v_cvt_f32_f64_e32 v131, v[133:134]
	v_add_f64 v[133:134], v[14:15], v[54:55]
	v_add_f64 v[54:55], v[10:11], v[54:55]
	v_cvt_f32_f64_e32 v129, v[129:130]
	v_cvt_f32_f64_e32 v54, v[54:55]
	v_min3_f32 v126, v131, v129, v126
	v_add_f64 v[129:130], v[16:17], v[56:57]
	v_add_f64 v[56:57], v[12:13], v[56:57]
	v_cvt_f32_f64_e32 v131, v[133:134]
	v_cvt_f32_f64_e32 v129, v[129:130]
	;; [unrolled: 1-line block ×3, first 2 shown]
	v_min3_f32 v125, v131, v129, v125
	v_min3_f32 v54, v54, v55, v124
	v_add_f64 v[55:56], v[4:5], v[52:53]
	v_add_f64 v[129:130], v[2:3], v[50:51]
	v_cvt_f32_f64_e32 v55, v[55:56]
	v_cvt_f32_f64_e32 v57, v[129:130]
	v_add_f64 v[129:130], v[30:31], v[50:51]
	v_min3_f32 v55, v57, v55, v123
	v_add_f64 v[56:57], v[36:37], v[52:53]
	v_add_f64 v[123:124], v[34:35], v[50:51]
	v_cvt_f32_f64_e32 v56, v[56:57]
	v_cvt_f32_f64_e32 v123, v[123:124]
	;; [unrolled: 1-line block ×3, first 2 shown]
	v_min3_f32 v56, v123, v56, v122
	v_add_f64 v[122:123], v[32:33], v[52:53]
	v_cvt_f32_f64_e32 v122, v[122:123]
	v_add_f64 v[123:124], v[26:27], v[50:51]
	v_min3_f32 v57, v57, v122, v121
	v_add_f64 v[121:122], v[28:29], v[52:53]
	v_cvt_f32_f64_e32 v123, v[123:124]
	v_cvt_f32_f64_e32 v121, v[121:122]
	v_min3_f32 v120, v123, v121, v120
	v_add_f64 v[121:122], v[24:25], v[52:53]
	v_add_f64 v[123:124], v[22:23], v[50:51]
	v_cvt_f32_f64_e32 v121, v[121:122]
	v_cvt_f32_f64_e32 v123, v[123:124]
	v_min3_f32 v119, v123, v121, v119
	v_add_f64 v[121:122], v[20:21], v[52:53]
	;; [unrolled: 5-line block ×3, first 2 shown]
	v_add_f64 v[123:124], v[14:15], v[50:51]
	v_add_f64 v[52:53], v[12:13], v[52:53]
	;; [unrolled: 1-line block ×3, first 2 shown]
	v_cvt_f32_f64_e32 v121, v[121:122]
	v_cvt_f32_f64_e32 v123, v[123:124]
	;; [unrolled: 1-line block ×4, first 2 shown]
	v_min3_f32 v117, v123, v121, v117
	v_add_f64 v[121:122], v[2:3], v[46:47]
	v_min3_f32 v50, v50, v51, v116
	v_add_f64 v[51:52], v[4:5], v[48:49]
	v_cvt_f32_f64_e32 v53, v[121:122]
	v_add_f64 v[121:122], v[30:31], v[46:47]
	v_cvt_f32_f64_e32 v51, v[51:52]
	v_min3_f32 v51, v53, v51, v115
	v_add_f64 v[52:53], v[36:37], v[48:49]
	v_add_f64 v[115:116], v[34:35], v[46:47]
	v_cvt_f32_f64_e32 v52, v[52:53]
	v_cvt_f32_f64_e32 v115, v[115:116]
	;; [unrolled: 1-line block ×3, first 2 shown]
	v_min3_f32 v52, v115, v52, v114
	v_add_f64 v[114:115], v[32:33], v[48:49]
	v_cvt_f32_f64_e32 v114, v[114:115]
	v_add_f64 v[115:116], v[26:27], v[46:47]
	v_min3_f32 v53, v53, v114, v113
	v_add_f64 v[113:114], v[28:29], v[48:49]
	v_cvt_f32_f64_e32 v115, v[115:116]
	v_cvt_f32_f64_e32 v113, v[113:114]
	v_min3_f32 v112, v115, v113, v112
	v_add_f64 v[113:114], v[24:25], v[48:49]
	v_add_f64 v[115:116], v[22:23], v[46:47]
	v_cvt_f32_f64_e32 v113, v[113:114]
	v_cvt_f32_f64_e32 v115, v[115:116]
	v_min3_f32 v111, v115, v113, v111
	v_add_f64 v[113:114], v[20:21], v[48:49]
	;; [unrolled: 5-line block ×3, first 2 shown]
	v_add_f64 v[115:116], v[14:15], v[46:47]
	v_add_f64 v[48:49], v[12:13], v[48:49]
	v_add_f64 v[46:47], v[10:11], v[46:47]
	v_cvt_f32_f64_e32 v113, v[113:114]
	v_cvt_f32_f64_e32 v115, v[115:116]
	;; [unrolled: 1-line block ×4, first 2 shown]
	v_min3_f32 v109, v115, v113, v109
	v_add_f64 v[113:114], v[2:3], v[42:43]
	v_add_f64 v[2:3], v[2:3], v[38:39]
	v_min3_f32 v46, v46, v47, v108
	v_add_f64 v[47:48], v[4:5], v[44:45]
	v_add_f64 v[4:5], v[4:5], v[40:41]
	v_cvt_f32_f64_e32 v49, v[113:114]
	v_add_f64 v[113:114], v[30:31], v[42:43]
	v_cvt_f32_f64_e32 v2, v[2:3]
	v_cvt_f32_f64_e32 v47, v[47:48]
	;; [unrolled: 1-line block ×3, first 2 shown]
	v_add_f64 v[4:5], v[34:35], v[38:39]
	v_min3_f32 v47, v49, v47, v107
	v_add_f64 v[48:49], v[36:37], v[44:45]
	v_add_f64 v[107:108], v[34:35], v[42:43]
	v_cvt_f32_f64_e32 v4, v[4:5]
	v_cvt_f32_f64_e32 v48, v[48:49]
	v_cvt_f32_f64_e32 v107, v[107:108]
	v_cvt_f32_f64_e32 v49, v[113:114]
	v_min3_f32 v48, v107, v48, v106
	v_add_f64 v[106:107], v[32:33], v[44:45]
	v_cvt_f32_f64_e32 v106, v[106:107]
	v_add_f64 v[107:108], v[26:27], v[42:43]
	v_min3_f32 v49, v49, v106, v105
	v_add_f64 v[105:106], v[28:29], v[44:45]
	v_cvt_f32_f64_e32 v107, v[107:108]
	v_cvt_f32_f64_e32 v105, v[105:106]
	v_min3_f32 v104, v107, v105, v104
	v_add_f64 v[105:106], v[24:25], v[44:45]
	v_add_f64 v[107:108], v[22:23], v[42:43]
	v_cvt_f32_f64_e32 v105, v[105:106]
	v_cvt_f32_f64_e32 v107, v[107:108]
	v_min3_f32 v103, v107, v105, v103
	v_add_f64 v[105:106], v[20:21], v[44:45]
	;; [unrolled: 5-line block ×3, first 2 shown]
	v_add_f64 v[107:108], v[14:15], v[42:43]
	v_add_f64 v[44:45], v[12:13], v[44:45]
	;; [unrolled: 1-line block ×3, first 2 shown]
	v_cvt_f32_f64_e32 v105, v[105:106]
	v_cvt_f32_f64_e32 v107, v[107:108]
	;; [unrolled: 1-line block ×4, first 2 shown]
	v_min3_f32 v101, v107, v105, v101
	v_min3_f32 v42, v42, v43, v100
	;; [unrolled: 1-line block ×3, first 2 shown]
	v_add_f64 v[2:3], v[36:37], v[40:41]
	v_cvt_f32_f64_e32 v2, v[2:3]
	v_min3_f32 v44, v4, v2, v98
	v_add_f64 v[2:3], v[32:33], v[40:41]
	v_add_f64 v[4:5], v[30:31], v[38:39]
	v_cvt_f32_f64_e32 v2, v[2:3]
	v_cvt_f32_f64_e32 v4, v[4:5]
	v_min3_f32 v30, v4, v2, v97
	v_add_f64 v[2:3], v[28:29], v[40:41]
	v_add_f64 v[4:5], v[26:27], v[38:39]
	v_cvt_f32_f64_e32 v2, v[2:3]
	;; [unrolled: 5-line block ×6, first 2 shown]
	v_cvt_f32_f64_e32 v4, v[4:5]
	v_min3_f32 v10, v4, v2, v92
	v_add_co_u32 v2, vcc_lo, v88, v66
	v_add_co_ci_u32_e64 v3, null, v89, v67, vcc_lo
	s_clause 0x3
	global_load_dwordx2 v[74:75], v[2:3], off
	global_load_dwordx2 v[76:77], v[2:3], off offset:512
	global_load_dwordx2 v[70:71], v[2:3], off offset:1024
	global_load_dwordx2 v[72:73], v[2:3], off offset:1536
	ds_read_b128 v[38:41], v83 offset:256
	ds_read_b128 v[94:97], v83 offset:512
	;; [unrolled: 1-line block ×14, first 2 shown]
	ds_read_b128 v[196:199], v83
	ds_read_b128 v[2:5], v83 offset:16
	ds_read_b128 v[152:155], v132
	ds_read_b128 v[34:37], v132 offset:16
	v_add_co_u32 v68, vcc_lo, v68, 64
	v_add_co_ci_u32_e64 v69, null, 0, v69, vcc_lo
	v_add_co_u32 v88, vcc_lo, v88, s8
	v_add_co_ci_u32_e64 v89, null, s9, v89, vcc_lo
	v_add_co_u32 v90, vcc_lo, v90, s8
	v_add_co_ci_u32_e64 v91, null, s9, v91, vcc_lo
	s_waitcnt lgkmcnt(1)
	v_add_f64 v[11:12], v[198:199], v[154:155]
	v_add_f64 v[15:16], v[196:197], v[152:153]
	v_cvt_f32_f64_e32 v11, v[11:12]
	v_cvt_f32_f64_e32 v13, v[15:16]
	v_add_f64 v[15:16], v[38:39], v[152:153]
	v_min3_f32 v93, v13, v11, v144
	v_add_f64 v[11:12], v[40:41], v[154:155]
	v_cvt_f32_f64_e32 v13, v[15:16]
	v_add_f64 v[15:16], v[94:95], v[152:153]
	v_cvt_f32_f64_e32 v11, v[11:12]
	v_min3_f32 v92, v13, v11, v145
	v_add_f64 v[11:12], v[96:97], v[154:155]
	v_cvt_f32_f64_e32 v13, v[15:16]
	v_add_f64 v[15:16], v[160:161], v[152:153]
	v_cvt_f32_f64_e32 v11, v[11:12]
	;; [unrolled: 5-line block ×7, first 2 shown]
	v_min3_f32 v156, v13, v11, v6
	v_add_f64 v[11:12], v[198:199], v[107:108]
	v_cvt_f32_f64_e32 v6, v[15:16]
	v_cvt_f32_f64_e32 v11, v[11:12]
	v_min3_f32 v155, v6, v11, v7
	v_add_f64 v[6:7], v[40:41], v[107:108]
	v_add_f64 v[11:12], v[38:39], v[105:106]
	v_cvt_f32_f64_e32 v6, v[6:7]
	v_cvt_f32_f64_e32 v11, v[11:12]
	v_min3_f32 v154, v11, v6, v8
	v_add_f64 v[6:7], v[96:97], v[107:108]
	;; [unrolled: 5-line block ×6, first 2 shown]
	v_add_f64 v[8:9], v[172:173], v[105:106]
	s_waitcnt lgkmcnt(0)
	v_add_f64 v[157:158], v[4:5], v[36:37]
	v_cvt_f32_f64_e32 v6, v[6:7]
	v_cvt_f32_f64_e32 v8, v[8:9]
	;; [unrolled: 1-line block ×3, first 2 shown]
	v_min3_f32 v149, v8, v6, v159
	v_add_f64 v[6:7], v[178:179], v[107:108]
	v_add_f64 v[8:9], v[176:177], v[105:106]
	v_cvt_f32_f64_e32 v6, v[6:7]
	v_cvt_f32_f64_e32 v8, v[8:9]
	v_min3_f32 v148, v8, v6, v62
	v_add_f64 v[6:7], v[198:199], v[115:116]
	v_add_f64 v[8:9], v[196:197], v[113:114]
	v_cvt_f32_f64_e32 v6, v[6:7]
	v_cvt_f32_f64_e32 v8, v[8:9]
	;; [unrolled: 5-line block ×44, first 2 shown]
	v_min3_f32 v99, v8, v6, v30
	v_add_f64 v[6:7], v[162:163], v[194:195]
	v_add_f64 v[8:9], v[160:161], v[192:193]
	;; [unrolled: 1-line block ×3, first 2 shown]
	v_cvt_f32_f64_e32 v6, v[6:7]
	v_cvt_f32_f64_e32 v8, v[8:9]
	;; [unrolled: 1-line block ×3, first 2 shown]
	v_min3_f32 v98, v8, v6, v26
	v_add_f64 v[6:7], v[166:167], v[194:195]
	v_add_f64 v[8:9], v[164:165], v[192:193]
	v_min3_f32 v93, v159, v157, v93
	v_cvt_f32_f64_e32 v6, v[6:7]
	v_cvt_f32_f64_e32 v8, v[8:9]
	v_min3_f32 v97, v8, v6, v22
	v_add_f64 v[6:7], v[170:171], v[194:195]
	v_add_f64 v[8:9], v[168:169], v[192:193]
	v_cvt_f32_f64_e32 v6, v[6:7]
	v_cvt_f32_f64_e32 v8, v[8:9]
	v_min3_f32 v96, v8, v6, v18
	v_add_f64 v[6:7], v[174:175], v[194:195]
	v_add_f64 v[8:9], v[172:173], v[192:193]
	;; [unrolled: 5-line block ×3, first 2 shown]
	v_cvt_f32_f64_e32 v6, v[6:7]
	v_cvt_f32_f64_e32 v8, v[8:9]
	v_min3_f32 v94, v8, v6, v10
	ds_read_b128 v[30:33], v83 offset:272
	ds_read_b128 v[26:29], v83 offset:528
	ds_read_b128 v[22:25], v83 offset:784
	ds_read_b128 v[18:21], v83 offset:1040
	ds_read_b128 v[14:17], v83 offset:1296
	ds_read_b128 v[10:13], v83 offset:1552
	ds_read_b128 v[6:9], v83 offset:1808
	ds_read_b128 v[62:65], v132 offset:1040
	ds_read_b128 v[58:61], v132 offset:2064
	ds_read_b128 v[54:57], v132 offset:3088
	ds_read_b128 v[50:53], v132 offset:4112
	ds_read_b128 v[46:49], v132 offset:5136
	ds_read_b128 v[42:45], v132 offset:6160
	ds_read_b128 v[38:41], v132 offset:7184
	s_waitcnt vmcnt(4)
	ds_write_b64 v84, v[78:79]
	s_waitcnt vmcnt(2)
	ds_write2st64_b64 v85, v[74:75], v[76:77] offset1:4
	s_waitcnt vmcnt(0)
	ds_write2st64_b64 v85, v[70:71], v[72:73] offset0:8 offset1:12
	s_waitcnt lgkmcnt(0)
	s_barrier
	buffer_gl0_inv
	v_add_f64 v[157:158], v[32:33], v[36:37]
	v_add_f64 v[159:160], v[30:31], v[34:35]
	v_cvt_f32_f64_e32 v157, v[157:158]
	v_cvt_f32_f64_e32 v159, v[159:160]
	v_min3_f32 v92, v159, v157, v92
	v_add_f64 v[157:158], v[28:29], v[36:37]
	v_add_f64 v[159:160], v[26:27], v[34:35]
	v_cvt_f32_f64_e32 v157, v[157:158]
	v_cvt_f32_f64_e32 v159, v[159:160]
	v_min3_f32 v133, v159, v157, v133
	;; [unrolled: 5-line block ×5, first 2 shown]
	v_add_f64 v[157:158], v[12:13], v[36:37]
	v_add_f64 v[159:160], v[10:11], v[34:35]
	;; [unrolled: 1-line block ×4, first 2 shown]
	v_cvt_f32_f64_e32 v157, v[157:158]
	v_cvt_f32_f64_e32 v159, v[159:160]
	;; [unrolled: 1-line block ×4, first 2 shown]
	v_add_f64 v[36:37], v[2:3], v[62:63]
	v_min3_f32 v143, v159, v157, v143
	v_min3_f32 v199, v34, v35, v156
	v_add_f64 v[34:35], v[4:5], v[64:65]
	v_cvt_f32_f64_e32 v36, v[36:37]
	v_cvt_f32_f64_e32 v34, v[34:35]
	v_min3_f32 v200, v36, v34, v155
	v_add_f64 v[34:35], v[32:33], v[64:65]
	v_add_f64 v[36:37], v[30:31], v[62:63]
	v_cvt_f32_f64_e32 v34, v[34:35]
	v_cvt_f32_f64_e32 v36, v[36:37]
	v_min3_f32 v197, v36, v34, v154
	v_add_f64 v[34:35], v[28:29], v[64:65]
	;; [unrolled: 5-line block ×40, first 2 shown]
	v_add_f64 v[36:37], v[2:3], v[42:43]
	v_add_f64 v[4:5], v[4:5], v[40:41]
	;; [unrolled: 1-line block ×3, first 2 shown]
	v_cvt_f32_f64_e32 v34, v[34:35]
	v_cvt_f32_f64_e32 v36, v[36:37]
	v_cvt_f32_f64_e32 v2, v[2:3]
	v_cvt_f32_f64_e32 v3, v[4:5]
	v_add_f64 v[4:5], v[30:31], v[38:39]
	v_min3_f32 v160, v36, v34, v109
	v_add_f64 v[34:35], v[32:33], v[44:45]
	v_add_f64 v[36:37], v[30:31], v[42:43]
	v_min3_f32 v152, v2, v3, v101
	v_add_f64 v[2:3], v[32:33], v[40:41]
	v_cvt_f32_f64_e32 v4, v[4:5]
	v_cvt_f32_f64_e32 v34, v[34:35]
	v_cvt_f32_f64_e32 v36, v[36:37]
	v_cvt_f32_f64_e32 v2, v[2:3]
	v_min3_f32 v157, v36, v34, v108
	v_add_f64 v[34:35], v[28:29], v[44:45]
	v_add_f64 v[36:37], v[26:27], v[42:43]
	v_min3_f32 v149, v4, v2, v100
	v_add_f64 v[2:3], v[28:29], v[40:41]
	v_add_f64 v[4:5], v[26:27], v[38:39]
	v_cvt_f32_f64_e32 v34, v[34:35]
	v_cvt_f32_f64_e32 v36, v[36:37]
	v_cvt_f32_f64_e32 v2, v[2:3]
	v_cvt_f32_f64_e32 v4, v[4:5]
	v_min3_f32 v158, v36, v34, v107
	v_add_f64 v[34:35], v[24:25], v[44:45]
	v_add_f64 v[36:37], v[22:23], v[42:43]
	v_min3_f32 v150, v4, v2, v99
	v_add_f64 v[2:3], v[24:25], v[40:41]
	;; [unrolled: 10-line block ×6, first 2 shown]
	v_add_f64 v[4:5], v[6:7], v[38:39]
	v_cvt_f32_f64_e32 v34, v[34:35]
	v_cvt_f32_f64_e32 v36, v[36:37]
	;; [unrolled: 1-line block ×4, first 2 shown]
	v_min3_f32 v151, v36, v34, v102
	v_min3_f32 v144, v4, v2, v94
	s_cbranch_scc0 .LBB175_10
.LBB175_11:
	ds_read_b128 v[124:127], v132 offset:8192
	ds_read_b128 v[68:71], v80 offset:18432
	;; [unrolled: 1-line block ×4, first 2 shown]
	s_clause 0x2
	s_load_dwordx2 s[14:15], s[4:5], 0x78
	s_load_dword s8, s[4:5], 0x70
	s_load_dword s4, s[4:5], 0x58
	v_add_nc_u32_e32 v201, s6, v1
	v_add_nc_u32_e32 v138, s1, v0
	v_ashrrev_i32_e32 v139, 31, v138
	v_add_nc_u32_e32 v0, 8, v138
	v_lshlrev_b64 v[130:131], 3, v[138:139]
	v_ashrrev_i32_e32 v1, 31, v0
	s_waitcnt lgkmcnt(0)
	v_add_f64 v[2:3], v[68:69], v[124:125]
	v_add_f64 v[4:5], v[70:71], v[126:127]
	v_add_f64 v[6:7], v[64:65], v[120:121]
	v_add_f64 v[8:9], v[66:67], v[122:123]
	s_mul_i32 s1, s15, s7
	s_mul_hi_u32 s5, s14, s7
	s_mul_i32 s6, s14, s7
	s_add_i32 s7, s5, s1
	s_lshl_b64 s[6:7], s[6:7], 3
	s_add_u32 s1, s10, s6
	s_addc_u32 s5, s11, s7
	s_mov_b32 s6, -1
	v_cvt_f32_f64_e32 v10, v[2:3]
	v_cvt_f32_f64_e32 v11, v[4:5]
	;; [unrolled: 1-line block ×4, first 2 shown]
	v_mad_i64_i32 v[2:3], null, v201, s8, 0
	v_mad_i64_i32 v[4:5], null, v201, s4, 0
	v_lshlrev_b64 v[2:3], 3, v[2:3]
	v_lshlrev_b64 v[4:5], 3, v[4:5]
	v_add_co_u32 v202, vcc_lo, s1, v2
	v_add_co_ci_u32_e64 v203, null, s5, v3, vcc_lo
	v_add_co_u32 v204, vcc_lo, s12, v4
	v_min3_f32 v8, v10, v11, v93
	v_add_co_ci_u32_e64 v205, null, s13, v5, vcc_lo
	s_mov_b32 vcc_lo, s0
	v_min3_f32 v2, v6, v7, v8
	v_max_f32_e32 v2, v2, v2
	s_cbranch_vccz .LBB175_13
; %bb.12:
	v_min_f32_e32 v3, 0, v2
	v_add_co_u32 v5, vcc_lo, v202, v130
	v_add_co_ci_u32_e64 v6, null, v203, v131, vcc_lo
	v_cvt_f64_f32_e32 v[3:4], v3
	s_mov_b32 s6, 0
	global_store_dwordx2 v[5:6], v[3:4], off
.LBB175_13:
	ds_read_b128 v[60:63], v80 offset:18688
	ds_read_b128 v[52:55], v80 offset:18704
	;; [unrolled: 1-line block ×4, first 2 shown]
	v_lshlrev_b64 v[128:129], 3, v[0:1]
	v_mov_b32_e32 v8, 0
	s_andn2_b32 vcc_lo, exec_lo, s6
	s_cbranch_vccnz .LBB175_15
; %bb.14:
	v_add_co_u32 v0, vcc_lo, v204, v130
	v_add_co_ci_u32_e64 v1, null, v205, v131, vcc_lo
	global_load_dwordx2 v[0:1], v[0:1], off
	s_waitcnt vmcnt(0)
	v_mul_f64 v[0:1], s[2:3], v[0:1]
	v_cvt_f32_f64_e32 v0, v[0:1]
	v_min_f32_e32 v0, v0, v2
	v_add_co_u32 v2, vcc_lo, v202, v130
	v_add_co_ci_u32_e64 v3, null, v203, v131, vcc_lo
	v_cvt_f64_f32_e32 v[0:1], v0
	v_add_co_u32 v4, vcc_lo, v204, v128
	v_add_co_ci_u32_e64 v5, null, v205, v129, vcc_lo
	global_store_dwordx2 v[2:3], v[0:1], off
	global_load_dwordx2 v[0:1], v[4:5], off
	s_waitcnt vmcnt(0)
	v_mul_f64 v[0:1], s[2:3], v[0:1]
	v_cvt_f32_f64_e32 v8, v[0:1]
.LBB175_15:
	s_waitcnt lgkmcnt(3)
	v_add_f64 v[0:1], v[60:61], v[124:125]
	v_add_f64 v[2:3], v[62:63], v[126:127]
	s_waitcnt lgkmcnt(2)
	v_add_f64 v[4:5], v[52:53], v[120:121]
	v_add_f64 v[6:7], v[54:55], v[122:123]
	;; [unrolled: 3-line block ×4, first 2 shown]
	v_add_nc_u32_e32 v136, 16, v138
	v_add_co_u32 v208, vcc_lo, v202, v128
	v_add_co_ci_u32_e64 v209, null, v203, v129, vcc_lo
	s_mov_b32 s6, -1
	s_mov_b32 vcc_lo, s0
	v_cvt_f32_f64_e32 v15, v[0:1]
	v_cvt_f32_f64_e32 v74, v[2:3]
	;; [unrolled: 1-line block ×8, first 2 shown]
	ds_read_b128 v[56:59], v80 offset:19200
	ds_read_b128 v[44:47], v80 offset:19216
	;; [unrolled: 1-line block ×14, first 2 shown]
	v_min3_f32 v9, v15, v74, v92
	ds_read_b128 v[100:103], v132 offset:11264
	ds_read_b128 v[96:99], v132 offset:11280
	;; [unrolled: 1-line block ×4, first 2 shown]
	v_min_f32_e32 v10, v75, v76
	v_min3_f32 v133, v137, v139, v133
	v_ashrrev_i32_e32 v137, 31, v136
	v_min3_f32 v8, v8, v10, v9
	v_min3_f32 v139, v140, v141, v133
	v_lshlrev_b64 v[136:137], 3, v[136:137]
	v_cvt_f64_f32_e32 v[206:207], v8
	ds_read_b128 v[84:87], v132 offset:13312
	ds_read_b128 v[80:83], v132 offset:13328
	;; [unrolled: 1-line block ×6, first 2 shown]
	v_add_nc_u32_e32 v132, 24, v138
	v_max_f32_e32 v140, v139, v139
	v_ashrrev_i32_e32 v133, 31, v132
	global_store_dwordx2 v[208:209], v[206:207], off
	s_cbranch_vccz .LBB175_17
; %bb.16:
	v_min_f32_e32 v139, 0, v140
	v_add_co_u32 v208, vcc_lo, v202, v136
	v_add_co_ci_u32_e64 v209, null, v203, v137, vcc_lo
	v_cvt_f64_f32_e32 v[206:207], v139
	s_mov_b32 s6, 0
	global_store_dwordx2 v[208:209], v[206:207], off
.LBB175_17:
	v_lshlrev_b64 v[132:133], 3, v[132:133]
	v_mov_b32_e32 v139, 0
	s_andn2_b32 vcc_lo, exec_lo, s6
	s_cbranch_vccnz .LBB175_19
; %bb.18:
	v_add_co_u32 v206, vcc_lo, v204, v136
	v_add_co_ci_u32_e64 v207, null, v205, v137, vcc_lo
	global_load_dwordx2 v[206:207], v[206:207], off
	s_waitcnt vmcnt(0)
	v_mul_f64 v[206:207], s[2:3], v[206:207]
	v_cvt_f32_f64_e32 v139, v[206:207]
	v_add_co_u32 v206, vcc_lo, v202, v136
	v_add_co_ci_u32_e64 v207, null, v203, v137, vcc_lo
	v_add_co_u32 v208, vcc_lo, v204, v132
	v_add_co_ci_u32_e64 v209, null, v205, v133, vcc_lo
	v_min_f32_e32 v139, v139, v140
	v_cvt_f64_f32_e32 v[139:140], v139
	global_store_dwordx2 v[206:207], v[139:140], off
	global_load_dwordx2 v[139:140], v[208:209], off
	s_waitcnt vmcnt(0)
	v_mul_f64 v[139:140], s[2:3], v[139:140]
	v_cvt_f32_f64_e32 v139, v[139:140]
.LBB175_19:
	s_waitcnt lgkmcnt(23)
	v_add_f64 v[140:141], v[56:57], v[124:125]
	v_add_f64 v[206:207], v[58:59], v[126:127]
	s_waitcnt lgkmcnt(22)
	v_add_f64 v[208:209], v[44:45], v[120:121]
	v_add_f64 v[210:211], v[46:47], v[122:123]
	;; [unrolled: 3-line block ×3, first 2 shown]
	s_waitcnt lgkmcnt(20)
	v_add_f64 v[216:217], v[32:33], v[120:121]
	s_mov_b32 s6, -1
	v_cvt_f32_f64_e32 v218, v[140:141]
	v_cvt_f32_f64_e32 v206, v[206:207]
	;; [unrolled: 1-line block ×4, first 2 shown]
	v_add_f64 v[140:141], v[34:35], v[122:123]
	v_cvt_f32_f64_e32 v209, v[214:215]
	v_cvt_f32_f64_e32 v210, v[212:213]
	;; [unrolled: 1-line block ×3, first 2 shown]
	v_min3_f32 v134, v218, v206, v134
	v_min_f32_e32 v206, v207, v208
	v_cvt_f32_f64_e32 v141, v[140:141]
	v_min3_f32 v135, v209, v210, v135
	v_add_co_u32 v209, vcc_lo, v202, v132
	v_min3_f32 v134, v139, v206, v134
	v_add_nc_u32_e32 v139, 32, v138
	v_add_co_ci_u32_e64 v210, null, v203, v133, vcc_lo
	s_mov_b32 vcc_lo, s0
	v_cvt_f64_f32_e32 v[207:208], v134
	v_ashrrev_i32_e32 v140, 31, v139
	v_add_nc_u32_e32 v134, 40, v138
	v_min3_f32 v206, v211, v141, v135
	v_lshlrev_b64 v[140:141], 3, v[139:140]
	v_ashrrev_i32_e32 v135, 31, v134
	v_max_f32_e32 v206, v206, v206
	global_store_dwordx2 v[209:210], v[207:208], off
	s_cbranch_vccz .LBB175_21
; %bb.20:
	v_min_f32_e32 v139, 0, v206
	v_add_co_u32 v209, vcc_lo, v202, v140
	v_add_co_ci_u32_e64 v210, null, v203, v141, vcc_lo
	v_cvt_f64_f32_e32 v[207:208], v139
	s_mov_b32 s6, 0
	global_store_dwordx2 v[209:210], v[207:208], off
.LBB175_21:
	v_lshlrev_b64 v[134:135], 3, v[134:135]
	v_mov_b32_e32 v139, 0
	s_andn2_b32 vcc_lo, exec_lo, s6
	s_cbranch_vccnz .LBB175_23
; %bb.22:
	v_add_co_u32 v207, vcc_lo, v204, v140
	v_add_co_ci_u32_e64 v208, null, v205, v141, vcc_lo
	global_load_dwordx2 v[207:208], v[207:208], off
	s_waitcnt vmcnt(0)
	v_mul_f64 v[207:208], s[2:3], v[207:208]
	v_cvt_f32_f64_e32 v139, v[207:208]
	v_add_co_u32 v208, vcc_lo, v202, v140
	v_add_co_ci_u32_e64 v209, null, v203, v141, vcc_lo
	v_add_co_u32 v210, vcc_lo, v204, v134
	v_add_co_ci_u32_e64 v211, null, v205, v135, vcc_lo
	v_min_f32_e32 v139, v139, v206
	v_cvt_f64_f32_e32 v[206:207], v139
	global_store_dwordx2 v[208:209], v[206:207], off
	global_load_dwordx2 v[206:207], v[210:211], off
	s_waitcnt vmcnt(0)
	v_mul_f64 v[206:207], s[2:3], v[206:207]
	v_cvt_f32_f64_e32 v139, v[206:207]
.LBB175_23:
	s_waitcnt lgkmcnt(19)
	v_add_f64 v[206:207], v[28:29], v[124:125]
	v_add_f64 v[208:209], v[30:31], v[126:127]
	s_waitcnt lgkmcnt(18)
	v_add_f64 v[210:211], v[24:25], v[120:121]
	v_add_f64 v[212:213], v[26:27], v[122:123]
	;; [unrolled: 3-line block ×3, first 2 shown]
	s_waitcnt lgkmcnt(16)
	v_add_f64 v[218:219], v[16:17], v[120:121]
	s_mov_b32 s6, -1
	v_cvt_f32_f64_e32 v220, v[206:207]
	v_cvt_f32_f64_e32 v208, v[208:209]
	;; [unrolled: 1-line block ×4, first 2 shown]
	v_add_f64 v[206:207], v[18:19], v[122:123]
	v_cvt_f32_f64_e32 v211, v[216:217]
	v_cvt_f32_f64_e32 v212, v[214:215]
	;; [unrolled: 1-line block ×3, first 2 shown]
	v_min3_f32 v142, v220, v208, v142
	v_min_f32_e32 v208, v209, v210
	v_cvt_f32_f64_e32 v206, v[206:207]
	v_add_co_u32 v210, vcc_lo, v202, v134
	v_min3_f32 v139, v139, v208, v142
	v_add_nc_u32_e32 v142, 48, v138
	v_add_nc_u32_e32 v138, 56, v138
	v_cvt_f64_f32_e32 v[208:209], v139
	v_min3_f32 v139, v211, v212, v143
	v_ashrrev_i32_e32 v143, 31, v142
	v_add_co_ci_u32_e64 v211, null, v203, v135, vcc_lo
	s_mov_b32 vcc_lo, s0
	v_lshlrev_b64 v[142:143], 3, v[142:143]
	v_min3_f32 v206, v213, v206, v139
	v_ashrrev_i32_e32 v139, 31, v138
	v_max_f32_e32 v207, v206, v206
	global_store_dwordx2 v[210:211], v[208:209], off
	s_cbranch_vccz .LBB175_25
; %bb.24:
	v_min_f32_e32 v206, 0, v207
	v_add_co_u32 v210, vcc_lo, v202, v142
	v_add_co_ci_u32_e64 v211, null, v203, v143, vcc_lo
	v_cvt_f64_f32_e32 v[208:209], v206
	s_mov_b32 s6, 0
	global_store_dwordx2 v[210:211], v[208:209], off
.LBB175_25:
	v_lshlrev_b64 v[138:139], 3, v[138:139]
	v_mov_b32_e32 v206, 0
	s_andn2_b32 vcc_lo, exec_lo, s6
	s_cbranch_vccnz .LBB175_27
; %bb.26:
	v_add_co_u32 v208, vcc_lo, v204, v142
	v_add_co_ci_u32_e64 v209, null, v205, v143, vcc_lo
	global_load_dwordx2 v[208:209], v[208:209], off
	s_waitcnt vmcnt(0)
	v_mul_f64 v[208:209], s[2:3], v[208:209]
	v_cvt_f32_f64_e32 v206, v[208:209]
	v_add_co_u32 v208, vcc_lo, v202, v142
	v_add_co_ci_u32_e64 v209, null, v203, v143, vcc_lo
	v_add_co_u32 v204, vcc_lo, v204, v138
	v_add_co_ci_u32_e64 v205, null, v205, v139, vcc_lo
	v_min_f32_e32 v206, v206, v207
	v_cvt_f64_f32_e32 v[206:207], v206
	global_store_dwordx2 v[208:209], v[206:207], off
	global_load_dwordx2 v[204:205], v[204:205], off
	s_waitcnt vmcnt(0)
	v_mul_f64 v[204:205], s[2:3], v[204:205]
	v_cvt_f32_f64_e32 v206, v[204:205]
.LBB175_27:
	s_waitcnt lgkmcnt(15)
	v_add_f64 v[124:125], v[0:1], v[124:125]
	v_add_f64 v[126:127], v[2:3], v[126:127]
	s_waitcnt lgkmcnt(14)
	v_add_f64 v[120:121], v[4:5], v[120:121]
	v_add_f64 v[122:123], v[6:7], v[122:123]
	;; [unrolled: 3-line block ×3, first 2 shown]
	v_add_co_u32 v202, vcc_lo, v202, v138
	v_add_co_ci_u32_e64 v203, null, v203, v139, vcc_lo
	s_mov_b32 s6, -1
	v_cvt_f32_f64_e32 v124, v[124:125]
	v_cvt_f32_f64_e32 v125, v[126:127]
	v_cvt_f32_f64_e32 v126, v[120:121]
	v_cvt_f32_f64_e32 v127, v[122:123]
	s_waitcnt lgkmcnt(12)
	v_add_f64 v[120:121], v[64:65], v[112:113]
	v_add_f64 v[122:123], v[66:67], v[114:115]
	v_cvt_f32_f64_e32 v207, v[207:208]
	v_cvt_f32_f64_e32 v204, v[204:205]
	v_min3_f32 v124, v124, v125, v199
	v_add_nc_u32_e32 v199, 32, v201
	v_min_f32_e32 v125, v126, v127
	v_cvt_f32_f64_e32 v205, v[120:121]
	v_cvt_f32_f64_e32 v208, v[122:123]
	v_mad_i64_i32 v[120:121], null, v199, s8, 0
	v_min3_f32 v122, v206, v125, v124
	v_min3_f32 v124, v207, v204, v200
	v_cvt_f64_f32_e32 v[126:127], v122
	v_mad_i64_i32 v[122:123], null, v199, s4, 0
	v_lshlrev_b64 v[120:121], 3, v[120:121]
	v_lshlrev_b64 v[122:123], 3, v[122:123]
	v_add_co_u32 v120, vcc_lo, s1, v120
	v_add_co_ci_u32_e64 v121, null, s5, v121, vcc_lo
	v_min3_f32 v124, v205, v208, v124
	v_add_co_u32 v122, vcc_lo, s12, v122
	v_add_co_ci_u32_e64 v123, null, s13, v123, vcc_lo
	v_max_f32_e32 v125, v124, v124
	s_mov_b32 vcc_lo, s0
	global_store_dwordx2 v[202:203], v[126:127], off
	s_cbranch_vccz .LBB175_29
; %bb.28:
	v_min_f32_e32 v124, 0, v125
	v_add_co_u32 v199, vcc_lo, v120, v130
	v_add_co_ci_u32_e64 v200, null, v121, v131, vcc_lo
	v_cvt_f64_f32_e32 v[126:127], v124
	s_mov_b32 s6, 0
	global_store_dwordx2 v[199:200], v[126:127], off
.LBB175_29:
	v_mov_b32_e32 v124, 0
	s_andn2_b32 vcc_lo, exec_lo, s6
	s_cbranch_vccnz .LBB175_31
; %bb.30:
	v_add_co_u32 v126, vcc_lo, v122, v130
	v_add_co_ci_u32_e64 v127, null, v123, v131, vcc_lo
	global_load_dwordx2 v[126:127], v[126:127], off
	s_waitcnt vmcnt(0)
	v_mul_f64 v[126:127], s[2:3], v[126:127]
	v_cvt_f32_f64_e32 v124, v[126:127]
	v_add_co_u32 v126, vcc_lo, v120, v130
	v_add_co_ci_u32_e64 v127, null, v121, v131, vcc_lo
	v_add_co_u32 v199, vcc_lo, v122, v128
	v_add_co_ci_u32_e64 v200, null, v123, v129, vcc_lo
	v_min_f32_e32 v124, v124, v125
	v_cvt_f64_f32_e32 v[124:125], v124
	global_store_dwordx2 v[126:127], v[124:125], off
	global_load_dwordx2 v[124:125], v[199:200], off
	s_waitcnt vmcnt(0)
	v_mul_f64 v[124:125], s[2:3], v[124:125]
	v_cvt_f32_f64_e32 v124, v[124:125]
.LBB175_31:
	v_add_f64 v[125:126], v[60:61], v[116:117]
	v_add_f64 v[199:200], v[62:63], v[118:119]
	v_add_f64 v[202:203], v[52:53], v[112:113]
	v_add_f64 v[204:205], v[54:55], v[114:115]
	v_add_f64 v[206:207], v[50:51], v[118:119]
	v_add_f64 v[208:209], v[48:49], v[116:117]
	v_add_f64 v[210:211], v[36:37], v[112:113]
	s_mov_b32 s6, -1
	v_cvt_f32_f64_e32 v127, v[125:126]
	v_cvt_f32_f64_e32 v199, v[199:200]
	v_cvt_f32_f64_e32 v200, v[202:203]
	v_cvt_f32_f64_e32 v202, v[204:205]
	v_add_f64 v[125:126], v[38:39], v[114:115]
	v_cvt_f32_f64_e32 v203, v[208:209]
	v_cvt_f32_f64_e32 v204, v[206:207]
	v_cvt_f32_f64_e32 v205, v[210:211]
	v_min3_f32 v127, v127, v199, v197
	v_min_f32_e32 v197, v200, v202
	v_cvt_f32_f64_e32 v125, v[125:126]
	v_min3_f32 v124, v124, v197, v127
	v_add_co_u32 v197, vcc_lo, v120, v128
	v_cvt_f64_f32_e32 v[126:127], v124
	v_min3_f32 v124, v203, v204, v198
	v_add_co_ci_u32_e64 v198, null, v121, v129, vcc_lo
	s_mov_b32 vcc_lo, s0
	v_min3_f32 v124, v205, v125, v124
	v_max_f32_e32 v125, v124, v124
	global_store_dwordx2 v[197:198], v[126:127], off
	s_cbranch_vccz .LBB175_33
; %bb.32:
	v_min_f32_e32 v124, 0, v125
	v_add_co_u32 v197, vcc_lo, v120, v136
	v_add_co_ci_u32_e64 v198, null, v121, v137, vcc_lo
	v_cvt_f64_f32_e32 v[126:127], v124
	s_mov_b32 s6, 0
	global_store_dwordx2 v[197:198], v[126:127], off
.LBB175_33:
	v_mov_b32_e32 v124, 0
	s_andn2_b32 vcc_lo, exec_lo, s6
	s_cbranch_vccnz .LBB175_35
; %bb.34:
	v_add_co_u32 v126, vcc_lo, v122, v136
	v_add_co_ci_u32_e64 v127, null, v123, v137, vcc_lo
	global_load_dwordx2 v[126:127], v[126:127], off
	s_waitcnt vmcnt(0)
	v_mul_f64 v[126:127], s[2:3], v[126:127]
	v_cvt_f32_f64_e32 v124, v[126:127]
	v_add_co_u32 v126, vcc_lo, v120, v136
	v_add_co_ci_u32_e64 v127, null, v121, v137, vcc_lo
	v_add_co_u32 v197, vcc_lo, v122, v132
	v_add_co_ci_u32_e64 v198, null, v123, v133, vcc_lo
	v_min_f32_e32 v124, v124, v125
	v_cvt_f64_f32_e32 v[124:125], v124
	global_store_dwordx2 v[126:127], v[124:125], off
	global_load_dwordx2 v[124:125], v[197:198], off
	s_waitcnt vmcnt(0)
	v_mul_f64 v[124:125], s[2:3], v[124:125]
	v_cvt_f32_f64_e32 v124, v[124:125]
.LBB175_35:
	v_add_f64 v[125:126], v[56:57], v[116:117]
	v_add_f64 v[197:198], v[58:59], v[118:119]
	v_add_f64 v[199:200], v[44:45], v[112:113]
	v_add_f64 v[202:203], v[46:47], v[114:115]
	v_add_f64 v[204:205], v[42:43], v[118:119]
	v_add_f64 v[206:207], v[40:41], v[116:117]
	v_add_f64 v[208:209], v[32:33], v[112:113]
	s_mov_b32 s6, -1
	v_cvt_f32_f64_e32 v127, v[125:126]
	v_cvt_f32_f64_e32 v197, v[197:198]
	v_cvt_f32_f64_e32 v198, v[199:200]
	v_cvt_f32_f64_e32 v199, v[202:203]
	v_add_f64 v[125:126], v[34:35], v[114:115]
	v_cvt_f32_f64_e32 v200, v[206:207]
	v_cvt_f32_f64_e32 v202, v[204:205]
	v_cvt_f32_f64_e32 v203, v[208:209]
	v_min3_f32 v127, v127, v197, v195
	v_min_f32_e32 v195, v198, v199
	v_cvt_f32_f64_e32 v125, v[125:126]
	v_min3_f32 v124, v124, v195, v127
	v_add_co_u32 v195, vcc_lo, v120, v132
	v_cvt_f64_f32_e32 v[126:127], v124
	v_min3_f32 v124, v200, v202, v196
	v_add_co_ci_u32_e64 v196, null, v121, v133, vcc_lo
	s_mov_b32 vcc_lo, s0
	v_min3_f32 v124, v203, v125, v124
	v_max_f32_e32 v125, v124, v124
	;; [unrolled: 59-line block ×3, first 2 shown]
	global_store_dwordx2 v[193:194], v[126:127], off
	s_cbranch_vccz .LBB175_41
; %bb.40:
	v_min_f32_e32 v124, 0, v125
	v_add_co_u32 v193, vcc_lo, v120, v142
	v_add_co_ci_u32_e64 v194, null, v121, v143, vcc_lo
	v_cvt_f64_f32_e32 v[126:127], v124
	s_mov_b32 s6, 0
	global_store_dwordx2 v[193:194], v[126:127], off
.LBB175_41:
	v_mov_b32_e32 v124, 0
	s_andn2_b32 vcc_lo, exec_lo, s6
	s_cbranch_vccnz .LBB175_43
; %bb.42:
	v_add_co_u32 v126, vcc_lo, v122, v142
	v_add_co_ci_u32_e64 v127, null, v123, v143, vcc_lo
	global_load_dwordx2 v[126:127], v[126:127], off
	s_waitcnt vmcnt(0)
	v_mul_f64 v[126:127], s[2:3], v[126:127]
	v_cvt_f32_f64_e32 v124, v[126:127]
	v_add_co_u32 v126, vcc_lo, v120, v142
	v_add_co_ci_u32_e64 v127, null, v121, v143, vcc_lo
	v_add_co_u32 v122, vcc_lo, v122, v138
	v_add_co_ci_u32_e64 v123, null, v123, v139, vcc_lo
	v_min_f32_e32 v124, v124, v125
	v_cvt_f64_f32_e32 v[124:125], v124
	global_store_dwordx2 v[126:127], v[124:125], off
	global_load_dwordx2 v[122:123], v[122:123], off
	s_waitcnt vmcnt(0)
	v_mul_f64 v[122:123], s[2:3], v[122:123]
	v_cvt_f32_f64_e32 v124, v[122:123]
.LBB175_43:
	v_add_f64 v[116:117], v[0:1], v[116:117]
	v_add_f64 v[118:119], v[2:3], v[118:119]
	;; [unrolled: 1-line block ×4, first 2 shown]
	s_waitcnt lgkmcnt(11)
	v_add_f64 v[122:123], v[70:71], v[110:111]
	v_add_f64 v[125:126], v[68:69], v[108:109]
	v_add_co_u32 v120, vcc_lo, v120, v138
	v_add_co_ci_u32_e64 v121, null, v121, v139, vcc_lo
	s_mov_b32 s6, -1
	v_cvt_f32_f64_e32 v116, v[116:117]
	v_cvt_f32_f64_e32 v117, v[118:119]
	;; [unrolled: 1-line block ×4, first 2 shown]
	s_waitcnt lgkmcnt(10)
	v_add_f64 v[112:113], v[64:65], v[104:105]
	v_add_f64 v[114:115], v[66:67], v[106:107]
	v_cvt_f32_f64_e32 v125, v[125:126]
	v_cvt_f32_f64_e32 v122, v[122:123]
	v_add_nc_u32_e32 v123, 64, v201
	v_min3_f32 v116, v116, v117, v191
	v_min_f32_e32 v117, v118, v119
	v_cvt_f32_f64_e32 v126, v[112:113]
	v_cvt_f32_f64_e32 v127, v[114:115]
	v_mad_i64_i32 v[112:113], null, v123, s8, 0
	v_min3_f32 v114, v124, v117, v116
	v_min3_f32 v116, v125, v122, v192
	v_cvt_f64_f32_e32 v[118:119], v114
	v_mad_i64_i32 v[114:115], null, v123, s4, 0
	v_lshlrev_b64 v[112:113], 3, v[112:113]
	v_add_co_u32 v112, vcc_lo, s1, v112
	v_lshlrev_b64 v[114:115], 3, v[114:115]
	v_add_co_ci_u32_e64 v113, null, s5, v113, vcc_lo
	v_min3_f32 v116, v126, v127, v116
	v_add_co_u32 v114, vcc_lo, s12, v114
	v_add_co_ci_u32_e64 v115, null, s13, v115, vcc_lo
	v_max_f32_e32 v117, v116, v116
	s_mov_b32 vcc_lo, s0
	global_store_dwordx2 v[120:121], v[118:119], off
	s_cbranch_vccz .LBB175_45
; %bb.44:
	v_min_f32_e32 v116, 0, v117
	v_add_co_u32 v120, vcc_lo, v112, v130
	v_add_co_ci_u32_e64 v121, null, v113, v131, vcc_lo
	v_cvt_f64_f32_e32 v[118:119], v116
	s_mov_b32 s6, 0
	global_store_dwordx2 v[120:121], v[118:119], off
.LBB175_45:
	v_mov_b32_e32 v116, 0
	s_andn2_b32 vcc_lo, exec_lo, s6
	s_cbranch_vccnz .LBB175_47
; %bb.46:
	v_add_co_u32 v118, vcc_lo, v114, v130
	v_add_co_ci_u32_e64 v119, null, v115, v131, vcc_lo
	global_load_dwordx2 v[118:119], v[118:119], off
	s_waitcnt vmcnt(0)
	v_mul_f64 v[118:119], s[2:3], v[118:119]
	v_cvt_f32_f64_e32 v116, v[118:119]
	v_add_co_u32 v118, vcc_lo, v112, v130
	v_add_co_ci_u32_e64 v119, null, v113, v131, vcc_lo
	v_add_co_u32 v120, vcc_lo, v114, v128
	v_add_co_ci_u32_e64 v121, null, v115, v129, vcc_lo
	v_min_f32_e32 v116, v116, v117
	v_cvt_f64_f32_e32 v[116:117], v116
	global_store_dwordx2 v[118:119], v[116:117], off
	global_load_dwordx2 v[116:117], v[120:121], off
	s_waitcnt vmcnt(0)
	v_mul_f64 v[116:117], s[2:3], v[116:117]
	v_cvt_f32_f64_e32 v116, v[116:117]
.LBB175_47:
	v_add_f64 v[117:118], v[60:61], v[108:109]
	v_add_f64 v[119:120], v[62:63], v[110:111]
	v_add_f64 v[121:122], v[52:53], v[104:105]
	v_add_f64 v[123:124], v[54:55], v[106:107]
	v_add_f64 v[125:126], v[50:51], v[110:111]
	v_add_f64 v[191:192], v[48:49], v[108:109]
	v_add_f64 v[193:194], v[36:37], v[104:105]
	s_mov_b32 s6, -1
	v_cvt_f32_f64_e32 v127, v[117:118]
	v_cvt_f32_f64_e32 v119, v[119:120]
	v_cvt_f32_f64_e32 v120, v[121:122]
	v_cvt_f32_f64_e32 v121, v[123:124]
	v_add_f64 v[117:118], v[38:39], v[106:107]
	v_cvt_f32_f64_e32 v122, v[191:192]
	v_cvt_f32_f64_e32 v123, v[125:126]
	v_cvt_f32_f64_e32 v124, v[193:194]
	v_min3_f32 v119, v127, v119, v189
	v_min_f32_e32 v120, v120, v121
	v_cvt_f32_f64_e32 v117, v[117:118]
	v_min3_f32 v116, v116, v120, v119
	v_add_co_u32 v120, vcc_lo, v112, v128
	v_add_co_ci_u32_e64 v121, null, v113, v129, vcc_lo
	v_cvt_f64_f32_e32 v[118:119], v116
	v_min3_f32 v116, v122, v123, v190
	s_mov_b32 vcc_lo, s0
	v_min3_f32 v116, v124, v117, v116
	v_max_f32_e32 v117, v116, v116
	global_store_dwordx2 v[120:121], v[118:119], off
	s_cbranch_vccz .LBB175_49
; %bb.48:
	v_min_f32_e32 v116, 0, v117
	v_add_co_u32 v120, vcc_lo, v112, v136
	v_add_co_ci_u32_e64 v121, null, v113, v137, vcc_lo
	v_cvt_f64_f32_e32 v[118:119], v116
	s_mov_b32 s6, 0
	global_store_dwordx2 v[120:121], v[118:119], off
.LBB175_49:
	v_mov_b32_e32 v116, 0
	s_andn2_b32 vcc_lo, exec_lo, s6
	s_cbranch_vccnz .LBB175_51
; %bb.50:
	v_add_co_u32 v118, vcc_lo, v114, v136
	v_add_co_ci_u32_e64 v119, null, v115, v137, vcc_lo
	global_load_dwordx2 v[118:119], v[118:119], off
	s_waitcnt vmcnt(0)
	v_mul_f64 v[118:119], s[2:3], v[118:119]
	v_cvt_f32_f64_e32 v116, v[118:119]
	v_add_co_u32 v118, vcc_lo, v112, v136
	v_add_co_ci_u32_e64 v119, null, v113, v137, vcc_lo
	v_add_co_u32 v120, vcc_lo, v114, v132
	v_add_co_ci_u32_e64 v121, null, v115, v133, vcc_lo
	v_min_f32_e32 v116, v116, v117
	v_cvt_f64_f32_e32 v[116:117], v116
	global_store_dwordx2 v[118:119], v[116:117], off
	global_load_dwordx2 v[116:117], v[120:121], off
	s_waitcnt vmcnt(0)
	v_mul_f64 v[116:117], s[2:3], v[116:117]
	v_cvt_f32_f64_e32 v116, v[116:117]
.LBB175_51:
	v_add_f64 v[117:118], v[56:57], v[108:109]
	v_add_f64 v[119:120], v[58:59], v[110:111]
	v_add_f64 v[121:122], v[44:45], v[104:105]
	v_add_f64 v[123:124], v[46:47], v[106:107]
	v_add_f64 v[125:126], v[42:43], v[110:111]
	v_add_f64 v[189:190], v[40:41], v[108:109]
	v_add_f64 v[191:192], v[32:33], v[104:105]
	s_mov_b32 s6, -1
	v_cvt_f32_f64_e32 v127, v[117:118]
	v_cvt_f32_f64_e32 v119, v[119:120]
	v_cvt_f32_f64_e32 v120, v[121:122]
	v_cvt_f32_f64_e32 v121, v[123:124]
	v_add_f64 v[117:118], v[34:35], v[106:107]
	v_cvt_f32_f64_e32 v122, v[189:190]
	v_cvt_f32_f64_e32 v123, v[125:126]
	v_cvt_f32_f64_e32 v124, v[191:192]
	v_min3_f32 v119, v127, v119, v187
	v_min_f32_e32 v120, v120, v121
	v_cvt_f32_f64_e32 v117, v[117:118]
	v_min3_f32 v116, v116, v120, v119
	v_add_co_u32 v120, vcc_lo, v112, v132
	v_add_co_ci_u32_e64 v121, null, v113, v133, vcc_lo
	v_cvt_f64_f32_e32 v[118:119], v116
	v_min3_f32 v116, v122, v123, v188
	s_mov_b32 vcc_lo, s0
	v_min3_f32 v116, v124, v117, v116
	v_max_f32_e32 v117, v116, v116
	;; [unrolled: 59-line block ×3, first 2 shown]
	global_store_dwordx2 v[120:121], v[118:119], off
	s_cbranch_vccz .LBB175_57
; %bb.56:
	v_min_f32_e32 v116, 0, v117
	v_add_co_u32 v120, vcc_lo, v112, v142
	v_add_co_ci_u32_e64 v121, null, v113, v143, vcc_lo
	v_cvt_f64_f32_e32 v[118:119], v116
	s_mov_b32 s6, 0
	global_store_dwordx2 v[120:121], v[118:119], off
.LBB175_57:
	v_mov_b32_e32 v116, 0
	s_andn2_b32 vcc_lo, exec_lo, s6
	s_cbranch_vccnz .LBB175_59
; %bb.58:
	v_add_co_u32 v118, vcc_lo, v114, v142
	v_add_co_ci_u32_e64 v119, null, v115, v143, vcc_lo
	global_load_dwordx2 v[118:119], v[118:119], off
	s_waitcnt vmcnt(0)
	v_mul_f64 v[118:119], s[2:3], v[118:119]
	v_cvt_f32_f64_e32 v116, v[118:119]
	v_add_co_u32 v118, vcc_lo, v112, v142
	v_add_co_ci_u32_e64 v119, null, v113, v143, vcc_lo
	v_add_co_u32 v114, vcc_lo, v114, v138
	v_add_co_ci_u32_e64 v115, null, v115, v139, vcc_lo
	v_min_f32_e32 v116, v116, v117
	v_cvt_f64_f32_e32 v[116:117], v116
	global_store_dwordx2 v[118:119], v[116:117], off
	global_load_dwordx2 v[114:115], v[114:115], off
	s_waitcnt vmcnt(0)
	v_mul_f64 v[114:115], s[2:3], v[114:115]
	v_cvt_f32_f64_e32 v116, v[114:115]
.LBB175_59:
	v_add_f64 v[108:109], v[0:1], v[108:109]
	v_add_f64 v[110:111], v[2:3], v[110:111]
	;; [unrolled: 1-line block ×4, first 2 shown]
	s_waitcnt lgkmcnt(9)
	v_add_f64 v[114:115], v[70:71], v[102:103]
	v_add_f64 v[117:118], v[68:69], v[100:101]
	v_add_co_u32 v112, vcc_lo, v112, v138
	v_add_co_ci_u32_e64 v113, null, v113, v139, vcc_lo
	s_mov_b32 s6, -1
	v_cvt_f32_f64_e32 v108, v[108:109]
	v_cvt_f32_f64_e32 v109, v[110:111]
	;; [unrolled: 1-line block ×4, first 2 shown]
	s_waitcnt lgkmcnt(8)
	v_add_f64 v[104:105], v[64:65], v[96:97]
	v_add_f64 v[106:107], v[66:67], v[98:99]
	v_cvt_f32_f64_e32 v117, v[117:118]
	v_cvt_f32_f64_e32 v114, v[114:115]
	v_add_nc_u32_e32 v115, 0x60, v201
	v_min3_f32 v108, v108, v109, v183
	v_min_f32_e32 v109, v110, v111
	v_cvt_f32_f64_e32 v118, v[104:105]
	v_cvt_f32_f64_e32 v119, v[106:107]
	v_mad_i64_i32 v[104:105], null, v115, s8, 0
	v_min3_f32 v106, v116, v109, v108
	v_min3_f32 v108, v117, v114, v184
	v_cvt_f64_f32_e32 v[110:111], v106
	v_mad_i64_i32 v[106:107], null, v115, s4, 0
	v_lshlrev_b64 v[104:105], 3, v[104:105]
	v_add_co_u32 v104, vcc_lo, s1, v104
	v_lshlrev_b64 v[106:107], 3, v[106:107]
	v_add_co_ci_u32_e64 v105, null, s5, v105, vcc_lo
	v_min3_f32 v108, v118, v119, v108
	v_add_co_u32 v106, vcc_lo, s12, v106
	v_add_co_ci_u32_e64 v107, null, s13, v107, vcc_lo
	v_max_f32_e32 v109, v108, v108
	s_mov_b32 vcc_lo, s0
	global_store_dwordx2 v[112:113], v[110:111], off
	s_cbranch_vccz .LBB175_61
; %bb.60:
	v_min_f32_e32 v108, 0, v109
	v_add_co_u32 v112, vcc_lo, v104, v130
	v_add_co_ci_u32_e64 v113, null, v105, v131, vcc_lo
	v_cvt_f64_f32_e32 v[110:111], v108
	s_mov_b32 s6, 0
	global_store_dwordx2 v[112:113], v[110:111], off
.LBB175_61:
	v_mov_b32_e32 v108, 0
	s_andn2_b32 vcc_lo, exec_lo, s6
	s_cbranch_vccnz .LBB175_63
; %bb.62:
	v_add_co_u32 v110, vcc_lo, v106, v130
	v_add_co_ci_u32_e64 v111, null, v107, v131, vcc_lo
	global_load_dwordx2 v[110:111], v[110:111], off
	s_waitcnt vmcnt(0)
	v_mul_f64 v[110:111], s[2:3], v[110:111]
	v_cvt_f32_f64_e32 v108, v[110:111]
	v_add_co_u32 v110, vcc_lo, v104, v130
	v_add_co_ci_u32_e64 v111, null, v105, v131, vcc_lo
	v_add_co_u32 v112, vcc_lo, v106, v128
	v_add_co_ci_u32_e64 v113, null, v107, v129, vcc_lo
	v_min_f32_e32 v108, v108, v109
	v_cvt_f64_f32_e32 v[108:109], v108
	global_store_dwordx2 v[110:111], v[108:109], off
	global_load_dwordx2 v[108:109], v[112:113], off
	s_waitcnt vmcnt(0)
	v_mul_f64 v[108:109], s[2:3], v[108:109]
	v_cvt_f32_f64_e32 v108, v[108:109]
.LBB175_63:
	v_add_f64 v[109:110], v[60:61], v[100:101]
	v_add_f64 v[111:112], v[62:63], v[102:103]
	v_add_f64 v[113:114], v[52:53], v[96:97]
	v_add_f64 v[115:116], v[54:55], v[98:99]
	v_add_f64 v[117:118], v[50:51], v[102:103]
	v_add_f64 v[119:120], v[48:49], v[100:101]
	v_add_f64 v[121:122], v[36:37], v[96:97]
	s_mov_b32 s6, -1
	v_cvt_f32_f64_e32 v123, v[109:110]
	v_cvt_f32_f64_e32 v111, v[111:112]
	v_cvt_f32_f64_e32 v112, v[113:114]
	v_cvt_f32_f64_e32 v113, v[115:116]
	v_add_f64 v[109:110], v[38:39], v[98:99]
	v_cvt_f32_f64_e32 v114, v[119:120]
	v_cvt_f32_f64_e32 v115, v[117:118]
	v_cvt_f32_f64_e32 v116, v[121:122]
	v_min3_f32 v111, v123, v111, v181
	v_min_f32_e32 v112, v112, v113
	v_cvt_f32_f64_e32 v109, v[109:110]
	v_min3_f32 v108, v108, v112, v111
	v_add_co_u32 v112, vcc_lo, v104, v128
	v_add_co_ci_u32_e64 v113, null, v105, v129, vcc_lo
	v_cvt_f64_f32_e32 v[110:111], v108
	v_min3_f32 v108, v114, v115, v182
	s_mov_b32 vcc_lo, s0
	v_min3_f32 v108, v116, v109, v108
	v_max_f32_e32 v109, v108, v108
	global_store_dwordx2 v[112:113], v[110:111], off
	s_cbranch_vccz .LBB175_65
; %bb.64:
	v_min_f32_e32 v108, 0, v109
	v_add_co_u32 v112, vcc_lo, v104, v136
	v_add_co_ci_u32_e64 v113, null, v105, v137, vcc_lo
	v_cvt_f64_f32_e32 v[110:111], v108
	s_mov_b32 s6, 0
	global_store_dwordx2 v[112:113], v[110:111], off
.LBB175_65:
	v_mov_b32_e32 v108, 0
	s_andn2_b32 vcc_lo, exec_lo, s6
	s_cbranch_vccnz .LBB175_67
; %bb.66:
	v_add_co_u32 v110, vcc_lo, v106, v136
	v_add_co_ci_u32_e64 v111, null, v107, v137, vcc_lo
	global_load_dwordx2 v[110:111], v[110:111], off
	s_waitcnt vmcnt(0)
	v_mul_f64 v[110:111], s[2:3], v[110:111]
	v_cvt_f32_f64_e32 v108, v[110:111]
	v_add_co_u32 v110, vcc_lo, v104, v136
	v_add_co_ci_u32_e64 v111, null, v105, v137, vcc_lo
	v_add_co_u32 v112, vcc_lo, v106, v132
	v_add_co_ci_u32_e64 v113, null, v107, v133, vcc_lo
	v_min_f32_e32 v108, v108, v109
	v_cvt_f64_f32_e32 v[108:109], v108
	global_store_dwordx2 v[110:111], v[108:109], off
	global_load_dwordx2 v[108:109], v[112:113], off
	s_waitcnt vmcnt(0)
	v_mul_f64 v[108:109], s[2:3], v[108:109]
	v_cvt_f32_f64_e32 v108, v[108:109]
.LBB175_67:
	v_add_f64 v[109:110], v[56:57], v[100:101]
	v_add_f64 v[111:112], v[58:59], v[102:103]
	v_add_f64 v[113:114], v[44:45], v[96:97]
	v_add_f64 v[115:116], v[46:47], v[98:99]
	v_add_f64 v[117:118], v[42:43], v[102:103]
	v_add_f64 v[119:120], v[40:41], v[100:101]
	v_add_f64 v[121:122], v[32:33], v[96:97]
	s_mov_b32 s6, -1
	v_cvt_f32_f64_e32 v123, v[109:110]
	v_cvt_f32_f64_e32 v111, v[111:112]
	v_cvt_f32_f64_e32 v112, v[113:114]
	v_cvt_f32_f64_e32 v113, v[115:116]
	v_add_f64 v[109:110], v[34:35], v[98:99]
	v_cvt_f32_f64_e32 v114, v[119:120]
	v_cvt_f32_f64_e32 v115, v[117:118]
	v_cvt_f32_f64_e32 v116, v[121:122]
	v_min3_f32 v111, v123, v111, v179
	v_min_f32_e32 v112, v112, v113
	v_cvt_f32_f64_e32 v109, v[109:110]
	v_min3_f32 v108, v108, v112, v111
	v_add_co_u32 v112, vcc_lo, v104, v132
	v_add_co_ci_u32_e64 v113, null, v105, v133, vcc_lo
	v_cvt_f64_f32_e32 v[110:111], v108
	v_min3_f32 v108, v114, v115, v180
	s_mov_b32 vcc_lo, s0
	v_min3_f32 v108, v116, v109, v108
	v_max_f32_e32 v109, v108, v108
	;; [unrolled: 59-line block ×3, first 2 shown]
	global_store_dwordx2 v[112:113], v[110:111], off
	s_cbranch_vccz .LBB175_73
; %bb.72:
	v_min_f32_e32 v108, 0, v109
	v_add_co_u32 v112, vcc_lo, v104, v142
	v_add_co_ci_u32_e64 v113, null, v105, v143, vcc_lo
	v_cvt_f64_f32_e32 v[110:111], v108
	s_mov_b32 s6, 0
	global_store_dwordx2 v[112:113], v[110:111], off
.LBB175_73:
	v_mov_b32_e32 v108, 0
	s_andn2_b32 vcc_lo, exec_lo, s6
	s_cbranch_vccnz .LBB175_75
; %bb.74:
	v_add_co_u32 v110, vcc_lo, v106, v142
	v_add_co_ci_u32_e64 v111, null, v107, v143, vcc_lo
	global_load_dwordx2 v[110:111], v[110:111], off
	s_waitcnt vmcnt(0)
	v_mul_f64 v[110:111], s[2:3], v[110:111]
	v_cvt_f32_f64_e32 v108, v[110:111]
	v_add_co_u32 v110, vcc_lo, v104, v142
	v_add_co_ci_u32_e64 v111, null, v105, v143, vcc_lo
	v_add_co_u32 v106, vcc_lo, v106, v138
	v_add_co_ci_u32_e64 v107, null, v107, v139, vcc_lo
	v_min_f32_e32 v108, v108, v109
	v_cvt_f64_f32_e32 v[108:109], v108
	global_store_dwordx2 v[110:111], v[108:109], off
	global_load_dwordx2 v[106:107], v[106:107], off
	s_waitcnt vmcnt(0)
	v_mul_f64 v[106:107], s[2:3], v[106:107]
	v_cvt_f32_f64_e32 v108, v[106:107]
.LBB175_75:
	v_add_f64 v[100:101], v[0:1], v[100:101]
	v_add_f64 v[102:103], v[2:3], v[102:103]
	;; [unrolled: 1-line block ×4, first 2 shown]
	s_waitcnt lgkmcnt(7)
	v_add_f64 v[106:107], v[70:71], v[94:95]
	v_add_f64 v[109:110], v[68:69], v[92:93]
	v_add_co_u32 v104, vcc_lo, v104, v138
	v_add_co_ci_u32_e64 v105, null, v105, v139, vcc_lo
	s_mov_b32 s6, -1
	v_cvt_f32_f64_e32 v100, v[100:101]
	v_cvt_f32_f64_e32 v101, v[102:103]
	;; [unrolled: 1-line block ×4, first 2 shown]
	s_waitcnt lgkmcnt(6)
	v_add_f64 v[96:97], v[64:65], v[88:89]
	v_add_f64 v[98:99], v[66:67], v[90:91]
	v_cvt_f32_f64_e32 v109, v[109:110]
	v_cvt_f32_f64_e32 v106, v[106:107]
	v_add_nc_u32_e32 v107, 0x80, v201
	v_min3_f32 v100, v100, v101, v175
	v_min_f32_e32 v101, v102, v103
	v_cvt_f32_f64_e32 v110, v[96:97]
	v_cvt_f32_f64_e32 v111, v[98:99]
	v_mad_i64_i32 v[96:97], null, v107, s8, 0
	v_min3_f32 v98, v108, v101, v100
	v_min3_f32 v100, v109, v106, v176
	v_cvt_f64_f32_e32 v[102:103], v98
	v_mad_i64_i32 v[98:99], null, v107, s4, 0
	v_lshlrev_b64 v[96:97], 3, v[96:97]
	v_add_co_u32 v96, vcc_lo, s1, v96
	v_lshlrev_b64 v[98:99], 3, v[98:99]
	v_add_co_ci_u32_e64 v97, null, s5, v97, vcc_lo
	v_min3_f32 v100, v110, v111, v100
	v_add_co_u32 v98, vcc_lo, s12, v98
	v_add_co_ci_u32_e64 v99, null, s13, v99, vcc_lo
	v_max_f32_e32 v101, v100, v100
	s_mov_b32 vcc_lo, s0
	global_store_dwordx2 v[104:105], v[102:103], off
	s_cbranch_vccz .LBB175_77
; %bb.76:
	v_min_f32_e32 v100, 0, v101
	v_add_co_u32 v104, vcc_lo, v96, v130
	v_add_co_ci_u32_e64 v105, null, v97, v131, vcc_lo
	v_cvt_f64_f32_e32 v[102:103], v100
	s_mov_b32 s6, 0
	global_store_dwordx2 v[104:105], v[102:103], off
.LBB175_77:
	v_mov_b32_e32 v100, 0
	s_andn2_b32 vcc_lo, exec_lo, s6
	s_cbranch_vccnz .LBB175_79
; %bb.78:
	v_add_co_u32 v102, vcc_lo, v98, v130
	v_add_co_ci_u32_e64 v103, null, v99, v131, vcc_lo
	global_load_dwordx2 v[102:103], v[102:103], off
	s_waitcnt vmcnt(0)
	v_mul_f64 v[102:103], s[2:3], v[102:103]
	v_cvt_f32_f64_e32 v100, v[102:103]
	v_add_co_u32 v102, vcc_lo, v96, v130
	v_add_co_ci_u32_e64 v103, null, v97, v131, vcc_lo
	v_add_co_u32 v104, vcc_lo, v98, v128
	v_add_co_ci_u32_e64 v105, null, v99, v129, vcc_lo
	v_min_f32_e32 v100, v100, v101
	v_cvt_f64_f32_e32 v[100:101], v100
	global_store_dwordx2 v[102:103], v[100:101], off
	global_load_dwordx2 v[100:101], v[104:105], off
	s_waitcnt vmcnt(0)
	v_mul_f64 v[100:101], s[2:3], v[100:101]
	v_cvt_f32_f64_e32 v100, v[100:101]
.LBB175_79:
	v_add_f64 v[101:102], v[60:61], v[92:93]
	v_add_f64 v[103:104], v[62:63], v[94:95]
	v_add_f64 v[105:106], v[52:53], v[88:89]
	v_add_f64 v[107:108], v[54:55], v[90:91]
	v_add_f64 v[109:110], v[50:51], v[94:95]
	v_add_f64 v[111:112], v[48:49], v[92:93]
	v_add_f64 v[113:114], v[36:37], v[88:89]
	s_mov_b32 s6, -1
	v_cvt_f32_f64_e32 v115, v[101:102]
	v_cvt_f32_f64_e32 v103, v[103:104]
	v_cvt_f32_f64_e32 v104, v[105:106]
	v_cvt_f32_f64_e32 v105, v[107:108]
	v_add_f64 v[101:102], v[38:39], v[90:91]
	v_cvt_f32_f64_e32 v106, v[111:112]
	v_cvt_f32_f64_e32 v107, v[109:110]
	v_cvt_f32_f64_e32 v108, v[113:114]
	v_min3_f32 v103, v115, v103, v173
	v_min_f32_e32 v104, v104, v105
	v_cvt_f32_f64_e32 v101, v[101:102]
	v_min3_f32 v100, v100, v104, v103
	v_add_co_u32 v104, vcc_lo, v96, v128
	v_add_co_ci_u32_e64 v105, null, v97, v129, vcc_lo
	v_cvt_f64_f32_e32 v[102:103], v100
	v_min3_f32 v100, v106, v107, v174
	s_mov_b32 vcc_lo, s0
	v_min3_f32 v100, v108, v101, v100
	v_max_f32_e32 v101, v100, v100
	global_store_dwordx2 v[104:105], v[102:103], off
	s_cbranch_vccz .LBB175_81
; %bb.80:
	v_min_f32_e32 v100, 0, v101
	v_add_co_u32 v104, vcc_lo, v96, v136
	v_add_co_ci_u32_e64 v105, null, v97, v137, vcc_lo
	v_cvt_f64_f32_e32 v[102:103], v100
	s_mov_b32 s6, 0
	global_store_dwordx2 v[104:105], v[102:103], off
.LBB175_81:
	v_mov_b32_e32 v100, 0
	s_andn2_b32 vcc_lo, exec_lo, s6
	s_cbranch_vccnz .LBB175_83
; %bb.82:
	v_add_co_u32 v102, vcc_lo, v98, v136
	v_add_co_ci_u32_e64 v103, null, v99, v137, vcc_lo
	global_load_dwordx2 v[102:103], v[102:103], off
	s_waitcnt vmcnt(0)
	v_mul_f64 v[102:103], s[2:3], v[102:103]
	v_cvt_f32_f64_e32 v100, v[102:103]
	v_add_co_u32 v102, vcc_lo, v96, v136
	v_add_co_ci_u32_e64 v103, null, v97, v137, vcc_lo
	v_add_co_u32 v104, vcc_lo, v98, v132
	v_add_co_ci_u32_e64 v105, null, v99, v133, vcc_lo
	v_min_f32_e32 v100, v100, v101
	v_cvt_f64_f32_e32 v[100:101], v100
	global_store_dwordx2 v[102:103], v[100:101], off
	global_load_dwordx2 v[100:101], v[104:105], off
	s_waitcnt vmcnt(0)
	v_mul_f64 v[100:101], s[2:3], v[100:101]
	v_cvt_f32_f64_e32 v100, v[100:101]
.LBB175_83:
	v_add_f64 v[101:102], v[56:57], v[92:93]
	v_add_f64 v[103:104], v[58:59], v[94:95]
	v_add_f64 v[105:106], v[44:45], v[88:89]
	v_add_f64 v[107:108], v[46:47], v[90:91]
	v_add_f64 v[109:110], v[42:43], v[94:95]
	v_add_f64 v[111:112], v[40:41], v[92:93]
	v_add_f64 v[113:114], v[32:33], v[88:89]
	s_mov_b32 s6, -1
	v_cvt_f32_f64_e32 v115, v[101:102]
	v_cvt_f32_f64_e32 v103, v[103:104]
	v_cvt_f32_f64_e32 v104, v[105:106]
	v_cvt_f32_f64_e32 v105, v[107:108]
	v_add_f64 v[101:102], v[34:35], v[90:91]
	v_cvt_f32_f64_e32 v106, v[111:112]
	v_cvt_f32_f64_e32 v107, v[109:110]
	v_cvt_f32_f64_e32 v108, v[113:114]
	v_min3_f32 v103, v115, v103, v171
	v_min_f32_e32 v104, v104, v105
	v_cvt_f32_f64_e32 v101, v[101:102]
	v_min3_f32 v100, v100, v104, v103
	v_add_co_u32 v104, vcc_lo, v96, v132
	v_add_co_ci_u32_e64 v105, null, v97, v133, vcc_lo
	v_cvt_f64_f32_e32 v[102:103], v100
	v_min3_f32 v100, v106, v107, v172
	s_mov_b32 vcc_lo, s0
	v_min3_f32 v100, v108, v101, v100
	v_max_f32_e32 v101, v100, v100
	;; [unrolled: 59-line block ×3, first 2 shown]
	global_store_dwordx2 v[104:105], v[102:103], off
	s_cbranch_vccz .LBB175_89
; %bb.88:
	v_min_f32_e32 v100, 0, v101
	v_add_co_u32 v104, vcc_lo, v96, v142
	v_add_co_ci_u32_e64 v105, null, v97, v143, vcc_lo
	v_cvt_f64_f32_e32 v[102:103], v100
	s_mov_b32 s6, 0
	global_store_dwordx2 v[104:105], v[102:103], off
.LBB175_89:
	v_mov_b32_e32 v100, 0
	s_andn2_b32 vcc_lo, exec_lo, s6
	s_cbranch_vccnz .LBB175_91
; %bb.90:
	v_add_co_u32 v102, vcc_lo, v98, v142
	v_add_co_ci_u32_e64 v103, null, v99, v143, vcc_lo
	global_load_dwordx2 v[102:103], v[102:103], off
	s_waitcnt vmcnt(0)
	v_mul_f64 v[102:103], s[2:3], v[102:103]
	v_cvt_f32_f64_e32 v100, v[102:103]
	v_add_co_u32 v102, vcc_lo, v96, v142
	v_add_co_ci_u32_e64 v103, null, v97, v143, vcc_lo
	v_add_co_u32 v98, vcc_lo, v98, v138
	v_add_co_ci_u32_e64 v99, null, v99, v139, vcc_lo
	v_min_f32_e32 v100, v100, v101
	v_cvt_f64_f32_e32 v[100:101], v100
	global_store_dwordx2 v[102:103], v[100:101], off
	global_load_dwordx2 v[98:99], v[98:99], off
	s_waitcnt vmcnt(0)
	v_mul_f64 v[98:99], s[2:3], v[98:99]
	v_cvt_f32_f64_e32 v100, v[98:99]
.LBB175_91:
	v_add_f64 v[92:93], v[0:1], v[92:93]
	v_add_f64 v[94:95], v[2:3], v[94:95]
	;; [unrolled: 1-line block ×4, first 2 shown]
	s_waitcnt lgkmcnt(5)
	v_add_f64 v[98:99], v[70:71], v[86:87]
	v_add_f64 v[101:102], v[68:69], v[84:85]
	v_add_co_u32 v96, vcc_lo, v96, v138
	v_add_co_ci_u32_e64 v97, null, v97, v139, vcc_lo
	s_mov_b32 s6, -1
	v_cvt_f32_f64_e32 v92, v[92:93]
	v_cvt_f32_f64_e32 v93, v[94:95]
	;; [unrolled: 1-line block ×4, first 2 shown]
	s_waitcnt lgkmcnt(4)
	v_add_f64 v[88:89], v[64:65], v[80:81]
	v_add_f64 v[90:91], v[66:67], v[82:83]
	v_cvt_f32_f64_e32 v101, v[101:102]
	v_cvt_f32_f64_e32 v98, v[98:99]
	v_add_nc_u32_e32 v99, 0xa0, v201
	v_min3_f32 v92, v92, v93, v167
	v_min_f32_e32 v93, v94, v95
	v_cvt_f32_f64_e32 v102, v[88:89]
	v_cvt_f32_f64_e32 v103, v[90:91]
	v_mad_i64_i32 v[88:89], null, v99, s8, 0
	v_min3_f32 v90, v100, v93, v92
	v_min3_f32 v92, v101, v98, v168
	v_cvt_f64_f32_e32 v[94:95], v90
	v_mad_i64_i32 v[90:91], null, v99, s4, 0
	v_lshlrev_b64 v[88:89], 3, v[88:89]
	v_add_co_u32 v88, vcc_lo, s1, v88
	v_lshlrev_b64 v[90:91], 3, v[90:91]
	v_add_co_ci_u32_e64 v89, null, s5, v89, vcc_lo
	v_min3_f32 v92, v102, v103, v92
	v_add_co_u32 v90, vcc_lo, s12, v90
	v_add_co_ci_u32_e64 v91, null, s13, v91, vcc_lo
	v_max_f32_e32 v93, v92, v92
	s_mov_b32 vcc_lo, s0
	global_store_dwordx2 v[96:97], v[94:95], off
	s_cbranch_vccz .LBB175_93
; %bb.92:
	v_min_f32_e32 v92, 0, v93
	v_add_co_u32 v96, vcc_lo, v88, v130
	v_add_co_ci_u32_e64 v97, null, v89, v131, vcc_lo
	v_cvt_f64_f32_e32 v[94:95], v92
	s_mov_b32 s6, 0
	global_store_dwordx2 v[96:97], v[94:95], off
.LBB175_93:
	v_mov_b32_e32 v92, 0
	s_andn2_b32 vcc_lo, exec_lo, s6
	s_cbranch_vccnz .LBB175_95
; %bb.94:
	v_add_co_u32 v94, vcc_lo, v90, v130
	v_add_co_ci_u32_e64 v95, null, v91, v131, vcc_lo
	global_load_dwordx2 v[94:95], v[94:95], off
	s_waitcnt vmcnt(0)
	v_mul_f64 v[94:95], s[2:3], v[94:95]
	v_cvt_f32_f64_e32 v92, v[94:95]
	v_add_co_u32 v94, vcc_lo, v88, v130
	v_add_co_ci_u32_e64 v95, null, v89, v131, vcc_lo
	v_add_co_u32 v96, vcc_lo, v90, v128
	v_add_co_ci_u32_e64 v97, null, v91, v129, vcc_lo
	v_min_f32_e32 v92, v92, v93
	v_cvt_f64_f32_e32 v[92:93], v92
	global_store_dwordx2 v[94:95], v[92:93], off
	global_load_dwordx2 v[92:93], v[96:97], off
	s_waitcnt vmcnt(0)
	v_mul_f64 v[92:93], s[2:3], v[92:93]
	v_cvt_f32_f64_e32 v92, v[92:93]
.LBB175_95:
	v_add_f64 v[93:94], v[60:61], v[84:85]
	v_add_f64 v[95:96], v[62:63], v[86:87]
	v_add_f64 v[97:98], v[52:53], v[80:81]
	v_add_f64 v[99:100], v[54:55], v[82:83]
	v_add_f64 v[101:102], v[50:51], v[86:87]
	v_add_f64 v[103:104], v[48:49], v[84:85]
	v_add_f64 v[105:106], v[36:37], v[80:81]
	s_mov_b32 s6, -1
	v_cvt_f32_f64_e32 v107, v[93:94]
	v_cvt_f32_f64_e32 v95, v[95:96]
	v_cvt_f32_f64_e32 v96, v[97:98]
	v_cvt_f32_f64_e32 v97, v[99:100]
	v_add_f64 v[93:94], v[38:39], v[82:83]
	v_cvt_f32_f64_e32 v98, v[103:104]
	v_cvt_f32_f64_e32 v99, v[101:102]
	v_cvt_f32_f64_e32 v100, v[105:106]
	v_min3_f32 v95, v107, v95, v165
	v_min_f32_e32 v96, v96, v97
	v_cvt_f32_f64_e32 v93, v[93:94]
	v_min3_f32 v92, v92, v96, v95
	v_add_co_u32 v96, vcc_lo, v88, v128
	v_add_co_ci_u32_e64 v97, null, v89, v129, vcc_lo
	v_cvt_f64_f32_e32 v[94:95], v92
	v_min3_f32 v92, v98, v99, v166
	s_mov_b32 vcc_lo, s0
	v_min3_f32 v92, v100, v93, v92
	v_max_f32_e32 v93, v92, v92
	global_store_dwordx2 v[96:97], v[94:95], off
	s_cbranch_vccz .LBB175_97
; %bb.96:
	v_min_f32_e32 v92, 0, v93
	v_add_co_u32 v96, vcc_lo, v88, v136
	v_add_co_ci_u32_e64 v97, null, v89, v137, vcc_lo
	v_cvt_f64_f32_e32 v[94:95], v92
	s_mov_b32 s6, 0
	global_store_dwordx2 v[96:97], v[94:95], off
.LBB175_97:
	v_mov_b32_e32 v92, 0
	s_andn2_b32 vcc_lo, exec_lo, s6
	s_cbranch_vccnz .LBB175_99
; %bb.98:
	v_add_co_u32 v94, vcc_lo, v90, v136
	v_add_co_ci_u32_e64 v95, null, v91, v137, vcc_lo
	global_load_dwordx2 v[94:95], v[94:95], off
	s_waitcnt vmcnt(0)
	v_mul_f64 v[94:95], s[2:3], v[94:95]
	v_cvt_f32_f64_e32 v92, v[94:95]
	v_add_co_u32 v94, vcc_lo, v88, v136
	v_add_co_ci_u32_e64 v95, null, v89, v137, vcc_lo
	v_add_co_u32 v96, vcc_lo, v90, v132
	v_add_co_ci_u32_e64 v97, null, v91, v133, vcc_lo
	v_min_f32_e32 v92, v92, v93
	v_cvt_f64_f32_e32 v[92:93], v92
	global_store_dwordx2 v[94:95], v[92:93], off
	global_load_dwordx2 v[92:93], v[96:97], off
	s_waitcnt vmcnt(0)
	v_mul_f64 v[92:93], s[2:3], v[92:93]
	v_cvt_f32_f64_e32 v92, v[92:93]
.LBB175_99:
	v_add_f64 v[93:94], v[56:57], v[84:85]
	v_add_f64 v[95:96], v[58:59], v[86:87]
	v_add_f64 v[97:98], v[44:45], v[80:81]
	v_add_f64 v[99:100], v[46:47], v[82:83]
	v_add_f64 v[101:102], v[42:43], v[86:87]
	v_add_f64 v[103:104], v[40:41], v[84:85]
	v_add_f64 v[105:106], v[32:33], v[80:81]
	s_mov_b32 s6, -1
	v_cvt_f32_f64_e32 v107, v[93:94]
	v_cvt_f32_f64_e32 v95, v[95:96]
	v_cvt_f32_f64_e32 v96, v[97:98]
	v_cvt_f32_f64_e32 v97, v[99:100]
	v_add_f64 v[93:94], v[34:35], v[82:83]
	v_cvt_f32_f64_e32 v98, v[103:104]
	v_cvt_f32_f64_e32 v99, v[101:102]
	v_cvt_f32_f64_e32 v100, v[105:106]
	v_min3_f32 v95, v107, v95, v163
	v_min_f32_e32 v96, v96, v97
	v_cvt_f32_f64_e32 v93, v[93:94]
	v_min3_f32 v92, v92, v96, v95
	v_add_co_u32 v96, vcc_lo, v88, v132
	v_add_co_ci_u32_e64 v97, null, v89, v133, vcc_lo
	v_cvt_f64_f32_e32 v[94:95], v92
	v_min3_f32 v92, v98, v99, v164
	s_mov_b32 vcc_lo, s0
	v_min3_f32 v92, v100, v93, v92
	v_max_f32_e32 v93, v92, v92
	;; [unrolled: 59-line block ×3, first 2 shown]
	global_store_dwordx2 v[96:97], v[94:95], off
	s_cbranch_vccz .LBB175_105
; %bb.104:
	v_min_f32_e32 v92, 0, v93
	v_add_co_u32 v96, vcc_lo, v88, v142
	v_add_co_ci_u32_e64 v97, null, v89, v143, vcc_lo
	v_cvt_f64_f32_e32 v[94:95], v92
	s_mov_b32 s6, 0
	global_store_dwordx2 v[96:97], v[94:95], off
.LBB175_105:
	v_mov_b32_e32 v92, 0
	s_andn2_b32 vcc_lo, exec_lo, s6
	s_cbranch_vccnz .LBB175_107
; %bb.106:
	v_add_co_u32 v94, vcc_lo, v90, v142
	v_add_co_ci_u32_e64 v95, null, v91, v143, vcc_lo
	global_load_dwordx2 v[94:95], v[94:95], off
	s_waitcnt vmcnt(0)
	v_mul_f64 v[94:95], s[2:3], v[94:95]
	v_cvt_f32_f64_e32 v92, v[94:95]
	v_add_co_u32 v94, vcc_lo, v88, v142
	v_add_co_ci_u32_e64 v95, null, v89, v143, vcc_lo
	v_add_co_u32 v90, vcc_lo, v90, v138
	v_add_co_ci_u32_e64 v91, null, v91, v139, vcc_lo
	v_min_f32_e32 v92, v92, v93
	v_cvt_f64_f32_e32 v[92:93], v92
	global_store_dwordx2 v[94:95], v[92:93], off
	global_load_dwordx2 v[90:91], v[90:91], off
	s_waitcnt vmcnt(0)
	v_mul_f64 v[90:91], s[2:3], v[90:91]
	v_cvt_f32_f64_e32 v92, v[90:91]
.LBB175_107:
	v_add_f64 v[84:85], v[0:1], v[84:85]
	v_add_f64 v[86:87], v[2:3], v[86:87]
	;; [unrolled: 1-line block ×4, first 2 shown]
	s_waitcnt lgkmcnt(3)
	v_add_f64 v[90:91], v[70:71], v[78:79]
	v_add_f64 v[93:94], v[68:69], v[76:77]
	v_add_co_u32 v88, vcc_lo, v88, v138
	v_add_co_ci_u32_e64 v89, null, v89, v139, vcc_lo
	s_mov_b32 s6, -1
	v_cvt_f32_f64_e32 v84, v[84:85]
	v_cvt_f32_f64_e32 v85, v[86:87]
	;; [unrolled: 1-line block ×4, first 2 shown]
	s_waitcnt lgkmcnt(2)
	v_add_f64 v[80:81], v[64:65], v[72:73]
	v_add_f64 v[82:83], v[66:67], v[74:75]
	v_cvt_f32_f64_e32 v93, v[93:94]
	v_cvt_f32_f64_e32 v90, v[90:91]
	v_add_nc_u32_e32 v91, 0xc0, v201
	v_min3_f32 v84, v84, v85, v159
	v_min_f32_e32 v85, v86, v87
	v_cvt_f32_f64_e32 v94, v[80:81]
	v_cvt_f32_f64_e32 v95, v[82:83]
	v_mad_i64_i32 v[80:81], null, v91, s8, 0
	v_min3_f32 v82, v92, v85, v84
	v_min3_f32 v84, v93, v90, v160
	v_cvt_f64_f32_e32 v[86:87], v82
	v_mad_i64_i32 v[82:83], null, v91, s4, 0
	v_lshlrev_b64 v[80:81], 3, v[80:81]
	v_add_co_u32 v80, vcc_lo, s1, v80
	v_lshlrev_b64 v[82:83], 3, v[82:83]
	v_add_co_ci_u32_e64 v81, null, s5, v81, vcc_lo
	v_min3_f32 v84, v94, v95, v84
	v_add_co_u32 v82, vcc_lo, s12, v82
	v_add_co_ci_u32_e64 v83, null, s13, v83, vcc_lo
	v_max_f32_e32 v85, v84, v84
	s_mov_b32 vcc_lo, s0
	global_store_dwordx2 v[88:89], v[86:87], off
	s_cbranch_vccz .LBB175_109
; %bb.108:
	v_min_f32_e32 v84, 0, v85
	v_add_co_u32 v88, vcc_lo, v80, v130
	v_add_co_ci_u32_e64 v89, null, v81, v131, vcc_lo
	v_cvt_f64_f32_e32 v[86:87], v84
	s_mov_b32 s6, 0
	global_store_dwordx2 v[88:89], v[86:87], off
.LBB175_109:
	v_mov_b32_e32 v84, 0
	s_andn2_b32 vcc_lo, exec_lo, s6
	s_cbranch_vccnz .LBB175_111
; %bb.110:
	v_add_co_u32 v86, vcc_lo, v82, v130
	v_add_co_ci_u32_e64 v87, null, v83, v131, vcc_lo
	global_load_dwordx2 v[86:87], v[86:87], off
	s_waitcnt vmcnt(0)
	v_mul_f64 v[86:87], s[2:3], v[86:87]
	v_cvt_f32_f64_e32 v84, v[86:87]
	v_add_co_u32 v86, vcc_lo, v80, v130
	v_add_co_ci_u32_e64 v87, null, v81, v131, vcc_lo
	v_add_co_u32 v88, vcc_lo, v82, v128
	v_add_co_ci_u32_e64 v89, null, v83, v129, vcc_lo
	v_min_f32_e32 v84, v84, v85
	v_cvt_f64_f32_e32 v[84:85], v84
	global_store_dwordx2 v[86:87], v[84:85], off
	global_load_dwordx2 v[84:85], v[88:89], off
	s_waitcnt vmcnt(0)
	v_mul_f64 v[84:85], s[2:3], v[84:85]
	v_cvt_f32_f64_e32 v84, v[84:85]
.LBB175_111:
	v_add_f64 v[85:86], v[60:61], v[76:77]
	v_add_f64 v[87:88], v[62:63], v[78:79]
	v_add_f64 v[89:90], v[52:53], v[72:73]
	v_add_f64 v[91:92], v[54:55], v[74:75]
	v_add_f64 v[93:94], v[50:51], v[78:79]
	v_add_f64 v[95:96], v[48:49], v[76:77]
	v_add_f64 v[97:98], v[36:37], v[72:73]
	s_mov_b32 s6, -1
	v_cvt_f32_f64_e32 v99, v[85:86]
	v_cvt_f32_f64_e32 v87, v[87:88]
	v_cvt_f32_f64_e32 v88, v[89:90]
	v_cvt_f32_f64_e32 v89, v[91:92]
	v_add_f64 v[85:86], v[38:39], v[74:75]
	v_cvt_f32_f64_e32 v90, v[95:96]
	v_cvt_f32_f64_e32 v91, v[93:94]
	v_cvt_f32_f64_e32 v92, v[97:98]
	v_min3_f32 v87, v99, v87, v157
	v_min_f32_e32 v88, v88, v89
	v_cvt_f32_f64_e32 v85, v[85:86]
	v_min3_f32 v84, v84, v88, v87
	v_add_co_u32 v88, vcc_lo, v80, v128
	v_add_co_ci_u32_e64 v89, null, v81, v129, vcc_lo
	v_cvt_f64_f32_e32 v[86:87], v84
	v_min3_f32 v84, v90, v91, v158
	s_mov_b32 vcc_lo, s0
	v_min3_f32 v84, v92, v85, v84
	v_max_f32_e32 v85, v84, v84
	global_store_dwordx2 v[88:89], v[86:87], off
	s_cbranch_vccz .LBB175_113
; %bb.112:
	v_min_f32_e32 v84, 0, v85
	v_add_co_u32 v88, vcc_lo, v80, v136
	v_add_co_ci_u32_e64 v89, null, v81, v137, vcc_lo
	v_cvt_f64_f32_e32 v[86:87], v84
	s_mov_b32 s6, 0
	global_store_dwordx2 v[88:89], v[86:87], off
.LBB175_113:
	v_mov_b32_e32 v84, 0
	s_andn2_b32 vcc_lo, exec_lo, s6
	s_cbranch_vccnz .LBB175_115
; %bb.114:
	v_add_co_u32 v86, vcc_lo, v82, v136
	v_add_co_ci_u32_e64 v87, null, v83, v137, vcc_lo
	global_load_dwordx2 v[86:87], v[86:87], off
	s_waitcnt vmcnt(0)
	v_mul_f64 v[86:87], s[2:3], v[86:87]
	v_cvt_f32_f64_e32 v84, v[86:87]
	v_add_co_u32 v86, vcc_lo, v80, v136
	v_add_co_ci_u32_e64 v87, null, v81, v137, vcc_lo
	v_add_co_u32 v88, vcc_lo, v82, v132
	v_add_co_ci_u32_e64 v89, null, v83, v133, vcc_lo
	v_min_f32_e32 v84, v84, v85
	v_cvt_f64_f32_e32 v[84:85], v84
	global_store_dwordx2 v[86:87], v[84:85], off
	global_load_dwordx2 v[84:85], v[88:89], off
	s_waitcnt vmcnt(0)
	v_mul_f64 v[84:85], s[2:3], v[84:85]
	v_cvt_f32_f64_e32 v84, v[84:85]
.LBB175_115:
	v_add_f64 v[85:86], v[56:57], v[76:77]
	v_add_f64 v[87:88], v[58:59], v[78:79]
	v_add_f64 v[89:90], v[44:45], v[72:73]
	v_add_f64 v[91:92], v[46:47], v[74:75]
	v_add_f64 v[93:94], v[42:43], v[78:79]
	v_add_f64 v[95:96], v[40:41], v[76:77]
	v_add_f64 v[97:98], v[32:33], v[72:73]
	s_mov_b32 s6, -1
	v_cvt_f32_f64_e32 v99, v[85:86]
	v_cvt_f32_f64_e32 v87, v[87:88]
	v_cvt_f32_f64_e32 v88, v[89:90]
	v_cvt_f32_f64_e32 v89, v[91:92]
	v_add_f64 v[85:86], v[34:35], v[74:75]
	v_cvt_f32_f64_e32 v90, v[95:96]
	v_cvt_f32_f64_e32 v91, v[93:94]
	v_cvt_f32_f64_e32 v92, v[97:98]
	v_min3_f32 v87, v99, v87, v155
	v_min_f32_e32 v88, v88, v89
	v_cvt_f32_f64_e32 v85, v[85:86]
	v_min3_f32 v84, v84, v88, v87
	v_add_co_u32 v88, vcc_lo, v80, v132
	v_add_co_ci_u32_e64 v89, null, v81, v133, vcc_lo
	v_cvt_f64_f32_e32 v[86:87], v84
	v_min3_f32 v84, v90, v91, v156
	s_mov_b32 vcc_lo, s0
	v_min3_f32 v84, v92, v85, v84
	v_max_f32_e32 v85, v84, v84
	;; [unrolled: 59-line block ×3, first 2 shown]
	global_store_dwordx2 v[88:89], v[86:87], off
	s_cbranch_vccz .LBB175_121
; %bb.120:
	v_min_f32_e32 v84, 0, v85
	v_add_co_u32 v88, vcc_lo, v80, v142
	v_add_co_ci_u32_e64 v89, null, v81, v143, vcc_lo
	v_cvt_f64_f32_e32 v[86:87], v84
	s_mov_b32 s6, 0
	global_store_dwordx2 v[88:89], v[86:87], off
.LBB175_121:
	v_mov_b32_e32 v84, 0
	s_andn2_b32 vcc_lo, exec_lo, s6
	s_cbranch_vccnz .LBB175_123
; %bb.122:
	v_add_co_u32 v86, vcc_lo, v82, v142
	v_add_co_ci_u32_e64 v87, null, v83, v143, vcc_lo
	global_load_dwordx2 v[86:87], v[86:87], off
	s_waitcnt vmcnt(0)
	v_mul_f64 v[86:87], s[2:3], v[86:87]
	v_cvt_f32_f64_e32 v84, v[86:87]
	v_add_co_u32 v86, vcc_lo, v80, v142
	v_add_co_ci_u32_e64 v87, null, v81, v143, vcc_lo
	v_add_co_u32 v82, vcc_lo, v82, v138
	v_add_co_ci_u32_e64 v83, null, v83, v139, vcc_lo
	v_min_f32_e32 v84, v84, v85
	v_cvt_f64_f32_e32 v[84:85], v84
	global_store_dwordx2 v[86:87], v[84:85], off
	global_load_dwordx2 v[82:83], v[82:83], off
	s_waitcnt vmcnt(0)
	v_mul_f64 v[82:83], s[2:3], v[82:83]
	v_cvt_f32_f64_e32 v84, v[82:83]
.LBB175_123:
	v_add_f64 v[76:77], v[0:1], v[76:77]
	v_add_f64 v[78:79], v[2:3], v[78:79]
	;; [unrolled: 1-line block ×4, first 2 shown]
	s_waitcnt lgkmcnt(1)
	v_add_f64 v[70:71], v[70:71], v[10:11]
	v_add_f64 v[68:69], v[68:69], v[8:9]
	s_waitcnt lgkmcnt(0)
	v_add_f64 v[64:65], v[64:65], v[12:13]
	v_add_f64 v[66:67], v[66:67], v[14:15]
	v_cvt_f32_f64_e32 v76, v[76:77]
	v_cvt_f32_f64_e32 v77, v[78:79]
	v_cvt_f32_f64_e32 v72, v[72:73]
	v_cvt_f32_f64_e32 v73, v[74:75]
	v_cvt_f32_f64_e32 v68, v[68:69]
	v_cvt_f32_f64_e32 v69, v[70:71]
	v_cvt_f32_f64_e32 v74, v[64:65]
	v_cvt_f32_f64_e32 v75, v[66:67]
	v_min3_f32 v70, v76, v77, v151
	v_min_f32_e32 v71, v72, v73
	v_add_nc_u32_e32 v72, 0xe0, v201
	v_min3_f32 v68, v68, v69, v152
	v_min3_f32 v66, v84, v71, v70
	v_mad_i64_i32 v[64:65], null, v72, s8, 0
	v_min3_f32 v68, v74, v75, v68
	v_cvt_f64_f32_e32 v[70:71], v66
	v_mad_i64_i32 v[66:67], null, v72, s4, 0
	v_add_co_u32 v72, vcc_lo, v80, v138
	v_lshlrev_b64 v[64:65], 3, v[64:65]
	v_add_co_ci_u32_e64 v73, null, v81, v139, vcc_lo
	v_max_f32_e32 v69, v68, v68
	v_lshlrev_b64 v[66:67], 3, v[66:67]
	s_mov_b32 s4, -1
	v_add_co_u32 v64, vcc_lo, s1, v64
	v_add_co_ci_u32_e64 v65, null, s5, v65, vcc_lo
	v_add_co_u32 v66, vcc_lo, s12, v66
	v_add_co_ci_u32_e64 v67, null, s13, v67, vcc_lo
	s_mov_b32 vcc_lo, s0
	global_store_dwordx2 v[72:73], v[70:71], off
	s_cbranch_vccz .LBB175_125
; %bb.124:
	v_min_f32_e32 v68, 0, v69
	v_add_co_u32 v72, vcc_lo, v64, v130
	v_add_co_ci_u32_e64 v73, null, v65, v131, vcc_lo
	v_cvt_f64_f32_e32 v[70:71], v68
	s_mov_b32 s4, 0
	global_store_dwordx2 v[72:73], v[70:71], off
.LBB175_125:
	v_mov_b32_e32 v68, 0
	s_andn2_b32 vcc_lo, exec_lo, s4
	s_cbranch_vccnz .LBB175_127
; %bb.126:
	v_add_co_u32 v70, vcc_lo, v66, v130
	v_add_co_ci_u32_e64 v71, null, v67, v131, vcc_lo
	global_load_dwordx2 v[70:71], v[70:71], off
	s_waitcnt vmcnt(0)
	v_mul_f64 v[70:71], s[2:3], v[70:71]
	v_cvt_f32_f64_e32 v68, v[70:71]
	v_add_co_u32 v70, vcc_lo, v64, v130
	v_add_co_ci_u32_e64 v71, null, v65, v131, vcc_lo
	v_add_co_u32 v72, vcc_lo, v66, v128
	v_add_co_ci_u32_e64 v73, null, v67, v129, vcc_lo
	v_min_f32_e32 v68, v68, v69
	v_cvt_f64_f32_e32 v[68:69], v68
	global_store_dwordx2 v[70:71], v[68:69], off
	global_load_dwordx2 v[68:69], v[72:73], off
	s_waitcnt vmcnt(0)
	v_mul_f64 v[68:69], s[2:3], v[68:69]
	v_cvt_f32_f64_e32 v68, v[68:69]
.LBB175_127:
	v_add_f64 v[60:61], v[60:61], v[8:9]
	v_add_f64 v[62:63], v[62:63], v[10:11]
	;; [unrolled: 1-line block ×8, first 2 shown]
	s_mov_b32 s1, -1
	v_cvt_f32_f64_e32 v60, v[60:61]
	v_cvt_f32_f64_e32 v61, v[62:63]
	;; [unrolled: 1-line block ×8, first 2 shown]
	v_min3_f32 v37, v60, v61, v149
	v_min_f32_e32 v50, v52, v53
	v_min3_f32 v37, v68, v50, v37
	v_cvt_f64_f32_e32 v[38:39], v37
	v_min3_f32 v37, v48, v49, v150
	v_add_co_u32 v48, vcc_lo, v64, v128
	v_add_co_ci_u32_e64 v49, null, v65, v129, vcc_lo
	v_min3_f32 v36, v36, v51, v37
	s_mov_b32 vcc_lo, s0
	v_max_f32_e32 v37, v36, v36
	global_store_dwordx2 v[48:49], v[38:39], off
	s_cbranch_vccz .LBB175_129
; %bb.128:
	v_min_f32_e32 v36, 0, v37
	v_add_co_u32 v48, vcc_lo, v64, v136
	v_add_co_ci_u32_e64 v49, null, v65, v137, vcc_lo
	v_cvt_f64_f32_e32 v[38:39], v36
	s_mov_b32 s1, 0
	global_store_dwordx2 v[48:49], v[38:39], off
.LBB175_129:
	v_mov_b32_e32 v36, 0
	s_andn2_b32 vcc_lo, exec_lo, s1
	s_cbranch_vccnz .LBB175_131
; %bb.130:
	v_add_co_u32 v38, vcc_lo, v66, v136
	v_add_co_ci_u32_e64 v39, null, v67, v137, vcc_lo
	global_load_dwordx2 v[38:39], v[38:39], off
	s_waitcnt vmcnt(0)
	v_mul_f64 v[38:39], s[2:3], v[38:39]
	v_cvt_f32_f64_e32 v36, v[38:39]
	v_add_co_u32 v38, vcc_lo, v64, v136
	v_add_co_ci_u32_e64 v39, null, v65, v137, vcc_lo
	v_add_co_u32 v48, vcc_lo, v66, v132
	v_add_co_ci_u32_e64 v49, null, v67, v133, vcc_lo
	v_min_f32_e32 v36, v36, v37
	v_cvt_f64_f32_e32 v[36:37], v36
	global_store_dwordx2 v[38:39], v[36:37], off
	global_load_dwordx2 v[36:37], v[48:49], off
	s_waitcnt vmcnt(0)
	v_mul_f64 v[36:37], s[2:3], v[36:37]
	v_cvt_f32_f64_e32 v36, v[36:37]
.LBB175_131:
	v_add_f64 v[37:38], v[56:57], v[8:9]
	v_add_f64 v[48:49], v[58:59], v[10:11]
	;; [unrolled: 1-line block ×8, first 2 shown]
	s_mov_b32 s1, -1
	v_cvt_f32_f64_e32 v37, v[37:38]
	v_cvt_f32_f64_e32 v38, v[48:49]
	;; [unrolled: 1-line block ×7, first 2 shown]
	v_min3_f32 v33, v37, v38, v147
	v_cvt_f32_f64_e32 v38, v[34:35]
	v_min_f32_e32 v37, v41, v44
	v_min3_f32 v33, v36, v37, v33
	v_add_co_u32 v36, vcc_lo, v64, v132
	v_add_co_ci_u32_e64 v37, null, v65, v133, vcc_lo
	v_cvt_f64_f32_e32 v[34:35], v33
	v_min3_f32 v33, v39, v40, v148
	s_mov_b32 vcc_lo, s0
	v_min3_f32 v32, v32, v38, v33
	v_max_f32_e32 v33, v32, v32
	global_store_dwordx2 v[36:37], v[34:35], off
	s_cbranch_vccz .LBB175_133
; %bb.132:
	v_min_f32_e32 v32, 0, v33
	v_add_co_u32 v36, vcc_lo, v64, v140
	v_add_co_ci_u32_e64 v37, null, v65, v141, vcc_lo
	v_cvt_f64_f32_e32 v[34:35], v32
	s_mov_b32 s1, 0
	global_store_dwordx2 v[36:37], v[34:35], off
.LBB175_133:
	v_mov_b32_e32 v32, 0
	s_andn2_b32 vcc_lo, exec_lo, s1
	s_cbranch_vccnz .LBB175_135
; %bb.134:
	v_add_co_u32 v34, vcc_lo, v66, v140
	v_add_co_ci_u32_e64 v35, null, v67, v141, vcc_lo
	global_load_dwordx2 v[34:35], v[34:35], off
	s_waitcnt vmcnt(0)
	v_mul_f64 v[34:35], s[2:3], v[34:35]
	v_cvt_f32_f64_e32 v32, v[34:35]
	v_add_co_u32 v34, vcc_lo, v64, v140
	v_add_co_ci_u32_e64 v35, null, v65, v141, vcc_lo
	v_add_co_u32 v36, vcc_lo, v66, v134
	v_add_co_ci_u32_e64 v37, null, v67, v135, vcc_lo
	v_min_f32_e32 v32, v32, v33
	v_cvt_f64_f32_e32 v[32:33], v32
	global_store_dwordx2 v[34:35], v[32:33], off
	global_load_dwordx2 v[32:33], v[36:37], off
	s_waitcnt vmcnt(0)
	v_mul_f64 v[32:33], s[2:3], v[32:33]
	v_cvt_f32_f64_e32 v32, v[32:33]
.LBB175_135:
	v_add_f64 v[28:29], v[28:29], v[8:9]
	v_add_f64 v[30:31], v[30:31], v[10:11]
	;; [unrolled: 1-line block ×8, first 2 shown]
	s_mov_b32 s1, -1
	v_cvt_f32_f64_e32 v28, v[28:29]
	v_cvt_f32_f64_e32 v29, v[30:31]
	;; [unrolled: 1-line block ×8, first 2 shown]
	v_min3_f32 v17, v28, v29, v145
	v_min_f32_e32 v22, v24, v25
	v_min3_f32 v17, v32, v22, v17
	v_cvt_f64_f32_e32 v[18:19], v17
	v_min3_f32 v17, v20, v21, v146
	v_add_co_u32 v20, vcc_lo, v64, v134
	v_add_co_ci_u32_e64 v21, null, v65, v135, vcc_lo
	v_min3_f32 v16, v16, v23, v17
	s_mov_b32 vcc_lo, s0
	v_max_f32_e32 v17, v16, v16
	global_store_dwordx2 v[20:21], v[18:19], off
	s_cbranch_vccz .LBB175_137
; %bb.136:
	v_min_f32_e32 v16, 0, v17
	v_add_co_u32 v20, vcc_lo, v64, v142
	v_add_co_ci_u32_e64 v21, null, v65, v143, vcc_lo
	v_cvt_f64_f32_e32 v[18:19], v16
	s_mov_b32 s1, 0
	global_store_dwordx2 v[20:21], v[18:19], off
.LBB175_137:
	v_mov_b32_e32 v16, 0
	s_andn2_b32 vcc_lo, exec_lo, s1
	s_cbranch_vccnz .LBB175_139
; %bb.138:
	v_add_co_u32 v18, vcc_lo, v66, v142
	v_add_co_ci_u32_e64 v19, null, v67, v143, vcc_lo
	global_load_dwordx2 v[18:19], v[18:19], off
	s_waitcnt vmcnt(0)
	v_mul_f64 v[18:19], s[2:3], v[18:19]
	v_cvt_f32_f64_e32 v16, v[18:19]
	v_add_co_u32 v18, vcc_lo, v64, v142
	v_add_co_ci_u32_e64 v19, null, v65, v143, vcc_lo
	v_add_co_u32 v20, vcc_lo, v66, v138
	v_add_co_ci_u32_e64 v21, null, v67, v139, vcc_lo
	v_min_f32_e32 v16, v16, v17
	v_cvt_f64_f32_e32 v[16:17], v16
	global_store_dwordx2 v[18:19], v[16:17], off
	global_load_dwordx2 v[16:17], v[20:21], off
	s_waitcnt vmcnt(0)
	v_mul_f64 v[16:17], s[2:3], v[16:17]
	v_cvt_f32_f64_e32 v16, v[16:17]
.LBB175_139:
	v_add_f64 v[4:5], v[4:5], v[12:13]
	v_add_f64 v[6:7], v[6:7], v[14:15]
	;; [unrolled: 1-line block ×4, first 2 shown]
	v_cvt_f32_f64_e32 v4, v[4:5]
	v_cvt_f32_f64_e32 v5, v[6:7]
	;; [unrolled: 1-line block ×4, first 2 shown]
	v_min_f32_e32 v2, v4, v5
	v_min3_f32 v0, v0, v1, v144
	v_min3_f32 v0, v16, v2, v0
	v_add_co_u32 v2, vcc_lo, v64, v138
	v_add_co_ci_u32_e64 v3, null, v65, v139, vcc_lo
	v_cvt_f64_f32_e32 v[0:1], v0
	global_store_dwordx2 v[2:3], v[0:1], off
	s_endpgm
	.section	.rodata,"a",@progbits
	.p2align	6, 0x0
	.amdhsa_kernel _ZN12_GLOBAL__N_120geam_min_plus_kernelId15HIP_vector_typeIdLj2EEdLi8ELi32ELi64ELi256ELi4ELi4ELi64ELi64ELi4ELc84ELc84ELb1ELb0ELb1EdKddEEviiiT16_PT17_ilS6_ilS4_S6_ilPT18_ili26rocblas_geam_ex_operation_
		.amdhsa_group_segment_fixed_size 20480
		.amdhsa_private_segment_fixed_size 0
		.amdhsa_kernarg_size 136
		.amdhsa_user_sgpr_count 6
		.amdhsa_user_sgpr_private_segment_buffer 1
		.amdhsa_user_sgpr_dispatch_ptr 0
		.amdhsa_user_sgpr_queue_ptr 0
		.amdhsa_user_sgpr_kernarg_segment_ptr 1
		.amdhsa_user_sgpr_dispatch_id 0
		.amdhsa_user_sgpr_flat_scratch_init 0
		.amdhsa_user_sgpr_private_segment_size 0
		.amdhsa_wavefront_size32 1
		.amdhsa_uses_dynamic_stack 0
		.amdhsa_system_sgpr_private_segment_wavefront_offset 0
		.amdhsa_system_sgpr_workgroup_id_x 1
		.amdhsa_system_sgpr_workgroup_id_y 0
		.amdhsa_system_sgpr_workgroup_id_z 1
		.amdhsa_system_sgpr_workgroup_info 0
		.amdhsa_system_vgpr_workitem_id 1
		.amdhsa_next_free_vgpr 221
		.amdhsa_next_free_sgpr 23
		.amdhsa_reserve_vcc 1
		.amdhsa_reserve_flat_scratch 0
		.amdhsa_float_round_mode_32 0
		.amdhsa_float_round_mode_16_64 0
		.amdhsa_float_denorm_mode_32 3
		.amdhsa_float_denorm_mode_16_64 3
		.amdhsa_dx10_clamp 1
		.amdhsa_ieee_mode 1
		.amdhsa_fp16_overflow 0
		.amdhsa_workgroup_processor_mode 1
		.amdhsa_memory_ordered 1
		.amdhsa_forward_progress 1
		.amdhsa_shared_vgpr_count 0
		.amdhsa_exception_fp_ieee_invalid_op 0
		.amdhsa_exception_fp_denorm_src 0
		.amdhsa_exception_fp_ieee_div_zero 0
		.amdhsa_exception_fp_ieee_overflow 0
		.amdhsa_exception_fp_ieee_underflow 0
		.amdhsa_exception_fp_ieee_inexact 0
		.amdhsa_exception_int_div_zero 0
	.end_amdhsa_kernel
	.section	.text._ZN12_GLOBAL__N_120geam_min_plus_kernelId15HIP_vector_typeIdLj2EEdLi8ELi32ELi64ELi256ELi4ELi4ELi64ELi64ELi4ELc84ELc84ELb1ELb0ELb1EdKddEEviiiT16_PT17_ilS6_ilS4_S6_ilPT18_ili26rocblas_geam_ex_operation_,"axG",@progbits,_ZN12_GLOBAL__N_120geam_min_plus_kernelId15HIP_vector_typeIdLj2EEdLi8ELi32ELi64ELi256ELi4ELi4ELi64ELi64ELi4ELc84ELc84ELb1ELb0ELb1EdKddEEviiiT16_PT17_ilS6_ilS4_S6_ilPT18_ili26rocblas_geam_ex_operation_,comdat
.Lfunc_end175:
	.size	_ZN12_GLOBAL__N_120geam_min_plus_kernelId15HIP_vector_typeIdLj2EEdLi8ELi32ELi64ELi256ELi4ELi4ELi64ELi64ELi4ELc84ELc84ELb1ELb0ELb1EdKddEEviiiT16_PT17_ilS6_ilS4_S6_ilPT18_ili26rocblas_geam_ex_operation_, .Lfunc_end175-_ZN12_GLOBAL__N_120geam_min_plus_kernelId15HIP_vector_typeIdLj2EEdLi8ELi32ELi64ELi256ELi4ELi4ELi64ELi64ELi4ELc84ELc84ELb1ELb0ELb1EdKddEEviiiT16_PT17_ilS6_ilS4_S6_ilPT18_ili26rocblas_geam_ex_operation_
                                        ; -- End function
	.set _ZN12_GLOBAL__N_120geam_min_plus_kernelId15HIP_vector_typeIdLj2EEdLi8ELi32ELi64ELi256ELi4ELi4ELi64ELi64ELi4ELc84ELc84ELb1ELb0ELb1EdKddEEviiiT16_PT17_ilS6_ilS4_S6_ilPT18_ili26rocblas_geam_ex_operation_.num_vgpr, 221
	.set _ZN12_GLOBAL__N_120geam_min_plus_kernelId15HIP_vector_typeIdLj2EEdLi8ELi32ELi64ELi256ELi4ELi4ELi64ELi64ELi4ELc84ELc84ELb1ELb0ELb1EdKddEEviiiT16_PT17_ilS6_ilS4_S6_ilPT18_ili26rocblas_geam_ex_operation_.num_agpr, 0
	.set _ZN12_GLOBAL__N_120geam_min_plus_kernelId15HIP_vector_typeIdLj2EEdLi8ELi32ELi64ELi256ELi4ELi4ELi64ELi64ELi4ELc84ELc84ELb1ELb0ELb1EdKddEEviiiT16_PT17_ilS6_ilS4_S6_ilPT18_ili26rocblas_geam_ex_operation_.numbered_sgpr, 23
	.set _ZN12_GLOBAL__N_120geam_min_plus_kernelId15HIP_vector_typeIdLj2EEdLi8ELi32ELi64ELi256ELi4ELi4ELi64ELi64ELi4ELc84ELc84ELb1ELb0ELb1EdKddEEviiiT16_PT17_ilS6_ilS4_S6_ilPT18_ili26rocblas_geam_ex_operation_.num_named_barrier, 0
	.set _ZN12_GLOBAL__N_120geam_min_plus_kernelId15HIP_vector_typeIdLj2EEdLi8ELi32ELi64ELi256ELi4ELi4ELi64ELi64ELi4ELc84ELc84ELb1ELb0ELb1EdKddEEviiiT16_PT17_ilS6_ilS4_S6_ilPT18_ili26rocblas_geam_ex_operation_.private_seg_size, 0
	.set _ZN12_GLOBAL__N_120geam_min_plus_kernelId15HIP_vector_typeIdLj2EEdLi8ELi32ELi64ELi256ELi4ELi4ELi64ELi64ELi4ELc84ELc84ELb1ELb0ELb1EdKddEEviiiT16_PT17_ilS6_ilS4_S6_ilPT18_ili26rocblas_geam_ex_operation_.uses_vcc, 1
	.set _ZN12_GLOBAL__N_120geam_min_plus_kernelId15HIP_vector_typeIdLj2EEdLi8ELi32ELi64ELi256ELi4ELi4ELi64ELi64ELi4ELc84ELc84ELb1ELb0ELb1EdKddEEviiiT16_PT17_ilS6_ilS4_S6_ilPT18_ili26rocblas_geam_ex_operation_.uses_flat_scratch, 0
	.set _ZN12_GLOBAL__N_120geam_min_plus_kernelId15HIP_vector_typeIdLj2EEdLi8ELi32ELi64ELi256ELi4ELi4ELi64ELi64ELi4ELc84ELc84ELb1ELb0ELb1EdKddEEviiiT16_PT17_ilS6_ilS4_S6_ilPT18_ili26rocblas_geam_ex_operation_.has_dyn_sized_stack, 0
	.set _ZN12_GLOBAL__N_120geam_min_plus_kernelId15HIP_vector_typeIdLj2EEdLi8ELi32ELi64ELi256ELi4ELi4ELi64ELi64ELi4ELc84ELc84ELb1ELb0ELb1EdKddEEviiiT16_PT17_ilS6_ilS4_S6_ilPT18_ili26rocblas_geam_ex_operation_.has_recursion, 0
	.set _ZN12_GLOBAL__N_120geam_min_plus_kernelId15HIP_vector_typeIdLj2EEdLi8ELi32ELi64ELi256ELi4ELi4ELi64ELi64ELi4ELc84ELc84ELb1ELb0ELb1EdKddEEviiiT16_PT17_ilS6_ilS4_S6_ilPT18_ili26rocblas_geam_ex_operation_.has_indirect_call, 0
	.section	.AMDGPU.csdata,"",@progbits
; Kernel info:
; codeLenInByte = 26492
; TotalNumSgprs: 25
; NumVgprs: 221
; ScratchSize: 0
; MemoryBound: 0
; FloatMode: 240
; IeeeMode: 1
; LDSByteSize: 20480 bytes/workgroup (compile time only)
; SGPRBlocks: 0
; VGPRBlocks: 27
; NumSGPRsForWavesPerEU: 25
; NumVGPRsForWavesPerEU: 221
; Occupancy: 4
; WaveLimiterHint : 1
; COMPUTE_PGM_RSRC2:SCRATCH_EN: 0
; COMPUTE_PGM_RSRC2:USER_SGPR: 6
; COMPUTE_PGM_RSRC2:TRAP_HANDLER: 0
; COMPUTE_PGM_RSRC2:TGID_X_EN: 1
; COMPUTE_PGM_RSRC2:TGID_Y_EN: 0
; COMPUTE_PGM_RSRC2:TGID_Z_EN: 1
; COMPUTE_PGM_RSRC2:TIDIG_COMP_CNT: 1
	.section	.text._ZN12_GLOBAL__N_120geam_min_plus_kernelId15HIP_vector_typeIdLj2EEdLi8ELi32ELi64ELi256ELi4ELi4ELi64ELi64ELi4ELc84ELc84ELb0ELb0ELb1EdKddEEviiiT16_PT17_ilS6_ilS4_S6_ilPT18_ili26rocblas_geam_ex_operation_,"axG",@progbits,_ZN12_GLOBAL__N_120geam_min_plus_kernelId15HIP_vector_typeIdLj2EEdLi8ELi32ELi64ELi256ELi4ELi4ELi64ELi64ELi4ELc84ELc84ELb0ELb0ELb1EdKddEEviiiT16_PT17_ilS6_ilS4_S6_ilPT18_ili26rocblas_geam_ex_operation_,comdat
	.globl	_ZN12_GLOBAL__N_120geam_min_plus_kernelId15HIP_vector_typeIdLj2EEdLi8ELi32ELi64ELi256ELi4ELi4ELi64ELi64ELi4ELc84ELc84ELb0ELb0ELb1EdKddEEviiiT16_PT17_ilS6_ilS4_S6_ilPT18_ili26rocblas_geam_ex_operation_ ; -- Begin function _ZN12_GLOBAL__N_120geam_min_plus_kernelId15HIP_vector_typeIdLj2EEdLi8ELi32ELi64ELi256ELi4ELi4ELi64ELi64ELi4ELc84ELc84ELb0ELb0ELb1EdKddEEviiiT16_PT17_ilS6_ilS4_S6_ilPT18_ili26rocblas_geam_ex_operation_
	.p2align	8
	.type	_ZN12_GLOBAL__N_120geam_min_plus_kernelId15HIP_vector_typeIdLj2EEdLi8ELi32ELi64ELi256ELi4ELi4ELi64ELi64ELi4ELc84ELc84ELb0ELb0ELb1EdKddEEviiiT16_PT17_ilS6_ilS4_S6_ilPT18_ili26rocblas_geam_ex_operation_,@function
_ZN12_GLOBAL__N_120geam_min_plus_kernelId15HIP_vector_typeIdLj2EEdLi8ELi32ELi64ELi256ELi4ELi4ELi64ELi64ELi4ELc84ELc84ELb0ELb0ELb1EdKddEEviiiT16_PT17_ilS6_ilS4_S6_ilPT18_ili26rocblas_geam_ex_operation_: ; @_ZN12_GLOBAL__N_120geam_min_plus_kernelId15HIP_vector_typeIdLj2EEdLi8ELi32ELi64ELi256ELi4ELi4ELi64ELi64ELi4ELc84ELc84ELb0ELb0ELb1EdKddEEviiiT16_PT17_ilS6_ilS4_S6_ilPT18_ili26rocblas_geam_ex_operation_
; %bb.0:
	s_clause 0x1
	s_load_dwordx4 s[12:15], s[4:5], 0x10
	s_load_dwordx4 s[8:11], s[4:5], 0x28
	s_mov_b64 s[16:17], 0
	s_waitcnt lgkmcnt(0)
	v_cmp_eq_f64_e64 s18, s[12:13], 0
	s_and_b32 vcc_lo, exec_lo, s18
	s_cbranch_vccnz .LBB176_2
; %bb.1:
	s_mul_i32 s0, s9, s7
	s_mul_hi_u32 s1, s8, s7
	s_add_i32 s1, s1, s0
	s_mul_i32 s0, s8, s7
	s_lshl_b64 s[0:1], s[0:1], 3
	s_add_u32 s16, s14, s0
	s_addc_u32 s17, s15, s1
.LBB176_2:
	s_clause 0x1
	s_load_dwordx4 s[0:3], s[4:5], 0x40
	s_load_dwordx2 s[20:21], s[4:5], 0x50
	s_andn2_b32 vcc_lo, exec_lo, s18
	s_mov_b32 s8, -1
	s_cbranch_vccnz .LBB176_4
; %bb.3:
	s_mov_b32 s8, 0
.LBB176_4:
	s_mov_b64 s[14:15], 0
	s_andn2_b32 vcc_lo, exec_lo, s8
	s_mov_b64 s[18:19], 0
	s_cbranch_vccnz .LBB176_6
; %bb.5:
	s_waitcnt lgkmcnt(0)
	s_mul_i32 s1, s1, s7
	s_mul_hi_u32 s8, s0, s7
	s_mul_i32 s0, s0, s7
	s_add_i32 s1, s8, s1
	s_lshl_b64 s[0:1], s[0:1], 3
	s_add_u32 s18, s10, s0
	s_addc_u32 s19, s11, s1
.LBB176_6:
	s_waitcnt lgkmcnt(0)
	v_cmp_eq_f64_e64 s0, s[2:3], 0
	v_cmp_neq_f64_e64 s24, s[12:13], 0
	s_load_dwordx4 s[8:11], s[4:5], 0x60
	s_and_b32 s0, exec_lo, s0
	s_mov_b32 vcc_lo, s0
	s_cbranch_vccnz .LBB176_8
; %bb.7:
	s_waitcnt lgkmcnt(0)
	s_mul_i32 s1, s9, s7
	s_mul_hi_u32 s9, s8, s7
	s_mul_i32 s8, s8, s7
	s_add_i32 s9, s9, s1
	s_lshl_b64 s[8:9], s[8:9], 3
	s_add_u32 s14, s20, s8
	s_addc_u32 s15, s21, s9
.LBB176_8:
	s_clause 0x1
	s_load_dword s1, s[4:5], 0x0
	s_load_dword s22, s[4:5], 0x20
	v_lshl_add_u32 v6, v1, 3, v0
	v_cndmask_b32_e64 v4, 0, 1, s24
	v_and_b32_e32 v7, 3, v0
	v_lshrrev_b32_e32 v78, 2, v6
	v_lshlrev_b32_e32 v76, 3, v7
	s_waitcnt lgkmcnt(0)
	s_add_i32 s1, s1, -1
	s_ashr_i32 s8, s1, 31
	s_lshr_b32 s8, s8, 26
	s_add_i32 s1, s1, s8
	s_ashr_i32 s1, s1, 6
	s_add_i32 s8, s1, 1
	s_not_b32 s1, s1
	v_cvt_f32_u32_e32 v2, s8
	v_rcp_iflag_f32_e32 v2, v2
	v_mul_f32_e32 v2, 0x4f7ffffe, v2
	v_cvt_u32_f32_e32 v2, v2
	v_readfirstlane_b32 s9, v2
	v_mov_b32_e32 v2, 0
	v_mov_b32_e32 v3, 0
	s_mul_i32 s1, s1, s9
	s_mul_hi_u32 s1, s9, s1
	s_add_i32 s9, s9, s1
	s_mul_hi_u32 s1, s6, s9
	s_mul_i32 s9, s1, s8
	s_add_i32 s20, s1, 1
	s_sub_i32 s9, s6, s9
	s_sub_i32 s21, s9, s8
	s_cmp_ge_u32 s9, s8
	s_cselect_b32 s1, s20, s1
	s_cselect_b32 s9, s21, s9
	s_add_i32 s20, s1, 1
	s_cmp_ge_u32 s9, s8
	s_cselect_b32 s9, s20, s1
	v_cmp_ne_u32_e64 s1, 1, v4
	s_mul_i32 s23, s9, s8
	v_mov_b32_e32 v4, 0
	s_sub_i32 s8, s6, s23
	v_mov_b32_e32 v5, 0
	s_lshl_b32 s20, s8, 6
	s_andn2_b32 vcc_lo, exec_lo, s24
	v_add_nc_u32_e32 v14, s20, v78
	s_cbranch_vccnz .LBB176_10
; %bb.9:
	v_mad_i64_i32 v[4:5], null, v14, s22, 0
	v_lshlrev_b64 v[4:5], 3, v[4:5]
	v_add_co_u32 v4, vcc_lo, s16, v4
	v_add_co_ci_u32_e64 v5, null, s17, v5, vcc_lo
	v_add_co_u32 v4, vcc_lo, v4, v76
	v_add_co_ci_u32_e64 v5, null, 0, v5, vcc_lo
	global_load_dwordx2 v[4:5], v[4:5], off
	s_waitcnt vmcnt(0)
	v_mul_f64 v[4:5], s[12:13], v[4:5]
.LBB176_10:
	s_load_dword s8, s[4:5], 0x38
	v_lshrrev_b32_e32 v77, 6, v6
	v_and_b32_e32 v79, 63, v6
	s_lshl_b32 s21, s9, 8
	s_waitcnt lgkmcnt(0)
	v_mad_i64_i32 v[7:8], null, s8, v77, 0
	s_ashr_i32 s9, s8, 31
	v_lshlrev_b64 v[9:10], 3, v[7:8]
	v_or_b32_e32 v8, s21, v79
	v_mov_b32_e32 v6, 0
	v_mov_b32_e32 v7, 0
	v_add_co_u32 v15, vcc_lo, s18, v9
	v_add_co_ci_u32_e64 v16, null, s19, v10, vcc_lo
	v_ashrrev_i32_e32 v9, 31, v8
	s_and_b32 vcc_lo, exec_lo, s1
	s_cbranch_vccnz .LBB176_12
; %bb.11:
	v_lshlrev_b64 v[2:3], 3, v[8:9]
	v_add_co_u32 v2, vcc_lo, v15, v2
	v_add_co_ci_u32_e64 v3, null, v16, v3, vcc_lo
	s_clause 0x1
	global_load_dwordx2 v[6:7], v[2:3], off
	global_load_dwordx2 v[10:11], v[2:3], off offset:512
	s_waitcnt vmcnt(1)
	v_mul_f64 v[2:3], s[12:13], v[6:7]
	s_waitcnt vmcnt(0)
	v_mul_f64 v[6:7], s[12:13], v[10:11]
.LBB176_12:
	v_mov_b32_e32 v66, 0
	v_mov_b32_e32 v10, 0
	;; [unrolled: 1-line block ×6, first 2 shown]
	s_and_b32 vcc_lo, exec_lo, s1
	s_cbranch_vccnz .LBB176_14
; %bb.13:
	v_lshlrev_b64 v[10:11], 3, v[8:9]
	v_add_co_u32 v10, vcc_lo, v15, v10
	v_add_co_ci_u32_e64 v11, null, v16, v11, vcc_lo
	s_clause 0x1
	global_load_dwordx2 v[12:13], v[10:11], off offset:1024
	global_load_dwordx2 v[15:16], v[10:11], off offset:1536
	s_waitcnt vmcnt(1)
	v_mul_f64 v[10:11], s[12:13], v[12:13]
	s_waitcnt vmcnt(0)
	v_mul_f64 v[12:13], s[12:13], v[15:16]
.LBB176_14:
	s_and_b32 vcc_lo, exec_lo, s1
	s_cbranch_vccnz .LBB176_16
; %bb.15:
	v_mad_i64_i32 v[14:15], null, v14, s22, 0
	v_lshlrev_b64 v[14:15], 3, v[14:15]
	v_add_co_u32 v14, vcc_lo, s16, v14
	v_add_co_ci_u32_e64 v15, null, s17, v15, vcc_lo
	v_add_co_u32 v14, vcc_lo, v14, v76
	v_add_co_ci_u32_e64 v15, null, 0, v15, vcc_lo
	global_load_dwordx2 v[14:15], v[14:15], off offset:32
	s_waitcnt vmcnt(0)
	v_mul_f64 v[66:67], s[12:13], v[14:15]
.LBB176_16:
	v_add_nc_u32_e32 v14, 4, v77
	v_mov_b32_e32 v68, 0
	v_mov_b32_e32 v70, 0
	;; [unrolled: 1-line block ×4, first 2 shown]
	v_mad_i64_i32 v[14:15], null, s8, v14, 0
	v_mov_b32_e32 v71, 0
	v_mov_b32_e32 v73, 0
	v_lshlrev_b64 v[14:15], 3, v[14:15]
	v_add_co_u32 v14, vcc_lo, s18, v14
	v_add_co_ci_u32_e64 v15, null, s19, v15, vcc_lo
	s_and_b32 vcc_lo, exec_lo, s1
	s_cbranch_vccnz .LBB176_18
; %bb.17:
	v_lshlrev_b64 v[16:17], 3, v[8:9]
	v_add_co_u32 v16, vcc_lo, v14, v16
	v_add_co_ci_u32_e64 v17, null, v15, v17, vcc_lo
	s_clause 0x1
	global_load_dwordx2 v[18:19], v[16:17], off
	global_load_dwordx2 v[16:17], v[16:17], off offset:512
	s_waitcnt vmcnt(1)
	v_mul_f64 v[70:71], s[12:13], v[18:19]
	s_waitcnt vmcnt(0)
	v_mul_f64 v[72:73], s[12:13], v[16:17]
.LBB176_18:
	v_mov_b32_e32 v74, 0
	v_mov_b32_e32 v75, 0
	s_and_b32 vcc_lo, exec_lo, s1
	s_cbranch_vccnz .LBB176_20
; %bb.19:
	v_lshlrev_b64 v[8:9], 3, v[8:9]
	v_add_co_u32 v8, vcc_lo, v14, v8
	v_add_co_ci_u32_e64 v9, null, v15, v9, vcc_lo
	s_clause 0x1
	global_load_dwordx2 v[14:15], v[8:9], off offset:1024
	global_load_dwordx2 v[8:9], v[8:9], off offset:1536
	s_waitcnt vmcnt(1)
	v_mul_f64 v[68:69], s[12:13], v[14:15]
	s_waitcnt vmcnt(0)
	v_mul_f64 v[74:75], s[12:13], v[8:9]
.LBB176_20:
	v_lshl_or_b32 v80, v78, 5, v76
	v_lshlrev_b32_e32 v147, 5, v0
	v_lshlrev_b32_e32 v146, 5, v1
	s_load_dword s24, s[4:5], 0x8
	ds_write_b64 v80, v[4:5] offset:16384
	v_lshlrev_b32_e32 v4, 5, v79
	v_lshl_add_u32 v148, v77, 3, v4
	ds_write2st64_b64 v148, v[2:3], v[6:7] offset1:4
	ds_write2st64_b64 v148, v[10:11], v[12:13] offset0:8 offset1:12
	s_waitcnt lgkmcnt(0)
	s_barrier
	buffer_gl0_inv
	ds_read_b128 v[10:13], v147 offset:16640
	ds_read_b128 v[14:17], v147 offset:16896
	;; [unrolled: 1-line block ×16, first 2 shown]
	ds_read_b128 v[85:88], v146
	ds_read_b128 v[6:9], v146 offset:16
	s_cmp_lt_i32 s24, 9
	s_waitcnt lgkmcnt(1)
	v_add_f64 v[89:90], v[83:84], v[87:88]
	v_add_f64 v[91:92], v[81:82], v[85:86]
	s_waitcnt lgkmcnt(0)
	v_add_f64 v[149:150], v[4:5], v[8:9]
	v_add_f64 v[151:152], v[2:3], v[6:7]
	v_cvt_f32_f64_e32 v89, v[89:90]
	v_cvt_f32_f64_e32 v91, v[91:92]
	;; [unrolled: 1-line block ×4, first 2 shown]
	v_min3_f32 v144, v91, v89, 0x7f800000
	v_add_f64 v[89:90], v[12:13], v[87:88]
	v_add_f64 v[91:92], v[10:11], v[85:86]
	v_min3_f32 v222, v145, v149, v144
	v_cvt_f32_f64_e32 v89, v[89:90]
	v_cvt_f32_f64_e32 v91, v[91:92]
	v_min3_f32 v143, v91, v89, 0x7f800000
	v_add_f64 v[89:90], v[16:17], v[87:88]
	v_add_f64 v[91:92], v[14:15], v[85:86]
	v_cvt_f32_f64_e32 v89, v[89:90]
	v_cvt_f32_f64_e32 v91, v[91:92]
	v_min3_f32 v142, v91, v89, 0x7f800000
	v_add_f64 v[89:90], v[20:21], v[87:88]
	v_add_f64 v[91:92], v[18:19], v[85:86]
	;; [unrolled: 5-line block ×5, first 2 shown]
	v_add_f64 v[87:88], v[36:37], v[87:88]
	v_add_f64 v[85:86], v[34:35], v[85:86]
	v_cvt_f32_f64_e32 v89, v[89:90]
	v_cvt_f32_f64_e32 v91, v[91:92]
	v_cvt_f32_f64_e32 v85, v[85:86]
	v_cvt_f32_f64_e32 v86, v[87:88]
	v_add_f64 v[87:88], v[81:82], v[38:39]
	v_min3_f32 v138, v91, v89, 0x7f800000
	v_min3_f32 v137, v85, v86, 0x7f800000
	v_add_f64 v[85:86], v[83:84], v[40:41]
	v_cvt_f32_f64_e32 v87, v[87:88]
	v_cvt_f32_f64_e32 v85, v[85:86]
	v_min3_f32 v136, v87, v85, 0x7f800000
	v_add_f64 v[85:86], v[12:13], v[40:41]
	v_add_f64 v[87:88], v[10:11], v[38:39]
	v_cvt_f32_f64_e32 v85, v[85:86]
	v_cvt_f32_f64_e32 v87, v[87:88]
	v_min3_f32 v135, v87, v85, 0x7f800000
	v_add_f64 v[85:86], v[16:17], v[40:41]
	;; [unrolled: 5-line block ×6, first 2 shown]
	v_add_f64 v[87:88], v[30:31], v[38:39]
	v_add_f64 v[40:41], v[36:37], v[40:41]
	v_add_f64 v[38:39], v[34:35], v[38:39]
	v_cvt_f32_f64_e32 v85, v[85:86]
	v_cvt_f32_f64_e32 v87, v[87:88]
	;; [unrolled: 1-line block ×4, first 2 shown]
	v_add_f64 v[40:41], v[81:82], v[42:43]
	v_min3_f32 v130, v87, v85, 0x7f800000
	v_min3_f32 v129, v38, v39, 0x7f800000
	v_add_f64 v[38:39], v[83:84], v[44:45]
	v_cvt_f32_f64_e32 v40, v[40:41]
	v_cvt_f32_f64_e32 v38, v[38:39]
	v_min3_f32 v128, v40, v38, 0x7f800000
	v_add_f64 v[38:39], v[12:13], v[44:45]
	v_add_f64 v[40:41], v[10:11], v[42:43]
	v_cvt_f32_f64_e32 v38, v[38:39]
	v_cvt_f32_f64_e32 v40, v[40:41]
	v_min3_f32 v127, v40, v38, 0x7f800000
	v_add_f64 v[38:39], v[16:17], v[44:45]
	;; [unrolled: 5-line block ×33, first 2 shown]
	v_add_f64 v[40:41], v[10:11], v[58:59]
	v_add_f64 v[12:13], v[12:13], v[64:65]
	;; [unrolled: 1-line block ×3, first 2 shown]
	v_cvt_f32_f64_e32 v38, v[38:39]
	v_cvt_f32_f64_e32 v40, v[40:41]
	;; [unrolled: 1-line block ×4, first 2 shown]
	v_add_f64 v[12:13], v[14:15], v[62:63]
	v_min3_f32 v95, v40, v38, 0x7f800000
	v_add_f64 v[38:39], v[16:17], v[60:61]
	v_add_f64 v[40:41], v[14:15], v[58:59]
	v_min3_f32 v87, v10, v11, 0x7f800000
	v_add_f64 v[10:11], v[16:17], v[64:65]
	v_cvt_f32_f64_e32 v12, v[12:13]
	v_cvt_f32_f64_e32 v38, v[38:39]
	;; [unrolled: 1-line block ×4, first 2 shown]
	v_min3_f32 v94, v40, v38, 0x7f800000
	v_add_f64 v[38:39], v[20:21], v[60:61]
	v_add_f64 v[40:41], v[18:19], v[58:59]
	v_min3_f32 v86, v12, v10, 0x7f800000
	v_add_f64 v[10:11], v[20:21], v[64:65]
	v_add_f64 v[12:13], v[18:19], v[62:63]
	v_cvt_f32_f64_e32 v38, v[38:39]
	v_cvt_f32_f64_e32 v40, v[40:41]
	;; [unrolled: 1-line block ×4, first 2 shown]
	v_min3_f32 v93, v40, v38, 0x7f800000
	v_add_f64 v[38:39], v[24:25], v[60:61]
	v_add_f64 v[40:41], v[22:23], v[58:59]
	v_min3_f32 v85, v12, v10, 0x7f800000
	v_add_f64 v[10:11], v[24:25], v[64:65]
	v_add_f64 v[12:13], v[22:23], v[62:63]
	v_cvt_f32_f64_e32 v38, v[38:39]
	v_cvt_f32_f64_e32 v40, v[40:41]
	;; [unrolled: 1-line block ×4, first 2 shown]
	v_min3_f32 v92, v40, v38, 0x7f800000
	v_add_f64 v[38:39], v[28:29], v[60:61]
	v_add_f64 v[40:41], v[26:27], v[58:59]
	v_cvt_f32_f64_e32 v38, v[38:39]
	v_cvt_f32_f64_e32 v40, v[40:41]
	v_min3_f32 v91, v40, v38, 0x7f800000
	v_add_f64 v[38:39], v[32:33], v[60:61]
	v_add_f64 v[40:41], v[30:31], v[58:59]
	v_cvt_f32_f64_e32 v38, v[38:39]
	v_cvt_f32_f64_e32 v40, v[40:41]
	;; [unrolled: 5-line block ×3, first 2 shown]
	v_min3_f32 v89, v40, v38, 0x7f800000
	v_add_f64 v[38:39], v[83:84], v[64:65]
	v_min3_f32 v84, v12, v10, 0x7f800000
	v_add_f64 v[10:11], v[28:29], v[64:65]
	v_add_f64 v[12:13], v[26:27], v[62:63]
	;; [unrolled: 1-line block ×3, first 2 shown]
	v_cvt_f32_f64_e32 v38, v[38:39]
	v_cvt_f32_f64_e32 v10, v[10:11]
	;; [unrolled: 1-line block ×4, first 2 shown]
	v_min3_f32 v83, v12, v10, 0x7f800000
	v_add_f64 v[10:11], v[32:33], v[64:65]
	v_add_f64 v[12:13], v[30:31], v[62:63]
	v_min3_f32 v88, v40, v38, 0x7f800000
	v_cvt_f32_f64_e32 v10, v[10:11]
	v_cvt_f32_f64_e32 v12, v[12:13]
	v_min3_f32 v82, v12, v10, 0x7f800000
	v_add_f64 v[10:11], v[36:37], v[64:65]
	v_add_f64 v[12:13], v[34:35], v[62:63]
	v_cvt_f32_f64_e32 v10, v[10:11]
	v_cvt_f32_f64_e32 v12, v[12:13]
	v_min3_f32 v81, v12, v10, 0x7f800000
	ds_read_b128 v[34:37], v147 offset:16656
	ds_read_b128 v[30:33], v147 offset:16912
	;; [unrolled: 1-line block ×14, first 2 shown]
	ds_write_b64 v80, v[66:67] offset:18432
	ds_write2st64_b64 v148, v[70:71], v[72:73] offset0:16 offset1:20
	ds_write2st64_b64 v148, v[68:69], v[74:75] offset0:24 offset1:28
	s_waitcnt lgkmcnt(0)
	s_barrier
	buffer_gl0_inv
	v_add_f64 v[144:145], v[36:37], v[8:9]
	v_add_f64 v[149:150], v[34:35], v[6:7]
	v_cvt_f32_f64_e32 v144, v[144:145]
	v_cvt_f32_f64_e32 v149, v[149:150]
	v_min3_f32 v221, v149, v144, v143
	v_add_f64 v[143:144], v[32:33], v[8:9]
	v_add_f64 v[149:150], v[30:31], v[6:7]
	v_cvt_f32_f64_e32 v143, v[143:144]
	v_cvt_f32_f64_e32 v145, v[149:150]
	v_min3_f32 v220, v145, v143, v142
	;; [unrolled: 5-line block ×5, first 2 shown]
	v_add_f64 v[139:140], v[16:17], v[8:9]
	v_add_f64 v[141:142], v[14:15], v[6:7]
	;; [unrolled: 1-line block ×4, first 2 shown]
	v_cvt_f32_f64_e32 v139, v[139:140]
	v_cvt_f32_f64_e32 v141, v[141:142]
	;; [unrolled: 1-line block ×4, first 2 shown]
	v_add_f64 v[8:9], v[2:3], v[62:63]
	v_min3_f32 v217, v141, v139, v138
	v_min3_f32 v214, v6, v7, v137
	v_add_f64 v[6:7], v[4:5], v[64:65]
	v_cvt_f32_f64_e32 v8, v[8:9]
	v_cvt_f32_f64_e32 v6, v[6:7]
	v_min3_f32 v215, v8, v6, v136
	v_add_f64 v[6:7], v[36:37], v[64:65]
	v_add_f64 v[8:9], v[34:35], v[62:63]
	v_cvt_f32_f64_e32 v6, v[6:7]
	v_cvt_f32_f64_e32 v8, v[8:9]
	v_min3_f32 v212, v8, v6, v135
	v_add_f64 v[6:7], v[32:33], v[64:65]
	;; [unrolled: 5-line block ×40, first 2 shown]
	v_add_f64 v[8:9], v[2:3], v[42:43]
	v_add_f64 v[4:5], v[4:5], v[40:41]
	;; [unrolled: 1-line block ×3, first 2 shown]
	v_cvt_f32_f64_e32 v6, v[6:7]
	v_cvt_f32_f64_e32 v8, v[8:9]
	;; [unrolled: 1-line block ×4, first 2 shown]
	v_add_f64 v[4:5], v[34:35], v[38:39]
	v_min3_f32 v171, v8, v6, v96
	v_add_f64 v[6:7], v[36:37], v[44:45]
	v_add_f64 v[8:9], v[34:35], v[42:43]
	v_min3_f32 v156, v2, v3, v88
	v_add_f64 v[2:3], v[36:37], v[40:41]
	v_cvt_f32_f64_e32 v4, v[4:5]
	v_cvt_f32_f64_e32 v6, v[6:7]
	v_cvt_f32_f64_e32 v8, v[8:9]
	v_cvt_f32_f64_e32 v2, v[2:3]
	v_min3_f32 v162, v8, v6, v95
	v_add_f64 v[6:7], v[32:33], v[44:45]
	v_add_f64 v[8:9], v[30:31], v[42:43]
	v_min3_f32 v155, v4, v2, v87
	v_add_f64 v[2:3], v[32:33], v[40:41]
	v_add_f64 v[4:5], v[30:31], v[38:39]
	v_cvt_f32_f64_e32 v6, v[6:7]
	v_cvt_f32_f64_e32 v8, v[8:9]
	v_cvt_f32_f64_e32 v2, v[2:3]
	v_cvt_f32_f64_e32 v4, v[4:5]
	v_min3_f32 v163, v8, v6, v94
	v_add_f64 v[6:7], v[28:29], v[44:45]
	v_add_f64 v[8:9], v[26:27], v[42:43]
	v_min3_f32 v154, v4, v2, v86
	v_add_f64 v[2:3], v[28:29], v[40:41]
	;; [unrolled: 10-line block ×6, first 2 shown]
	v_add_f64 v[4:5], v[10:11], v[38:39]
	v_cvt_f32_f64_e32 v6, v[6:7]
	v_cvt_f32_f64_e32 v8, v[8:9]
	;; [unrolled: 1-line block ×4, first 2 shown]
	v_min3_f32 v157, v8, v6, v89
	v_min3_f32 v149, v4, v2, v81
	s_cbranch_scc1 .LBB176_35
; %bb.21:
	v_lshl_add_u32 v2, s6, 6, v78
	s_lshl_b32 s6, s23, 6
	v_add_nc_u32_e32 v4, s21, v79
	v_add_nc_u32_e32 v6, 12, v77
	v_add_nc_u32_e32 v8, 8, v77
	v_subrev_nc_u32_e32 v2, s6, v2
	v_add_nc_u32_e32 v164, 0x4000, v80
	v_ashrrev_i32_e32 v5, 31, v4
	v_mad_i64_i32 v[6:7], null, v6, s8, 0
	v_mad_i64_i32 v[2:3], null, s22, v2, 0
	;; [unrolled: 1-line block ×3, first 2 shown]
	v_lshlrev_b64 v[130:131], 3, v[4:5]
	v_or_b32_e32 v165, 0x4000, v147
	v_add_nc_u32_e32 v166, 0x4800, v80
	v_or_b32_e32 v167, 0x2000, v148
	v_lshlrev_b64 v[2:3], 3, v[2:3]
	v_lshl_add_u32 v169, v0, 5, 0x4800
	v_lshl_or_b32 v170, v1, 5, 0x2000
	s_add_i32 s6, s24, -8
	s_lshl_b64 s[8:9], s[8:9], 6
	v_add_co_u32 v4, vcc_lo, v2, v76
	v_add_co_ci_u32_e64 v5, null, 0, v3, vcc_lo
	v_lshlrev_b64 v[2:3], 3, v[6:7]
	v_add_co_u32 v6, vcc_lo, s16, v4
	v_add_co_ci_u32_e64 v7, null, s17, v5, vcc_lo
	v_lshlrev_b64 v[4:5], 3, v[8:9]
	v_add_co_u32 v132, vcc_lo, v6, 64
	v_add_co_ci_u32_e64 v133, null, 0, v7, vcc_lo
	v_add_co_u32 v172, vcc_lo, s18, v2
	v_add_co_ci_u32_e64 v173, null, s19, v3, vcc_lo
	;; [unrolled: 2-line block ×3, first 2 shown]
	s_mov_b32 s16, 0
	s_branch .LBB176_23
.LBB176_22:                             ;   in Loop: Header=BB176_23 Depth=1
	v_add_f64 v[144:145], v[100:101], v[128:129]
	v_add_f64 v[223:224], v[98:99], v[126:127]
	;; [unrolled: 1-line block ×3, first 2 shown]
	v_add_co_u32 v132, vcc_lo, v132, 64
	v_add_co_ci_u32_e64 v133, null, 0, v133, vcc_lo
	v_add_co_u32 v172, vcc_lo, v172, s8
	v_add_co_ci_u32_e64 v173, null, s9, v173, vcc_lo
	;; [unrolled: 2-line block ×3, first 2 shown]
	s_add_i32 s16, s16, 8
	s_cmp_ge_i32 s16, s6
	v_cvt_f32_f64_e32 v144, v[144:145]
	v_cvt_f32_f64_e32 v223, v[223:224]
	v_min3_f32 v222, v223, v144, v222
	v_add_f64 v[144:145], v[96:97], v[128:129]
	v_add_f64 v[223:224], v[94:95], v[126:127]
	v_cvt_f32_f64_e32 v144, v[144:145]
	v_cvt_f32_f64_e32 v223, v[223:224]
	v_min3_f32 v221, v223, v144, v221
	v_add_f64 v[144:145], v[92:93], v[128:129]
	v_add_f64 v[223:224], v[90:91], v[126:127]
	;; [unrolled: 5-line block ×5, first 2 shown]
	v_add_f64 v[126:127], v[66:67], v[126:127]
	v_cvt_f32_f64_e32 v144, v[144:145]
	v_cvt_f32_f64_e32 v223, v[223:224]
	;; [unrolled: 1-line block ×4, first 2 shown]
	v_min3_f32 v144, v223, v144, v216
	v_add_f64 v[223:224], v[72:73], v[128:129]
	v_add_f64 v[128:129], v[68:69], v[128:129]
	v_cvt_f32_f64_e32 v216, v[223:224]
	v_cvt_f32_f64_e32 v127, v[128:129]
	v_min3_f32 v145, v145, v216, v217
	v_min3_f32 v126, v126, v127, v214
	v_add_f64 v[127:128], v[100:101], v[124:125]
	v_add_f64 v[216:217], v[98:99], v[122:123]
	v_cvt_f32_f64_e32 v127, v[127:128]
	v_cvt_f32_f64_e32 v129, v[216:217]
	v_min3_f32 v127, v129, v127, v215
	v_add_f64 v[128:129], v[96:97], v[124:125]
	v_add_f64 v[214:215], v[94:95], v[122:123]
	v_cvt_f32_f64_e32 v128, v[128:129]
	v_cvt_f32_f64_e32 v214, v[214:215]
	;; [unrolled: 5-line block ×6, first 2 shown]
	v_min3_f32 v208, v214, v128, v208
	v_add_f64 v[128:129], v[72:73], v[124:125]
	v_add_f64 v[214:215], v[70:71], v[122:123]
	;; [unrolled: 1-line block ×4, first 2 shown]
	v_cvt_f32_f64_e32 v128, v[128:129]
	v_cvt_f32_f64_e32 v214, v[214:215]
	;; [unrolled: 1-line block ×4, first 2 shown]
	v_add_f64 v[124:125], v[98:99], v[118:119]
	v_min3_f32 v209, v214, v128, v209
	v_add_f64 v[128:129], v[86:87], v[110:111]
	v_min3_f32 v214, v122, v123, v206
	v_add_f64 v[122:123], v[100:101], v[120:121]
	v_cvt_f32_f64_e32 v124, v[124:125]
	v_cvt_f32_f64_e32 v122, v[122:123]
	v_min3_f32 v206, v124, v122, v207
	v_add_f64 v[122:123], v[96:97], v[120:121]
	v_add_f64 v[124:125], v[94:95], v[118:119]
	v_cvt_f32_f64_e32 v122, v[122:123]
	v_cvt_f32_f64_e32 v124, v[124:125]
	v_min3_f32 v204, v124, v122, v204
	v_add_f64 v[122:123], v[92:93], v[120:121]
	v_add_f64 v[124:125], v[90:91], v[118:119]
	v_cvt_f32_f64_e32 v122, v[122:123]
	v_cvt_f32_f64_e32 v124, v[124:125]
	v_min3_f32 v205, v124, v122, v205
	v_add_f64 v[122:123], v[88:89], v[120:121]
	v_add_f64 v[124:125], v[86:87], v[118:119]
	v_cvt_f32_f64_e32 v122, v[122:123]
	v_cvt_f32_f64_e32 v124, v[124:125]
	v_min3_f32 v202, v124, v122, v202
	v_add_f64 v[122:123], v[84:85], v[120:121]
	v_add_f64 v[124:125], v[82:83], v[118:119]
	v_cvt_f32_f64_e32 v122, v[122:123]
	v_cvt_f32_f64_e32 v124, v[124:125]
	v_min3_f32 v203, v124, v122, v203
	v_add_f64 v[122:123], v[80:81], v[120:121]
	v_add_f64 v[124:125], v[78:79], v[118:119]
	v_cvt_f32_f64_e32 v122, v[122:123]
	v_cvt_f32_f64_e32 v124, v[124:125]
	v_min3_f32 v200, v124, v122, v200
	v_add_f64 v[122:123], v[72:73], v[120:121]
	v_add_f64 v[124:125], v[70:71], v[118:119]
	v_add_f64 v[120:121], v[68:69], v[120:121]
	;; [unrolled: 1-line block ×3, first 2 shown]
	v_cvt_f32_f64_e32 v122, v[122:123]
	v_cvt_f32_f64_e32 v124, v[124:125]
	;; [unrolled: 1-line block ×4, first 2 shown]
	v_add_f64 v[120:121], v[98:99], v[114:115]
	v_min3_f32 v201, v124, v122, v201
	v_min3_f32 v198, v118, v119, v198
	v_add_f64 v[118:119], v[100:101], v[116:117]
	v_cvt_f32_f64_e32 v120, v[120:121]
	v_cvt_f32_f64_e32 v118, v[118:119]
	v_min3_f32 v199, v120, v118, v199
	v_add_f64 v[118:119], v[96:97], v[116:117]
	v_add_f64 v[120:121], v[94:95], v[114:115]
	v_cvt_f32_f64_e32 v118, v[118:119]
	v_cvt_f32_f64_e32 v120, v[120:121]
	v_min3_f32 v196, v120, v118, v196
	v_add_f64 v[118:119], v[92:93], v[116:117]
	;; [unrolled: 5-line block ×3, first 2 shown]
	v_add_f64 v[120:121], v[86:87], v[114:115]
	v_cvt_f32_f64_e32 v118, v[118:119]
	v_cvt_f32_f64_e32 v120, v[120:121]
	v_add_f64 v[121:122], v[82:83], v[114:115]
	v_min3_f32 v118, v120, v118, v195
	v_add_f64 v[119:120], v[84:85], v[116:117]
	v_cvt_f32_f64_e32 v121, v[121:122]
	v_add_f64 v[122:123], v[78:79], v[114:115]
	v_cvt_f32_f64_e32 v119, v[119:120]
	v_cvt_f32_f64_e32 v122, v[122:123]
	v_add_f64 v[123:124], v[70:71], v[114:115]
	v_add_f64 v[114:115], v[66:67], v[114:115]
	v_min3_f32 v119, v121, v119, v194
	v_add_f64 v[120:121], v[80:81], v[116:117]
	v_cvt_f32_f64_e32 v123, v[123:124]
	v_cvt_f32_f64_e32 v114, v[114:115]
	v_add_f64 v[124:125], v[94:95], v[110:111]
	v_cvt_f32_f64_e32 v120, v[120:121]
	v_min3_f32 v120, v122, v120, v192
	v_add_f64 v[121:122], v[72:73], v[116:117]
	v_add_f64 v[116:117], v[68:69], v[116:117]
	v_cvt_f32_f64_e32 v121, v[121:122]
	v_cvt_f32_f64_e32 v115, v[116:117]
	v_add_f64 v[116:117], v[100:101], v[112:113]
	v_min3_f32 v121, v123, v121, v193
	v_add_f64 v[122:123], v[98:99], v[110:111]
	v_min3_f32 v115, v114, v115, v190
	v_cvt_f32_f64_e32 v116, v[116:117]
	v_cvt_f32_f64_e32 v114, v[122:123]
	v_add_f64 v[122:123], v[96:97], v[112:113]
	v_min3_f32 v116, v114, v116, v191
	v_cvt_f32_f64_e32 v114, v[124:125]
	v_cvt_f32_f64_e32 v117, v[122:123]
	v_add_f64 v[122:123], v[92:93], v[112:113]
	v_add_f64 v[124:125], v[90:91], v[110:111]
	v_min3_f32 v117, v114, v117, v188
	v_cvt_f32_f64_e32 v122, v[122:123]
	v_cvt_f32_f64_e32 v114, v[124:125]
	v_add_f64 v[123:124], v[88:89], v[112:113]
	v_min3_f32 v122, v114, v122, v189
	v_cvt_f32_f64_e32 v114, v[128:129]
	v_cvt_f32_f64_e32 v123, v[123:124]
	v_add_f64 v[124:125], v[84:85], v[112:113]
	v_add_f64 v[128:129], v[82:83], v[110:111]
	v_min3_f32 v123, v114, v123, v186
	v_cvt_f32_f64_e32 v124, v[124:125]
	v_cvt_f32_f64_e32 v114, v[128:129]
	v_add_f64 v[128:129], v[80:81], v[112:113]
	v_min3_f32 v124, v114, v124, v187
	v_add_f64 v[186:187], v[78:79], v[110:111]
	v_cvt_f32_f64_e32 v125, v[128:129]
	v_add_f64 v[128:129], v[72:73], v[112:113]
	v_add_f64 v[112:113], v[68:69], v[112:113]
	v_cvt_f32_f64_e32 v114, v[186:187]
	v_add_f64 v[186:187], v[70:71], v[110:111]
	v_add_f64 v[110:111], v[66:67], v[110:111]
	v_cvt_f32_f64_e32 v128, v[128:129]
	v_min3_f32 v125, v114, v125, v184
	v_cvt_f32_f64_e32 v114, v[186:187]
	v_cvt_f32_f64_e32 v110, v[110:111]
	;; [unrolled: 1-line block ×3, first 2 shown]
	v_min3_f32 v114, v114, v128, v185
	v_add_f64 v[128:129], v[98:99], v[106:107]
	v_min3_f32 v112, v110, v111, v182
	v_add_f64 v[110:111], v[100:101], v[108:109]
	v_cvt_f32_f64_e32 v113, v[128:129]
	v_add_f64 v[128:129], v[94:95], v[106:107]
	v_cvt_f32_f64_e32 v110, v[110:111]
	v_cvt_f32_f64_e32 v128, v[128:129]
	v_min3_f32 v113, v113, v110, v183
	v_add_f64 v[110:111], v[96:97], v[108:109]
	v_add_f64 v[182:183], v[90:91], v[106:107]
	v_cvt_f32_f64_e32 v110, v[110:111]
	v_cvt_f32_f64_e32 v129, v[182:183]
	v_min3_f32 v128, v128, v110, v180
	v_add_f64 v[110:111], v[92:93], v[108:109]
	v_cvt_f32_f64_e32 v110, v[110:111]
	v_min3_f32 v129, v129, v110, v181
	v_add_f64 v[110:111], v[88:89], v[108:109]
	v_add_f64 v[180:181], v[86:87], v[106:107]
	v_cvt_f32_f64_e32 v110, v[110:111]
	v_cvt_f32_f64_e32 v180, v[180:181]
	v_min3_f32 v178, v180, v110, v178
	v_add_f64 v[110:111], v[84:85], v[108:109]
	v_add_f64 v[180:181], v[82:83], v[106:107]
	v_cvt_f32_f64_e32 v110, v[110:111]
	;; [unrolled: 5-line block ×3, first 2 shown]
	v_cvt_f32_f64_e32 v180, v[180:181]
	v_min3_f32 v176, v180, v110, v176
	v_add_f64 v[110:111], v[72:73], v[108:109]
	v_add_f64 v[180:181], v[70:71], v[106:107]
	;; [unrolled: 1-line block ×4, first 2 shown]
	v_cvt_f32_f64_e32 v110, v[110:111]
	v_cvt_f32_f64_e32 v180, v[180:181]
	;; [unrolled: 1-line block ×4, first 2 shown]
	v_add_f64 v[108:109], v[98:99], v[102:103]
	v_add_f64 v[98:99], v[98:99], v[74:75]
	v_min3_f32 v177, v180, v110, v177
	v_min3_f32 v168, v106, v107, v168
	v_add_f64 v[106:107], v[100:101], v[104:105]
	v_cvt_f32_f64_e32 v108, v[108:109]
	v_add_f64 v[100:101], v[100:101], v[76:77]
	v_cvt_f32_f64_e32 v98, v[98:99]
	v_cvt_f32_f64_e32 v106, v[106:107]
	;; [unrolled: 1-line block ×3, first 2 shown]
	v_min3_f32 v171, v108, v106, v171
	v_add_f64 v[106:107], v[96:97], v[104:105]
	v_add_f64 v[108:109], v[94:95], v[102:103]
	v_add_f64 v[94:95], v[94:95], v[74:75]
	v_add_f64 v[96:97], v[96:97], v[76:77]
	v_min3_f32 v98, v98, v99, v156
	v_add_f64 v[99:100], v[10:11], v[46:47]
	v_cvt_f32_f64_e32 v106, v[106:107]
	v_cvt_f32_f64_e32 v108, v[108:109]
	v_add_f64 v[109:110], v[90:91], v[102:103]
	v_add_f64 v[90:91], v[90:91], v[74:75]
	v_cvt_f32_f64_e32 v94, v[94:95]
	v_cvt_f32_f64_e32 v95, v[96:97]
	v_min3_f32 v106, v108, v106, v162
	v_add_f64 v[107:108], v[92:93], v[104:105]
	v_cvt_f32_f64_e32 v109, v[109:110]
	v_add_f64 v[110:111], v[86:87], v[102:103]
	v_add_f64 v[86:87], v[86:87], v[74:75]
	;; [unrolled: 1-line block ×3, first 2 shown]
	v_cvt_f32_f64_e32 v90, v[90:91]
	v_min3_f32 v94, v94, v95, v155
	v_add_f64 v[95:96], v[6:7], v[50:51]
	v_cvt_f32_f64_e32 v107, v[107:108]
	v_cvt_f32_f64_e32 v110, v[110:111]
	;; [unrolled: 1-line block ×4, first 2 shown]
	v_min3_f32 v107, v109, v107, v163
	v_add_f64 v[108:109], v[88:89], v[104:105]
	v_add_f64 v[162:163], v[82:83], v[102:103]
	;; [unrolled: 1-line block ×4, first 2 shown]
	v_min3_f32 v90, v90, v91, v154
	v_add_f64 v[91:92], v[26:27], v[50:51]
	v_cvt_f32_f64_e32 v108, v[108:109]
	v_cvt_f32_f64_e32 v111, v[162:163]
	v_add_f64 v[162:163], v[70:71], v[102:103]
	v_add_f64 v[70:71], v[70:71], v[74:75]
	v_cvt_f32_f64_e32 v82, v[82:83]
	v_cvt_f32_f64_e32 v87, v[88:89]
	v_min3_f32 v108, v110, v108, v160
	v_add_f64 v[109:110], v[84:85], v[104:105]
	v_add_f64 v[84:85], v[84:85], v[76:77]
	v_cvt_f32_f64_e32 v70, v[70:71]
	v_min3_f32 v86, v86, v87, v152
	v_add_f64 v[87:88], v[14:15], v[54:55]
	v_cvt_f32_f64_e32 v109, v[109:110]
	v_cvt_f32_f64_e32 v83, v[84:85]
	v_min3_f32 v109, v111, v109, v161
	v_add_f64 v[110:111], v[80:81], v[104:105]
	v_add_f64 v[160:161], v[78:79], v[102:103]
	;; [unrolled: 1-line block ×7, first 2 shown]
	v_min3_f32 v82, v82, v83, v153
	v_add_f64 v[83:84], v[10:11], v[58:59]
	v_cvt_f32_f64_e32 v110, v[110:111]
	v_cvt_f32_f64_e32 v160, v[160:161]
	;; [unrolled: 1-line block ×7, first 2 shown]
	v_min3_f32 v110, v160, v110, v158
	v_add_f64 v[160:161], v[72:73], v[104:105]
	v_add_f64 v[104:105], v[68:69], v[104:105]
	;; [unrolled: 1-line block ×5, first 2 shown]
	v_min3_f32 v78, v78, v79, v150
	v_add_f64 v[79:80], v[26:27], v[58:59]
	v_cvt_f32_f64_e32 v158, v[160:161]
	v_cvt_f32_f64_e32 v103, v[104:105]
	;; [unrolled: 1-line block ×4, first 2 shown]
	v_add_f64 v[68:69], v[34:35], v[62:63]
	v_min3_f32 v111, v111, v158, v159
	v_min3_f32 v102, v102, v103, v157
	;; [unrolled: 1-line block ×3, first 2 shown]
	v_add_f64 v[66:67], v[36:37], v[64:65]
	v_cvt_f32_f64_e32 v68, v[68:69]
	v_min3_f32 v71, v70, v71, v151
	v_add_f64 v[69:70], v[30:31], v[62:63]
	v_cvt_f32_f64_e32 v66, v[66:67]
	v_cvt_f32_f64_e32 v69, v[69:70]
	v_cvt_f32_f64_e32 v70, v[74:75]
	v_add_f64 v[74:75], v[18:19], v[62:63]
	v_min3_f32 v66, v68, v66, v222
	v_add_f64 v[67:68], v[32:33], v[64:65]
	v_cvt_f32_f64_e32 v72, v[74:75]
	v_add_f64 v[74:75], v[16:17], v[64:65]
	v_cvt_f32_f64_e32 v67, v[67:68]
	v_min3_f32 v67, v69, v67, v221
	v_add_f64 v[68:69], v[28:29], v[64:65]
	v_cvt_f32_f64_e32 v68, v[68:69]
	v_min3_f32 v68, v70, v68, v220
	v_add_f64 v[69:70], v[20:21], v[64:65]
	v_cvt_f32_f64_e32 v69, v[69:70]
	v_cvt_f32_f64_e32 v70, v[76:77]
	v_add_f64 v[76:77], v[10:11], v[62:63]
	v_min3_f32 v69, v72, v69, v218
	v_cvt_f32_f64_e32 v72, v[74:75]
	v_add_f64 v[74:75], v[12:13], v[64:65]
	v_min3_f32 v70, v70, v72, v219
	v_cvt_f32_f64_e32 v72, v[76:77]
	v_cvt_f32_f64_e32 v74, v[74:75]
	v_add_f64 v[76:77], v[6:7], v[62:63]
	v_add_f64 v[62:63], v[2:3], v[62:63]
	v_min3_f32 v72, v72, v74, v144
	v_add_f64 v[74:75], v[8:9], v[64:65]
	v_add_f64 v[64:65], v[4:5], v[64:65]
	v_cvt_f32_f64_e32 v76, v[76:77]
	v_cvt_f32_f64_e32 v62, v[62:63]
	;; [unrolled: 1-line block ×4, first 2 shown]
	v_min3_f32 v74, v76, v74, v145
	v_min3_f32 v62, v62, v63, v126
	v_add_f64 v[63:64], v[36:37], v[60:61]
	v_add_f64 v[75:76], v[34:35], v[58:59]
	v_cvt_f32_f64_e32 v63, v[63:64]
	v_cvt_f32_f64_e32 v65, v[75:76]
	v_add_f64 v[75:76], v[30:31], v[58:59]
	v_min3_f32 v63, v65, v63, v127
	v_add_f64 v[64:65], v[32:33], v[60:61]
	v_cvt_f32_f64_e32 v75, v[75:76]
	v_cvt_f32_f64_e32 v64, v[64:65]
	;; [unrolled: 1-line block ×3, first 2 shown]
	v_add_f64 v[79:80], v[18:19], v[58:59]
	v_min3_f32 v64, v75, v64, v212
	v_add_f64 v[75:76], v[28:29], v[60:61]
	v_cvt_f32_f64_e32 v77, v[79:80]
	v_add_f64 v[79:80], v[14:15], v[58:59]
	v_cvt_f32_f64_e32 v75, v[75:76]
	v_cvt_f32_f64_e32 v79, v[79:80]
	v_min3_f32 v65, v65, v75, v213
	v_add_f64 v[75:76], v[20:21], v[60:61]
	v_cvt_f32_f64_e32 v75, v[75:76]
	v_min3_f32 v75, v77, v75, v210
	v_add_f64 v[76:77], v[16:17], v[60:61]
	v_cvt_f32_f64_e32 v76, v[76:77]
	v_cvt_f32_f64_e32 v77, v[83:84]
	v_add_f64 v[83:84], v[6:7], v[58:59]
	v_add_f64 v[58:59], v[2:3], v[58:59]
	v_min3_f32 v76, v79, v76, v211
	v_add_f64 v[79:80], v[12:13], v[60:61]
	v_cvt_f32_f64_e32 v81, v[83:84]
	v_cvt_f32_f64_e32 v58, v[58:59]
	v_add_f64 v[83:84], v[26:27], v[54:55]
	v_cvt_f32_f64_e32 v79, v[79:80]
	v_min3_f32 v77, v77, v79, v208
	v_add_f64 v[79:80], v[8:9], v[60:61]
	v_add_f64 v[60:61], v[4:5], v[60:61]
	v_cvt_f32_f64_e32 v79, v[79:80]
	v_cvt_f32_f64_e32 v59, v[60:61]
	v_min3_f32 v79, v81, v79, v209
	v_min3_f32 v58, v58, v59, v214
	v_add_f64 v[59:60], v[36:37], v[56:57]
	v_add_f64 v[80:81], v[34:35], v[54:55]
	v_cvt_f32_f64_e32 v59, v[59:60]
	v_cvt_f32_f64_e32 v61, v[80:81]
	v_add_f64 v[80:81], v[30:31], v[54:55]
	v_min3_f32 v59, v61, v59, v206
	v_add_f64 v[60:61], v[32:33], v[56:57]
	v_cvt_f32_f64_e32 v80, v[80:81]
	v_cvt_f32_f64_e32 v60, v[60:61]
	;; [unrolled: 1-line block ×3, first 2 shown]
	v_add_f64 v[83:84], v[18:19], v[54:55]
	v_min3_f32 v60, v80, v60, v204
	v_add_f64 v[80:81], v[28:29], v[56:57]
	v_cvt_f32_f64_e32 v83, v[83:84]
	v_cvt_f32_f64_e32 v80, v[80:81]
	v_min3_f32 v61, v61, v80, v205
	v_add_f64 v[80:81], v[20:21], v[56:57]
	v_cvt_f32_f64_e32 v80, v[80:81]
	v_cvt_f32_f64_e32 v81, v[87:88]
	v_add_f64 v[87:88], v[10:11], v[54:55]
	v_min3_f32 v80, v83, v80, v202
	v_add_f64 v[83:84], v[16:17], v[56:57]
	v_cvt_f32_f64_e32 v85, v[87:88]
	v_add_f64 v[87:88], v[6:7], v[54:55]
	v_add_f64 v[54:55], v[2:3], v[54:55]
	v_cvt_f32_f64_e32 v83, v[83:84]
	v_cvt_f32_f64_e32 v87, v[87:88]
	;; [unrolled: 1-line block ×3, first 2 shown]
	v_min3_f32 v81, v81, v83, v203
	v_add_f64 v[83:84], v[12:13], v[56:57]
	v_cvt_f32_f64_e32 v83, v[83:84]
	v_min3_f32 v83, v85, v83, v200
	v_add_f64 v[84:85], v[8:9], v[56:57]
	v_add_f64 v[56:57], v[4:5], v[56:57]
	v_cvt_f32_f64_e32 v84, v[84:85]
	v_cvt_f32_f64_e32 v55, v[56:57]
	v_min3_f32 v84, v87, v84, v201
	v_min3_f32 v54, v54, v55, v198
	v_add_f64 v[55:56], v[36:37], v[52:53]
	v_add_f64 v[87:88], v[34:35], v[50:51]
	v_cvt_f32_f64_e32 v55, v[55:56]
	v_cvt_f32_f64_e32 v57, v[87:88]
	v_add_f64 v[87:88], v[30:31], v[50:51]
	v_min3_f32 v55, v57, v55, v199
	v_add_f64 v[56:57], v[32:33], v[52:53]
	v_cvt_f32_f64_e32 v85, v[87:88]
	v_add_f64 v[87:88], v[28:29], v[52:53]
	v_cvt_f32_f64_e32 v56, v[56:57]
	v_cvt_f32_f64_e32 v57, v[91:92]
	v_add_f64 v[91:92], v[18:19], v[50:51]
	v_min3_f32 v56, v85, v56, v196
	v_cvt_f32_f64_e32 v85, v[87:88]
	v_add_f64 v[87:88], v[20:21], v[52:53]
	v_min3_f32 v57, v57, v85, v197
	v_cvt_f32_f64_e32 v85, v[91:92]
	v_cvt_f32_f64_e32 v87, v[87:88]
	v_add_f64 v[91:92], v[14:15], v[50:51]
	v_min3_f32 v85, v85, v87, v118
	v_add_f64 v[87:88], v[16:17], v[52:53]
	v_cvt_f32_f64_e32 v89, v[91:92]
	v_add_f64 v[91:92], v[10:11], v[50:51]
	v_add_f64 v[50:51], v[2:3], v[50:51]
	v_cvt_f32_f64_e32 v87, v[87:88]
	v_cvt_f32_f64_e32 v91, v[91:92]
	;; [unrolled: 1-line block ×3, first 2 shown]
	v_min3_f32 v87, v89, v87, v119
	v_add_f64 v[88:89], v[12:13], v[52:53]
	v_cvt_f32_f64_e32 v88, v[88:89]
	v_cvt_f32_f64_e32 v89, v[95:96]
	v_add_f64 v[95:96], v[26:27], v[46:47]
	v_min3_f32 v88, v91, v88, v120
	v_add_f64 v[91:92], v[8:9], v[52:53]
	v_add_f64 v[52:53], v[4:5], v[52:53]
	v_cvt_f32_f64_e32 v91, v[91:92]
	v_cvt_f32_f64_e32 v51, v[52:53]
	v_min3_f32 v89, v89, v91, v121
	v_min3_f32 v50, v50, v51, v115
	v_add_f64 v[51:52], v[36:37], v[48:49]
	v_add_f64 v[91:92], v[34:35], v[46:47]
	v_cvt_f32_f64_e32 v51, v[51:52]
	v_cvt_f32_f64_e32 v53, v[91:92]
	v_add_f64 v[91:92], v[30:31], v[46:47]
	v_min3_f32 v51, v53, v51, v116
	v_add_f64 v[52:53], v[32:33], v[48:49]
	v_cvt_f32_f64_e32 v91, v[91:92]
	v_cvt_f32_f64_e32 v52, v[52:53]
	;; [unrolled: 1-line block ×3, first 2 shown]
	v_add_f64 v[95:96], v[18:19], v[46:47]
	v_min3_f32 v52, v91, v52, v117
	v_add_f64 v[91:92], v[28:29], v[48:49]
	v_cvt_f32_f64_e32 v93, v[95:96]
	v_add_f64 v[95:96], v[14:15], v[46:47]
	v_cvt_f32_f64_e32 v91, v[91:92]
	v_cvt_f32_f64_e32 v95, v[95:96]
	v_min3_f32 v53, v53, v91, v122
	v_add_f64 v[91:92], v[20:21], v[48:49]
	v_cvt_f32_f64_e32 v91, v[91:92]
	v_min3_f32 v91, v93, v91, v123
	v_add_f64 v[92:93], v[16:17], v[48:49]
	v_cvt_f32_f64_e32 v92, v[92:93]
	v_cvt_f32_f64_e32 v93, v[99:100]
	v_add_f64 v[99:100], v[6:7], v[46:47]
	v_add_f64 v[46:47], v[2:3], v[46:47]
	v_min3_f32 v92, v95, v92, v124
	v_add_f64 v[95:96], v[12:13], v[48:49]
	v_cvt_f32_f64_e32 v46, v[46:47]
	v_cvt_f32_f64_e32 v95, v[95:96]
	v_min3_f32 v144, v93, v95, v125
	v_add_f64 v[95:96], v[8:9], v[48:49]
	v_add_f64 v[48:49], v[4:5], v[48:49]
	v_cvt_f32_f64_e32 v93, v[99:100]
	v_add_f64 v[99:100], v[26:27], v[42:43]
	v_cvt_f32_f64_e32 v95, v[95:96]
	v_cvt_f32_f64_e32 v47, v[48:49]
	v_min3_f32 v145, v93, v95, v114
	v_min3_f32 v46, v46, v47, v112
	v_add_f64 v[47:48], v[36:37], v[44:45]
	v_add_f64 v[95:96], v[34:35], v[42:43]
	v_cvt_f32_f64_e32 v47, v[47:48]
	v_cvt_f32_f64_e32 v49, v[95:96]
	v_add_f64 v[95:96], v[30:31], v[42:43]
	v_min3_f32 v47, v49, v47, v113
	v_add_f64 v[48:49], v[32:33], v[44:45]
	v_cvt_f32_f64_e32 v93, v[95:96]
	v_add_f64 v[95:96], v[28:29], v[44:45]
	v_cvt_f32_f64_e32 v48, v[48:49]
	v_cvt_f32_f64_e32 v49, v[99:100]
	v_add_f64 v[99:100], v[18:19], v[42:43]
	v_min3_f32 v48, v93, v48, v128
	v_cvt_f32_f64_e32 v93, v[95:96]
	v_add_f64 v[95:96], v[20:21], v[44:45]
	v_min3_f32 v49, v49, v93, v129
	v_cvt_f32_f64_e32 v93, v[99:100]
	v_cvt_f32_f64_e32 v95, v[95:96]
	v_add_f64 v[99:100], v[14:15], v[42:43]
	v_min3_f32 v149, v93, v95, v178
	v_add_f64 v[95:96], v[16:17], v[44:45]
	v_cvt_f32_f64_e32 v93, v[99:100]
	v_add_f64 v[99:100], v[10:11], v[42:43]
	v_cvt_f32_f64_e32 v95, v[95:96]
	v_min3_f32 v150, v93, v95, v179
	v_add_f64 v[95:96], v[12:13], v[44:45]
	v_cvt_f32_f64_e32 v93, v[99:100]
	v_add_f64 v[99:100], v[6:7], v[42:43]
	v_add_f64 v[42:43], v[2:3], v[42:43]
	v_cvt_f32_f64_e32 v95, v[95:96]
	v_cvt_f32_f64_e32 v42, v[42:43]
	v_min3_f32 v151, v93, v95, v176
	v_add_f64 v[95:96], v[8:9], v[44:45]
	v_add_f64 v[44:45], v[4:5], v[44:45]
	v_cvt_f32_f64_e32 v93, v[99:100]
	v_add_f64 v[99:100], v[26:27], v[38:39]
	v_add_f64 v[26:27], v[26:27], v[22:23]
	v_cvt_f32_f64_e32 v95, v[95:96]
	v_cvt_f32_f64_e32 v43, v[44:45]
	;; [unrolled: 1-line block ×3, first 2 shown]
	v_min3_f32 v152, v93, v95, v177
	v_min3_f32 v42, v42, v43, v168
	v_add_f64 v[43:44], v[36:37], v[40:41]
	v_add_f64 v[95:96], v[34:35], v[38:39]
	;; [unrolled: 1-line block ×4, first 2 shown]
	v_cvt_f32_f64_e32 v43, v[43:44]
	v_cvt_f32_f64_e32 v45, v[95:96]
	v_add_f64 v[95:96], v[30:31], v[38:39]
	v_add_f64 v[30:31], v[30:31], v[22:23]
	v_cvt_f32_f64_e32 v34, v[34:35]
	v_cvt_f32_f64_e32 v35, v[36:37]
	v_min3_f32 v43, v45, v43, v171
	v_add_f64 v[44:45], v[32:33], v[40:41]
	v_cvt_f32_f64_e32 v93, v[95:96]
	v_add_f64 v[95:96], v[28:29], v[40:41]
	v_add_f64 v[32:33], v[32:33], v[24:25]
	;; [unrolled: 1-line block ×3, first 2 shown]
	v_cvt_f32_f64_e32 v30, v[30:31]
	v_min3_f32 v192, v34, v35, v98
	v_cvt_f32_f64_e32 v44, v[44:45]
	v_cvt_f32_f64_e32 v45, v[99:100]
	v_add_f64 v[99:100], v[18:19], v[38:39]
	v_add_f64 v[18:19], v[18:19], v[22:23]
	v_cvt_f32_f64_e32 v31, v[32:33]
	v_cvt_f32_f64_e32 v27, v[28:29]
	v_min3_f32 v44, v93, v44, v106
	v_cvt_f32_f64_e32 v93, v[95:96]
	v_add_f64 v[95:96], v[20:21], v[40:41]
	v_add_f64 v[20:21], v[20:21], v[24:25]
	v_cvt_f32_f64_e32 v18, v[18:19]
	v_min3_f32 v193, v30, v31, v94
	v_min3_f32 v194, v26, v27, v90
	;; [unrolled: 1-line block ×3, first 2 shown]
	v_cvt_f32_f64_e32 v93, v[99:100]
	v_cvt_f32_f64_e32 v95, v[95:96]
	v_add_f64 v[99:100], v[14:15], v[38:39]
	v_add_f64 v[14:15], v[14:15], v[22:23]
	v_cvt_f32_f64_e32 v19, v[20:21]
	v_min3_f32 v153, v93, v95, v108
	v_add_f64 v[95:96], v[16:17], v[40:41]
	v_cvt_f32_f64_e32 v93, v[99:100]
	v_add_f64 v[99:100], v[10:11], v[38:39]
	v_add_f64 v[16:17], v[16:17], v[24:25]
	;; [unrolled: 1-line block ×3, first 2 shown]
	v_cvt_f32_f64_e32 v14, v[14:15]
	v_min3_f32 v195, v18, v19, v86
	v_cvt_f32_f64_e32 v95, v[95:96]
	v_cvt_f32_f64_e32 v15, v[16:17]
	;; [unrolled: 1-line block ×3, first 2 shown]
	v_min3_f32 v154, v93, v95, v109
	v_add_f64 v[95:96], v[12:13], v[40:41]
	v_cvt_f32_f64_e32 v93, v[99:100]
	v_add_f64 v[99:100], v[6:7], v[38:39]
	v_add_f64 v[38:39], v[2:3], v[38:39]
	;; [unrolled: 1-line block ×5, first 2 shown]
	v_min3_f32 v196, v14, v15, v82
	v_cvt_f32_f64_e32 v95, v[95:96]
	v_cvt_f32_f64_e32 v38, v[38:39]
	;; [unrolled: 1-line block ×5, first 2 shown]
	v_min3_f32 v155, v93, v95, v110
	v_add_f64 v[95:96], v[8:9], v[40:41]
	v_add_f64 v[40:41], v[4:5], v[40:41]
	;; [unrolled: 1-line block ×4, first 2 shown]
	v_cvt_f32_f64_e32 v93, v[99:100]
	v_min3_f32 v197, v10, v11, v78
	v_cvt_f32_f64_e32 v95, v[95:96]
	v_cvt_f32_f64_e32 v39, v[40:41]
	;; [unrolled: 1-line block ×4, first 2 shown]
	v_min3_f32 v168, v93, v95, v111
	v_min3_f32 v171, v38, v39, v102
	;; [unrolled: 1-line block ×4, first 2 shown]
	ds_read_b128 v[6:9], v165 offset:256
	ds_read_b128 v[10:13], v165 offset:512
	;; [unrolled: 1-line block ×14, first 2 shown]
	ds_read_b128 v[97:100], v146
	ds_read_b128 v[34:37], v146 offset:16
	ds_read_b128 v[188:191], v165
	ds_read_b128 v[2:5], v165 offset:16
	s_waitcnt lgkmcnt(1)
	v_add_f64 v[101:102], v[190:191], v[99:100]
	v_add_f64 v[103:104], v[188:189], v[97:98]
	v_cvt_f32_f64_e32 v73, v[101:102]
	v_cvt_f32_f64_e32 v71, v[103:104]
	v_add_f64 v[101:102], v[8:9], v[99:100]
	v_add_f64 v[103:104], v[6:7], v[97:98]
	v_min3_f32 v129, v71, v73, v66
	v_cvt_f32_f64_e32 v71, v[101:102]
	v_cvt_f32_f64_e32 v66, v[103:104]
	v_add_f64 v[101:102], v[10:11], v[97:98]
	v_min3_f32 v128, v66, v71, v67
	v_add_f64 v[66:67], v[12:13], v[99:100]
	v_cvt_f32_f64_e32 v71, v[101:102]
	v_add_f64 v[101:102], v[14:15], v[97:98]
	v_cvt_f32_f64_e32 v66, v[66:67]
	v_min3_f32 v127, v71, v66, v68
	v_add_f64 v[66:67], v[16:17], v[99:100]
	v_cvt_f32_f64_e32 v68, v[101:102]
	v_cvt_f32_f64_e32 v66, v[66:67]
	v_min3_f32 v126, v68, v66, v69
	v_add_f64 v[66:67], v[20:21], v[99:100]
	v_add_f64 v[68:69], v[18:19], v[97:98]
	v_cvt_f32_f64_e32 v66, v[66:67]
	v_cvt_f32_f64_e32 v68, v[68:69]
	v_min3_f32 v125, v68, v66, v70
	v_add_f64 v[66:67], v[24:25], v[99:100]
	;; [unrolled: 5-line block ×11, first 2 shown]
	v_add_f64 v[64:65], v[26:27], v[38:39]
	v_add_f64 v[40:41], v[32:33], v[40:41]
	;; [unrolled: 1-line block ×3, first 2 shown]
	v_cvt_f32_f64_e32 v62, v[62:63]
	v_cvt_f32_f64_e32 v64, v[64:65]
	;; [unrolled: 1-line block ×4, first 2 shown]
	v_add_f64 v[40:41], v[188:189], v[93:94]
	v_min3_f32 v115, v64, v62, v79
	v_min3_f32 v114, v38, v39, v58
	v_add_f64 v[38:39], v[190:191], v[95:96]
	v_cvt_f32_f64_e32 v40, v[40:41]
	v_cvt_f32_f64_e32 v38, v[38:39]
	v_min3_f32 v113, v40, v38, v59
	v_add_f64 v[38:39], v[8:9], v[95:96]
	v_add_f64 v[40:41], v[6:7], v[93:94]
	v_cvt_f32_f64_e32 v38, v[38:39]
	v_cvt_f32_f64_e32 v40, v[40:41]
	v_min3_f32 v112, v40, v38, v60
	v_add_f64 v[38:39], v[12:13], v[95:96]
	v_add_f64 v[40:41], v[10:11], v[93:94]
	v_cvt_f32_f64_e32 v38, v[38:39]
	v_cvt_f32_f64_e32 v40, v[40:41]
	v_min3_f32 v111, v40, v38, v61
	v_add_f64 v[38:39], v[16:17], v[95:96]
	v_add_f64 v[40:41], v[14:15], v[93:94]
	v_cvt_f32_f64_e32 v38, v[38:39]
	v_cvt_f32_f64_e32 v40, v[40:41]
	v_min3_f32 v110, v40, v38, v80
	v_add_f64 v[38:39], v[20:21], v[95:96]
	v_add_f64 v[40:41], v[18:19], v[93:94]
	v_cvt_f32_f64_e32 v38, v[38:39]
	v_cvt_f32_f64_e32 v40, v[40:41]
	v_min3_f32 v109, v40, v38, v81
	v_add_f64 v[38:39], v[24:25], v[95:96]
	v_add_f64 v[40:41], v[22:23], v[93:94]
	v_cvt_f32_f64_e32 v38, v[38:39]
	v_cvt_f32_f64_e32 v40, v[40:41]
	v_min3_f32 v108, v40, v38, v83
	v_add_f64 v[38:39], v[28:29], v[95:96]
	v_add_f64 v[40:41], v[26:27], v[93:94]
	v_cvt_f32_f64_e32 v38, v[38:39]
	v_cvt_f32_f64_e32 v40, v[40:41]
	v_min3_f32 v107, v40, v38, v84
	v_add_f64 v[38:39], v[32:33], v[95:96]
	v_add_f64 v[40:41], v[30:31], v[93:94]
	v_cvt_f32_f64_e32 v38, v[38:39]
	v_cvt_f32_f64_e32 v40, v[40:41]
	v_min3_f32 v106, v40, v38, v54
	v_add_f64 v[38:39], v[190:191], v[158:159]
	v_add_f64 v[40:41], v[188:189], v[156:157]
	v_cvt_f32_f64_e32 v38, v[38:39]
	v_cvt_f32_f64_e32 v40, v[40:41]
	v_min3_f32 v105, v40, v38, v55
	v_add_f64 v[38:39], v[8:9], v[158:159]
	v_add_f64 v[40:41], v[6:7], v[156:157]
	v_cvt_f32_f64_e32 v38, v[38:39]
	v_cvt_f32_f64_e32 v40, v[40:41]
	v_min3_f32 v104, v40, v38, v56
	v_add_f64 v[38:39], v[12:13], v[158:159]
	v_add_f64 v[40:41], v[10:11], v[156:157]
	v_cvt_f32_f64_e32 v38, v[38:39]
	v_cvt_f32_f64_e32 v40, v[40:41]
	v_min3_f32 v103, v40, v38, v57
	v_add_f64 v[38:39], v[16:17], v[158:159]
	v_add_f64 v[40:41], v[14:15], v[156:157]
	v_cvt_f32_f64_e32 v38, v[38:39]
	v_cvt_f32_f64_e32 v40, v[40:41]
	v_min3_f32 v102, v40, v38, v85
	v_add_f64 v[38:39], v[20:21], v[158:159]
	v_add_f64 v[40:41], v[18:19], v[156:157]
	v_cvt_f32_f64_e32 v38, v[38:39]
	v_cvt_f32_f64_e32 v40, v[40:41]
	v_min3_f32 v101, v40, v38, v87
	v_add_f64 v[38:39], v[24:25], v[158:159]
	v_add_f64 v[40:41], v[22:23], v[156:157]
	v_cvt_f32_f64_e32 v38, v[38:39]
	v_cvt_f32_f64_e32 v40, v[40:41]
	v_min3_f32 v100, v40, v38, v88
	v_add_f64 v[38:39], v[28:29], v[158:159]
	v_add_f64 v[40:41], v[26:27], v[156:157]
	v_cvt_f32_f64_e32 v38, v[38:39]
	v_cvt_f32_f64_e32 v40, v[40:41]
	v_min3_f32 v99, v40, v38, v89
	v_add_f64 v[38:39], v[32:33], v[158:159]
	v_add_f64 v[40:41], v[30:31], v[156:157]
	v_cvt_f32_f64_e32 v38, v[38:39]
	v_cvt_f32_f64_e32 v40, v[40:41]
	v_min3_f32 v98, v40, v38, v50
	v_add_f64 v[38:39], v[190:191], v[162:163]
	v_add_f64 v[40:41], v[188:189], v[160:161]
	v_cvt_f32_f64_e32 v38, v[38:39]
	v_cvt_f32_f64_e32 v40, v[40:41]
	v_min3_f32 v97, v40, v38, v51
	v_add_f64 v[38:39], v[8:9], v[162:163]
	v_add_f64 v[40:41], v[6:7], v[160:161]
	v_cvt_f32_f64_e32 v38, v[38:39]
	v_cvt_f32_f64_e32 v40, v[40:41]
	v_min3_f32 v96, v40, v38, v52
	v_add_f64 v[38:39], v[12:13], v[162:163]
	v_add_f64 v[40:41], v[10:11], v[160:161]
	v_cvt_f32_f64_e32 v38, v[38:39]
	v_cvt_f32_f64_e32 v40, v[40:41]
	v_min3_f32 v95, v40, v38, v53
	v_add_f64 v[38:39], v[16:17], v[162:163]
	v_add_f64 v[40:41], v[14:15], v[160:161]
	v_cvt_f32_f64_e32 v38, v[38:39]
	v_cvt_f32_f64_e32 v40, v[40:41]
	v_min3_f32 v94, v40, v38, v91
	v_add_f64 v[38:39], v[20:21], v[162:163]
	v_add_f64 v[40:41], v[18:19], v[160:161]
	v_cvt_f32_f64_e32 v38, v[38:39]
	v_cvt_f32_f64_e32 v40, v[40:41]
	v_min3_f32 v93, v40, v38, v92
	v_add_f64 v[38:39], v[24:25], v[162:163]
	v_add_f64 v[40:41], v[22:23], v[160:161]
	v_cvt_f32_f64_e32 v38, v[38:39]
	v_cvt_f32_f64_e32 v40, v[40:41]
	v_min3_f32 v92, v40, v38, v144
	v_add_f64 v[38:39], v[28:29], v[162:163]
	v_add_f64 v[40:41], v[26:27], v[160:161]
	v_cvt_f32_f64_e32 v38, v[38:39]
	v_cvt_f32_f64_e32 v40, v[40:41]
	v_min3_f32 v91, v40, v38, v145
	v_add_f64 v[38:39], v[32:33], v[162:163]
	v_add_f64 v[40:41], v[30:31], v[160:161]
	s_waitcnt lgkmcnt(0)
	v_add_f64 v[144:145], v[4:5], v[36:37]
	v_cvt_f32_f64_e32 v38, v[38:39]
	v_cvt_f32_f64_e32 v40, v[40:41]
	;; [unrolled: 1-line block ×3, first 2 shown]
	v_min3_f32 v90, v40, v38, v46
	v_add_f64 v[38:39], v[190:191], v[178:179]
	v_add_f64 v[40:41], v[188:189], v[176:177]
	v_cvt_f32_f64_e32 v38, v[38:39]
	v_cvt_f32_f64_e32 v40, v[40:41]
	v_min3_f32 v89, v40, v38, v47
	v_add_f64 v[38:39], v[8:9], v[178:179]
	v_add_f64 v[40:41], v[6:7], v[176:177]
	v_cvt_f32_f64_e32 v38, v[38:39]
	v_cvt_f32_f64_e32 v40, v[40:41]
	;; [unrolled: 5-line block ×5, first 2 shown]
	v_min3_f32 v85, v40, v38, v150
	v_add_f64 v[38:39], v[24:25], v[178:179]
	v_add_f64 v[40:41], v[22:23], v[176:177]
	;; [unrolled: 1-line block ×3, first 2 shown]
	v_cvt_f32_f64_e32 v38, v[38:39]
	v_cvt_f32_f64_e32 v40, v[40:41]
	;; [unrolled: 1-line block ×3, first 2 shown]
	v_min3_f32 v84, v40, v38, v151
	v_add_f64 v[38:39], v[28:29], v[178:179]
	v_add_f64 v[40:41], v[26:27], v[176:177]
	v_min3_f32 v222, v149, v144, v129
	v_cvt_f32_f64_e32 v38, v[38:39]
	v_cvt_f32_f64_e32 v40, v[40:41]
	v_min3_f32 v83, v40, v38, v152
	v_add_f64 v[38:39], v[32:33], v[178:179]
	v_add_f64 v[40:41], v[30:31], v[176:177]
	v_cvt_f32_f64_e32 v38, v[38:39]
	v_cvt_f32_f64_e32 v40, v[40:41]
	v_min3_f32 v82, v40, v38, v42
	v_add_f64 v[38:39], v[190:191], v[182:183]
	v_add_f64 v[40:41], v[188:189], v[180:181]
	;; [unrolled: 5-line block ×3, first 2 shown]
	v_add_f64 v[8:9], v[8:9], v[186:187]
	v_add_f64 v[6:7], v[6:7], v[184:185]
	v_cvt_f32_f64_e32 v38, v[38:39]
	v_cvt_f32_f64_e32 v40, v[40:41]
	;; [unrolled: 1-line block ×4, first 2 shown]
	v_add_f64 v[8:9], v[10:11], v[184:185]
	v_min3_f32 v80, v40, v38, v44
	v_add_f64 v[38:39], v[12:13], v[182:183]
	v_add_f64 v[40:41], v[10:11], v[180:181]
	v_min3_f32 v72, v6, v7, v193
	v_add_f64 v[6:7], v[12:13], v[186:187]
	v_cvt_f32_f64_e32 v8, v[8:9]
	v_cvt_f32_f64_e32 v38, v[38:39]
	v_cvt_f32_f64_e32 v40, v[40:41]
	v_cvt_f32_f64_e32 v6, v[6:7]
	v_min3_f32 v79, v40, v38, v45
	v_add_f64 v[38:39], v[16:17], v[182:183]
	v_add_f64 v[40:41], v[14:15], v[180:181]
	v_min3_f32 v71, v8, v6, v194
	v_add_f64 v[6:7], v[16:17], v[186:187]
	v_add_f64 v[8:9], v[14:15], v[184:185]
	v_cvt_f32_f64_e32 v38, v[38:39]
	v_cvt_f32_f64_e32 v40, v[40:41]
	v_cvt_f32_f64_e32 v6, v[6:7]
	v_cvt_f32_f64_e32 v8, v[8:9]
	v_min3_f32 v78, v40, v38, v153
	v_add_f64 v[38:39], v[20:21], v[182:183]
	v_add_f64 v[40:41], v[18:19], v[180:181]
	v_min3_f32 v70, v8, v6, v195
	v_add_f64 v[6:7], v[20:21], v[186:187]
	;; [unrolled: 10-line block ×5, first 2 shown]
	v_add_f64 v[8:9], v[30:31], v[184:185]
	v_cvt_f32_f64_e32 v38, v[38:39]
	v_cvt_f32_f64_e32 v40, v[40:41]
	;; [unrolled: 1-line block ×4, first 2 shown]
	v_min3_f32 v74, v40, v38, v171
	v_add_f64 v[38:39], v[190:191], v[186:187]
	v_add_f64 v[40:41], v[188:189], v[184:185]
	v_min3_f32 v66, v8, v6, v199
	v_cvt_f32_f64_e32 v38, v[38:39]
	v_cvt_f32_f64_e32 v40, v[40:41]
	v_min3_f32 v73, v40, v38, v192
	ds_read_b128 v[22:25], v165 offset:272
	ds_read_b128 v[18:21], v165 offset:528
	;; [unrolled: 1-line block ×14, first 2 shown]
	ds_write_b64 v166, v[134:135]
	ds_write2st64_b64 v167, v[138:139], v[140:141] offset1:4
	ds_write2st64_b64 v167, v[136:137], v[142:143] offset0:8 offset1:12
	s_waitcnt lgkmcnt(0)
	s_barrier
	buffer_gl0_inv
	v_add_f64 v[144:145], v[24:25], v[36:37]
	v_add_f64 v[149:150], v[22:23], v[34:35]
	v_cvt_f32_f64_e32 v144, v[144:145]
	v_cvt_f32_f64_e32 v129, v[149:150]
	v_min3_f32 v221, v129, v144, v128
	v_add_f64 v[128:129], v[20:21], v[36:37]
	v_add_f64 v[144:145], v[18:19], v[34:35]
	v_cvt_f32_f64_e32 v128, v[128:129]
	v_cvt_f32_f64_e32 v144, v[144:145]
	v_min3_f32 v220, v144, v128, v127
	;; [unrolled: 5-line block ×5, first 2 shown]
	v_add_f64 v[124:125], v[32:33], v[36:37]
	v_add_f64 v[126:127], v[30:31], v[34:35]
	;; [unrolled: 1-line block ×4, first 2 shown]
	v_cvt_f32_f64_e32 v124, v[124:125]
	v_cvt_f32_f64_e32 v126, v[126:127]
	;; [unrolled: 1-line block ×4, first 2 shown]
	v_add_f64 v[36:37], v[2:3], v[62:63]
	v_min3_f32 v217, v126, v124, v123
	v_min3_f32 v214, v34, v35, v122
	v_add_f64 v[34:35], v[4:5], v[64:65]
	v_cvt_f32_f64_e32 v36, v[36:37]
	v_cvt_f32_f64_e32 v34, v[34:35]
	v_min3_f32 v215, v36, v34, v121
	v_add_f64 v[34:35], v[24:25], v[64:65]
	v_add_f64 v[36:37], v[22:23], v[62:63]
	v_cvt_f32_f64_e32 v34, v[34:35]
	v_cvt_f32_f64_e32 v36, v[36:37]
	v_min3_f32 v212, v36, v34, v120
	v_add_f64 v[34:35], v[20:21], v[64:65]
	;; [unrolled: 5-line block ×40, first 2 shown]
	v_add_f64 v[36:37], v[2:3], v[42:43]
	v_add_f64 v[4:5], v[4:5], v[40:41]
	v_add_f64 v[2:3], v[2:3], v[38:39]
	v_cvt_f32_f64_e32 v34, v[34:35]
	v_cvt_f32_f64_e32 v36, v[36:37]
	;; [unrolled: 1-line block ×4, first 2 shown]
	v_add_f64 v[4:5], v[22:23], v[38:39]
	v_min3_f32 v171, v36, v34, v81
	v_add_f64 v[34:35], v[24:25], v[44:45]
	v_add_f64 v[36:37], v[22:23], v[42:43]
	v_min3_f32 v156, v2, v3, v73
	v_add_f64 v[2:3], v[24:25], v[40:41]
	v_cvt_f32_f64_e32 v4, v[4:5]
	v_cvt_f32_f64_e32 v34, v[34:35]
	v_cvt_f32_f64_e32 v36, v[36:37]
	v_cvt_f32_f64_e32 v2, v[2:3]
	v_min3_f32 v162, v36, v34, v80
	v_add_f64 v[34:35], v[20:21], v[44:45]
	v_add_f64 v[36:37], v[18:19], v[42:43]
	v_min3_f32 v155, v4, v2, v72
	v_add_f64 v[2:3], v[20:21], v[40:41]
	v_add_f64 v[4:5], v[18:19], v[38:39]
	v_cvt_f32_f64_e32 v34, v[34:35]
	v_cvt_f32_f64_e32 v36, v[36:37]
	v_cvt_f32_f64_e32 v2, v[2:3]
	v_cvt_f32_f64_e32 v4, v[4:5]
	v_min3_f32 v163, v36, v34, v79
	v_add_f64 v[34:35], v[16:17], v[44:45]
	v_add_f64 v[36:37], v[14:15], v[42:43]
	v_min3_f32 v154, v4, v2, v71
	v_add_f64 v[2:3], v[16:17], v[40:41]
	;; [unrolled: 10-line block ×6, first 2 shown]
	v_add_f64 v[4:5], v[26:27], v[38:39]
	v_cvt_f32_f64_e32 v34, v[34:35]
	v_cvt_f32_f64_e32 v36, v[36:37]
	;; [unrolled: 1-line block ×4, first 2 shown]
	v_min3_f32 v157, v36, v34, v74
	v_min3_f32 v149, v4, v2, v66
	s_cbranch_scc1 .LBB176_35
.LBB176_23:                             ; =>This Inner Loop Header: Depth=1
	v_mov_b32_e32 v138, 0
	v_mov_b32_e32 v136, 0
	;; [unrolled: 1-line block ×4, first 2 shown]
	s_and_b32 vcc_lo, exec_lo, s1
	s_cbranch_vccnz .LBB176_25
; %bb.24:                               ;   in Loop: Header=BB176_23 Depth=1
	global_load_dwordx2 v[2:3], v[132:133], off
	s_waitcnt vmcnt(0)
	v_mul_f64 v[136:137], s[12:13], v[2:3]
.LBB176_25:                             ;   in Loop: Header=BB176_23 Depth=1
	v_mov_b32_e32 v140, 0
	v_mov_b32_e32 v141, 0
	s_and_b32 vcc_lo, exec_lo, s1
	s_cbranch_vccnz .LBB176_27
; %bb.26:                               ;   in Loop: Header=BB176_23 Depth=1
	v_add_co_u32 v2, vcc_lo, v174, v130
	v_add_co_ci_u32_e64 v3, null, v175, v131, vcc_lo
	s_clause 0x1
	global_load_dwordx2 v[4:5], v[2:3], off
	global_load_dwordx2 v[2:3], v[2:3], off offset:512
	s_waitcnt vmcnt(1)
	v_mul_f64 v[138:139], s[12:13], v[4:5]
	s_waitcnt vmcnt(0)
	v_mul_f64 v[140:141], s[12:13], v[2:3]
.LBB176_27:                             ;   in Loop: Header=BB176_23 Depth=1
	v_mov_b32_e32 v134, 0
	v_mov_b32_e32 v142, 0
	v_mov_b32_e32 v144, 0
	v_mov_b32_e32 v135, 0
	v_mov_b32_e32 v143, 0
	v_mov_b32_e32 v145, 0
	s_and_b32 vcc_lo, exec_lo, s1
	s_cbranch_vccnz .LBB176_29
; %bb.28:                               ;   in Loop: Header=BB176_23 Depth=1
	v_add_co_u32 v2, vcc_lo, v174, v130
	v_add_co_ci_u32_e64 v3, null, v175, v131, vcc_lo
	s_clause 0x1
	global_load_dwordx2 v[4:5], v[2:3], off offset:1024
	global_load_dwordx2 v[2:3], v[2:3], off offset:1536
	s_waitcnt vmcnt(1)
	v_mul_f64 v[142:143], s[12:13], v[4:5]
	s_waitcnt vmcnt(0)
	v_mul_f64 v[144:145], s[12:13], v[2:3]
.LBB176_29:                             ;   in Loop: Header=BB176_23 Depth=1
	ds_read_b128 v[126:129], v170
	ds_read_b128 v[62:65], v170 offset:16
	ds_read_b128 v[98:101], v169
	ds_read_b128 v[34:37], v169 offset:16
	ds_read_b128 v[94:97], v169 offset:256
	ds_read_b128 v[30:33], v169 offset:272
	ds_read_b128 v[90:93], v169 offset:512
	ds_read_b128 v[26:29], v169 offset:528
	ds_read_b128 v[86:89], v169 offset:768
	ds_read_b128 v[18:21], v169 offset:784
	ds_read_b128 v[82:85], v169 offset:1024
	ds_read_b128 v[14:17], v169 offset:1040
	ds_read_b128 v[78:81], v169 offset:1280
	ds_read_b128 v[10:13], v169 offset:1296
	ds_read_b128 v[70:73], v169 offset:1536
	ds_read_b128 v[6:9], v169 offset:1552
	ds_read_b128 v[66:69], v169 offset:1792
	ds_read_b128 v[2:5], v169 offset:1808
	ds_read_b128 v[122:125], v170 offset:1024
	ds_read_b128 v[58:61], v170 offset:1040
	ds_read_b128 v[118:121], v170 offset:2048
	ds_read_b128 v[54:57], v170 offset:2064
	ds_read_b128 v[114:117], v170 offset:3072
	ds_read_b128 v[50:53], v170 offset:3088
	ds_read_b128 v[110:113], v170 offset:4096
	ds_read_b128 v[46:49], v170 offset:4112
	ds_read_b128 v[106:109], v170 offset:5120
	ds_read_b128 v[42:45], v170 offset:5136
	ds_read_b128 v[102:105], v170 offset:6144
	ds_read_b128 v[38:41], v170 offset:6160
	ds_read_b128 v[74:77], v170 offset:7168
	ds_read_b128 v[22:25], v170 offset:7184
	s_and_b32 vcc_lo, exec_lo, s1
	ds_write_b64 v164, v[136:137]
	ds_write2st64_b64 v148, v[138:139], v[140:141] offset1:4
	ds_write2st64_b64 v148, v[142:143], v[144:145] offset0:8 offset1:12
	s_waitcnt lgkmcnt(0)
	s_barrier
	buffer_gl0_inv
	s_cbranch_vccnz .LBB176_31
; %bb.30:                               ;   in Loop: Header=BB176_23 Depth=1
	global_load_dwordx2 v[134:135], v[132:133], off offset:32
	s_waitcnt vmcnt(0)
	v_mul_f64 v[134:135], s[12:13], v[134:135]
.LBB176_31:                             ;   in Loop: Header=BB176_23 Depth=1
	v_mov_b32_e32 v136, 0
	v_mov_b32_e32 v138, 0
	;; [unrolled: 1-line block ×6, first 2 shown]
	s_and_b32 vcc_lo, exec_lo, s1
	s_cbranch_vccnz .LBB176_33
; %bb.32:                               ;   in Loop: Header=BB176_23 Depth=1
	v_add_co_u32 v138, vcc_lo, v172, v130
	v_add_co_ci_u32_e64 v139, null, v173, v131, vcc_lo
	s_clause 0x1
	global_load_dwordx2 v[140:141], v[138:139], off
	global_load_dwordx2 v[142:143], v[138:139], off offset:512
	s_waitcnt vmcnt(1)
	v_mul_f64 v[138:139], s[12:13], v[140:141]
	s_waitcnt vmcnt(0)
	v_mul_f64 v[140:141], s[12:13], v[142:143]
.LBB176_33:                             ;   in Loop: Header=BB176_23 Depth=1
	v_mov_b32_e32 v142, 0
	v_mov_b32_e32 v143, 0
	s_and_b32 vcc_lo, exec_lo, s1
	s_cbranch_vccnz .LBB176_22
; %bb.34:                               ;   in Loop: Header=BB176_23 Depth=1
	v_add_co_u32 v136, vcc_lo, v172, v130
	v_add_co_ci_u32_e64 v137, null, v173, v131, vcc_lo
	s_clause 0x1
	global_load_dwordx2 v[142:143], v[136:137], off offset:1024
	global_load_dwordx2 v[144:145], v[136:137], off offset:1536
	s_waitcnt vmcnt(1)
	v_mul_f64 v[136:137], s[12:13], v[142:143]
	s_waitcnt vmcnt(0)
	v_mul_f64 v[142:143], s[12:13], v[144:145]
	s_branch .LBB176_22
.LBB176_35:
	ds_read_b128 v[124:127], v146 offset:8192
	ds_read_b128 v[68:71], v147 offset:18432
	;; [unrolled: 1-line block ×4, first 2 shown]
	s_clause 0x2
	s_load_dwordx2 s[8:9], s[4:5], 0x78
	s_load_dword s6, s[4:5], 0x70
	s_load_dword s1, s[4:5], 0x58
	v_add_nc_u32_e32 v144, s21, v1
	v_add_nc_u32_e32 v138, s20, v0
	v_ashrrev_i32_e32 v139, 31, v138
	v_add_nc_u32_e32 v0, 8, v138
	v_lshlrev_b64 v[130:131], 3, v[138:139]
	v_ashrrev_i32_e32 v1, 31, v0
	s_waitcnt lgkmcnt(0)
	v_add_f64 v[2:3], v[68:69], v[124:125]
	v_add_f64 v[4:5], v[70:71], v[126:127]
	;; [unrolled: 1-line block ×4, first 2 shown]
	s_mul_i32 s5, s9, s7
	s_mul_hi_u32 s9, s8, s7
	s_mul_i32 s4, s8, s7
	s_add_i32 s5, s9, s5
	s_mov_b32 s7, -1
	s_lshl_b64 s[4:5], s[4:5], 3
	s_add_u32 s4, s10, s4
	s_addc_u32 s5, s11, s5
	v_cvt_f32_f64_e32 v10, v[2:3]
	v_cvt_f32_f64_e32 v11, v[4:5]
	;; [unrolled: 1-line block ×4, first 2 shown]
	v_mad_i64_i32 v[2:3], null, v144, s6, 0
	v_mad_i64_i32 v[4:5], null, v144, s1, 0
	v_lshlrev_b64 v[2:3], 3, v[2:3]
	v_lshlrev_b64 v[4:5], 3, v[4:5]
	v_add_co_u32 v145, vcc_lo, s4, v2
	v_add_co_ci_u32_e64 v148, null, s5, v3, vcc_lo
	v_add_co_u32 v164, vcc_lo, s14, v4
	v_min3_f32 v8, v10, v11, v222
	v_add_co_ci_u32_e64 v165, null, s15, v5, vcc_lo
	s_mov_b32 vcc_lo, s0
	v_min3_f32 v2, v6, v7, v8
	v_max_f32_e32 v2, v2, v2
	s_cbranch_vccz .LBB176_37
; %bb.36:
	v_min_f32_e32 v3, 0, v2
	v_add_co_u32 v5, vcc_lo, v145, v130
	v_add_co_ci_u32_e64 v6, null, v148, v131, vcc_lo
	v_cvt_f64_f32_e32 v[3:4], v3
	s_mov_b32 s7, 0
	global_store_dwordx2 v[5:6], v[3:4], off
.LBB176_37:
	ds_read_b128 v[60:63], v147 offset:18688
	ds_read_b128 v[52:55], v147 offset:18704
	;; [unrolled: 1-line block ×4, first 2 shown]
	v_lshlrev_b64 v[128:129], 3, v[0:1]
	v_mov_b32_e32 v8, 0
	s_andn2_b32 vcc_lo, exec_lo, s7
	s_cbranch_vccnz .LBB176_39
; %bb.38:
	v_add_co_u32 v0, vcc_lo, v164, v130
	v_add_co_ci_u32_e64 v1, null, v165, v131, vcc_lo
	global_load_dwordx2 v[0:1], v[0:1], off
	s_waitcnt vmcnt(0)
	v_mul_f64 v[0:1], s[2:3], v[0:1]
	v_cvt_f32_f64_e32 v0, v[0:1]
	v_min_f32_e32 v0, v0, v2
	v_add_co_u32 v2, vcc_lo, v145, v130
	v_add_co_ci_u32_e64 v3, null, v148, v131, vcc_lo
	v_cvt_f64_f32_e32 v[0:1], v0
	v_add_co_u32 v4, vcc_lo, v164, v128
	v_add_co_ci_u32_e64 v5, null, v165, v129, vcc_lo
	global_store_dwordx2 v[2:3], v[0:1], off
	global_load_dwordx2 v[0:1], v[4:5], off
	s_waitcnt vmcnt(0)
	v_mul_f64 v[0:1], s[2:3], v[0:1]
	v_cvt_f32_f64_e32 v8, v[0:1]
.LBB176_39:
	s_waitcnt lgkmcnt(3)
	v_add_f64 v[0:1], v[60:61], v[124:125]
	v_add_f64 v[2:3], v[62:63], v[126:127]
	s_waitcnt lgkmcnt(2)
	v_add_f64 v[4:5], v[52:53], v[120:121]
	v_add_f64 v[6:7], v[54:55], v[122:123]
	s_waitcnt lgkmcnt(1)
	v_add_f64 v[9:10], v[50:51], v[126:127]
	v_add_f64 v[11:12], v[48:49], v[124:125]
	s_waitcnt lgkmcnt(0)
	v_add_f64 v[13:14], v[38:39], v[122:123]
	v_add_f64 v[72:73], v[36:37], v[120:121]
	v_add_nc_u32_e32 v134, 16, v138
	v_add_co_u32 v141, vcc_lo, v145, v128
	v_add_co_ci_u32_e64 v142, null, v148, v129, vcc_lo
	v_ashrrev_i32_e32 v135, 31, v134
	s_mov_b32 s7, -1
	s_mov_b32 vcc_lo, s0
	v_cvt_f32_f64_e32 v15, v[0:1]
	v_cvt_f32_f64_e32 v74, v[2:3]
	;; [unrolled: 1-line block ×8, first 2 shown]
	ds_read_b128 v[56:59], v147 offset:19200
	ds_read_b128 v[44:47], v147 offset:19216
	;; [unrolled: 1-line block ×18, first 2 shown]
	v_min3_f32 v9, v15, v74, v221
	v_min_f32_e32 v10, v75, v76
	v_min3_f32 v133, v132, v133, v220
	v_add_nc_u32_e32 v132, 24, v138
	v_min3_f32 v8, v8, v10, v9
	v_min3_f32 v143, v136, v137, v133
	v_lshlrev_b64 v[136:137], 3, v[134:135]
	v_ashrrev_i32_e32 v133, 31, v132
	v_cvt_f64_f32_e32 v[139:140], v8
	ds_read_b128 v[84:87], v146 offset:13312
	ds_read_b128 v[80:83], v146 offset:13328
	;; [unrolled: 1-line block ×6, first 2 shown]
	v_max_f32_e32 v135, v143, v143
	global_store_dwordx2 v[141:142], v[139:140], off
	s_cbranch_vccz .LBB176_41
; %bb.40:
	v_min_f32_e32 v134, 0, v135
	v_add_co_u32 v141, vcc_lo, v145, v136
	v_add_co_ci_u32_e64 v142, null, v148, v137, vcc_lo
	v_cvt_f64_f32_e32 v[139:140], v134
	s_mov_b32 s7, 0
	global_store_dwordx2 v[141:142], v[139:140], off
.LBB176_41:
	v_lshlrev_b64 v[132:133], 3, v[132:133]
	v_mov_b32_e32 v134, 0
	s_andn2_b32 vcc_lo, exec_lo, s7
	s_cbranch_vccnz .LBB176_43
; %bb.42:
	v_add_co_u32 v139, vcc_lo, v164, v136
	v_add_co_ci_u32_e64 v140, null, v165, v137, vcc_lo
	global_load_dwordx2 v[139:140], v[139:140], off
	s_waitcnt vmcnt(0)
	v_mul_f64 v[139:140], s[2:3], v[139:140]
	v_cvt_f32_f64_e32 v134, v[139:140]
	v_add_co_u32 v139, vcc_lo, v145, v136
	v_add_co_ci_u32_e64 v140, null, v148, v137, vcc_lo
	v_add_co_u32 v141, vcc_lo, v164, v132
	v_add_co_ci_u32_e64 v142, null, v165, v133, vcc_lo
	v_min_f32_e32 v134, v134, v135
	v_cvt_f64_f32_e32 v[134:135], v134
	global_store_dwordx2 v[139:140], v[134:135], off
	global_load_dwordx2 v[134:135], v[141:142], off
	s_waitcnt vmcnt(0)
	v_mul_f64 v[134:135], s[2:3], v[134:135]
	v_cvt_f32_f64_e32 v134, v[134:135]
.LBB176_43:
	s_waitcnt lgkmcnt(23)
	v_add_f64 v[139:140], v[56:57], v[124:125]
	v_add_f64 v[141:142], v[58:59], v[126:127]
	s_waitcnt lgkmcnt(22)
	v_add_f64 v[146:147], v[44:45], v[120:121]
	v_add_f64 v[166:167], v[46:47], v[122:123]
	;; [unrolled: 3-line block ×3, first 2 shown]
	s_waitcnt lgkmcnt(20)
	v_add_f64 v[174:175], v[32:33], v[120:121]
	s_mov_b32 s7, -1
	v_cvt_f32_f64_e32 v135, v[139:140]
	v_cvt_f32_f64_e32 v141, v[141:142]
	;; [unrolled: 1-line block ×4, first 2 shown]
	v_add_f64 v[139:140], v[34:35], v[122:123]
	v_cvt_f32_f64_e32 v166, v[172:173]
	v_cvt_f32_f64_e32 v167, v[169:170]
	;; [unrolled: 1-line block ×3, first 2 shown]
	v_min3_f32 v135, v135, v141, v218
	v_min_f32_e32 v141, v142, v143
	v_cvt_f32_f64_e32 v142, v[139:140]
	v_add_nc_u32_e32 v139, 32, v138
	v_min3_f32 v134, v134, v141, v135
	v_min3_f32 v135, v166, v167, v219
	v_ashrrev_i32_e32 v140, 31, v139
	v_add_co_u32 v166, vcc_lo, v145, v132
	v_cvt_f64_f32_e32 v[146:147], v134
	v_add_nc_u32_e32 v134, 40, v138
	v_lshlrev_b64 v[140:141], 3, v[139:140]
	v_add_co_ci_u32_e64 v167, null, v148, v133, vcc_lo
	s_mov_b32 vcc_lo, s0
	v_min3_f32 v142, v169, v142, v135
	v_ashrrev_i32_e32 v135, 31, v134
	v_max_f32_e32 v142, v142, v142
	global_store_dwordx2 v[166:167], v[146:147], off
	s_cbranch_vccz .LBB176_45
; %bb.44:
	v_min_f32_e32 v139, 0, v142
	v_add_co_u32 v166, vcc_lo, v145, v140
	v_add_co_ci_u32_e64 v167, null, v148, v141, vcc_lo
	v_cvt_f64_f32_e32 v[146:147], v139
	s_mov_b32 s7, 0
	global_store_dwordx2 v[166:167], v[146:147], off
.LBB176_45:
	v_lshlrev_b64 v[134:135], 3, v[134:135]
	v_mov_b32_e32 v139, 0
	s_andn2_b32 vcc_lo, exec_lo, s7
	s_cbranch_vccnz .LBB176_47
; %bb.46:
	v_add_co_u32 v146, vcc_lo, v164, v140
	v_add_co_ci_u32_e64 v147, null, v165, v141, vcc_lo
	global_load_dwordx2 v[146:147], v[146:147], off
	s_waitcnt vmcnt(0)
	v_mul_f64 v[146:147], s[2:3], v[146:147]
	v_cvt_f32_f64_e32 v139, v[146:147]
	v_add_co_u32 v146, vcc_lo, v145, v140
	v_add_co_ci_u32_e64 v147, null, v148, v141, vcc_lo
	v_add_co_u32 v166, vcc_lo, v164, v134
	v_add_co_ci_u32_e64 v167, null, v165, v135, vcc_lo
	v_min_f32_e32 v139, v139, v142
	v_cvt_f64_f32_e32 v[142:143], v139
	global_store_dwordx2 v[146:147], v[142:143], off
	global_load_dwordx2 v[142:143], v[166:167], off
	s_waitcnt vmcnt(0)
	v_mul_f64 v[142:143], s[2:3], v[142:143]
	v_cvt_f32_f64_e32 v139, v[142:143]
.LBB176_47:
	s_waitcnt lgkmcnt(19)
	v_add_f64 v[142:143], v[28:29], v[124:125]
	v_add_f64 v[146:147], v[30:31], v[126:127]
	s_waitcnt lgkmcnt(18)
	v_add_f64 v[166:167], v[24:25], v[120:121]
	v_add_f64 v[169:170], v[26:27], v[122:123]
	;; [unrolled: 3-line block ×3, first 2 shown]
	s_waitcnt lgkmcnt(16)
	v_add_f64 v[218:219], v[16:17], v[120:121]
	s_mov_b32 s7, -1
	v_cvt_f32_f64_e32 v220, v[142:143]
	v_cvt_f32_f64_e32 v146, v[146:147]
	;; [unrolled: 1-line block ×4, first 2 shown]
	v_add_f64 v[142:143], v[18:19], v[122:123]
	v_cvt_f32_f64_e32 v169, v[174:175]
	v_cvt_f32_f64_e32 v170, v[172:173]
	;; [unrolled: 1-line block ×3, first 2 shown]
	v_min3_f32 v146, v220, v146, v216
	v_min_f32_e32 v147, v147, v166
	v_cvt_f32_f64_e32 v173, v[142:143]
	v_add_nc_u32_e32 v142, 48, v138
	v_add_nc_u32_e32 v138, 56, v138
	v_min3_f32 v139, v139, v147, v146
	v_ashrrev_i32_e32 v143, 31, v142
	v_cvt_f64_f32_e32 v[166:167], v139
	v_min3_f32 v139, v169, v170, v217
	v_add_co_u32 v169, vcc_lo, v145, v134
	v_lshlrev_b64 v[142:143], 3, v[142:143]
	v_add_co_ci_u32_e64 v170, null, v148, v135, vcc_lo
	s_mov_b32 vcc_lo, s0
	v_min3_f32 v146, v172, v173, v139
	v_ashrrev_i32_e32 v139, 31, v138
	v_max_f32_e32 v147, v146, v146
	global_store_dwordx2 v[169:170], v[166:167], off
	s_cbranch_vccz .LBB176_49
; %bb.48:
	v_min_f32_e32 v146, 0, v147
	v_add_co_u32 v169, vcc_lo, v145, v142
	v_add_co_ci_u32_e64 v170, null, v148, v143, vcc_lo
	v_cvt_f64_f32_e32 v[166:167], v146
	s_mov_b32 s7, 0
	global_store_dwordx2 v[169:170], v[166:167], off
.LBB176_49:
	v_lshlrev_b64 v[138:139], 3, v[138:139]
	v_mov_b32_e32 v146, 0
	s_andn2_b32 vcc_lo, exec_lo, s7
	s_cbranch_vccnz .LBB176_51
; %bb.50:
	v_add_co_u32 v166, vcc_lo, v164, v142
	v_add_co_ci_u32_e64 v167, null, v165, v143, vcc_lo
	global_load_dwordx2 v[166:167], v[166:167], off
	s_waitcnt vmcnt(0)
	v_mul_f64 v[166:167], s[2:3], v[166:167]
	v_cvt_f32_f64_e32 v146, v[166:167]
	v_add_co_u32 v166, vcc_lo, v145, v142
	v_add_co_ci_u32_e64 v167, null, v148, v143, vcc_lo
	v_add_co_u32 v164, vcc_lo, v164, v138
	v_add_co_ci_u32_e64 v165, null, v165, v139, vcc_lo
	v_min_f32_e32 v146, v146, v147
	v_cvt_f64_f32_e32 v[146:147], v146
	global_store_dwordx2 v[166:167], v[146:147], off
	global_load_dwordx2 v[146:147], v[164:165], off
	s_waitcnt vmcnt(0)
	v_mul_f64 v[146:147], s[2:3], v[146:147]
	v_cvt_f32_f64_e32 v146, v[146:147]
.LBB176_51:
	s_waitcnt lgkmcnt(15)
	v_add_f64 v[124:125], v[0:1], v[124:125]
	v_add_f64 v[126:127], v[2:3], v[126:127]
	s_waitcnt lgkmcnt(14)
	v_add_f64 v[120:121], v[4:5], v[120:121]
	v_add_f64 v[122:123], v[6:7], v[122:123]
	;; [unrolled: 3-line block ×3, first 2 shown]
	v_add_co_u32 v145, vcc_lo, v145, v138
	s_mov_b32 s7, -1
	v_cvt_f32_f64_e32 v124, v[124:125]
	v_cvt_f32_f64_e32 v125, v[126:127]
	;; [unrolled: 1-line block ×4, first 2 shown]
	s_waitcnt lgkmcnt(12)
	v_add_f64 v[120:121], v[64:65], v[112:113]
	v_add_f64 v[122:123], v[66:67], v[114:115]
	v_cvt_f32_f64_e32 v147, v[166:167]
	v_cvt_f32_f64_e32 v164, v[164:165]
	v_add_nc_u32_e32 v165, 32, v144
	v_min3_f32 v124, v124, v125, v214
	v_min_f32_e32 v125, v126, v127
	v_cvt_f32_f64_e32 v166, v[120:121]
	v_cvt_f32_f64_e32 v167, v[122:123]
	v_mad_i64_i32 v[120:121], null, v165, s6, 0
	v_min3_f32 v122, v146, v125, v124
	v_min3_f32 v124, v147, v164, v215
	v_add_co_ci_u32_e64 v146, null, v148, v139, vcc_lo
	v_cvt_f64_f32_e32 v[126:127], v122
	v_mad_i64_i32 v[122:123], null, v165, s1, 0
	v_lshlrev_b64 v[120:121], 3, v[120:121]
	v_add_co_u32 v120, vcc_lo, s4, v120
	v_lshlrev_b64 v[122:123], 3, v[122:123]
	v_add_co_ci_u32_e64 v121, null, s5, v121, vcc_lo
	v_min3_f32 v124, v166, v167, v124
	v_add_co_u32 v122, vcc_lo, s14, v122
	v_add_co_ci_u32_e64 v123, null, s15, v123, vcc_lo
	v_max_f32_e32 v125, v124, v124
	s_mov_b32 vcc_lo, s0
	global_store_dwordx2 v[145:146], v[126:127], off
	s_cbranch_vccz .LBB176_53
; %bb.52:
	v_min_f32_e32 v124, 0, v125
	v_add_co_u32 v145, vcc_lo, v120, v130
	v_add_co_ci_u32_e64 v146, null, v121, v131, vcc_lo
	v_cvt_f64_f32_e32 v[126:127], v124
	s_mov_b32 s7, 0
	global_store_dwordx2 v[145:146], v[126:127], off
.LBB176_53:
	v_mov_b32_e32 v124, 0
	s_andn2_b32 vcc_lo, exec_lo, s7
	s_cbranch_vccnz .LBB176_55
; %bb.54:
	v_add_co_u32 v126, vcc_lo, v122, v130
	v_add_co_ci_u32_e64 v127, null, v123, v131, vcc_lo
	global_load_dwordx2 v[126:127], v[126:127], off
	s_waitcnt vmcnt(0)
	v_mul_f64 v[126:127], s[2:3], v[126:127]
	v_cvt_f32_f64_e32 v124, v[126:127]
	v_add_co_u32 v126, vcc_lo, v120, v130
	v_add_co_ci_u32_e64 v127, null, v121, v131, vcc_lo
	v_add_co_u32 v145, vcc_lo, v122, v128
	v_add_co_ci_u32_e64 v146, null, v123, v129, vcc_lo
	v_min_f32_e32 v124, v124, v125
	v_cvt_f64_f32_e32 v[124:125], v124
	global_store_dwordx2 v[126:127], v[124:125], off
	global_load_dwordx2 v[124:125], v[145:146], off
	s_waitcnt vmcnt(0)
	v_mul_f64 v[124:125], s[2:3], v[124:125]
	v_cvt_f32_f64_e32 v124, v[124:125]
.LBB176_55:
	v_add_f64 v[125:126], v[60:61], v[116:117]
	v_add_f64 v[145:146], v[62:63], v[118:119]
	v_add_f64 v[147:148], v[52:53], v[112:113]
	v_add_f64 v[164:165], v[54:55], v[114:115]
	v_add_f64 v[166:167], v[50:51], v[118:119]
	v_add_f64 v[169:170], v[48:49], v[116:117]
	v_add_f64 v[172:173], v[36:37], v[112:113]
	s_mov_b32 s7, -1
	v_cvt_f32_f64_e32 v127, v[125:126]
	v_cvt_f32_f64_e32 v145, v[145:146]
	v_cvt_f32_f64_e32 v146, v[147:148]
	v_cvt_f32_f64_e32 v147, v[164:165]
	v_add_f64 v[125:126], v[38:39], v[114:115]
	v_cvt_f32_f64_e32 v148, v[169:170]
	v_cvt_f32_f64_e32 v164, v[166:167]
	v_cvt_f32_f64_e32 v165, v[172:173]
	v_min3_f32 v127, v127, v145, v212
	v_min_f32_e32 v145, v146, v147
	v_cvt_f32_f64_e32 v125, v[125:126]
	v_min3_f32 v124, v124, v145, v127
	v_add_co_u32 v145, vcc_lo, v120, v128
	v_add_co_ci_u32_e64 v146, null, v121, v129, vcc_lo
	v_cvt_f64_f32_e32 v[126:127], v124
	v_min3_f32 v124, v148, v164, v213
	s_mov_b32 vcc_lo, s0
	v_min3_f32 v124, v165, v125, v124
	v_max_f32_e32 v125, v124, v124
	global_store_dwordx2 v[145:146], v[126:127], off
	s_cbranch_vccz .LBB176_57
; %bb.56:
	v_min_f32_e32 v124, 0, v125
	v_add_co_u32 v145, vcc_lo, v120, v136
	v_add_co_ci_u32_e64 v146, null, v121, v137, vcc_lo
	v_cvt_f64_f32_e32 v[126:127], v124
	s_mov_b32 s7, 0
	global_store_dwordx2 v[145:146], v[126:127], off
.LBB176_57:
	v_mov_b32_e32 v124, 0
	s_andn2_b32 vcc_lo, exec_lo, s7
	s_cbranch_vccnz .LBB176_59
; %bb.58:
	v_add_co_u32 v126, vcc_lo, v122, v136
	v_add_co_ci_u32_e64 v127, null, v123, v137, vcc_lo
	global_load_dwordx2 v[126:127], v[126:127], off
	s_waitcnt vmcnt(0)
	v_mul_f64 v[126:127], s[2:3], v[126:127]
	v_cvt_f32_f64_e32 v124, v[126:127]
	v_add_co_u32 v126, vcc_lo, v120, v136
	v_add_co_ci_u32_e64 v127, null, v121, v137, vcc_lo
	v_add_co_u32 v145, vcc_lo, v122, v132
	v_add_co_ci_u32_e64 v146, null, v123, v133, vcc_lo
	v_min_f32_e32 v124, v124, v125
	v_cvt_f64_f32_e32 v[124:125], v124
	global_store_dwordx2 v[126:127], v[124:125], off
	global_load_dwordx2 v[124:125], v[145:146], off
	s_waitcnt vmcnt(0)
	v_mul_f64 v[124:125], s[2:3], v[124:125]
	v_cvt_f32_f64_e32 v124, v[124:125]
.LBB176_59:
	v_add_f64 v[125:126], v[56:57], v[116:117]
	v_add_f64 v[145:146], v[58:59], v[118:119]
	v_add_f64 v[147:148], v[44:45], v[112:113]
	v_add_f64 v[164:165], v[46:47], v[114:115]
	v_add_f64 v[166:167], v[42:43], v[118:119]
	v_add_f64 v[169:170], v[40:41], v[116:117]
	v_add_f64 v[172:173], v[32:33], v[112:113]
	s_mov_b32 s7, -1
	v_cvt_f32_f64_e32 v127, v[125:126]
	v_cvt_f32_f64_e32 v145, v[145:146]
	v_cvt_f32_f64_e32 v146, v[147:148]
	v_cvt_f32_f64_e32 v147, v[164:165]
	v_add_f64 v[125:126], v[34:35], v[114:115]
	v_cvt_f32_f64_e32 v148, v[169:170]
	v_cvt_f32_f64_e32 v164, v[166:167]
	v_cvt_f32_f64_e32 v165, v[172:173]
	v_min3_f32 v127, v127, v145, v210
	v_min_f32_e32 v145, v146, v147
	v_cvt_f32_f64_e32 v125, v[125:126]
	v_min3_f32 v124, v124, v145, v127
	v_add_co_u32 v145, vcc_lo, v120, v132
	v_add_co_ci_u32_e64 v146, null, v121, v133, vcc_lo
	v_cvt_f64_f32_e32 v[126:127], v124
	v_min3_f32 v124, v148, v164, v211
	s_mov_b32 vcc_lo, s0
	v_min3_f32 v124, v165, v125, v124
	v_max_f32_e32 v125, v124, v124
	;; [unrolled: 59-line block ×3, first 2 shown]
	global_store_dwordx2 v[145:146], v[126:127], off
	s_cbranch_vccz .LBB176_65
; %bb.64:
	v_min_f32_e32 v124, 0, v125
	v_add_co_u32 v145, vcc_lo, v120, v142
	v_add_co_ci_u32_e64 v146, null, v121, v143, vcc_lo
	v_cvt_f64_f32_e32 v[126:127], v124
	s_mov_b32 s7, 0
	global_store_dwordx2 v[145:146], v[126:127], off
.LBB176_65:
	v_mov_b32_e32 v124, 0
	s_andn2_b32 vcc_lo, exec_lo, s7
	s_cbranch_vccnz .LBB176_67
; %bb.66:
	v_add_co_u32 v126, vcc_lo, v122, v142
	v_add_co_ci_u32_e64 v127, null, v123, v143, vcc_lo
	global_load_dwordx2 v[126:127], v[126:127], off
	s_waitcnt vmcnt(0)
	v_mul_f64 v[126:127], s[2:3], v[126:127]
	v_cvt_f32_f64_e32 v124, v[126:127]
	v_add_co_u32 v126, vcc_lo, v120, v142
	v_add_co_ci_u32_e64 v127, null, v121, v143, vcc_lo
	v_add_co_u32 v122, vcc_lo, v122, v138
	v_add_co_ci_u32_e64 v123, null, v123, v139, vcc_lo
	v_min_f32_e32 v124, v124, v125
	v_cvt_f64_f32_e32 v[124:125], v124
	global_store_dwordx2 v[126:127], v[124:125], off
	global_load_dwordx2 v[122:123], v[122:123], off
	s_waitcnt vmcnt(0)
	v_mul_f64 v[122:123], s[2:3], v[122:123]
	v_cvt_f32_f64_e32 v124, v[122:123]
.LBB176_67:
	v_add_f64 v[116:117], v[0:1], v[116:117]
	v_add_f64 v[118:119], v[2:3], v[118:119]
	;; [unrolled: 1-line block ×4, first 2 shown]
	s_waitcnt lgkmcnt(11)
	v_add_f64 v[122:123], v[70:71], v[110:111]
	v_add_f64 v[125:126], v[68:69], v[108:109]
	v_add_co_u32 v120, vcc_lo, v120, v138
	v_add_co_ci_u32_e64 v121, null, v121, v139, vcc_lo
	s_mov_b32 s7, -1
	v_cvt_f32_f64_e32 v116, v[116:117]
	v_cvt_f32_f64_e32 v117, v[118:119]
	;; [unrolled: 1-line block ×4, first 2 shown]
	s_waitcnt lgkmcnt(10)
	v_add_f64 v[112:113], v[64:65], v[104:105]
	v_add_f64 v[114:115], v[66:67], v[106:107]
	v_cvt_f32_f64_e32 v125, v[125:126]
	v_cvt_f32_f64_e32 v122, v[122:123]
	v_add_nc_u32_e32 v123, 64, v144
	v_min3_f32 v116, v116, v117, v206
	v_min_f32_e32 v117, v118, v119
	v_cvt_f32_f64_e32 v126, v[112:113]
	v_cvt_f32_f64_e32 v127, v[114:115]
	v_mad_i64_i32 v[112:113], null, v123, s6, 0
	v_min3_f32 v114, v124, v117, v116
	v_min3_f32 v116, v125, v122, v207
	v_cvt_f64_f32_e32 v[118:119], v114
	v_mad_i64_i32 v[114:115], null, v123, s1, 0
	v_lshlrev_b64 v[112:113], 3, v[112:113]
	v_add_co_u32 v112, vcc_lo, s4, v112
	v_lshlrev_b64 v[114:115], 3, v[114:115]
	v_add_co_ci_u32_e64 v113, null, s5, v113, vcc_lo
	v_min3_f32 v116, v126, v127, v116
	v_add_co_u32 v114, vcc_lo, s14, v114
	v_add_co_ci_u32_e64 v115, null, s15, v115, vcc_lo
	v_max_f32_e32 v117, v116, v116
	s_mov_b32 vcc_lo, s0
	global_store_dwordx2 v[120:121], v[118:119], off
	s_cbranch_vccz .LBB176_69
; %bb.68:
	v_min_f32_e32 v116, 0, v117
	v_add_co_u32 v120, vcc_lo, v112, v130
	v_add_co_ci_u32_e64 v121, null, v113, v131, vcc_lo
	v_cvt_f64_f32_e32 v[118:119], v116
	s_mov_b32 s7, 0
	global_store_dwordx2 v[120:121], v[118:119], off
.LBB176_69:
	v_mov_b32_e32 v116, 0
	s_andn2_b32 vcc_lo, exec_lo, s7
	s_cbranch_vccnz .LBB176_71
; %bb.70:
	v_add_co_u32 v118, vcc_lo, v114, v130
	v_add_co_ci_u32_e64 v119, null, v115, v131, vcc_lo
	global_load_dwordx2 v[118:119], v[118:119], off
	s_waitcnt vmcnt(0)
	v_mul_f64 v[118:119], s[2:3], v[118:119]
	v_cvt_f32_f64_e32 v116, v[118:119]
	v_add_co_u32 v118, vcc_lo, v112, v130
	v_add_co_ci_u32_e64 v119, null, v113, v131, vcc_lo
	v_add_co_u32 v120, vcc_lo, v114, v128
	v_add_co_ci_u32_e64 v121, null, v115, v129, vcc_lo
	v_min_f32_e32 v116, v116, v117
	v_cvt_f64_f32_e32 v[116:117], v116
	global_store_dwordx2 v[118:119], v[116:117], off
	global_load_dwordx2 v[116:117], v[120:121], off
	s_waitcnt vmcnt(0)
	v_mul_f64 v[116:117], s[2:3], v[116:117]
	v_cvt_f32_f64_e32 v116, v[116:117]
.LBB176_71:
	v_add_f64 v[117:118], v[60:61], v[108:109]
	v_add_f64 v[119:120], v[62:63], v[110:111]
	v_add_f64 v[121:122], v[52:53], v[104:105]
	v_add_f64 v[123:124], v[54:55], v[106:107]
	v_add_f64 v[125:126], v[50:51], v[110:111]
	v_add_f64 v[145:146], v[48:49], v[108:109]
	v_add_f64 v[147:148], v[36:37], v[104:105]
	s_mov_b32 s7, -1
	v_cvt_f32_f64_e32 v127, v[117:118]
	v_cvt_f32_f64_e32 v119, v[119:120]
	v_cvt_f32_f64_e32 v120, v[121:122]
	v_cvt_f32_f64_e32 v121, v[123:124]
	v_add_f64 v[117:118], v[38:39], v[106:107]
	v_cvt_f32_f64_e32 v122, v[145:146]
	v_cvt_f32_f64_e32 v123, v[125:126]
	v_cvt_f32_f64_e32 v124, v[147:148]
	v_min3_f32 v119, v127, v119, v204
	v_min_f32_e32 v120, v120, v121
	v_cvt_f32_f64_e32 v117, v[117:118]
	v_min3_f32 v116, v116, v120, v119
	v_add_co_u32 v120, vcc_lo, v112, v128
	v_add_co_ci_u32_e64 v121, null, v113, v129, vcc_lo
	v_cvt_f64_f32_e32 v[118:119], v116
	v_min3_f32 v116, v122, v123, v205
	s_mov_b32 vcc_lo, s0
	v_min3_f32 v116, v124, v117, v116
	v_max_f32_e32 v117, v116, v116
	global_store_dwordx2 v[120:121], v[118:119], off
	s_cbranch_vccz .LBB176_73
; %bb.72:
	v_min_f32_e32 v116, 0, v117
	v_add_co_u32 v120, vcc_lo, v112, v136
	v_add_co_ci_u32_e64 v121, null, v113, v137, vcc_lo
	v_cvt_f64_f32_e32 v[118:119], v116
	s_mov_b32 s7, 0
	global_store_dwordx2 v[120:121], v[118:119], off
.LBB176_73:
	v_mov_b32_e32 v116, 0
	s_andn2_b32 vcc_lo, exec_lo, s7
	s_cbranch_vccnz .LBB176_75
; %bb.74:
	v_add_co_u32 v118, vcc_lo, v114, v136
	v_add_co_ci_u32_e64 v119, null, v115, v137, vcc_lo
	global_load_dwordx2 v[118:119], v[118:119], off
	s_waitcnt vmcnt(0)
	v_mul_f64 v[118:119], s[2:3], v[118:119]
	v_cvt_f32_f64_e32 v116, v[118:119]
	v_add_co_u32 v118, vcc_lo, v112, v136
	v_add_co_ci_u32_e64 v119, null, v113, v137, vcc_lo
	v_add_co_u32 v120, vcc_lo, v114, v132
	v_add_co_ci_u32_e64 v121, null, v115, v133, vcc_lo
	v_min_f32_e32 v116, v116, v117
	v_cvt_f64_f32_e32 v[116:117], v116
	global_store_dwordx2 v[118:119], v[116:117], off
	global_load_dwordx2 v[116:117], v[120:121], off
	s_waitcnt vmcnt(0)
	v_mul_f64 v[116:117], s[2:3], v[116:117]
	v_cvt_f32_f64_e32 v116, v[116:117]
.LBB176_75:
	v_add_f64 v[117:118], v[56:57], v[108:109]
	v_add_f64 v[119:120], v[58:59], v[110:111]
	v_add_f64 v[121:122], v[44:45], v[104:105]
	v_add_f64 v[123:124], v[46:47], v[106:107]
	v_add_f64 v[125:126], v[42:43], v[110:111]
	v_add_f64 v[145:146], v[40:41], v[108:109]
	v_add_f64 v[147:148], v[32:33], v[104:105]
	s_mov_b32 s7, -1
	v_cvt_f32_f64_e32 v127, v[117:118]
	v_cvt_f32_f64_e32 v119, v[119:120]
	v_cvt_f32_f64_e32 v120, v[121:122]
	v_cvt_f32_f64_e32 v121, v[123:124]
	v_add_f64 v[117:118], v[34:35], v[106:107]
	v_cvt_f32_f64_e32 v122, v[145:146]
	v_cvt_f32_f64_e32 v123, v[125:126]
	v_cvt_f32_f64_e32 v124, v[147:148]
	v_min3_f32 v119, v127, v119, v202
	v_min_f32_e32 v120, v120, v121
	v_cvt_f32_f64_e32 v117, v[117:118]
	v_min3_f32 v116, v116, v120, v119
	v_add_co_u32 v120, vcc_lo, v112, v132
	v_add_co_ci_u32_e64 v121, null, v113, v133, vcc_lo
	v_cvt_f64_f32_e32 v[118:119], v116
	v_min3_f32 v116, v122, v123, v203
	s_mov_b32 vcc_lo, s0
	v_min3_f32 v116, v124, v117, v116
	v_max_f32_e32 v117, v116, v116
	;; [unrolled: 59-line block ×3, first 2 shown]
	global_store_dwordx2 v[120:121], v[118:119], off
	s_cbranch_vccz .LBB176_81
; %bb.80:
	v_min_f32_e32 v116, 0, v117
	v_add_co_u32 v120, vcc_lo, v112, v142
	v_add_co_ci_u32_e64 v121, null, v113, v143, vcc_lo
	v_cvt_f64_f32_e32 v[118:119], v116
	s_mov_b32 s7, 0
	global_store_dwordx2 v[120:121], v[118:119], off
.LBB176_81:
	v_mov_b32_e32 v116, 0
	s_andn2_b32 vcc_lo, exec_lo, s7
	s_cbranch_vccnz .LBB176_83
; %bb.82:
	v_add_co_u32 v118, vcc_lo, v114, v142
	v_add_co_ci_u32_e64 v119, null, v115, v143, vcc_lo
	global_load_dwordx2 v[118:119], v[118:119], off
	s_waitcnt vmcnt(0)
	v_mul_f64 v[118:119], s[2:3], v[118:119]
	v_cvt_f32_f64_e32 v116, v[118:119]
	v_add_co_u32 v118, vcc_lo, v112, v142
	v_add_co_ci_u32_e64 v119, null, v113, v143, vcc_lo
	v_add_co_u32 v114, vcc_lo, v114, v138
	v_add_co_ci_u32_e64 v115, null, v115, v139, vcc_lo
	v_min_f32_e32 v116, v116, v117
	v_cvt_f64_f32_e32 v[116:117], v116
	global_store_dwordx2 v[118:119], v[116:117], off
	global_load_dwordx2 v[114:115], v[114:115], off
	s_waitcnt vmcnt(0)
	v_mul_f64 v[114:115], s[2:3], v[114:115]
	v_cvt_f32_f64_e32 v116, v[114:115]
.LBB176_83:
	v_add_f64 v[108:109], v[0:1], v[108:109]
	v_add_f64 v[110:111], v[2:3], v[110:111]
	;; [unrolled: 1-line block ×4, first 2 shown]
	s_waitcnt lgkmcnt(9)
	v_add_f64 v[114:115], v[70:71], v[102:103]
	v_add_f64 v[117:118], v[68:69], v[100:101]
	v_add_co_u32 v112, vcc_lo, v112, v138
	v_add_co_ci_u32_e64 v113, null, v113, v139, vcc_lo
	s_mov_b32 s7, -1
	v_cvt_f32_f64_e32 v108, v[108:109]
	v_cvt_f32_f64_e32 v109, v[110:111]
	;; [unrolled: 1-line block ×4, first 2 shown]
	s_waitcnt lgkmcnt(8)
	v_add_f64 v[104:105], v[64:65], v[96:97]
	v_add_f64 v[106:107], v[66:67], v[98:99]
	v_cvt_f32_f64_e32 v117, v[117:118]
	v_cvt_f32_f64_e32 v114, v[114:115]
	v_add_nc_u32_e32 v115, 0x60, v144
	v_min3_f32 v108, v108, v109, v198
	v_min_f32_e32 v109, v110, v111
	v_cvt_f32_f64_e32 v118, v[104:105]
	v_cvt_f32_f64_e32 v119, v[106:107]
	v_mad_i64_i32 v[104:105], null, v115, s6, 0
	v_min3_f32 v106, v116, v109, v108
	v_min3_f32 v108, v117, v114, v199
	v_cvt_f64_f32_e32 v[110:111], v106
	v_mad_i64_i32 v[106:107], null, v115, s1, 0
	v_lshlrev_b64 v[104:105], 3, v[104:105]
	v_add_co_u32 v104, vcc_lo, s4, v104
	v_lshlrev_b64 v[106:107], 3, v[106:107]
	v_add_co_ci_u32_e64 v105, null, s5, v105, vcc_lo
	v_min3_f32 v108, v118, v119, v108
	v_add_co_u32 v106, vcc_lo, s14, v106
	v_add_co_ci_u32_e64 v107, null, s15, v107, vcc_lo
	v_max_f32_e32 v109, v108, v108
	s_mov_b32 vcc_lo, s0
	global_store_dwordx2 v[112:113], v[110:111], off
	s_cbranch_vccz .LBB176_85
; %bb.84:
	v_min_f32_e32 v108, 0, v109
	v_add_co_u32 v112, vcc_lo, v104, v130
	v_add_co_ci_u32_e64 v113, null, v105, v131, vcc_lo
	v_cvt_f64_f32_e32 v[110:111], v108
	s_mov_b32 s7, 0
	global_store_dwordx2 v[112:113], v[110:111], off
.LBB176_85:
	v_mov_b32_e32 v108, 0
	s_andn2_b32 vcc_lo, exec_lo, s7
	s_cbranch_vccnz .LBB176_87
; %bb.86:
	v_add_co_u32 v110, vcc_lo, v106, v130
	v_add_co_ci_u32_e64 v111, null, v107, v131, vcc_lo
	global_load_dwordx2 v[110:111], v[110:111], off
	s_waitcnt vmcnt(0)
	v_mul_f64 v[110:111], s[2:3], v[110:111]
	v_cvt_f32_f64_e32 v108, v[110:111]
	v_add_co_u32 v110, vcc_lo, v104, v130
	v_add_co_ci_u32_e64 v111, null, v105, v131, vcc_lo
	v_add_co_u32 v112, vcc_lo, v106, v128
	v_add_co_ci_u32_e64 v113, null, v107, v129, vcc_lo
	v_min_f32_e32 v108, v108, v109
	v_cvt_f64_f32_e32 v[108:109], v108
	global_store_dwordx2 v[110:111], v[108:109], off
	global_load_dwordx2 v[108:109], v[112:113], off
	s_waitcnt vmcnt(0)
	v_mul_f64 v[108:109], s[2:3], v[108:109]
	v_cvt_f32_f64_e32 v108, v[108:109]
.LBB176_87:
	v_add_f64 v[109:110], v[60:61], v[100:101]
	v_add_f64 v[111:112], v[62:63], v[102:103]
	v_add_f64 v[113:114], v[52:53], v[96:97]
	v_add_f64 v[115:116], v[54:55], v[98:99]
	v_add_f64 v[117:118], v[50:51], v[102:103]
	v_add_f64 v[119:120], v[48:49], v[100:101]
	v_add_f64 v[121:122], v[36:37], v[96:97]
	s_mov_b32 s7, -1
	v_cvt_f32_f64_e32 v123, v[109:110]
	v_cvt_f32_f64_e32 v111, v[111:112]
	v_cvt_f32_f64_e32 v112, v[113:114]
	v_cvt_f32_f64_e32 v113, v[115:116]
	v_add_f64 v[109:110], v[38:39], v[98:99]
	v_cvt_f32_f64_e32 v114, v[119:120]
	v_cvt_f32_f64_e32 v115, v[117:118]
	v_cvt_f32_f64_e32 v116, v[121:122]
	v_min3_f32 v111, v123, v111, v196
	v_min_f32_e32 v112, v112, v113
	v_cvt_f32_f64_e32 v109, v[109:110]
	v_min3_f32 v108, v108, v112, v111
	v_add_co_u32 v112, vcc_lo, v104, v128
	v_add_co_ci_u32_e64 v113, null, v105, v129, vcc_lo
	v_cvt_f64_f32_e32 v[110:111], v108
	v_min3_f32 v108, v114, v115, v197
	s_mov_b32 vcc_lo, s0
	v_min3_f32 v108, v116, v109, v108
	v_max_f32_e32 v109, v108, v108
	global_store_dwordx2 v[112:113], v[110:111], off
	s_cbranch_vccz .LBB176_89
; %bb.88:
	v_min_f32_e32 v108, 0, v109
	v_add_co_u32 v112, vcc_lo, v104, v136
	v_add_co_ci_u32_e64 v113, null, v105, v137, vcc_lo
	v_cvt_f64_f32_e32 v[110:111], v108
	s_mov_b32 s7, 0
	global_store_dwordx2 v[112:113], v[110:111], off
.LBB176_89:
	v_mov_b32_e32 v108, 0
	s_andn2_b32 vcc_lo, exec_lo, s7
	s_cbranch_vccnz .LBB176_91
; %bb.90:
	v_add_co_u32 v110, vcc_lo, v106, v136
	v_add_co_ci_u32_e64 v111, null, v107, v137, vcc_lo
	global_load_dwordx2 v[110:111], v[110:111], off
	s_waitcnt vmcnt(0)
	v_mul_f64 v[110:111], s[2:3], v[110:111]
	v_cvt_f32_f64_e32 v108, v[110:111]
	v_add_co_u32 v110, vcc_lo, v104, v136
	v_add_co_ci_u32_e64 v111, null, v105, v137, vcc_lo
	v_add_co_u32 v112, vcc_lo, v106, v132
	v_add_co_ci_u32_e64 v113, null, v107, v133, vcc_lo
	v_min_f32_e32 v108, v108, v109
	v_cvt_f64_f32_e32 v[108:109], v108
	global_store_dwordx2 v[110:111], v[108:109], off
	global_load_dwordx2 v[108:109], v[112:113], off
	s_waitcnt vmcnt(0)
	v_mul_f64 v[108:109], s[2:3], v[108:109]
	v_cvt_f32_f64_e32 v108, v[108:109]
.LBB176_91:
	v_add_f64 v[109:110], v[56:57], v[100:101]
	v_add_f64 v[111:112], v[58:59], v[102:103]
	v_add_f64 v[113:114], v[44:45], v[96:97]
	v_add_f64 v[115:116], v[46:47], v[98:99]
	v_add_f64 v[117:118], v[42:43], v[102:103]
	v_add_f64 v[119:120], v[40:41], v[100:101]
	v_add_f64 v[121:122], v[32:33], v[96:97]
	s_mov_b32 s7, -1
	v_cvt_f32_f64_e32 v123, v[109:110]
	v_cvt_f32_f64_e32 v111, v[111:112]
	v_cvt_f32_f64_e32 v112, v[113:114]
	v_cvt_f32_f64_e32 v113, v[115:116]
	v_add_f64 v[109:110], v[34:35], v[98:99]
	v_cvt_f32_f64_e32 v114, v[119:120]
	v_cvt_f32_f64_e32 v115, v[117:118]
	v_cvt_f32_f64_e32 v116, v[121:122]
	v_min3_f32 v111, v123, v111, v195
	v_min_f32_e32 v112, v112, v113
	v_cvt_f32_f64_e32 v109, v[109:110]
	v_min3_f32 v108, v108, v112, v111
	v_add_co_u32 v112, vcc_lo, v104, v132
	v_add_co_ci_u32_e64 v113, null, v105, v133, vcc_lo
	v_cvt_f64_f32_e32 v[110:111], v108
	v_min3_f32 v108, v114, v115, v194
	s_mov_b32 vcc_lo, s0
	v_min3_f32 v108, v116, v109, v108
	v_max_f32_e32 v109, v108, v108
	;; [unrolled: 59-line block ×3, first 2 shown]
	global_store_dwordx2 v[112:113], v[110:111], off
	s_cbranch_vccz .LBB176_97
; %bb.96:
	v_min_f32_e32 v108, 0, v109
	v_add_co_u32 v112, vcc_lo, v104, v142
	v_add_co_ci_u32_e64 v113, null, v105, v143, vcc_lo
	v_cvt_f64_f32_e32 v[110:111], v108
	s_mov_b32 s7, 0
	global_store_dwordx2 v[112:113], v[110:111], off
.LBB176_97:
	v_mov_b32_e32 v108, 0
	s_andn2_b32 vcc_lo, exec_lo, s7
	s_cbranch_vccnz .LBB176_99
; %bb.98:
	v_add_co_u32 v110, vcc_lo, v106, v142
	v_add_co_ci_u32_e64 v111, null, v107, v143, vcc_lo
	global_load_dwordx2 v[110:111], v[110:111], off
	s_waitcnt vmcnt(0)
	v_mul_f64 v[110:111], s[2:3], v[110:111]
	v_cvt_f32_f64_e32 v108, v[110:111]
	v_add_co_u32 v110, vcc_lo, v104, v142
	v_add_co_ci_u32_e64 v111, null, v105, v143, vcc_lo
	v_add_co_u32 v106, vcc_lo, v106, v138
	v_add_co_ci_u32_e64 v107, null, v107, v139, vcc_lo
	v_min_f32_e32 v108, v108, v109
	v_cvt_f64_f32_e32 v[108:109], v108
	global_store_dwordx2 v[110:111], v[108:109], off
	global_load_dwordx2 v[106:107], v[106:107], off
	s_waitcnt vmcnt(0)
	v_mul_f64 v[106:107], s[2:3], v[106:107]
	v_cvt_f32_f64_e32 v108, v[106:107]
.LBB176_99:
	v_add_f64 v[100:101], v[0:1], v[100:101]
	v_add_f64 v[102:103], v[2:3], v[102:103]
	;; [unrolled: 1-line block ×4, first 2 shown]
	s_waitcnt lgkmcnt(7)
	v_add_f64 v[106:107], v[70:71], v[94:95]
	v_add_f64 v[109:110], v[68:69], v[92:93]
	v_add_co_u32 v104, vcc_lo, v104, v138
	v_add_co_ci_u32_e64 v105, null, v105, v139, vcc_lo
	s_mov_b32 s7, -1
	v_cvt_f32_f64_e32 v100, v[100:101]
	v_cvt_f32_f64_e32 v101, v[102:103]
	;; [unrolled: 1-line block ×4, first 2 shown]
	s_waitcnt lgkmcnt(6)
	v_add_f64 v[96:97], v[64:65], v[88:89]
	v_add_f64 v[98:99], v[66:67], v[90:91]
	v_cvt_f32_f64_e32 v109, v[109:110]
	v_cvt_f32_f64_e32 v106, v[106:107]
	v_add_nc_u32_e32 v107, 0x80, v144
	v_min3_f32 v100, v100, v101, v190
	v_min_f32_e32 v101, v102, v103
	v_cvt_f32_f64_e32 v110, v[96:97]
	v_cvt_f32_f64_e32 v111, v[98:99]
	v_mad_i64_i32 v[96:97], null, v107, s6, 0
	v_min3_f32 v98, v108, v101, v100
	v_min3_f32 v100, v109, v106, v191
	v_cvt_f64_f32_e32 v[102:103], v98
	v_mad_i64_i32 v[98:99], null, v107, s1, 0
	v_lshlrev_b64 v[96:97], 3, v[96:97]
	v_add_co_u32 v96, vcc_lo, s4, v96
	v_lshlrev_b64 v[98:99], 3, v[98:99]
	v_add_co_ci_u32_e64 v97, null, s5, v97, vcc_lo
	v_min3_f32 v100, v110, v111, v100
	v_add_co_u32 v98, vcc_lo, s14, v98
	v_add_co_ci_u32_e64 v99, null, s15, v99, vcc_lo
	v_max_f32_e32 v101, v100, v100
	s_mov_b32 vcc_lo, s0
	global_store_dwordx2 v[104:105], v[102:103], off
	s_cbranch_vccz .LBB176_101
; %bb.100:
	v_min_f32_e32 v100, 0, v101
	v_add_co_u32 v104, vcc_lo, v96, v130
	v_add_co_ci_u32_e64 v105, null, v97, v131, vcc_lo
	v_cvt_f64_f32_e32 v[102:103], v100
	s_mov_b32 s7, 0
	global_store_dwordx2 v[104:105], v[102:103], off
.LBB176_101:
	v_mov_b32_e32 v100, 0
	s_andn2_b32 vcc_lo, exec_lo, s7
	s_cbranch_vccnz .LBB176_103
; %bb.102:
	v_add_co_u32 v102, vcc_lo, v98, v130
	v_add_co_ci_u32_e64 v103, null, v99, v131, vcc_lo
	global_load_dwordx2 v[102:103], v[102:103], off
	s_waitcnt vmcnt(0)
	v_mul_f64 v[102:103], s[2:3], v[102:103]
	v_cvt_f32_f64_e32 v100, v[102:103]
	v_add_co_u32 v102, vcc_lo, v96, v130
	v_add_co_ci_u32_e64 v103, null, v97, v131, vcc_lo
	v_add_co_u32 v104, vcc_lo, v98, v128
	v_add_co_ci_u32_e64 v105, null, v99, v129, vcc_lo
	v_min_f32_e32 v100, v100, v101
	v_cvt_f64_f32_e32 v[100:101], v100
	global_store_dwordx2 v[102:103], v[100:101], off
	global_load_dwordx2 v[100:101], v[104:105], off
	s_waitcnt vmcnt(0)
	v_mul_f64 v[100:101], s[2:3], v[100:101]
	v_cvt_f32_f64_e32 v100, v[100:101]
.LBB176_103:
	v_add_f64 v[101:102], v[60:61], v[92:93]
	v_add_f64 v[103:104], v[62:63], v[94:95]
	v_add_f64 v[105:106], v[52:53], v[88:89]
	v_add_f64 v[107:108], v[54:55], v[90:91]
	v_add_f64 v[109:110], v[50:51], v[94:95]
	v_add_f64 v[111:112], v[48:49], v[92:93]
	v_add_f64 v[113:114], v[36:37], v[88:89]
	s_mov_b32 s7, -1
	v_cvt_f32_f64_e32 v115, v[101:102]
	v_cvt_f32_f64_e32 v103, v[103:104]
	v_cvt_f32_f64_e32 v104, v[105:106]
	v_cvt_f32_f64_e32 v105, v[107:108]
	v_add_f64 v[101:102], v[38:39], v[90:91]
	v_cvt_f32_f64_e32 v106, v[111:112]
	v_cvt_f32_f64_e32 v107, v[109:110]
	v_cvt_f32_f64_e32 v108, v[113:114]
	v_min3_f32 v103, v115, v103, v188
	v_min_f32_e32 v104, v104, v105
	v_cvt_f32_f64_e32 v101, v[101:102]
	v_min3_f32 v100, v100, v104, v103
	v_add_co_u32 v104, vcc_lo, v96, v128
	v_add_co_ci_u32_e64 v105, null, v97, v129, vcc_lo
	v_cvt_f64_f32_e32 v[102:103], v100
	v_min3_f32 v100, v106, v107, v189
	s_mov_b32 vcc_lo, s0
	v_min3_f32 v100, v108, v101, v100
	v_max_f32_e32 v101, v100, v100
	global_store_dwordx2 v[104:105], v[102:103], off
	s_cbranch_vccz .LBB176_105
; %bb.104:
	v_min_f32_e32 v100, 0, v101
	v_add_co_u32 v104, vcc_lo, v96, v136
	v_add_co_ci_u32_e64 v105, null, v97, v137, vcc_lo
	v_cvt_f64_f32_e32 v[102:103], v100
	s_mov_b32 s7, 0
	global_store_dwordx2 v[104:105], v[102:103], off
.LBB176_105:
	v_mov_b32_e32 v100, 0
	s_andn2_b32 vcc_lo, exec_lo, s7
	s_cbranch_vccnz .LBB176_107
; %bb.106:
	v_add_co_u32 v102, vcc_lo, v98, v136
	v_add_co_ci_u32_e64 v103, null, v99, v137, vcc_lo
	global_load_dwordx2 v[102:103], v[102:103], off
	s_waitcnt vmcnt(0)
	v_mul_f64 v[102:103], s[2:3], v[102:103]
	v_cvt_f32_f64_e32 v100, v[102:103]
	v_add_co_u32 v102, vcc_lo, v96, v136
	v_add_co_ci_u32_e64 v103, null, v97, v137, vcc_lo
	v_add_co_u32 v104, vcc_lo, v98, v132
	v_add_co_ci_u32_e64 v105, null, v99, v133, vcc_lo
	v_min_f32_e32 v100, v100, v101
	v_cvt_f64_f32_e32 v[100:101], v100
	global_store_dwordx2 v[102:103], v[100:101], off
	global_load_dwordx2 v[100:101], v[104:105], off
	s_waitcnt vmcnt(0)
	v_mul_f64 v[100:101], s[2:3], v[100:101]
	v_cvt_f32_f64_e32 v100, v[100:101]
.LBB176_107:
	v_add_f64 v[101:102], v[56:57], v[92:93]
	v_add_f64 v[103:104], v[58:59], v[94:95]
	v_add_f64 v[105:106], v[44:45], v[88:89]
	v_add_f64 v[107:108], v[46:47], v[90:91]
	v_add_f64 v[109:110], v[42:43], v[94:95]
	v_add_f64 v[111:112], v[40:41], v[92:93]
	v_add_f64 v[113:114], v[32:33], v[88:89]
	s_mov_b32 s7, -1
	v_cvt_f32_f64_e32 v115, v[101:102]
	v_cvt_f32_f64_e32 v103, v[103:104]
	v_cvt_f32_f64_e32 v104, v[105:106]
	v_cvt_f32_f64_e32 v105, v[107:108]
	v_add_f64 v[101:102], v[34:35], v[90:91]
	v_cvt_f32_f64_e32 v106, v[111:112]
	v_cvt_f32_f64_e32 v107, v[109:110]
	v_cvt_f32_f64_e32 v108, v[113:114]
	v_min3_f32 v103, v115, v103, v186
	v_min_f32_e32 v104, v104, v105
	v_cvt_f32_f64_e32 v101, v[101:102]
	v_min3_f32 v100, v100, v104, v103
	v_add_co_u32 v104, vcc_lo, v96, v132
	v_add_co_ci_u32_e64 v105, null, v97, v133, vcc_lo
	v_cvt_f64_f32_e32 v[102:103], v100
	v_min3_f32 v100, v106, v107, v187
	s_mov_b32 vcc_lo, s0
	v_min3_f32 v100, v108, v101, v100
	v_max_f32_e32 v101, v100, v100
	;; [unrolled: 59-line block ×3, first 2 shown]
	global_store_dwordx2 v[104:105], v[102:103], off
	s_cbranch_vccz .LBB176_113
; %bb.112:
	v_min_f32_e32 v100, 0, v101
	v_add_co_u32 v104, vcc_lo, v96, v142
	v_add_co_ci_u32_e64 v105, null, v97, v143, vcc_lo
	v_cvt_f64_f32_e32 v[102:103], v100
	s_mov_b32 s7, 0
	global_store_dwordx2 v[104:105], v[102:103], off
.LBB176_113:
	v_mov_b32_e32 v100, 0
	s_andn2_b32 vcc_lo, exec_lo, s7
	s_cbranch_vccnz .LBB176_115
; %bb.114:
	v_add_co_u32 v102, vcc_lo, v98, v142
	v_add_co_ci_u32_e64 v103, null, v99, v143, vcc_lo
	global_load_dwordx2 v[102:103], v[102:103], off
	s_waitcnt vmcnt(0)
	v_mul_f64 v[102:103], s[2:3], v[102:103]
	v_cvt_f32_f64_e32 v100, v[102:103]
	v_add_co_u32 v102, vcc_lo, v96, v142
	v_add_co_ci_u32_e64 v103, null, v97, v143, vcc_lo
	v_add_co_u32 v98, vcc_lo, v98, v138
	v_add_co_ci_u32_e64 v99, null, v99, v139, vcc_lo
	v_min_f32_e32 v100, v100, v101
	v_cvt_f64_f32_e32 v[100:101], v100
	global_store_dwordx2 v[102:103], v[100:101], off
	global_load_dwordx2 v[98:99], v[98:99], off
	s_waitcnt vmcnt(0)
	v_mul_f64 v[98:99], s[2:3], v[98:99]
	v_cvt_f32_f64_e32 v100, v[98:99]
.LBB176_115:
	v_add_f64 v[92:93], v[0:1], v[92:93]
	v_add_f64 v[94:95], v[2:3], v[94:95]
	;; [unrolled: 1-line block ×4, first 2 shown]
	s_waitcnt lgkmcnt(5)
	v_add_f64 v[98:99], v[70:71], v[86:87]
	v_add_f64 v[101:102], v[68:69], v[84:85]
	v_add_co_u32 v96, vcc_lo, v96, v138
	v_add_co_ci_u32_e64 v97, null, v97, v139, vcc_lo
	s_mov_b32 s7, -1
	v_cvt_f32_f64_e32 v92, v[92:93]
	v_cvt_f32_f64_e32 v93, v[94:95]
	;; [unrolled: 1-line block ×4, first 2 shown]
	s_waitcnt lgkmcnt(4)
	v_add_f64 v[88:89], v[64:65], v[80:81]
	v_add_f64 v[90:91], v[66:67], v[82:83]
	v_cvt_f32_f64_e32 v101, v[101:102]
	v_cvt_f32_f64_e32 v98, v[98:99]
	v_add_nc_u32_e32 v99, 0xa0, v144
	v_min3_f32 v92, v92, v93, v182
	v_min_f32_e32 v93, v94, v95
	v_cvt_f32_f64_e32 v102, v[88:89]
	v_cvt_f32_f64_e32 v103, v[90:91]
	v_mad_i64_i32 v[88:89], null, v99, s6, 0
	v_min3_f32 v90, v100, v93, v92
	v_min3_f32 v92, v101, v98, v183
	v_cvt_f64_f32_e32 v[94:95], v90
	v_mad_i64_i32 v[90:91], null, v99, s1, 0
	v_lshlrev_b64 v[88:89], 3, v[88:89]
	v_add_co_u32 v88, vcc_lo, s4, v88
	v_lshlrev_b64 v[90:91], 3, v[90:91]
	v_add_co_ci_u32_e64 v89, null, s5, v89, vcc_lo
	v_min3_f32 v92, v102, v103, v92
	v_add_co_u32 v90, vcc_lo, s14, v90
	v_add_co_ci_u32_e64 v91, null, s15, v91, vcc_lo
	v_max_f32_e32 v93, v92, v92
	s_mov_b32 vcc_lo, s0
	global_store_dwordx2 v[96:97], v[94:95], off
	s_cbranch_vccz .LBB176_117
; %bb.116:
	v_min_f32_e32 v92, 0, v93
	v_add_co_u32 v96, vcc_lo, v88, v130
	v_add_co_ci_u32_e64 v97, null, v89, v131, vcc_lo
	v_cvt_f64_f32_e32 v[94:95], v92
	s_mov_b32 s7, 0
	global_store_dwordx2 v[96:97], v[94:95], off
.LBB176_117:
	v_mov_b32_e32 v92, 0
	s_andn2_b32 vcc_lo, exec_lo, s7
	s_cbranch_vccnz .LBB176_119
; %bb.118:
	v_add_co_u32 v94, vcc_lo, v90, v130
	v_add_co_ci_u32_e64 v95, null, v91, v131, vcc_lo
	global_load_dwordx2 v[94:95], v[94:95], off
	s_waitcnt vmcnt(0)
	v_mul_f64 v[94:95], s[2:3], v[94:95]
	v_cvt_f32_f64_e32 v92, v[94:95]
	v_add_co_u32 v94, vcc_lo, v88, v130
	v_add_co_ci_u32_e64 v95, null, v89, v131, vcc_lo
	v_add_co_u32 v96, vcc_lo, v90, v128
	v_add_co_ci_u32_e64 v97, null, v91, v129, vcc_lo
	v_min_f32_e32 v92, v92, v93
	v_cvt_f64_f32_e32 v[92:93], v92
	global_store_dwordx2 v[94:95], v[92:93], off
	global_load_dwordx2 v[92:93], v[96:97], off
	s_waitcnt vmcnt(0)
	v_mul_f64 v[92:93], s[2:3], v[92:93]
	v_cvt_f32_f64_e32 v92, v[92:93]
.LBB176_119:
	v_add_f64 v[93:94], v[60:61], v[84:85]
	v_add_f64 v[95:96], v[62:63], v[86:87]
	v_add_f64 v[97:98], v[52:53], v[80:81]
	v_add_f64 v[99:100], v[54:55], v[82:83]
	v_add_f64 v[101:102], v[50:51], v[86:87]
	v_add_f64 v[103:104], v[48:49], v[84:85]
	v_add_f64 v[105:106], v[36:37], v[80:81]
	s_mov_b32 s7, -1
	v_cvt_f32_f64_e32 v107, v[93:94]
	v_cvt_f32_f64_e32 v95, v[95:96]
	v_cvt_f32_f64_e32 v96, v[97:98]
	v_cvt_f32_f64_e32 v97, v[99:100]
	v_add_f64 v[93:94], v[38:39], v[82:83]
	v_cvt_f32_f64_e32 v98, v[103:104]
	v_cvt_f32_f64_e32 v99, v[101:102]
	v_cvt_f32_f64_e32 v100, v[105:106]
	v_min3_f32 v95, v107, v95, v180
	v_min_f32_e32 v96, v96, v97
	v_cvt_f32_f64_e32 v93, v[93:94]
	v_min3_f32 v92, v92, v96, v95
	v_add_co_u32 v96, vcc_lo, v88, v128
	v_add_co_ci_u32_e64 v97, null, v89, v129, vcc_lo
	v_cvt_f64_f32_e32 v[94:95], v92
	v_min3_f32 v92, v98, v99, v181
	s_mov_b32 vcc_lo, s0
	v_min3_f32 v92, v100, v93, v92
	v_max_f32_e32 v93, v92, v92
	global_store_dwordx2 v[96:97], v[94:95], off
	s_cbranch_vccz .LBB176_121
; %bb.120:
	v_min_f32_e32 v92, 0, v93
	v_add_co_u32 v96, vcc_lo, v88, v136
	v_add_co_ci_u32_e64 v97, null, v89, v137, vcc_lo
	v_cvt_f64_f32_e32 v[94:95], v92
	s_mov_b32 s7, 0
	global_store_dwordx2 v[96:97], v[94:95], off
.LBB176_121:
	v_mov_b32_e32 v92, 0
	s_andn2_b32 vcc_lo, exec_lo, s7
	s_cbranch_vccnz .LBB176_123
; %bb.122:
	v_add_co_u32 v94, vcc_lo, v90, v136
	v_add_co_ci_u32_e64 v95, null, v91, v137, vcc_lo
	global_load_dwordx2 v[94:95], v[94:95], off
	s_waitcnt vmcnt(0)
	v_mul_f64 v[94:95], s[2:3], v[94:95]
	v_cvt_f32_f64_e32 v92, v[94:95]
	v_add_co_u32 v94, vcc_lo, v88, v136
	v_add_co_ci_u32_e64 v95, null, v89, v137, vcc_lo
	v_add_co_u32 v96, vcc_lo, v90, v132
	v_add_co_ci_u32_e64 v97, null, v91, v133, vcc_lo
	v_min_f32_e32 v92, v92, v93
	v_cvt_f64_f32_e32 v[92:93], v92
	global_store_dwordx2 v[94:95], v[92:93], off
	global_load_dwordx2 v[92:93], v[96:97], off
	s_waitcnt vmcnt(0)
	v_mul_f64 v[92:93], s[2:3], v[92:93]
	v_cvt_f32_f64_e32 v92, v[92:93]
.LBB176_123:
	v_add_f64 v[93:94], v[56:57], v[84:85]
	v_add_f64 v[95:96], v[58:59], v[86:87]
	v_add_f64 v[97:98], v[44:45], v[80:81]
	v_add_f64 v[99:100], v[46:47], v[82:83]
	v_add_f64 v[101:102], v[42:43], v[86:87]
	v_add_f64 v[103:104], v[40:41], v[84:85]
	v_add_f64 v[105:106], v[32:33], v[80:81]
	s_mov_b32 s7, -1
	v_cvt_f32_f64_e32 v107, v[93:94]
	v_cvt_f32_f64_e32 v95, v[95:96]
	v_cvt_f32_f64_e32 v96, v[97:98]
	v_cvt_f32_f64_e32 v97, v[99:100]
	v_add_f64 v[93:94], v[34:35], v[82:83]
	v_cvt_f32_f64_e32 v98, v[103:104]
	v_cvt_f32_f64_e32 v99, v[101:102]
	v_cvt_f32_f64_e32 v100, v[105:106]
	v_min3_f32 v95, v107, v95, v178
	v_min_f32_e32 v96, v96, v97
	v_cvt_f32_f64_e32 v93, v[93:94]
	v_min3_f32 v92, v92, v96, v95
	v_add_co_u32 v96, vcc_lo, v88, v132
	v_add_co_ci_u32_e64 v97, null, v89, v133, vcc_lo
	v_cvt_f64_f32_e32 v[94:95], v92
	v_min3_f32 v92, v98, v99, v179
	s_mov_b32 vcc_lo, s0
	v_min3_f32 v92, v100, v93, v92
	v_max_f32_e32 v93, v92, v92
	;; [unrolled: 59-line block ×3, first 2 shown]
	global_store_dwordx2 v[96:97], v[94:95], off
	s_cbranch_vccz .LBB176_129
; %bb.128:
	v_min_f32_e32 v92, 0, v93
	v_add_co_u32 v96, vcc_lo, v88, v142
	v_add_co_ci_u32_e64 v97, null, v89, v143, vcc_lo
	v_cvt_f64_f32_e32 v[94:95], v92
	s_mov_b32 s7, 0
	global_store_dwordx2 v[96:97], v[94:95], off
.LBB176_129:
	v_mov_b32_e32 v92, 0
	s_andn2_b32 vcc_lo, exec_lo, s7
	s_cbranch_vccnz .LBB176_131
; %bb.130:
	v_add_co_u32 v94, vcc_lo, v90, v142
	v_add_co_ci_u32_e64 v95, null, v91, v143, vcc_lo
	global_load_dwordx2 v[94:95], v[94:95], off
	s_waitcnt vmcnt(0)
	v_mul_f64 v[94:95], s[2:3], v[94:95]
	v_cvt_f32_f64_e32 v92, v[94:95]
	v_add_co_u32 v94, vcc_lo, v88, v142
	v_add_co_ci_u32_e64 v95, null, v89, v143, vcc_lo
	v_add_co_u32 v90, vcc_lo, v90, v138
	v_add_co_ci_u32_e64 v91, null, v91, v139, vcc_lo
	v_min_f32_e32 v92, v92, v93
	v_cvt_f64_f32_e32 v[92:93], v92
	global_store_dwordx2 v[94:95], v[92:93], off
	global_load_dwordx2 v[90:91], v[90:91], off
	s_waitcnt vmcnt(0)
	v_mul_f64 v[90:91], s[2:3], v[90:91]
	v_cvt_f32_f64_e32 v92, v[90:91]
.LBB176_131:
	v_add_f64 v[84:85], v[0:1], v[84:85]
	v_add_f64 v[86:87], v[2:3], v[86:87]
	;; [unrolled: 1-line block ×4, first 2 shown]
	s_waitcnt lgkmcnt(3)
	v_add_f64 v[90:91], v[70:71], v[78:79]
	v_add_f64 v[93:94], v[68:69], v[76:77]
	v_add_co_u32 v88, vcc_lo, v88, v138
	v_add_co_ci_u32_e64 v89, null, v89, v139, vcc_lo
	s_mov_b32 s7, -1
	v_cvt_f32_f64_e32 v84, v[84:85]
	v_cvt_f32_f64_e32 v85, v[86:87]
	v_cvt_f32_f64_e32 v86, v[80:81]
	v_cvt_f32_f64_e32 v87, v[82:83]
	s_waitcnt lgkmcnt(2)
	v_add_f64 v[80:81], v[64:65], v[72:73]
	v_add_f64 v[82:83], v[66:67], v[74:75]
	v_cvt_f32_f64_e32 v93, v[93:94]
	v_cvt_f32_f64_e32 v90, v[90:91]
	v_add_nc_u32_e32 v91, 0xc0, v144
	v_min3_f32 v84, v84, v85, v168
	v_min_f32_e32 v85, v86, v87
	v_cvt_f32_f64_e32 v94, v[80:81]
	v_cvt_f32_f64_e32 v95, v[82:83]
	v_mad_i64_i32 v[80:81], null, v91, s6, 0
	v_min3_f32 v82, v92, v85, v84
	v_min3_f32 v84, v93, v90, v171
	v_cvt_f64_f32_e32 v[86:87], v82
	v_mad_i64_i32 v[82:83], null, v91, s1, 0
	v_lshlrev_b64 v[80:81], 3, v[80:81]
	v_add_co_u32 v80, vcc_lo, s4, v80
	v_lshlrev_b64 v[82:83], 3, v[82:83]
	v_add_co_ci_u32_e64 v81, null, s5, v81, vcc_lo
	v_min3_f32 v84, v94, v95, v84
	v_add_co_u32 v82, vcc_lo, s14, v82
	v_add_co_ci_u32_e64 v83, null, s15, v83, vcc_lo
	v_max_f32_e32 v85, v84, v84
	s_mov_b32 vcc_lo, s0
	global_store_dwordx2 v[88:89], v[86:87], off
	s_cbranch_vccz .LBB176_133
; %bb.132:
	v_min_f32_e32 v84, 0, v85
	v_add_co_u32 v88, vcc_lo, v80, v130
	v_add_co_ci_u32_e64 v89, null, v81, v131, vcc_lo
	v_cvt_f64_f32_e32 v[86:87], v84
	s_mov_b32 s7, 0
	global_store_dwordx2 v[88:89], v[86:87], off
.LBB176_133:
	v_mov_b32_e32 v84, 0
	s_andn2_b32 vcc_lo, exec_lo, s7
	s_cbranch_vccnz .LBB176_135
; %bb.134:
	v_add_co_u32 v86, vcc_lo, v82, v130
	v_add_co_ci_u32_e64 v87, null, v83, v131, vcc_lo
	global_load_dwordx2 v[86:87], v[86:87], off
	s_waitcnt vmcnt(0)
	v_mul_f64 v[86:87], s[2:3], v[86:87]
	v_cvt_f32_f64_e32 v84, v[86:87]
	v_add_co_u32 v86, vcc_lo, v80, v130
	v_add_co_ci_u32_e64 v87, null, v81, v131, vcc_lo
	v_add_co_u32 v88, vcc_lo, v82, v128
	v_add_co_ci_u32_e64 v89, null, v83, v129, vcc_lo
	v_min_f32_e32 v84, v84, v85
	v_cvt_f64_f32_e32 v[84:85], v84
	global_store_dwordx2 v[86:87], v[84:85], off
	global_load_dwordx2 v[84:85], v[88:89], off
	s_waitcnt vmcnt(0)
	v_mul_f64 v[84:85], s[2:3], v[84:85]
	v_cvt_f32_f64_e32 v84, v[84:85]
.LBB176_135:
	v_add_f64 v[85:86], v[60:61], v[76:77]
	v_add_f64 v[87:88], v[62:63], v[78:79]
	v_add_f64 v[89:90], v[52:53], v[72:73]
	v_add_f64 v[91:92], v[54:55], v[74:75]
	v_add_f64 v[93:94], v[50:51], v[78:79]
	v_add_f64 v[95:96], v[48:49], v[76:77]
	v_add_f64 v[97:98], v[36:37], v[72:73]
	s_mov_b32 s7, -1
	v_cvt_f32_f64_e32 v99, v[85:86]
	v_cvt_f32_f64_e32 v87, v[87:88]
	v_cvt_f32_f64_e32 v88, v[89:90]
	v_cvt_f32_f64_e32 v89, v[91:92]
	v_add_f64 v[85:86], v[38:39], v[74:75]
	v_cvt_f32_f64_e32 v90, v[95:96]
	v_cvt_f32_f64_e32 v91, v[93:94]
	v_cvt_f32_f64_e32 v92, v[97:98]
	v_min3_f32 v87, v99, v87, v162
	v_min_f32_e32 v88, v88, v89
	v_cvt_f32_f64_e32 v85, v[85:86]
	v_min3_f32 v84, v84, v88, v87
	v_add_co_u32 v88, vcc_lo, v80, v128
	v_add_co_ci_u32_e64 v89, null, v81, v129, vcc_lo
	v_cvt_f64_f32_e32 v[86:87], v84
	v_min3_f32 v84, v90, v91, v163
	s_mov_b32 vcc_lo, s0
	v_min3_f32 v84, v92, v85, v84
	v_max_f32_e32 v85, v84, v84
	global_store_dwordx2 v[88:89], v[86:87], off
	s_cbranch_vccz .LBB176_137
; %bb.136:
	v_min_f32_e32 v84, 0, v85
	v_add_co_u32 v88, vcc_lo, v80, v136
	v_add_co_ci_u32_e64 v89, null, v81, v137, vcc_lo
	v_cvt_f64_f32_e32 v[86:87], v84
	s_mov_b32 s7, 0
	global_store_dwordx2 v[88:89], v[86:87], off
.LBB176_137:
	v_mov_b32_e32 v84, 0
	s_andn2_b32 vcc_lo, exec_lo, s7
	s_cbranch_vccnz .LBB176_139
; %bb.138:
	v_add_co_u32 v86, vcc_lo, v82, v136
	v_add_co_ci_u32_e64 v87, null, v83, v137, vcc_lo
	global_load_dwordx2 v[86:87], v[86:87], off
	s_waitcnt vmcnt(0)
	v_mul_f64 v[86:87], s[2:3], v[86:87]
	v_cvt_f32_f64_e32 v84, v[86:87]
	v_add_co_u32 v86, vcc_lo, v80, v136
	v_add_co_ci_u32_e64 v87, null, v81, v137, vcc_lo
	v_add_co_u32 v88, vcc_lo, v82, v132
	v_add_co_ci_u32_e64 v89, null, v83, v133, vcc_lo
	v_min_f32_e32 v84, v84, v85
	v_cvt_f64_f32_e32 v[84:85], v84
	global_store_dwordx2 v[86:87], v[84:85], off
	global_load_dwordx2 v[84:85], v[88:89], off
	s_waitcnt vmcnt(0)
	v_mul_f64 v[84:85], s[2:3], v[84:85]
	v_cvt_f32_f64_e32 v84, v[84:85]
.LBB176_139:
	v_add_f64 v[85:86], v[56:57], v[76:77]
	v_add_f64 v[87:88], v[58:59], v[78:79]
	v_add_f64 v[89:90], v[44:45], v[72:73]
	v_add_f64 v[91:92], v[46:47], v[74:75]
	v_add_f64 v[93:94], v[42:43], v[78:79]
	v_add_f64 v[95:96], v[40:41], v[76:77]
	v_add_f64 v[97:98], v[32:33], v[72:73]
	s_mov_b32 s7, -1
	v_cvt_f32_f64_e32 v99, v[85:86]
	v_cvt_f32_f64_e32 v87, v[87:88]
	v_cvt_f32_f64_e32 v88, v[89:90]
	v_cvt_f32_f64_e32 v89, v[91:92]
	v_add_f64 v[85:86], v[34:35], v[74:75]
	v_cvt_f32_f64_e32 v90, v[95:96]
	v_cvt_f32_f64_e32 v91, v[93:94]
	v_cvt_f32_f64_e32 v92, v[97:98]
	v_min3_f32 v87, v99, v87, v160
	v_min_f32_e32 v88, v88, v89
	v_cvt_f32_f64_e32 v85, v[85:86]
	v_min3_f32 v84, v84, v88, v87
	v_add_co_u32 v88, vcc_lo, v80, v132
	v_add_co_ci_u32_e64 v89, null, v81, v133, vcc_lo
	v_cvt_f64_f32_e32 v[86:87], v84
	v_min3_f32 v84, v90, v91, v161
	s_mov_b32 vcc_lo, s0
	v_min3_f32 v84, v92, v85, v84
	v_max_f32_e32 v85, v84, v84
	;; [unrolled: 59-line block ×3, first 2 shown]
	global_store_dwordx2 v[88:89], v[86:87], off
	s_cbranch_vccz .LBB176_145
; %bb.144:
	v_min_f32_e32 v84, 0, v85
	v_add_co_u32 v88, vcc_lo, v80, v142
	v_add_co_ci_u32_e64 v89, null, v81, v143, vcc_lo
	v_cvt_f64_f32_e32 v[86:87], v84
	s_mov_b32 s7, 0
	global_store_dwordx2 v[88:89], v[86:87], off
.LBB176_145:
	v_mov_b32_e32 v84, 0
	s_andn2_b32 vcc_lo, exec_lo, s7
	s_cbranch_vccnz .LBB176_147
; %bb.146:
	v_add_co_u32 v86, vcc_lo, v82, v142
	v_add_co_ci_u32_e64 v87, null, v83, v143, vcc_lo
	global_load_dwordx2 v[86:87], v[86:87], off
	s_waitcnt vmcnt(0)
	v_mul_f64 v[86:87], s[2:3], v[86:87]
	v_cvt_f32_f64_e32 v84, v[86:87]
	v_add_co_u32 v86, vcc_lo, v80, v142
	v_add_co_ci_u32_e64 v87, null, v81, v143, vcc_lo
	v_add_co_u32 v82, vcc_lo, v82, v138
	v_add_co_ci_u32_e64 v83, null, v83, v139, vcc_lo
	v_min_f32_e32 v84, v84, v85
	v_cvt_f64_f32_e32 v[84:85], v84
	global_store_dwordx2 v[86:87], v[84:85], off
	global_load_dwordx2 v[82:83], v[82:83], off
	s_waitcnt vmcnt(0)
	v_mul_f64 v[82:83], s[2:3], v[82:83]
	v_cvt_f32_f64_e32 v84, v[82:83]
.LBB176_147:
	v_add_f64 v[76:77], v[0:1], v[76:77]
	v_add_f64 v[78:79], v[2:3], v[78:79]
	;; [unrolled: 1-line block ×4, first 2 shown]
	s_waitcnt lgkmcnt(1)
	v_add_f64 v[70:71], v[70:71], v[10:11]
	v_add_f64 v[68:69], v[68:69], v[8:9]
	s_waitcnt lgkmcnt(0)
	v_add_f64 v[64:65], v[64:65], v[12:13]
	v_add_f64 v[66:67], v[66:67], v[14:15]
	v_cvt_f32_f64_e32 v76, v[76:77]
	v_cvt_f32_f64_e32 v77, v[78:79]
	v_cvt_f32_f64_e32 v72, v[72:73]
	v_cvt_f32_f64_e32 v73, v[74:75]
	v_cvt_f32_f64_e32 v68, v[68:69]
	v_cvt_f32_f64_e32 v69, v[70:71]
	v_cvt_f32_f64_e32 v74, v[64:65]
	v_cvt_f32_f64_e32 v75, v[66:67]
	v_min3_f32 v70, v76, v77, v157
	v_min_f32_e32 v71, v72, v73
	v_add_nc_u32_e32 v72, 0xe0, v144
	v_min3_f32 v68, v68, v69, v156
	v_min3_f32 v66, v84, v71, v70
	v_mad_i64_i32 v[64:65], null, v72, s6, 0
	v_min3_f32 v68, v74, v75, v68
	v_cvt_f64_f32_e32 v[70:71], v66
	v_mad_i64_i32 v[66:67], null, v72, s1, 0
	v_add_co_u32 v72, vcc_lo, v80, v138
	v_lshlrev_b64 v[64:65], 3, v[64:65]
	v_add_co_ci_u32_e64 v73, null, v81, v139, vcc_lo
	v_max_f32_e32 v69, v68, v68
	v_lshlrev_b64 v[66:67], 3, v[66:67]
	s_mov_b32 s1, -1
	v_add_co_u32 v64, vcc_lo, s4, v64
	v_add_co_ci_u32_e64 v65, null, s5, v65, vcc_lo
	v_add_co_u32 v66, vcc_lo, s14, v66
	v_add_co_ci_u32_e64 v67, null, s15, v67, vcc_lo
	s_mov_b32 vcc_lo, s0
	global_store_dwordx2 v[72:73], v[70:71], off
	s_cbranch_vccz .LBB176_149
; %bb.148:
	v_min_f32_e32 v68, 0, v69
	v_add_co_u32 v72, vcc_lo, v64, v130
	v_add_co_ci_u32_e64 v73, null, v65, v131, vcc_lo
	v_cvt_f64_f32_e32 v[70:71], v68
	s_mov_b32 s1, 0
	global_store_dwordx2 v[72:73], v[70:71], off
.LBB176_149:
	v_mov_b32_e32 v68, 0
	s_andn2_b32 vcc_lo, exec_lo, s1
	s_cbranch_vccnz .LBB176_151
; %bb.150:
	v_add_co_u32 v70, vcc_lo, v66, v130
	v_add_co_ci_u32_e64 v71, null, v67, v131, vcc_lo
	global_load_dwordx2 v[70:71], v[70:71], off
	s_waitcnt vmcnt(0)
	v_mul_f64 v[70:71], s[2:3], v[70:71]
	v_cvt_f32_f64_e32 v68, v[70:71]
	v_add_co_u32 v70, vcc_lo, v64, v130
	v_add_co_ci_u32_e64 v71, null, v65, v131, vcc_lo
	v_add_co_u32 v72, vcc_lo, v66, v128
	v_add_co_ci_u32_e64 v73, null, v67, v129, vcc_lo
	v_min_f32_e32 v68, v68, v69
	v_cvt_f64_f32_e32 v[68:69], v68
	global_store_dwordx2 v[70:71], v[68:69], off
	global_load_dwordx2 v[68:69], v[72:73], off
	s_waitcnt vmcnt(0)
	v_mul_f64 v[68:69], s[2:3], v[68:69]
	v_cvt_f32_f64_e32 v68, v[68:69]
.LBB176_151:
	v_add_f64 v[60:61], v[60:61], v[8:9]
	v_add_f64 v[62:63], v[62:63], v[10:11]
	v_add_f64 v[52:53], v[52:53], v[12:13]
	v_add_f64 v[54:55], v[54:55], v[14:15]
	v_add_f64 v[50:51], v[50:51], v[10:11]
	v_add_f64 v[48:49], v[48:49], v[8:9]
	v_add_f64 v[36:37], v[36:37], v[12:13]
	v_add_f64 v[38:39], v[38:39], v[14:15]
	s_mov_b32 s1, -1
	v_cvt_f32_f64_e32 v60, v[60:61]
	v_cvt_f32_f64_e32 v61, v[62:63]
	;; [unrolled: 1-line block ×8, first 2 shown]
	v_min3_f32 v37, v60, v61, v155
	v_min_f32_e32 v50, v52, v53
	v_min3_f32 v37, v68, v50, v37
	v_cvt_f64_f32_e32 v[38:39], v37
	v_min3_f32 v37, v48, v49, v154
	v_add_co_u32 v48, vcc_lo, v64, v128
	v_add_co_ci_u32_e64 v49, null, v65, v129, vcc_lo
	v_min3_f32 v36, v36, v51, v37
	s_mov_b32 vcc_lo, s0
	v_max_f32_e32 v37, v36, v36
	global_store_dwordx2 v[48:49], v[38:39], off
	s_cbranch_vccz .LBB176_153
; %bb.152:
	v_min_f32_e32 v36, 0, v37
	v_add_co_u32 v48, vcc_lo, v64, v136
	v_add_co_ci_u32_e64 v49, null, v65, v137, vcc_lo
	v_cvt_f64_f32_e32 v[38:39], v36
	s_mov_b32 s1, 0
	global_store_dwordx2 v[48:49], v[38:39], off
.LBB176_153:
	v_mov_b32_e32 v36, 0
	s_andn2_b32 vcc_lo, exec_lo, s1
	s_cbranch_vccnz .LBB176_155
; %bb.154:
	v_add_co_u32 v38, vcc_lo, v66, v136
	v_add_co_ci_u32_e64 v39, null, v67, v137, vcc_lo
	global_load_dwordx2 v[38:39], v[38:39], off
	s_waitcnt vmcnt(0)
	v_mul_f64 v[38:39], s[2:3], v[38:39]
	v_cvt_f32_f64_e32 v36, v[38:39]
	v_add_co_u32 v38, vcc_lo, v64, v136
	v_add_co_ci_u32_e64 v39, null, v65, v137, vcc_lo
	v_add_co_u32 v48, vcc_lo, v66, v132
	v_add_co_ci_u32_e64 v49, null, v67, v133, vcc_lo
	v_min_f32_e32 v36, v36, v37
	v_cvt_f64_f32_e32 v[36:37], v36
	global_store_dwordx2 v[38:39], v[36:37], off
	global_load_dwordx2 v[36:37], v[48:49], off
	s_waitcnt vmcnt(0)
	v_mul_f64 v[36:37], s[2:3], v[36:37]
	v_cvt_f32_f64_e32 v36, v[36:37]
.LBB176_155:
	v_add_f64 v[37:38], v[56:57], v[8:9]
	v_add_f64 v[48:49], v[58:59], v[10:11]
	;; [unrolled: 1-line block ×8, first 2 shown]
	s_mov_b32 s1, -1
	v_cvt_f32_f64_e32 v37, v[37:38]
	v_cvt_f32_f64_e32 v38, v[48:49]
	;; [unrolled: 1-line block ×7, first 2 shown]
	v_min3_f32 v33, v37, v38, v152
	v_cvt_f32_f64_e32 v38, v[34:35]
	v_min_f32_e32 v37, v41, v44
	v_min3_f32 v33, v36, v37, v33
	v_add_co_u32 v36, vcc_lo, v64, v132
	v_add_co_ci_u32_e64 v37, null, v65, v133, vcc_lo
	v_cvt_f64_f32_e32 v[34:35], v33
	v_min3_f32 v33, v39, v40, v153
	s_mov_b32 vcc_lo, s0
	v_min3_f32 v32, v32, v38, v33
	v_max_f32_e32 v33, v32, v32
	global_store_dwordx2 v[36:37], v[34:35], off
	s_cbranch_vccz .LBB176_157
; %bb.156:
	v_min_f32_e32 v32, 0, v33
	v_add_co_u32 v36, vcc_lo, v64, v140
	v_add_co_ci_u32_e64 v37, null, v65, v141, vcc_lo
	v_cvt_f64_f32_e32 v[34:35], v32
	s_mov_b32 s1, 0
	global_store_dwordx2 v[36:37], v[34:35], off
.LBB176_157:
	v_mov_b32_e32 v32, 0
	s_andn2_b32 vcc_lo, exec_lo, s1
	s_cbranch_vccnz .LBB176_159
; %bb.158:
	v_add_co_u32 v34, vcc_lo, v66, v140
	v_add_co_ci_u32_e64 v35, null, v67, v141, vcc_lo
	global_load_dwordx2 v[34:35], v[34:35], off
	s_waitcnt vmcnt(0)
	v_mul_f64 v[34:35], s[2:3], v[34:35]
	v_cvt_f32_f64_e32 v32, v[34:35]
	v_add_co_u32 v34, vcc_lo, v64, v140
	v_add_co_ci_u32_e64 v35, null, v65, v141, vcc_lo
	v_add_co_u32 v36, vcc_lo, v66, v134
	v_add_co_ci_u32_e64 v37, null, v67, v135, vcc_lo
	v_min_f32_e32 v32, v32, v33
	v_cvt_f64_f32_e32 v[32:33], v32
	global_store_dwordx2 v[34:35], v[32:33], off
	global_load_dwordx2 v[32:33], v[36:37], off
	s_waitcnt vmcnt(0)
	v_mul_f64 v[32:33], s[2:3], v[32:33]
	v_cvt_f32_f64_e32 v32, v[32:33]
.LBB176_159:
	v_add_f64 v[28:29], v[28:29], v[8:9]
	v_add_f64 v[30:31], v[30:31], v[10:11]
	;; [unrolled: 1-line block ×8, first 2 shown]
	s_mov_b32 s1, -1
	v_cvt_f32_f64_e32 v28, v[28:29]
	v_cvt_f32_f64_e32 v29, v[30:31]
	v_cvt_f32_f64_e32 v24, v[24:25]
	v_cvt_f32_f64_e32 v25, v[26:27]
	v_cvt_f32_f64_e32 v20, v[20:21]
	v_cvt_f32_f64_e32 v21, v[22:23]
	v_cvt_f32_f64_e32 v16, v[16:17]
	v_cvt_f32_f64_e32 v23, v[18:19]
	v_min3_f32 v17, v28, v29, v150
	v_min_f32_e32 v22, v24, v25
	v_min3_f32 v17, v32, v22, v17
	v_cvt_f64_f32_e32 v[18:19], v17
	v_min3_f32 v17, v20, v21, v151
	v_add_co_u32 v20, vcc_lo, v64, v134
	v_add_co_ci_u32_e64 v21, null, v65, v135, vcc_lo
	v_min3_f32 v16, v16, v23, v17
	s_mov_b32 vcc_lo, s0
	v_max_f32_e32 v17, v16, v16
	global_store_dwordx2 v[20:21], v[18:19], off
	s_cbranch_vccz .LBB176_161
; %bb.160:
	v_min_f32_e32 v16, 0, v17
	v_add_co_u32 v20, vcc_lo, v64, v142
	v_add_co_ci_u32_e64 v21, null, v65, v143, vcc_lo
	v_cvt_f64_f32_e32 v[18:19], v16
	s_mov_b32 s1, 0
	global_store_dwordx2 v[20:21], v[18:19], off
.LBB176_161:
	v_mov_b32_e32 v16, 0
	s_andn2_b32 vcc_lo, exec_lo, s1
	s_cbranch_vccnz .LBB176_163
; %bb.162:
	v_add_co_u32 v18, vcc_lo, v66, v142
	v_add_co_ci_u32_e64 v19, null, v67, v143, vcc_lo
	global_load_dwordx2 v[18:19], v[18:19], off
	s_waitcnt vmcnt(0)
	v_mul_f64 v[18:19], s[2:3], v[18:19]
	v_cvt_f32_f64_e32 v16, v[18:19]
	v_add_co_u32 v18, vcc_lo, v64, v142
	v_add_co_ci_u32_e64 v19, null, v65, v143, vcc_lo
	v_add_co_u32 v20, vcc_lo, v66, v138
	v_add_co_ci_u32_e64 v21, null, v67, v139, vcc_lo
	v_min_f32_e32 v16, v16, v17
	v_cvt_f64_f32_e32 v[16:17], v16
	global_store_dwordx2 v[18:19], v[16:17], off
	global_load_dwordx2 v[16:17], v[20:21], off
	s_waitcnt vmcnt(0)
	v_mul_f64 v[16:17], s[2:3], v[16:17]
	v_cvt_f32_f64_e32 v16, v[16:17]
.LBB176_163:
	v_add_f64 v[4:5], v[4:5], v[12:13]
	v_add_f64 v[6:7], v[6:7], v[14:15]
	;; [unrolled: 1-line block ×4, first 2 shown]
	v_cvt_f32_f64_e32 v4, v[4:5]
	v_cvt_f32_f64_e32 v5, v[6:7]
	;; [unrolled: 1-line block ×4, first 2 shown]
	v_min_f32_e32 v2, v4, v5
	v_min3_f32 v0, v0, v1, v149
	v_min3_f32 v0, v16, v2, v0
	v_add_co_u32 v2, vcc_lo, v64, v138
	v_add_co_ci_u32_e64 v3, null, v65, v139, vcc_lo
	v_cvt_f64_f32_e32 v[0:1], v0
	global_store_dwordx2 v[2:3], v[0:1], off
	s_endpgm
	.section	.rodata,"a",@progbits
	.p2align	6, 0x0
	.amdhsa_kernel _ZN12_GLOBAL__N_120geam_min_plus_kernelId15HIP_vector_typeIdLj2EEdLi8ELi32ELi64ELi256ELi4ELi4ELi64ELi64ELi4ELc84ELc84ELb0ELb0ELb1EdKddEEviiiT16_PT17_ilS6_ilS4_S6_ilPT18_ili26rocblas_geam_ex_operation_
		.amdhsa_group_segment_fixed_size 20480
		.amdhsa_private_segment_fixed_size 0
		.amdhsa_kernarg_size 136
		.amdhsa_user_sgpr_count 6
		.amdhsa_user_sgpr_private_segment_buffer 1
		.amdhsa_user_sgpr_dispatch_ptr 0
		.amdhsa_user_sgpr_queue_ptr 0
		.amdhsa_user_sgpr_kernarg_segment_ptr 1
		.amdhsa_user_sgpr_dispatch_id 0
		.amdhsa_user_sgpr_flat_scratch_init 0
		.amdhsa_user_sgpr_private_segment_size 0
		.amdhsa_wavefront_size32 1
		.amdhsa_uses_dynamic_stack 0
		.amdhsa_system_sgpr_private_segment_wavefront_offset 0
		.amdhsa_system_sgpr_workgroup_id_x 1
		.amdhsa_system_sgpr_workgroup_id_y 0
		.amdhsa_system_sgpr_workgroup_id_z 1
		.amdhsa_system_sgpr_workgroup_info 0
		.amdhsa_system_vgpr_workitem_id 1
		.amdhsa_next_free_vgpr 227
		.amdhsa_next_free_sgpr 25
		.amdhsa_reserve_vcc 1
		.amdhsa_reserve_flat_scratch 0
		.amdhsa_float_round_mode_32 0
		.amdhsa_float_round_mode_16_64 0
		.amdhsa_float_denorm_mode_32 3
		.amdhsa_float_denorm_mode_16_64 3
		.amdhsa_dx10_clamp 1
		.amdhsa_ieee_mode 1
		.amdhsa_fp16_overflow 0
		.amdhsa_workgroup_processor_mode 1
		.amdhsa_memory_ordered 1
		.amdhsa_forward_progress 1
		.amdhsa_shared_vgpr_count 0
		.amdhsa_exception_fp_ieee_invalid_op 0
		.amdhsa_exception_fp_denorm_src 0
		.amdhsa_exception_fp_ieee_div_zero 0
		.amdhsa_exception_fp_ieee_overflow 0
		.amdhsa_exception_fp_ieee_underflow 0
		.amdhsa_exception_fp_ieee_inexact 0
		.amdhsa_exception_int_div_zero 0
	.end_amdhsa_kernel
	.section	.text._ZN12_GLOBAL__N_120geam_min_plus_kernelId15HIP_vector_typeIdLj2EEdLi8ELi32ELi64ELi256ELi4ELi4ELi64ELi64ELi4ELc84ELc84ELb0ELb0ELb1EdKddEEviiiT16_PT17_ilS6_ilS4_S6_ilPT18_ili26rocblas_geam_ex_operation_,"axG",@progbits,_ZN12_GLOBAL__N_120geam_min_plus_kernelId15HIP_vector_typeIdLj2EEdLi8ELi32ELi64ELi256ELi4ELi4ELi64ELi64ELi4ELc84ELc84ELb0ELb0ELb1EdKddEEviiiT16_PT17_ilS6_ilS4_S6_ilPT18_ili26rocblas_geam_ex_operation_,comdat
.Lfunc_end176:
	.size	_ZN12_GLOBAL__N_120geam_min_plus_kernelId15HIP_vector_typeIdLj2EEdLi8ELi32ELi64ELi256ELi4ELi4ELi64ELi64ELi4ELc84ELc84ELb0ELb0ELb1EdKddEEviiiT16_PT17_ilS6_ilS4_S6_ilPT18_ili26rocblas_geam_ex_operation_, .Lfunc_end176-_ZN12_GLOBAL__N_120geam_min_plus_kernelId15HIP_vector_typeIdLj2EEdLi8ELi32ELi64ELi256ELi4ELi4ELi64ELi64ELi4ELc84ELc84ELb0ELb0ELb1EdKddEEviiiT16_PT17_ilS6_ilS4_S6_ilPT18_ili26rocblas_geam_ex_operation_
                                        ; -- End function
	.set _ZN12_GLOBAL__N_120geam_min_plus_kernelId15HIP_vector_typeIdLj2EEdLi8ELi32ELi64ELi256ELi4ELi4ELi64ELi64ELi4ELc84ELc84ELb0ELb0ELb1EdKddEEviiiT16_PT17_ilS6_ilS4_S6_ilPT18_ili26rocblas_geam_ex_operation_.num_vgpr, 227
	.set _ZN12_GLOBAL__N_120geam_min_plus_kernelId15HIP_vector_typeIdLj2EEdLi8ELi32ELi64ELi256ELi4ELi4ELi64ELi64ELi4ELc84ELc84ELb0ELb0ELb1EdKddEEviiiT16_PT17_ilS6_ilS4_S6_ilPT18_ili26rocblas_geam_ex_operation_.num_agpr, 0
	.set _ZN12_GLOBAL__N_120geam_min_plus_kernelId15HIP_vector_typeIdLj2EEdLi8ELi32ELi64ELi256ELi4ELi4ELi64ELi64ELi4ELc84ELc84ELb0ELb0ELb1EdKddEEviiiT16_PT17_ilS6_ilS4_S6_ilPT18_ili26rocblas_geam_ex_operation_.numbered_sgpr, 25
	.set _ZN12_GLOBAL__N_120geam_min_plus_kernelId15HIP_vector_typeIdLj2EEdLi8ELi32ELi64ELi256ELi4ELi4ELi64ELi64ELi4ELc84ELc84ELb0ELb0ELb1EdKddEEviiiT16_PT17_ilS6_ilS4_S6_ilPT18_ili26rocblas_geam_ex_operation_.num_named_barrier, 0
	.set _ZN12_GLOBAL__N_120geam_min_plus_kernelId15HIP_vector_typeIdLj2EEdLi8ELi32ELi64ELi256ELi4ELi4ELi64ELi64ELi4ELc84ELc84ELb0ELb0ELb1EdKddEEviiiT16_PT17_ilS6_ilS4_S6_ilPT18_ili26rocblas_geam_ex_operation_.private_seg_size, 0
	.set _ZN12_GLOBAL__N_120geam_min_plus_kernelId15HIP_vector_typeIdLj2EEdLi8ELi32ELi64ELi256ELi4ELi4ELi64ELi64ELi4ELc84ELc84ELb0ELb0ELb1EdKddEEviiiT16_PT17_ilS6_ilS4_S6_ilPT18_ili26rocblas_geam_ex_operation_.uses_vcc, 1
	.set _ZN12_GLOBAL__N_120geam_min_plus_kernelId15HIP_vector_typeIdLj2EEdLi8ELi32ELi64ELi256ELi4ELi4ELi64ELi64ELi4ELc84ELc84ELb0ELb0ELb1EdKddEEviiiT16_PT17_ilS6_ilS4_S6_ilPT18_ili26rocblas_geam_ex_operation_.uses_flat_scratch, 0
	.set _ZN12_GLOBAL__N_120geam_min_plus_kernelId15HIP_vector_typeIdLj2EEdLi8ELi32ELi64ELi256ELi4ELi4ELi64ELi64ELi4ELc84ELc84ELb0ELb0ELb1EdKddEEviiiT16_PT17_ilS6_ilS4_S6_ilPT18_ili26rocblas_geam_ex_operation_.has_dyn_sized_stack, 0
	.set _ZN12_GLOBAL__N_120geam_min_plus_kernelId15HIP_vector_typeIdLj2EEdLi8ELi32ELi64ELi256ELi4ELi4ELi64ELi64ELi4ELc84ELc84ELb0ELb0ELb1EdKddEEviiiT16_PT17_ilS6_ilS4_S6_ilPT18_ili26rocblas_geam_ex_operation_.has_recursion, 0
	.set _ZN12_GLOBAL__N_120geam_min_plus_kernelId15HIP_vector_typeIdLj2EEdLi8ELi32ELi64ELi256ELi4ELi4ELi64ELi64ELi4ELc84ELc84ELb0ELb0ELb1EdKddEEviiiT16_PT17_ilS6_ilS4_S6_ilPT18_ili26rocblas_geam_ex_operation_.has_indirect_call, 0
	.section	.AMDGPU.csdata,"",@progbits
; Kernel info:
; codeLenInByte = 27172
; TotalNumSgprs: 27
; NumVgprs: 227
; ScratchSize: 0
; MemoryBound: 1
; FloatMode: 240
; IeeeMode: 1
; LDSByteSize: 20480 bytes/workgroup (compile time only)
; SGPRBlocks: 0
; VGPRBlocks: 28
; NumSGPRsForWavesPerEU: 27
; NumVGPRsForWavesPerEU: 227
; Occupancy: 4
; WaveLimiterHint : 1
; COMPUTE_PGM_RSRC2:SCRATCH_EN: 0
; COMPUTE_PGM_RSRC2:USER_SGPR: 6
; COMPUTE_PGM_RSRC2:TRAP_HANDLER: 0
; COMPUTE_PGM_RSRC2:TGID_X_EN: 1
; COMPUTE_PGM_RSRC2:TGID_Y_EN: 0
; COMPUTE_PGM_RSRC2:TGID_Z_EN: 1
; COMPUTE_PGM_RSRC2:TIDIG_COMP_CNT: 1
	.section	.text._ZN12_GLOBAL__N_120geam_min_plus_kernelId15HIP_vector_typeIdLj2EEdLi8ELi32ELi64ELi256ELi4ELi4ELi64ELi64ELi4ELc84ELc84ELb0ELb1ELb1EPKdS3_dEEviiiT16_PT17_ilS7_ilS5_S7_ilPT18_ili26rocblas_geam_ex_operation_,"axG",@progbits,_ZN12_GLOBAL__N_120geam_min_plus_kernelId15HIP_vector_typeIdLj2EEdLi8ELi32ELi64ELi256ELi4ELi4ELi64ELi64ELi4ELc84ELc84ELb0ELb1ELb1EPKdS3_dEEviiiT16_PT17_ilS7_ilS5_S7_ilPT18_ili26rocblas_geam_ex_operation_,comdat
	.globl	_ZN12_GLOBAL__N_120geam_min_plus_kernelId15HIP_vector_typeIdLj2EEdLi8ELi32ELi64ELi256ELi4ELi4ELi64ELi64ELi4ELc84ELc84ELb0ELb1ELb1EPKdS3_dEEviiiT16_PT17_ilS7_ilS5_S7_ilPT18_ili26rocblas_geam_ex_operation_ ; -- Begin function _ZN12_GLOBAL__N_120geam_min_plus_kernelId15HIP_vector_typeIdLj2EEdLi8ELi32ELi64ELi256ELi4ELi4ELi64ELi64ELi4ELc84ELc84ELb0ELb1ELb1EPKdS3_dEEviiiT16_PT17_ilS7_ilS5_S7_ilPT18_ili26rocblas_geam_ex_operation_
	.p2align	8
	.type	_ZN12_GLOBAL__N_120geam_min_plus_kernelId15HIP_vector_typeIdLj2EEdLi8ELi32ELi64ELi256ELi4ELi4ELi64ELi64ELi4ELc84ELc84ELb0ELb1ELb1EPKdS3_dEEviiiT16_PT17_ilS7_ilS5_S7_ilPT18_ili26rocblas_geam_ex_operation_,@function
_ZN12_GLOBAL__N_120geam_min_plus_kernelId15HIP_vector_typeIdLj2EEdLi8ELi32ELi64ELi256ELi4ELi4ELi64ELi64ELi4ELc84ELc84ELb0ELb1ELb1EPKdS3_dEEviiiT16_PT17_ilS7_ilS5_S7_ilPT18_ili26rocblas_geam_ex_operation_: ; @_ZN12_GLOBAL__N_120geam_min_plus_kernelId15HIP_vector_typeIdLj2EEdLi8ELi32ELi64ELi256ELi4ELi4ELi64ELi64ELi4ELc84ELc84ELb0ELb1ELb1EPKdS3_dEEviiiT16_PT17_ilS7_ilS5_S7_ilPT18_ili26rocblas_geam_ex_operation_
; %bb.0:
	s_clause 0x1
	s_load_dwordx4 s[12:15], s[4:5], 0x10
	s_load_dwordx4 s[0:3], s[4:5], 0x28
	s_mov_b32 s20, s7
	s_mov_b32 s21, 0
	s_mov_b64 s[24:25], 0
	s_lshl_b64 s[16:17], s[20:21], 3
	s_mov_b64 s[26:27], 0
	s_waitcnt lgkmcnt(0)
	s_add_u32 s8, s12, s16
	s_addc_u32 s9, s13, s17
	s_load_dwordx2 s[12:13], s[4:5], 0x50
	s_load_dwordx2 s[22:23], s[8:9], 0x0
	s_load_dwordx4 s[8:11], s[4:5], 0x40
	s_waitcnt lgkmcnt(0)
	v_cmp_eq_f64_e64 s18, s[22:23], 0
	v_cmp_neq_f64_e64 s7, s[22:23], 0
	s_add_u32 s10, s10, s16
	s_addc_u32 s11, s11, s17
	s_and_b32 vcc_lo, exec_lo, s18
	s_cbranch_vccnz .LBB177_2
; %bb.1:
	s_mul_i32 s1, s1, s20
	s_mul_hi_u32 s16, s0, s20
	s_mul_i32 s0, s0, s20
	s_add_i32 s1, s16, s1
	s_lshl_b64 s[0:1], s[0:1], 3
	s_add_u32 s26, s14, s0
	s_addc_u32 s27, s15, s1
.LBB177_2:
	s_load_dwordx2 s[16:17], s[10:11], 0x0
	s_andn2_b32 vcc_lo, exec_lo, s7
	s_cbranch_vccnz .LBB177_4
; %bb.3:
	s_mul_i32 s0, s9, s20
	s_mul_hi_u32 s1, s8, s20
	s_add_i32 s1, s1, s0
	s_mul_i32 s0, s8, s20
	s_lshl_b64 s[0:1], s[0:1], 3
	s_add_u32 s24, s2, s0
	s_addc_u32 s25, s3, s1
.LBB177_4:
	s_waitcnt lgkmcnt(0)
	v_cmp_eq_f64_e64 s0, s[16:17], 0
	v_cmp_neq_f64_e64 s21, s[16:17], 0
	s_load_dwordx4 s[8:11], s[4:5], 0x60
	s_mov_b64 s[18:19], 0
	s_and_b32 vcc_lo, exec_lo, s0
	s_cbranch_vccnz .LBB177_6
; %bb.5:
	s_waitcnt lgkmcnt(0)
	s_mul_i32 s0, s9, s20
	s_mul_hi_u32 s1, s8, s20
	s_add_i32 s1, s1, s0
	s_mul_i32 s0, s8, s20
	s_lshl_b64 s[0:1], s[0:1], 3
	s_add_u32 s18, s12, s0
	s_addc_u32 s19, s13, s1
.LBB177_6:
	s_clause 0x1
	s_load_dwordx4 s[12:15], s[4:5], 0x0
	s_load_dword s29, s[4:5], 0x20
	v_lshl_add_u32 v4, v1, 3, v0
	s_waitcnt lgkmcnt(0)
	v_cmp_eq_f64_e64 s15, s[22:23], 0
	v_and_b32_e32 v144, 3, v0
	v_lshrrev_b32_e32 v12, 2, v4
	s_add_i32 s0, s12, -1
	s_ashr_i32 s1, s0, 31
	s_lshr_b32 s1, s1, 26
	s_add_i32 s0, s0, s1
	s_ashr_i32 s0, s0, 6
	s_add_i32 s2, s0, 1
	s_not_b32 s0, s0
	v_cvt_f32_u32_e32 v2, s2
	v_rcp_iflag_f32_e32 v2, v2
	v_mul_f32_e32 v2, 0x4f7ffffe, v2
	v_cvt_u32_f32_e32 v2, v2
	v_readfirstlane_b32 s1, v2
                                        ; implicit-def: $vgpr2_vgpr3
	s_mul_i32 s0, s0, s1
	s_mul_hi_u32 s0, s1, s0
	s_add_i32 s1, s1, s0
	s_mul_hi_u32 s0, s6, s1
	s_mul_i32 s1, s0, s2
	s_add_i32 s3, s0, 1
	s_sub_i32 s1, s6, s1
	s_sub_i32 s7, s1, s2
	s_cmp_ge_u32 s1, s2
	s_cselect_b32 s0, s3, s0
	s_cselect_b32 s1, s7, s1
	s_add_i32 s3, s0, 1
	s_cmp_ge_u32 s1, s2
	s_cselect_b32 s1, s3, s0
	s_mul_i32 s0, s1, s2
	s_sub_i32 s0, s6, s0
                                        ; implicit-def: $sgpr6
	s_lshl_b32 s8, s0, 6
	v_cmp_le_i32_e64 s0, s14, v144
	v_add_nc_u32_e32 v78, s8, v12
	v_cmp_le_i32_e32 vcc_lo, s12, v78
	s_or_b32 s2, s0, vcc_lo
	s_nor_b32 s0, s15, s2
	s_and_saveexec_b32 s3, s0
	s_xor_b32 s3, exec_lo, s3
	s_cbranch_execz .LBB177_8
; %bb.7:
	v_mad_i64_i32 v[2:3], null, v78, s29, 0
	s_add_i32 s6, s14, -1
	v_min_u32_e32 v5, s6, v144
	v_lshlrev_b64 v[2:3], 3, v[2:3]
	v_lshlrev_b32_e32 v5, 3, v5
	v_add_co_u32 v2, s0, s26, v2
	v_add_co_ci_u32_e64 v3, null, s27, v3, s0
	v_add_co_u32 v2, s0, v2, v5
	v_add_co_ci_u32_e64 v3, null, 0, v3, s0
	global_load_dwordx2 v[2:3], v[2:3], off
	s_waitcnt vmcnt(0)
	v_mul_f64 v[2:3], s[22:23], v[2:3]
.LBB177_8:
	s_or_saveexec_b32 s0, s3
	v_mov_b32_e32 v5, s6
	s_xor_b32 exec_lo, exec_lo, s0
; %bb.9:
	s_add_i32 s3, s14, -1
	v_cndmask_b32_e64 v3, 0, 0x7fefffff, s2
	v_cndmask_b32_e64 v2, 0, -1, s2
	v_mov_b32_e32 v5, s3
; %bb.10:
	s_or_b32 exec_lo, exec_lo, s0
	s_load_dword s28, s[4:5], 0x38
	v_lshrrev_b32_e32 v145, 6, v4
	v_and_b32_e32 v13, 63, v4
	s_lshl_b32 s9, s1, 8
	v_min_i32_e32 v4, v145, v5
	v_or_b32_e32 v66, s9, v13
	v_cmp_le_i32_e64 s6, s14, v145
	v_cmp_le_i32_e64 s0, s13, v66
	v_ashrrev_i32_e32 v67, 31, v66
	s_or_b32 s2, s0, s6
	s_waitcnt lgkmcnt(0)
	v_mad_i64_i32 v[4:5], null, v4, s28, 0
	v_lshlrev_b64 v[6:7], 3, v[4:5]
	v_cndmask_b32_e64 v5, 0, 0x7fefffff, s2
	v_cndmask_b32_e64 v4, 0, -1, s2
	v_add_co_u32 v14, s1, s24, v6
	v_add_co_ci_u32_e64 v15, null, s25, v7, s1
	s_nor_b32 s1, s15, s2
	s_and_saveexec_b32 s2, s1
	s_cbranch_execz .LBB177_12
; %bb.11:
	v_lshlrev_b64 v[4:5], 3, v[66:67]
	v_add_co_u32 v4, s1, v14, v4
	v_add_co_ci_u32_e64 v5, null, v15, v5, s1
	global_load_dwordx2 v[4:5], v[4:5], off
	s_waitcnt vmcnt(0)
	v_mul_f64 v[4:5], s[22:23], v[4:5]
.LBB177_12:
	s_or_b32 exec_lo, exec_lo, s2
	v_or_b32_e32 v6, 64, v66
	v_cmp_le_i32_e64 s1, s13, v6
	s_or_b32 s2, s1, s6
	v_cndmask_b32_e64 v7, 0, 0x7fefffff, s2
	v_cndmask_b32_e64 v6, 0, -1, s2
	s_nor_b32 s2, s15, s2
	s_and_saveexec_b32 s3, s2
	s_cbranch_execz .LBB177_14
; %bb.13:
	v_lshlrev_b64 v[6:7], 3, v[66:67]
	v_add_co_u32 v6, s2, v14, v6
	v_add_co_ci_u32_e64 v7, null, v15, v7, s2
	global_load_dwordx2 v[6:7], v[6:7], off offset:512
	s_waitcnt vmcnt(0)
	v_mul_f64 v[6:7], s[22:23], v[6:7]
.LBB177_14:
	s_or_b32 exec_lo, exec_lo, s3
	v_or_b32_e32 v8, 0x80, v66
	v_cmp_le_i32_e64 s2, s13, v8
	s_or_b32 s3, s2, s6
	v_cndmask_b32_e64 v9, 0, 0x7fefffff, s3
	v_cndmask_b32_e64 v8, 0, -1, s3
	s_nor_b32 s3, s15, s3
	s_and_saveexec_b32 s7, s3
	s_cbranch_execz .LBB177_16
; %bb.15:
	v_lshlrev_b64 v[8:9], 3, v[66:67]
	v_add_co_u32 v8, s3, v14, v8
	v_add_co_ci_u32_e64 v9, null, v15, v9, s3
	global_load_dwordx2 v[8:9], v[8:9], off offset:1024
	s_waitcnt vmcnt(0)
	v_mul_f64 v[8:9], s[22:23], v[8:9]
.LBB177_16:
	;; [unrolled: 17-line block ×3, first 2 shown]
	s_or_b32 exec_lo, exec_lo, s7
	v_or_b32_e32 v14, 4, v144
                                        ; implicit-def: $vgpr68_vgpr69
                                        ; implicit-def: $sgpr31
	v_cmp_le_i32_e64 s6, s14, v14
	s_or_b32 s7, s6, vcc_lo
	s_nor_b32 s6, s15, s7
	s_and_saveexec_b32 s30, s6
	s_xor_b32 s30, exec_lo, s30
	s_cbranch_execz .LBB177_20
; %bb.19:
	v_mad_i64_i32 v[15:16], null, v78, s29, 0
	s_add_i32 s31, s14, -1
	v_min_u32_e32 v17, s31, v14
	v_lshlrev_b64 v[14:15], 3, v[15:16]
	v_lshlrev_b32_e32 v16, 3, v17
	v_add_co_u32 v14, s6, s26, v14
	v_add_co_ci_u32_e64 v15, null, s27, v15, s6
	v_add_co_u32 v14, s6, v14, v16
	v_add_co_ci_u32_e64 v15, null, 0, v15, s6
	global_load_dwordx2 v[14:15], v[14:15], off
	s_waitcnt vmcnt(0)
	v_mul_f64 v[68:69], s[22:23], v[14:15]
.LBB177_20:
	s_or_saveexec_b32 s6, s30
	v_mov_b32_e32 v14, s31
	s_xor_b32 exec_lo, exec_lo, s6
; %bb.21:
	s_add_i32 s30, s14, -1
	v_cndmask_b32_e64 v69, 0, 0x7fefffff, s7
	v_cndmask_b32_e64 v68, 0, -1, s7
	v_mov_b32_e32 v14, s30
; %bb.22:
	s_or_b32 exec_lo, exec_lo, s6
	v_add_nc_u32_e32 v16, 4, v145
	v_min_i32_e32 v14, v16, v14
	v_cmp_le_i32_e64 s6, s14, v16
	v_mad_i64_i32 v[14:15], null, v14, s28, 0
	s_or_b32 s30, s0, s6
	v_cndmask_b32_e64 v71, 0, 0x7fefffff, s30
	v_cndmask_b32_e64 v70, 0, -1, s30
	v_lshlrev_b64 v[14:15], 3, v[14:15]
	v_add_co_u32 v14, s7, s24, v14
	v_add_co_ci_u32_e64 v15, null, s25, v15, s7
	s_nor_b32 s7, s15, s30
	s_and_saveexec_b32 s30, s7
	s_cbranch_execz .LBB177_24
; %bb.23:
	v_lshlrev_b64 v[16:17], 3, v[66:67]
	v_add_co_u32 v16, s7, v14, v16
	v_add_co_ci_u32_e64 v17, null, v15, v17, s7
	global_load_dwordx2 v[16:17], v[16:17], off
	s_waitcnt vmcnt(0)
	v_mul_f64 v[70:71], s[22:23], v[16:17]
.LBB177_24:
	s_or_b32 exec_lo, exec_lo, s30
	s_or_b32 s7, s1, s6
	v_cndmask_b32_e64 v73, 0, 0x7fefffff, s7
	v_cndmask_b32_e64 v72, 0, -1, s7
	s_nor_b32 s7, s15, s7
	s_and_saveexec_b32 s30, s7
	s_cbranch_execz .LBB177_26
; %bb.25:
	v_lshlrev_b64 v[16:17], 3, v[66:67]
	v_add_co_u32 v16, s7, v14, v16
	v_add_co_ci_u32_e64 v17, null, v15, v17, s7
	global_load_dwordx2 v[16:17], v[16:17], off offset:512
	s_waitcnt vmcnt(0)
	v_mul_f64 v[72:73], s[22:23], v[16:17]
.LBB177_26:
	s_or_b32 exec_lo, exec_lo, s30
	s_or_b32 s7, s2, s6
	v_cndmask_b32_e64 v75, 0, 0x7fefffff, s7
	v_cndmask_b32_e64 v74, 0, -1, s7
	s_nor_b32 s7, s15, s7
	s_and_saveexec_b32 s30, s7
	s_cbranch_execz .LBB177_28
; %bb.27:
	v_lshlrev_b64 v[16:17], 3, v[66:67]
	v_add_co_u32 v16, s7, v14, v16
	v_add_co_ci_u32_e64 v17, null, v15, v17, s7
	global_load_dwordx2 v[16:17], v[16:17], off offset:1024
	s_waitcnt vmcnt(0)
	v_mul_f64 v[74:75], s[22:23], v[16:17]
.LBB177_28:
	;; [unrolled: 15-line block ×3, first 2 shown]
	s_or_b32 exec_lo, exec_lo, s7
	v_lshlrev_b32_e32 v79, 3, v144
	v_lshlrev_b32_e32 v147, 5, v0
	;; [unrolled: 1-line block ×3, first 2 shown]
	s_cmp_lt_i32 s14, 9
	v_lshl_or_b32 v80, v12, 5, v79
	ds_write_b64 v80, v[2:3] offset:16384
	v_lshlrev_b32_e32 v2, 5, v13
	v_lshl_add_u32 v148, v145, 3, v2
	ds_write2st64_b64 v148, v[4:5], v[6:7] offset1:4
	ds_write2st64_b64 v148, v[8:9], v[10:11] offset0:8 offset1:12
	s_waitcnt lgkmcnt(0)
	s_barrier
	buffer_gl0_inv
	ds_read_b128 v[10:13], v147 offset:16640
	ds_read_b128 v[14:17], v147 offset:16896
	;; [unrolled: 1-line block ×16, first 2 shown]
	ds_read_b128 v[85:88], v146
	ds_read_b128 v[6:9], v146 offset:16
	s_waitcnt lgkmcnt(1)
	v_add_f64 v[89:90], v[83:84], v[87:88]
	v_add_f64 v[91:92], v[81:82], v[85:86]
	s_waitcnt lgkmcnt(0)
	v_add_f64 v[150:151], v[4:5], v[8:9]
	v_add_f64 v[152:153], v[2:3], v[6:7]
	v_cvt_f32_f64_e32 v89, v[89:90]
	v_cvt_f32_f64_e32 v91, v[91:92]
	;; [unrolled: 1-line block ×4, first 2 shown]
	v_min3_f32 v149, v91, v89, 0x7f800000
	v_add_f64 v[89:90], v[12:13], v[87:88]
	v_add_f64 v[91:92], v[10:11], v[85:86]
	v_min3_f32 v218, v152, v150, v149
	v_cvt_f32_f64_e32 v89, v[89:90]
	v_cvt_f32_f64_e32 v91, v[91:92]
	v_min3_f32 v143, v91, v89, 0x7f800000
	v_add_f64 v[89:90], v[16:17], v[87:88]
	v_add_f64 v[91:92], v[14:15], v[85:86]
	v_cvt_f32_f64_e32 v89, v[89:90]
	v_cvt_f32_f64_e32 v91, v[91:92]
	v_min3_f32 v142, v91, v89, 0x7f800000
	v_add_f64 v[89:90], v[20:21], v[87:88]
	v_add_f64 v[91:92], v[18:19], v[85:86]
	v_cvt_f32_f64_e32 v89, v[89:90]
	v_cvt_f32_f64_e32 v91, v[91:92]
	v_min3_f32 v141, v91, v89, 0x7f800000
	v_add_f64 v[89:90], v[24:25], v[87:88]
	v_add_f64 v[91:92], v[22:23], v[85:86]
	v_cvt_f32_f64_e32 v89, v[89:90]
	v_cvt_f32_f64_e32 v91, v[91:92]
	v_min3_f32 v140, v91, v89, 0x7f800000
	v_add_f64 v[89:90], v[28:29], v[87:88]
	v_add_f64 v[91:92], v[26:27], v[85:86]
	v_cvt_f32_f64_e32 v89, v[89:90]
	v_cvt_f32_f64_e32 v91, v[91:92]
	v_min3_f32 v139, v91, v89, 0x7f800000
	v_add_f64 v[89:90], v[32:33], v[87:88]
	v_add_f64 v[91:92], v[30:31], v[85:86]
	v_add_f64 v[87:88], v[36:37], v[87:88]
	v_add_f64 v[85:86], v[34:35], v[85:86]
	v_cvt_f32_f64_e32 v89, v[89:90]
	v_cvt_f32_f64_e32 v91, v[91:92]
	;; [unrolled: 1-line block ×4, first 2 shown]
	v_add_f64 v[87:88], v[81:82], v[38:39]
	v_min3_f32 v138, v91, v89, 0x7f800000
	v_min3_f32 v137, v85, v86, 0x7f800000
	v_add_f64 v[85:86], v[83:84], v[40:41]
	v_cvt_f32_f64_e32 v87, v[87:88]
	v_cvt_f32_f64_e32 v85, v[85:86]
	v_min3_f32 v136, v87, v85, 0x7f800000
	v_add_f64 v[85:86], v[12:13], v[40:41]
	v_add_f64 v[87:88], v[10:11], v[38:39]
	v_cvt_f32_f64_e32 v85, v[85:86]
	v_cvt_f32_f64_e32 v87, v[87:88]
	v_min3_f32 v135, v87, v85, 0x7f800000
	v_add_f64 v[85:86], v[16:17], v[40:41]
	;; [unrolled: 5-line block ×6, first 2 shown]
	v_add_f64 v[87:88], v[30:31], v[38:39]
	v_add_f64 v[40:41], v[36:37], v[40:41]
	;; [unrolled: 1-line block ×3, first 2 shown]
	v_cvt_f32_f64_e32 v85, v[85:86]
	v_cvt_f32_f64_e32 v87, v[87:88]
	;; [unrolled: 1-line block ×4, first 2 shown]
	v_add_f64 v[40:41], v[81:82], v[42:43]
	v_min3_f32 v130, v87, v85, 0x7f800000
	v_min3_f32 v129, v38, v39, 0x7f800000
	v_add_f64 v[38:39], v[83:84], v[44:45]
	v_cvt_f32_f64_e32 v40, v[40:41]
	v_cvt_f32_f64_e32 v38, v[38:39]
	v_min3_f32 v128, v40, v38, 0x7f800000
	v_add_f64 v[38:39], v[12:13], v[44:45]
	v_add_f64 v[40:41], v[10:11], v[42:43]
	v_cvt_f32_f64_e32 v38, v[38:39]
	v_cvt_f32_f64_e32 v40, v[40:41]
	v_min3_f32 v127, v40, v38, 0x7f800000
	v_add_f64 v[38:39], v[16:17], v[44:45]
	;; [unrolled: 5-line block ×33, first 2 shown]
	v_add_f64 v[40:41], v[10:11], v[58:59]
	v_add_f64 v[12:13], v[12:13], v[64:65]
	;; [unrolled: 1-line block ×3, first 2 shown]
	v_cvt_f32_f64_e32 v38, v[38:39]
	v_cvt_f32_f64_e32 v40, v[40:41]
	;; [unrolled: 1-line block ×4, first 2 shown]
	v_add_f64 v[12:13], v[14:15], v[62:63]
	v_min3_f32 v95, v40, v38, 0x7f800000
	v_add_f64 v[38:39], v[16:17], v[60:61]
	v_add_f64 v[40:41], v[14:15], v[58:59]
	v_min3_f32 v87, v10, v11, 0x7f800000
	v_add_f64 v[10:11], v[16:17], v[64:65]
	v_cvt_f32_f64_e32 v12, v[12:13]
	v_cvt_f32_f64_e32 v38, v[38:39]
	v_cvt_f32_f64_e32 v40, v[40:41]
	v_cvt_f32_f64_e32 v10, v[10:11]
	v_min3_f32 v94, v40, v38, 0x7f800000
	v_add_f64 v[38:39], v[20:21], v[60:61]
	v_add_f64 v[40:41], v[18:19], v[58:59]
	v_min3_f32 v86, v12, v10, 0x7f800000
	v_add_f64 v[10:11], v[20:21], v[64:65]
	v_add_f64 v[12:13], v[18:19], v[62:63]
	v_cvt_f32_f64_e32 v38, v[38:39]
	v_cvt_f32_f64_e32 v40, v[40:41]
	;; [unrolled: 1-line block ×4, first 2 shown]
	v_min3_f32 v93, v40, v38, 0x7f800000
	v_add_f64 v[38:39], v[24:25], v[60:61]
	v_add_f64 v[40:41], v[22:23], v[58:59]
	v_min3_f32 v85, v12, v10, 0x7f800000
	v_add_f64 v[10:11], v[24:25], v[64:65]
	v_add_f64 v[12:13], v[22:23], v[62:63]
	v_cvt_f32_f64_e32 v38, v[38:39]
	v_cvt_f32_f64_e32 v40, v[40:41]
	;; [unrolled: 1-line block ×4, first 2 shown]
	v_min3_f32 v92, v40, v38, 0x7f800000
	v_add_f64 v[38:39], v[28:29], v[60:61]
	v_add_f64 v[40:41], v[26:27], v[58:59]
	v_cvt_f32_f64_e32 v38, v[38:39]
	v_cvt_f32_f64_e32 v40, v[40:41]
	v_min3_f32 v91, v40, v38, 0x7f800000
	v_add_f64 v[38:39], v[32:33], v[60:61]
	v_add_f64 v[40:41], v[30:31], v[58:59]
	v_cvt_f32_f64_e32 v38, v[38:39]
	v_cvt_f32_f64_e32 v40, v[40:41]
	;; [unrolled: 5-line block ×3, first 2 shown]
	v_min3_f32 v89, v40, v38, 0x7f800000
	v_add_f64 v[38:39], v[83:84], v[64:65]
	v_min3_f32 v84, v12, v10, 0x7f800000
	v_add_f64 v[10:11], v[28:29], v[64:65]
	v_add_f64 v[12:13], v[26:27], v[62:63]
	;; [unrolled: 1-line block ×3, first 2 shown]
	v_cvt_f32_f64_e32 v38, v[38:39]
	v_cvt_f32_f64_e32 v10, v[10:11]
	;; [unrolled: 1-line block ×4, first 2 shown]
	v_min3_f32 v83, v12, v10, 0x7f800000
	v_add_f64 v[10:11], v[32:33], v[64:65]
	v_add_f64 v[12:13], v[30:31], v[62:63]
	v_min3_f32 v88, v40, v38, 0x7f800000
	v_cvt_f32_f64_e32 v10, v[10:11]
	v_cvt_f32_f64_e32 v12, v[12:13]
	v_min3_f32 v82, v12, v10, 0x7f800000
	v_add_f64 v[10:11], v[36:37], v[64:65]
	v_add_f64 v[12:13], v[34:35], v[62:63]
	v_cvt_f32_f64_e32 v10, v[10:11]
	v_cvt_f32_f64_e32 v12, v[12:13]
	v_min3_f32 v81, v12, v10, 0x7f800000
	ds_read_b128 v[34:37], v147 offset:16656
	ds_read_b128 v[30:33], v147 offset:16912
	;; [unrolled: 1-line block ×14, first 2 shown]
	ds_write_b64 v80, v[68:69] offset:18432
	ds_write2st64_b64 v148, v[70:71], v[72:73] offset0:16 offset1:20
	ds_write2st64_b64 v148, v[74:75], v[76:77] offset0:24 offset1:28
	s_waitcnt lgkmcnt(0)
	s_barrier
	buffer_gl0_inv
	v_add_f64 v[149:150], v[36:37], v[8:9]
	v_add_f64 v[151:152], v[34:35], v[6:7]
	v_cvt_f32_f64_e32 v149, v[149:150]
	v_cvt_f32_f64_e32 v151, v[151:152]
	v_min3_f32 v217, v151, v149, v143
	v_add_f64 v[149:150], v[32:33], v[8:9]
	v_add_f64 v[151:152], v[30:31], v[6:7]
	v_cvt_f32_f64_e32 v149, v[149:150]
	v_cvt_f32_f64_e32 v143, v[151:152]
	v_min3_f32 v216, v143, v149, v142
	;; [unrolled: 5-line block ×5, first 2 shown]
	v_add_f64 v[139:140], v[16:17], v[8:9]
	v_add_f64 v[141:142], v[14:15], v[6:7]
	;; [unrolled: 1-line block ×4, first 2 shown]
	v_cvt_f32_f64_e32 v139, v[139:140]
	v_cvt_f32_f64_e32 v141, v[141:142]
	;; [unrolled: 1-line block ×4, first 2 shown]
	v_add_f64 v[8:9], v[2:3], v[62:63]
	v_min3_f32 v212, v141, v139, v138
	v_min3_f32 v211, v6, v7, v137
	v_add_f64 v[6:7], v[4:5], v[64:65]
	v_cvt_f32_f64_e32 v8, v[8:9]
	v_cvt_f32_f64_e32 v6, v[6:7]
	v_min3_f32 v210, v8, v6, v136
	v_add_f64 v[6:7], v[36:37], v[64:65]
	v_add_f64 v[8:9], v[34:35], v[62:63]
	v_cvt_f32_f64_e32 v6, v[6:7]
	v_cvt_f32_f64_e32 v8, v[8:9]
	v_min3_f32 v209, v8, v6, v135
	v_add_f64 v[6:7], v[32:33], v[64:65]
	;; [unrolled: 5-line block ×40, first 2 shown]
	v_add_f64 v[8:9], v[2:3], v[42:43]
	v_add_f64 v[4:5], v[4:5], v[40:41]
	;; [unrolled: 1-line block ×3, first 2 shown]
	v_cvt_f32_f64_e32 v6, v[6:7]
	v_cvt_f32_f64_e32 v8, v[8:9]
	;; [unrolled: 1-line block ×4, first 2 shown]
	v_add_f64 v[4:5], v[34:35], v[38:39]
	v_min3_f32 v164, v8, v6, v96
	v_add_f64 v[6:7], v[36:37], v[44:45]
	v_add_f64 v[8:9], v[34:35], v[42:43]
	v_min3_f32 v156, v2, v3, v88
	v_add_f64 v[2:3], v[36:37], v[40:41]
	v_cvt_f32_f64_e32 v4, v[4:5]
	v_cvt_f32_f64_e32 v6, v[6:7]
	v_cvt_f32_f64_e32 v8, v[8:9]
	v_cvt_f32_f64_e32 v2, v[2:3]
	v_min3_f32 v163, v8, v6, v95
	v_add_f64 v[6:7], v[32:33], v[44:45]
	v_add_f64 v[8:9], v[30:31], v[42:43]
	v_min3_f32 v155, v4, v2, v87
	v_add_f64 v[2:3], v[32:33], v[40:41]
	v_add_f64 v[4:5], v[30:31], v[38:39]
	v_cvt_f32_f64_e32 v6, v[6:7]
	v_cvt_f32_f64_e32 v8, v[8:9]
	v_cvt_f32_f64_e32 v2, v[2:3]
	v_cvt_f32_f64_e32 v4, v[4:5]
	v_min3_f32 v162, v8, v6, v94
	v_add_f64 v[6:7], v[28:29], v[44:45]
	v_add_f64 v[8:9], v[26:27], v[42:43]
	v_min3_f32 v154, v4, v2, v86
	v_add_f64 v[2:3], v[28:29], v[40:41]
	;; [unrolled: 10-line block ×6, first 2 shown]
	v_add_f64 v[4:5], v[10:11], v[38:39]
	v_cvt_f32_f64_e32 v6, v[6:7]
	v_cvt_f32_f64_e32 v8, v[8:9]
	;; [unrolled: 1-line block ×4, first 2 shown]
	v_min3_f32 v157, v8, v6, v89
	v_min3_f32 v149, v4, v2, v81
	s_cbranch_scc1 .LBB177_57
; %bb.31:
	v_mad_i64_i32 v[2:3], null, s29, v78, 0
	v_lshlrev_b64 v[130:131], 3, v[66:67]
	v_add_nc_u32_e32 v171, 0x4000, v80
	v_or_b32_e32 v172, 0x4000, v147
	v_add_nc_u32_e32 v173, 0x4800, v80
	v_add_nc_u32_e32 v174, 0x2000, v148
	v_lshl_add_u32 v175, v0, 5, 0x4800
	v_lshlrev_b64 v[2:3], 3, v[2:3]
	v_lshl_or_b32 v176, v1, 5, 0x2000
	s_mov_b32 s29, 0
	v_add_co_u32 v2, s6, v2, v79
	v_add_co_ci_u32_e64 v3, null, 0, v3, s6
	v_add_co_u32 v2, s6, s26, v2
	v_add_co_ci_u32_e64 v3, null, s27, v3, s6
	s_add_i32 s26, s14, -8
	v_add_co_u32 v132, s6, v2, 64
	v_add_co_ci_u32_e64 v133, null, 0, v3, s6
	s_add_i32 s27, s14, -1
	s_branch .LBB177_33
.LBB177_32:                             ;   in Loop: Header=BB177_33 Depth=1
	s_or_b32 exec_lo, exec_lo, s7
	v_add_f64 v[219:220], v[100:101], v[128:129]
	v_add_f64 v[221:222], v[98:99], v[126:127]
	v_add_co_u32 v132, s6, v132, 64
	v_add_co_ci_u32_e64 v133, null, 0, v133, s6
	s_add_i32 s29, s29, 8
	s_cmp_ge_i32 s29, s26
	v_cvt_f32_f64_e32 v219, v[219:220]
	v_cvt_f32_f64_e32 v221, v[221:222]
	v_min3_f32 v218, v221, v219, v218
	v_add_f64 v[219:220], v[96:97], v[128:129]
	v_add_f64 v[221:222], v[94:95], v[126:127]
	v_cvt_f32_f64_e32 v219, v[219:220]
	v_cvt_f32_f64_e32 v221, v[221:222]
	v_min3_f32 v217, v221, v219, v217
	v_add_f64 v[219:220], v[92:93], v[128:129]
	v_add_f64 v[221:222], v[90:91], v[126:127]
	;; [unrolled: 5-line block ×6, first 2 shown]
	v_add_f64 v[128:129], v[68:69], v[128:129]
	v_add_f64 v[126:127], v[66:67], v[126:127]
	v_cvt_f32_f64_e32 v219, v[219:220]
	v_cvt_f32_f64_e32 v221, v[221:222]
	v_cvt_f32_f64_e32 v126, v[126:127]
	v_cvt_f32_f64_e32 v127, v[128:129]
	v_add_f64 v[128:129], v[98:99], v[122:123]
	v_min3_f32 v212, v221, v219, v212
	v_min3_f32 v211, v126, v127, v211
	v_add_f64 v[126:127], v[100:101], v[124:125]
	v_cvt_f32_f64_e32 v128, v[128:129]
	v_cvt_f32_f64_e32 v126, v[126:127]
	v_min3_f32 v210, v128, v126, v210
	v_add_f64 v[126:127], v[96:97], v[124:125]
	v_add_f64 v[128:129], v[94:95], v[122:123]
	v_cvt_f32_f64_e32 v126, v[126:127]
	v_cvt_f32_f64_e32 v128, v[128:129]
	v_min3_f32 v209, v128, v126, v209
	v_add_f64 v[126:127], v[92:93], v[124:125]
	;; [unrolled: 5-line block ×6, first 2 shown]
	v_add_f64 v[128:129], v[70:71], v[122:123]
	v_add_f64 v[124:125], v[68:69], v[124:125]
	v_add_f64 v[122:123], v[66:67], v[122:123]
	v_cvt_f32_f64_e32 v126, v[126:127]
	v_cvt_f32_f64_e32 v128, v[128:129]
	;; [unrolled: 1-line block ×4, first 2 shown]
	v_add_f64 v[124:125], v[98:99], v[118:119]
	v_min3_f32 v204, v128, v126, v204
	v_min3_f32 v203, v122, v123, v203
	v_add_f64 v[122:123], v[100:101], v[120:121]
	v_cvt_f32_f64_e32 v124, v[124:125]
	v_add_f64 v[125:126], v[94:95], v[118:119]
	v_cvt_f32_f64_e32 v122, v[122:123]
	v_cvt_f32_f64_e32 v125, v[125:126]
	v_min3_f32 v122, v124, v122, v202
	v_add_f64 v[123:124], v[96:97], v[120:121]
	v_cvt_f32_f64_e32 v123, v[123:124]
	v_min3_f32 v201, v125, v123, v201
	v_add_f64 v[123:124], v[92:93], v[120:121]
	v_add_f64 v[125:126], v[90:91], v[118:119]
	v_cvt_f32_f64_e32 v123, v[123:124]
	v_cvt_f32_f64_e32 v125, v[125:126]
	v_min3_f32 v200, v125, v123, v200
	v_add_f64 v[123:124], v[88:89], v[120:121]
	v_add_f64 v[125:126], v[86:87], v[118:119]
	v_cvt_f32_f64_e32 v123, v[123:124]
	;; [unrolled: 5-line block ×4, first 2 shown]
	v_cvt_f32_f64_e32 v125, v[125:126]
	v_min3_f32 v197, v125, v123, v197
	v_add_f64 v[123:124], v[72:73], v[120:121]
	v_add_f64 v[125:126], v[70:71], v[118:119]
	v_add_f64 v[120:121], v[68:69], v[120:121]
	v_add_f64 v[118:119], v[66:67], v[118:119]
	v_cvt_f32_f64_e32 v123, v[123:124]
	v_cvt_f32_f64_e32 v125, v[125:126]
	;; [unrolled: 1-line block ×4, first 2 shown]
	v_add_f64 v[120:121], v[98:99], v[114:115]
	v_min3_f32 v196, v125, v123, v196
	v_add_f64 v[123:124], v[82:83], v[114:115]
	v_add_f64 v[125:126], v[70:71], v[114:115]
	v_min3_f32 v195, v118, v119, v195
	v_add_f64 v[118:119], v[100:101], v[116:117]
	v_cvt_f32_f64_e32 v120, v[120:121]
	v_cvt_f32_f64_e32 v118, v[118:119]
	v_min3_f32 v194, v120, v118, v194
	v_add_f64 v[118:119], v[96:97], v[116:117]
	v_add_f64 v[120:121], v[94:95], v[114:115]
	v_cvt_f32_f64_e32 v118, v[118:119]
	v_cvt_f32_f64_e32 v120, v[120:121]
	v_min3_f32 v193, v120, v118, v193
	v_add_f64 v[118:119], v[92:93], v[116:117]
	;; [unrolled: 5-line block ×3, first 2 shown]
	v_add_f64 v[120:121], v[86:87], v[114:115]
	v_cvt_f32_f64_e32 v118, v[118:119]
	v_cvt_f32_f64_e32 v120, v[120:121]
	;; [unrolled: 1-line block ×3, first 2 shown]
	v_add_f64 v[123:124], v[78:79], v[114:115]
	v_add_f64 v[114:115], v[66:67], v[114:115]
	v_min3_f32 v118, v120, v118, v191
	v_add_f64 v[119:120], v[84:85], v[116:117]
	v_cvt_f32_f64_e32 v123, v[123:124]
	v_cvt_f32_f64_e32 v114, v[114:115]
	;; [unrolled: 1-line block ×3, first 2 shown]
	v_min3_f32 v119, v121, v119, v190
	v_add_f64 v[120:121], v[80:81], v[116:117]
	v_cvt_f32_f64_e32 v120, v[120:121]
	v_cvt_f32_f64_e32 v121, v[125:126]
	v_add_f64 v[125:126], v[90:91], v[110:111]
	v_min3_f32 v120, v123, v120, v189
	v_add_f64 v[123:124], v[72:73], v[116:117]
	v_add_f64 v[116:117], v[68:69], v[116:117]
	v_cvt_f32_f64_e32 v123, v[123:124]
	v_cvt_f32_f64_e32 v115, v[116:117]
	v_min3_f32 v121, v121, v123, v188
	v_min3_f32 v114, v114, v115, v187
	v_add_f64 v[115:116], v[100:101], v[112:113]
	v_add_f64 v[123:124], v[98:99], v[110:111]
	v_cvt_f32_f64_e32 v115, v[115:116]
	v_cvt_f32_f64_e32 v117, v[123:124]
	v_add_f64 v[123:124], v[94:95], v[110:111]
	v_min3_f32 v115, v117, v115, v186
	v_add_f64 v[116:117], v[96:97], v[112:113]
	v_cvt_f32_f64_e32 v123, v[123:124]
	v_cvt_f32_f64_e32 v116, v[116:117]
	;; [unrolled: 1-line block ×3, first 2 shown]
	v_add_f64 v[125:126], v[86:87], v[110:111]
	v_min3_f32 v116, v123, v116, v185
	v_add_f64 v[123:124], v[92:93], v[112:113]
	v_cvt_f32_f64_e32 v125, v[125:126]
	v_add_f64 v[126:127], v[82:83], v[110:111]
	v_cvt_f32_f64_e32 v123, v[123:124]
	v_cvt_f32_f64_e32 v126, v[126:127]
	v_add_f64 v[127:128], v[78:79], v[110:111]
	v_min3_f32 v117, v117, v123, v184
	v_add_f64 v[123:124], v[88:89], v[112:113]
	v_cvt_f32_f64_e32 v127, v[127:128]
	v_cvt_f32_f64_e32 v123, v[123:124]
	v_min3_f32 v123, v125, v123, v183
	v_add_f64 v[124:125], v[84:85], v[112:113]
	v_cvt_f32_f64_e32 v124, v[124:125]
	v_min3_f32 v124, v126, v124, v182
	v_add_f64 v[125:126], v[80:81], v[112:113]
	;; [unrolled: 3-line block ×3, first 2 shown]
	v_add_f64 v[127:128], v[70:71], v[110:111]
	v_add_f64 v[112:113], v[68:69], v[112:113]
	;; [unrolled: 1-line block ×3, first 2 shown]
	v_cvt_f32_f64_e32 v125, v[125:126]
	v_cvt_f32_f64_e32 v127, v[127:128]
	;; [unrolled: 1-line block ×4, first 2 shown]
	v_min3_f32 v125, v127, v125, v180
	v_add_f64 v[126:127], v[98:99], v[106:107]
	v_min3_f32 v112, v110, v111, v179
	v_add_f64 v[110:111], v[100:101], v[108:109]
	v_cvt_f32_f64_e32 v113, v[126:127]
	v_add_f64 v[126:127], v[94:95], v[106:107]
	v_cvt_f32_f64_e32 v110, v[110:111]
	v_cvt_f32_f64_e32 v126, v[126:127]
	v_add_f64 v[127:128], v[90:91], v[106:107]
	v_min3_f32 v113, v113, v110, v178
	v_add_f64 v[110:111], v[96:97], v[108:109]
	v_cvt_f32_f64_e32 v127, v[127:128]
	v_add_f64 v[128:129], v[86:87], v[106:107]
	v_cvt_f32_f64_e32 v110, v[110:111]
	v_cvt_f32_f64_e32 v128, v[128:129]
	v_min3_f32 v126, v126, v110, v177
	v_add_f64 v[110:111], v[92:93], v[108:109]
	v_cvt_f32_f64_e32 v110, v[110:111]
	v_min3_f32 v127, v127, v110, v170
	v_add_f64 v[110:111], v[88:89], v[108:109]
	v_cvt_f32_f64_e32 v110, v[110:111]
	v_min3_f32 v128, v128, v110, v169
	v_add_f64 v[110:111], v[84:85], v[108:109]
	v_add_f64 v[169:170], v[82:83], v[106:107]
	v_cvt_f32_f64_e32 v110, v[110:111]
	v_cvt_f32_f64_e32 v129, v[169:170]
	v_min3_f32 v129, v129, v110, v168
	v_add_f64 v[110:111], v[80:81], v[108:109]
	v_add_f64 v[168:169], v[78:79], v[106:107]
	v_cvt_f32_f64_e32 v110, v[110:111]
	v_cvt_f32_f64_e32 v168, v[168:169]
	v_min3_f32 v167, v168, v110, v167
	v_add_f64 v[110:111], v[72:73], v[108:109]
	v_add_f64 v[168:169], v[70:71], v[106:107]
	;; [unrolled: 1-line block ×4, first 2 shown]
	v_cvt_f32_f64_e32 v110, v[110:111]
	v_cvt_f32_f64_e32 v168, v[168:169]
	;; [unrolled: 1-line block ×4, first 2 shown]
	v_add_f64 v[108:109], v[98:99], v[102:103]
	v_add_f64 v[98:99], v[98:99], v[74:75]
	v_min3_f32 v166, v168, v110, v166
	v_min3_f32 v165, v106, v107, v165
	v_add_f64 v[106:107], v[100:101], v[104:105]
	v_cvt_f32_f64_e32 v108, v[108:109]
	v_add_f64 v[100:101], v[100:101], v[76:77]
	v_cvt_f32_f64_e32 v98, v[98:99]
	v_cvt_f32_f64_e32 v106, v[106:107]
	;; [unrolled: 1-line block ×3, first 2 shown]
	v_min3_f32 v164, v108, v106, v164
	v_add_f64 v[106:107], v[96:97], v[104:105]
	v_add_f64 v[108:109], v[94:95], v[102:103]
	;; [unrolled: 1-line block ×4, first 2 shown]
	v_min3_f32 v98, v98, v99, v156
	v_add_f64 v[99:100], v[10:11], v[46:47]
	v_cvt_f32_f64_e32 v106, v[106:107]
	v_cvt_f32_f64_e32 v108, v[108:109]
	v_add_f64 v[109:110], v[90:91], v[102:103]
	v_add_f64 v[90:91], v[90:91], v[74:75]
	v_cvt_f32_f64_e32 v94, v[94:95]
	v_cvt_f32_f64_e32 v95, v[96:97]
	v_min3_f32 v106, v108, v106, v163
	v_add_f64 v[107:108], v[92:93], v[104:105]
	v_cvt_f32_f64_e32 v109, v[109:110]
	v_add_f64 v[110:111], v[86:87], v[102:103]
	v_add_f64 v[86:87], v[86:87], v[74:75]
	;; [unrolled: 1-line block ×3, first 2 shown]
	v_cvt_f32_f64_e32 v90, v[90:91]
	v_min3_f32 v94, v94, v95, v155
	v_add_f64 v[95:96], v[6:7], v[50:51]
	v_cvt_f32_f64_e32 v107, v[107:108]
	v_cvt_f32_f64_e32 v110, v[110:111]
	;; [unrolled: 1-line block ×4, first 2 shown]
	v_min3_f32 v107, v109, v107, v162
	v_add_f64 v[108:109], v[88:89], v[104:105]
	v_add_f64 v[88:89], v[88:89], v[76:77]
	v_min3_f32 v90, v90, v91, v154
	v_add_f64 v[91:92], v[26:27], v[50:51]
	v_cvt_f32_f64_e32 v108, v[108:109]
	v_cvt_f32_f64_e32 v87, v[88:89]
	v_min3_f32 v108, v110, v108, v161
	v_add_f64 v[109:110], v[84:85], v[104:105]
	v_add_f64 v[161:162], v[82:83], v[102:103]
	;; [unrolled: 1-line block ×4, first 2 shown]
	v_min3_f32 v86, v86, v87, v153
	v_add_f64 v[87:88], v[14:15], v[54:55]
	v_cvt_f32_f64_e32 v109, v[109:110]
	v_cvt_f32_f64_e32 v111, v[161:162]
	;; [unrolled: 1-line block ×4, first 2 shown]
	v_min3_f32 v109, v111, v109, v160
	v_add_f64 v[110:111], v[80:81], v[104:105]
	v_add_f64 v[160:161], v[78:79], v[102:103]
	;; [unrolled: 1-line block ×4, first 2 shown]
	v_min3_f32 v82, v82, v83, v152
	v_add_f64 v[83:84], v[10:11], v[58:59]
	v_cvt_f32_f64_e32 v110, v[110:111]
	v_cvt_f32_f64_e32 v160, v[160:161]
	v_add_f64 v[161:162], v[70:71], v[102:103]
	v_add_f64 v[102:103], v[66:67], v[102:103]
	;; [unrolled: 1-line block ×5, first 2 shown]
	v_cvt_f32_f64_e32 v78, v[78:79]
	v_cvt_f32_f64_e32 v79, v[80:81]
	v_min3_f32 v110, v160, v110, v159
	v_add_f64 v[159:160], v[72:73], v[104:105]
	v_add_f64 v[104:105], v[68:69], v[104:105]
	;; [unrolled: 1-line block ×4, first 2 shown]
	v_cvt_f32_f64_e32 v66, v[66:67]
	v_cvt_f32_f64_e32 v70, v[70:71]
	v_add_f64 v[76:77], v[14:15], v[62:63]
	v_min3_f32 v78, v78, v79, v151
	v_add_f64 v[79:80], v[26:27], v[58:59]
	v_cvt_f32_f64_e32 v102, v[102:103]
	v_cvt_f32_f64_e32 v111, v[161:162]
	;; [unrolled: 1-line block ×6, first 2 shown]
	v_add_f64 v[68:69], v[34:35], v[62:63]
	v_min3_f32 v111, v111, v159, v158
	v_min3_f32 v102, v102, v103, v157
	;; [unrolled: 1-line block ×3, first 2 shown]
	v_add_f64 v[66:67], v[36:37], v[64:65]
	v_cvt_f32_f64_e32 v68, v[68:69]
	v_min3_f32 v71, v70, v71, v150
	v_add_f64 v[69:70], v[30:31], v[62:63]
	v_cvt_f32_f64_e32 v66, v[66:67]
	v_cvt_f32_f64_e32 v69, v[69:70]
	;; [unrolled: 1-line block ×3, first 2 shown]
	v_add_f64 v[74:75], v[18:19], v[62:63]
	v_min3_f32 v66, v68, v66, v218
	v_add_f64 v[67:68], v[32:33], v[64:65]
	v_cvt_f32_f64_e32 v72, v[74:75]
	v_add_f64 v[74:75], v[16:17], v[64:65]
	v_cvt_f32_f64_e32 v67, v[67:68]
	v_min3_f32 v67, v69, v67, v217
	v_add_f64 v[68:69], v[28:29], v[64:65]
	v_cvt_f32_f64_e32 v68, v[68:69]
	v_min3_f32 v68, v70, v68, v216
	v_add_f64 v[69:70], v[20:21], v[64:65]
	v_cvt_f32_f64_e32 v69, v[69:70]
	v_cvt_f32_f64_e32 v70, v[76:77]
	v_add_f64 v[76:77], v[10:11], v[62:63]
	v_min3_f32 v69, v72, v69, v215
	v_cvt_f32_f64_e32 v72, v[74:75]
	v_add_f64 v[74:75], v[12:13], v[64:65]
	v_min3_f32 v70, v70, v72, v214
	v_cvt_f32_f64_e32 v72, v[76:77]
	v_cvt_f32_f64_e32 v74, v[74:75]
	v_add_f64 v[76:77], v[6:7], v[62:63]
	v_add_f64 v[62:63], v[2:3], v[62:63]
	v_min3_f32 v72, v72, v74, v213
	v_add_f64 v[74:75], v[8:9], v[64:65]
	v_add_f64 v[64:65], v[4:5], v[64:65]
	v_cvt_f32_f64_e32 v76, v[76:77]
	v_cvt_f32_f64_e32 v62, v[62:63]
	;; [unrolled: 1-line block ×4, first 2 shown]
	v_min3_f32 v74, v76, v74, v212
	v_min3_f32 v62, v62, v63, v211
	v_add_f64 v[63:64], v[36:37], v[60:61]
	v_add_f64 v[75:76], v[34:35], v[58:59]
	v_cvt_f32_f64_e32 v63, v[63:64]
	v_cvt_f32_f64_e32 v65, v[75:76]
	v_add_f64 v[75:76], v[30:31], v[58:59]
	v_min3_f32 v63, v65, v63, v210
	v_add_f64 v[64:65], v[32:33], v[60:61]
	v_cvt_f32_f64_e32 v75, v[75:76]
	v_cvt_f32_f64_e32 v64, v[64:65]
	;; [unrolled: 1-line block ×3, first 2 shown]
	v_add_f64 v[79:80], v[18:19], v[58:59]
	v_min3_f32 v64, v75, v64, v209
	v_add_f64 v[75:76], v[28:29], v[60:61]
	v_cvt_f32_f64_e32 v77, v[79:80]
	v_add_f64 v[79:80], v[14:15], v[58:59]
	v_cvt_f32_f64_e32 v75, v[75:76]
	v_cvt_f32_f64_e32 v79, v[79:80]
	v_min3_f32 v65, v65, v75, v208
	v_add_f64 v[75:76], v[20:21], v[60:61]
	v_cvt_f32_f64_e32 v75, v[75:76]
	v_min3_f32 v75, v77, v75, v207
	v_add_f64 v[76:77], v[16:17], v[60:61]
	v_cvt_f32_f64_e32 v76, v[76:77]
	v_cvt_f32_f64_e32 v77, v[83:84]
	v_add_f64 v[83:84], v[6:7], v[58:59]
	v_add_f64 v[58:59], v[2:3], v[58:59]
	v_min3_f32 v76, v79, v76, v206
	v_add_f64 v[79:80], v[12:13], v[60:61]
	v_cvt_f32_f64_e32 v81, v[83:84]
	v_cvt_f32_f64_e32 v58, v[58:59]
	v_add_f64 v[83:84], v[26:27], v[54:55]
	v_cvt_f32_f64_e32 v79, v[79:80]
	v_min3_f32 v77, v77, v79, v205
	v_add_f64 v[79:80], v[8:9], v[60:61]
	v_add_f64 v[60:61], v[4:5], v[60:61]
	v_cvt_f32_f64_e32 v79, v[79:80]
	v_cvt_f32_f64_e32 v59, v[60:61]
	v_min3_f32 v79, v81, v79, v204
	v_min3_f32 v58, v58, v59, v203
	v_add_f64 v[59:60], v[36:37], v[56:57]
	v_add_f64 v[80:81], v[34:35], v[54:55]
	v_cvt_f32_f64_e32 v59, v[59:60]
	v_cvt_f32_f64_e32 v61, v[80:81]
	v_add_f64 v[80:81], v[30:31], v[54:55]
	v_min3_f32 v59, v61, v59, v122
	v_add_f64 v[60:61], v[32:33], v[56:57]
	v_cvt_f32_f64_e32 v80, v[80:81]
	v_cvt_f32_f64_e32 v60, v[60:61]
	;; [unrolled: 1-line block ×3, first 2 shown]
	v_add_f64 v[83:84], v[18:19], v[54:55]
	v_min3_f32 v60, v80, v60, v201
	v_add_f64 v[80:81], v[28:29], v[56:57]
	v_cvt_f32_f64_e32 v83, v[83:84]
	v_cvt_f32_f64_e32 v80, v[80:81]
	v_min3_f32 v61, v61, v80, v200
	v_add_f64 v[80:81], v[20:21], v[56:57]
	v_cvt_f32_f64_e32 v80, v[80:81]
	v_cvt_f32_f64_e32 v81, v[87:88]
	v_add_f64 v[87:88], v[10:11], v[54:55]
	v_min3_f32 v80, v83, v80, v199
	v_add_f64 v[83:84], v[16:17], v[56:57]
	v_cvt_f32_f64_e32 v85, v[87:88]
	v_add_f64 v[87:88], v[6:7], v[54:55]
	v_add_f64 v[54:55], v[2:3], v[54:55]
	v_cvt_f32_f64_e32 v83, v[83:84]
	v_cvt_f32_f64_e32 v87, v[87:88]
	;; [unrolled: 1-line block ×3, first 2 shown]
	v_min3_f32 v81, v81, v83, v198
	v_add_f64 v[83:84], v[12:13], v[56:57]
	v_cvt_f32_f64_e32 v83, v[83:84]
	v_min3_f32 v83, v85, v83, v197
	v_add_f64 v[84:85], v[8:9], v[56:57]
	v_add_f64 v[56:57], v[4:5], v[56:57]
	v_cvt_f32_f64_e32 v84, v[84:85]
	v_cvt_f32_f64_e32 v55, v[56:57]
	v_min3_f32 v84, v87, v84, v196
	v_min3_f32 v54, v54, v55, v195
	v_add_f64 v[55:56], v[36:37], v[52:53]
	v_add_f64 v[87:88], v[34:35], v[50:51]
	v_cvt_f32_f64_e32 v55, v[55:56]
	v_cvt_f32_f64_e32 v57, v[87:88]
	v_add_f64 v[87:88], v[30:31], v[50:51]
	v_min3_f32 v55, v57, v55, v194
	v_add_f64 v[56:57], v[32:33], v[52:53]
	v_cvt_f32_f64_e32 v85, v[87:88]
	v_add_f64 v[87:88], v[28:29], v[52:53]
	v_cvt_f32_f64_e32 v56, v[56:57]
	v_cvt_f32_f64_e32 v57, v[91:92]
	v_add_f64 v[91:92], v[18:19], v[50:51]
	v_min3_f32 v56, v85, v56, v193
	v_cvt_f32_f64_e32 v85, v[87:88]
	v_add_f64 v[87:88], v[20:21], v[52:53]
	v_min3_f32 v57, v57, v85, v192
	v_cvt_f32_f64_e32 v85, v[91:92]
	v_cvt_f32_f64_e32 v87, v[87:88]
	v_add_f64 v[91:92], v[14:15], v[50:51]
	v_min3_f32 v85, v85, v87, v118
	v_add_f64 v[87:88], v[16:17], v[52:53]
	v_cvt_f32_f64_e32 v89, v[91:92]
	v_add_f64 v[91:92], v[10:11], v[50:51]
	v_add_f64 v[50:51], v[2:3], v[50:51]
	v_cvt_f32_f64_e32 v87, v[87:88]
	v_cvt_f32_f64_e32 v91, v[91:92]
	;; [unrolled: 1-line block ×3, first 2 shown]
	v_min3_f32 v87, v89, v87, v119
	v_add_f64 v[88:89], v[12:13], v[52:53]
	v_cvt_f32_f64_e32 v88, v[88:89]
	v_cvt_f32_f64_e32 v89, v[95:96]
	v_add_f64 v[95:96], v[26:27], v[46:47]
	v_min3_f32 v88, v91, v88, v120
	v_add_f64 v[91:92], v[8:9], v[52:53]
	v_add_f64 v[52:53], v[4:5], v[52:53]
	v_cvt_f32_f64_e32 v91, v[91:92]
	v_cvt_f32_f64_e32 v51, v[52:53]
	v_min3_f32 v89, v89, v91, v121
	v_min3_f32 v50, v50, v51, v114
	v_add_f64 v[51:52], v[36:37], v[48:49]
	v_add_f64 v[91:92], v[34:35], v[46:47]
	v_cvt_f32_f64_e32 v51, v[51:52]
	v_cvt_f32_f64_e32 v53, v[91:92]
	v_add_f64 v[91:92], v[30:31], v[46:47]
	v_min3_f32 v51, v53, v51, v115
	v_add_f64 v[52:53], v[32:33], v[48:49]
	v_cvt_f32_f64_e32 v91, v[91:92]
	v_cvt_f32_f64_e32 v52, v[52:53]
	;; [unrolled: 1-line block ×3, first 2 shown]
	v_add_f64 v[95:96], v[18:19], v[46:47]
	v_min3_f32 v52, v91, v52, v116
	v_add_f64 v[91:92], v[28:29], v[48:49]
	v_cvt_f32_f64_e32 v93, v[95:96]
	v_add_f64 v[95:96], v[14:15], v[46:47]
	v_cvt_f32_f64_e32 v91, v[91:92]
	v_cvt_f32_f64_e32 v95, v[95:96]
	v_min3_f32 v53, v53, v91, v117
	v_add_f64 v[91:92], v[20:21], v[48:49]
	v_cvt_f32_f64_e32 v91, v[91:92]
	v_min3_f32 v91, v93, v91, v123
	v_add_f64 v[92:93], v[16:17], v[48:49]
	v_cvt_f32_f64_e32 v92, v[92:93]
	v_cvt_f32_f64_e32 v93, v[99:100]
	v_add_f64 v[99:100], v[6:7], v[46:47]
	v_add_f64 v[46:47], v[2:3], v[46:47]
	v_min3_f32 v92, v95, v92, v124
	v_add_f64 v[95:96], v[12:13], v[48:49]
	v_cvt_f32_f64_e32 v46, v[46:47]
	v_cvt_f32_f64_e32 v95, v[95:96]
	v_min3_f32 v149, v93, v95, v181
	v_add_f64 v[95:96], v[8:9], v[48:49]
	v_add_f64 v[48:49], v[4:5], v[48:49]
	v_cvt_f32_f64_e32 v93, v[99:100]
	v_add_f64 v[99:100], v[26:27], v[42:43]
	v_cvt_f32_f64_e32 v95, v[95:96]
	v_cvt_f32_f64_e32 v47, v[48:49]
	v_min3_f32 v150, v93, v95, v125
	v_min3_f32 v46, v46, v47, v112
	v_add_f64 v[47:48], v[36:37], v[44:45]
	v_add_f64 v[95:96], v[34:35], v[42:43]
	v_cvt_f32_f64_e32 v47, v[47:48]
	v_cvt_f32_f64_e32 v49, v[95:96]
	v_add_f64 v[95:96], v[30:31], v[42:43]
	v_min3_f32 v47, v49, v47, v113
	v_add_f64 v[48:49], v[32:33], v[44:45]
	v_cvt_f32_f64_e32 v93, v[95:96]
	v_add_f64 v[95:96], v[28:29], v[44:45]
	v_cvt_f32_f64_e32 v48, v[48:49]
	v_cvt_f32_f64_e32 v49, v[99:100]
	v_add_f64 v[99:100], v[18:19], v[42:43]
	v_min3_f32 v48, v93, v48, v126
	v_cvt_f32_f64_e32 v93, v[95:96]
	v_add_f64 v[95:96], v[20:21], v[44:45]
	v_min3_f32 v49, v49, v93, v127
	v_cvt_f32_f64_e32 v93, v[99:100]
	v_cvt_f32_f64_e32 v95, v[95:96]
	v_add_f64 v[99:100], v[14:15], v[42:43]
	v_min3_f32 v151, v93, v95, v128
	v_add_f64 v[95:96], v[16:17], v[44:45]
	v_cvt_f32_f64_e32 v93, v[99:100]
	v_add_f64 v[99:100], v[10:11], v[42:43]
	v_cvt_f32_f64_e32 v95, v[95:96]
	v_min3_f32 v152, v93, v95, v129
	v_add_f64 v[95:96], v[12:13], v[44:45]
	v_cvt_f32_f64_e32 v93, v[99:100]
	v_add_f64 v[99:100], v[6:7], v[42:43]
	v_add_f64 v[42:43], v[2:3], v[42:43]
	v_cvt_f32_f64_e32 v95, v[95:96]
	v_cvt_f32_f64_e32 v42, v[42:43]
	v_min3_f32 v153, v93, v95, v167
	v_add_f64 v[95:96], v[8:9], v[44:45]
	v_add_f64 v[44:45], v[4:5], v[44:45]
	v_cvt_f32_f64_e32 v93, v[99:100]
	v_add_f64 v[99:100], v[26:27], v[38:39]
	v_add_f64 v[26:27], v[26:27], v[22:23]
	v_cvt_f32_f64_e32 v95, v[95:96]
	v_cvt_f32_f64_e32 v43, v[44:45]
	;; [unrolled: 1-line block ×3, first 2 shown]
	v_min3_f32 v154, v93, v95, v166
	v_min3_f32 v42, v42, v43, v165
	v_add_f64 v[43:44], v[36:37], v[40:41]
	v_add_f64 v[95:96], v[34:35], v[38:39]
	;; [unrolled: 1-line block ×4, first 2 shown]
	v_cvt_f32_f64_e32 v43, v[43:44]
	v_cvt_f32_f64_e32 v45, v[95:96]
	v_add_f64 v[95:96], v[30:31], v[38:39]
	v_add_f64 v[30:31], v[30:31], v[22:23]
	v_cvt_f32_f64_e32 v34, v[34:35]
	v_cvt_f32_f64_e32 v35, v[36:37]
	v_min3_f32 v43, v45, v43, v164
	v_add_f64 v[44:45], v[32:33], v[40:41]
	v_cvt_f32_f64_e32 v93, v[95:96]
	v_add_f64 v[95:96], v[28:29], v[40:41]
	v_add_f64 v[32:33], v[32:33], v[24:25]
	;; [unrolled: 1-line block ×3, first 2 shown]
	v_cvt_f32_f64_e32 v30, v[30:31]
	v_min3_f32 v190, v34, v35, v98
	v_cvt_f32_f64_e32 v44, v[44:45]
	v_cvt_f32_f64_e32 v45, v[99:100]
	v_add_f64 v[99:100], v[18:19], v[38:39]
	v_add_f64 v[18:19], v[18:19], v[22:23]
	v_cvt_f32_f64_e32 v31, v[32:33]
	v_cvt_f32_f64_e32 v27, v[28:29]
	v_min3_f32 v44, v93, v44, v106
	v_cvt_f32_f64_e32 v93, v[95:96]
	v_add_f64 v[95:96], v[20:21], v[40:41]
	v_add_f64 v[20:21], v[20:21], v[24:25]
	v_cvt_f32_f64_e32 v18, v[18:19]
	v_min3_f32 v191, v30, v31, v94
	v_min3_f32 v192, v26, v27, v90
	v_min3_f32 v45, v45, v93, v107
	v_cvt_f32_f64_e32 v93, v[99:100]
	v_cvt_f32_f64_e32 v95, v[95:96]
	v_add_f64 v[99:100], v[14:15], v[38:39]
	v_add_f64 v[14:15], v[14:15], v[22:23]
	v_cvt_f32_f64_e32 v19, v[20:21]
	v_min3_f32 v155, v93, v95, v108
	v_add_f64 v[95:96], v[16:17], v[40:41]
	v_cvt_f32_f64_e32 v93, v[99:100]
	v_add_f64 v[99:100], v[10:11], v[38:39]
	v_add_f64 v[16:17], v[16:17], v[24:25]
	;; [unrolled: 1-line block ×3, first 2 shown]
	v_cvt_f32_f64_e32 v14, v[14:15]
	v_min3_f32 v193, v18, v19, v86
	v_cvt_f32_f64_e32 v95, v[95:96]
	v_cvt_f32_f64_e32 v15, v[16:17]
	;; [unrolled: 1-line block ×3, first 2 shown]
	v_min3_f32 v156, v93, v95, v109
	v_add_f64 v[95:96], v[12:13], v[40:41]
	v_cvt_f32_f64_e32 v93, v[99:100]
	v_add_f64 v[99:100], v[6:7], v[38:39]
	v_add_f64 v[38:39], v[2:3], v[38:39]
	;; [unrolled: 1-line block ×5, first 2 shown]
	v_min3_f32 v194, v14, v15, v82
	v_cvt_f32_f64_e32 v95, v[95:96]
	v_cvt_f32_f64_e32 v38, v[38:39]
	;; [unrolled: 1-line block ×5, first 2 shown]
	v_min3_f32 v157, v93, v95, v110
	v_add_f64 v[95:96], v[8:9], v[40:41]
	v_add_f64 v[40:41], v[4:5], v[40:41]
	;; [unrolled: 1-line block ×4, first 2 shown]
	v_cvt_f32_f64_e32 v93, v[99:100]
	v_min3_f32 v195, v10, v11, v78
	v_cvt_f32_f64_e32 v95, v[95:96]
	v_cvt_f32_f64_e32 v39, v[40:41]
	;; [unrolled: 1-line block ×4, first 2 shown]
	v_min3_f32 v170, v93, v95, v111
	v_min3_f32 v189, v38, v39, v102
	;; [unrolled: 1-line block ×4, first 2 shown]
	ds_read_b128 v[6:9], v172 offset:256
	ds_read_b128 v[10:13], v172 offset:512
	;; [unrolled: 1-line block ×14, first 2 shown]
	ds_read_b128 v[97:100], v146
	ds_read_b128 v[34:37], v146 offset:16
	ds_read_b128 v[185:188], v172
	ds_read_b128 v[2:5], v172 offset:16
	s_waitcnt lgkmcnt(1)
	v_add_f64 v[101:102], v[187:188], v[99:100]
	v_add_f64 v[103:104], v[185:186], v[97:98]
	v_cvt_f32_f64_e32 v73, v[101:102]
	v_cvt_f32_f64_e32 v71, v[103:104]
	v_add_f64 v[101:102], v[8:9], v[99:100]
	v_add_f64 v[103:104], v[6:7], v[97:98]
	v_min3_f32 v129, v71, v73, v66
	v_cvt_f32_f64_e32 v71, v[101:102]
	v_cvt_f32_f64_e32 v66, v[103:104]
	v_add_f64 v[101:102], v[10:11], v[97:98]
	v_min3_f32 v128, v66, v71, v67
	v_add_f64 v[66:67], v[12:13], v[99:100]
	v_cvt_f32_f64_e32 v71, v[101:102]
	v_add_f64 v[101:102], v[14:15], v[97:98]
	v_cvt_f32_f64_e32 v66, v[66:67]
	v_min3_f32 v127, v71, v66, v68
	v_add_f64 v[66:67], v[16:17], v[99:100]
	v_cvt_f32_f64_e32 v68, v[101:102]
	v_cvt_f32_f64_e32 v66, v[66:67]
	v_min3_f32 v126, v68, v66, v69
	v_add_f64 v[66:67], v[20:21], v[99:100]
	v_add_f64 v[68:69], v[18:19], v[97:98]
	v_cvt_f32_f64_e32 v66, v[66:67]
	v_cvt_f32_f64_e32 v68, v[68:69]
	v_min3_f32 v125, v68, v66, v70
	v_add_f64 v[66:67], v[24:25], v[99:100]
	;; [unrolled: 5-line block ×11, first 2 shown]
	v_add_f64 v[64:65], v[26:27], v[38:39]
	v_add_f64 v[40:41], v[32:33], v[40:41]
	;; [unrolled: 1-line block ×3, first 2 shown]
	v_cvt_f32_f64_e32 v62, v[62:63]
	v_cvt_f32_f64_e32 v64, v[64:65]
	;; [unrolled: 1-line block ×4, first 2 shown]
	v_add_f64 v[40:41], v[185:186], v[93:94]
	v_min3_f32 v115, v64, v62, v79
	v_min3_f32 v114, v38, v39, v58
	v_add_f64 v[38:39], v[187:188], v[95:96]
	v_cvt_f32_f64_e32 v40, v[40:41]
	v_cvt_f32_f64_e32 v38, v[38:39]
	v_min3_f32 v113, v40, v38, v59
	v_add_f64 v[38:39], v[8:9], v[95:96]
	v_add_f64 v[40:41], v[6:7], v[93:94]
	v_cvt_f32_f64_e32 v38, v[38:39]
	v_cvt_f32_f64_e32 v40, v[40:41]
	v_min3_f32 v112, v40, v38, v60
	v_add_f64 v[38:39], v[12:13], v[95:96]
	;; [unrolled: 5-line block ×23, first 2 shown]
	v_add_f64 v[40:41], v[30:31], v[162:163]
	s_waitcnt lgkmcnt(0)
	v_add_f64 v[149:150], v[4:5], v[36:37]
	v_cvt_f32_f64_e32 v38, v[38:39]
	v_cvt_f32_f64_e32 v40, v[40:41]
	;; [unrolled: 1-line block ×3, first 2 shown]
	v_min3_f32 v90, v40, v38, v46
	v_add_f64 v[38:39], v[187:188], v[168:169]
	v_add_f64 v[40:41], v[185:186], v[166:167]
	v_cvt_f32_f64_e32 v38, v[38:39]
	v_cvt_f32_f64_e32 v40, v[40:41]
	v_min3_f32 v89, v40, v38, v47
	v_add_f64 v[38:39], v[8:9], v[168:169]
	v_add_f64 v[40:41], v[6:7], v[166:167]
	v_cvt_f32_f64_e32 v38, v[38:39]
	v_cvt_f32_f64_e32 v40, v[40:41]
	v_min3_f32 v88, v40, v38, v48
	v_add_f64 v[38:39], v[12:13], v[168:169]
	v_add_f64 v[40:41], v[10:11], v[166:167]
	v_cvt_f32_f64_e32 v38, v[38:39]
	v_cvt_f32_f64_e32 v40, v[40:41]
	v_min3_f32 v87, v40, v38, v49
	v_add_f64 v[38:39], v[16:17], v[168:169]
	v_add_f64 v[40:41], v[14:15], v[166:167]
	v_cvt_f32_f64_e32 v38, v[38:39]
	v_cvt_f32_f64_e32 v40, v[40:41]
	v_min3_f32 v86, v40, v38, v151
	v_add_f64 v[38:39], v[20:21], v[168:169]
	v_add_f64 v[40:41], v[18:19], v[166:167]
	v_cvt_f32_f64_e32 v38, v[38:39]
	v_cvt_f32_f64_e32 v40, v[40:41]
	v_min3_f32 v85, v40, v38, v152
	v_add_f64 v[38:39], v[24:25], v[168:169]
	v_add_f64 v[40:41], v[22:23], v[166:167]
	;; [unrolled: 1-line block ×3, first 2 shown]
	v_cvt_f32_f64_e32 v38, v[38:39]
	v_cvt_f32_f64_e32 v40, v[40:41]
	;; [unrolled: 1-line block ×3, first 2 shown]
	v_min3_f32 v84, v40, v38, v153
	v_add_f64 v[38:39], v[28:29], v[168:169]
	v_add_f64 v[40:41], v[26:27], v[166:167]
	v_min3_f32 v218, v151, v149, v129
	v_cvt_f32_f64_e32 v38, v[38:39]
	v_cvt_f32_f64_e32 v40, v[40:41]
	v_min3_f32 v83, v40, v38, v154
	v_add_f64 v[38:39], v[32:33], v[168:169]
	v_add_f64 v[40:41], v[30:31], v[166:167]
	v_cvt_f32_f64_e32 v38, v[38:39]
	v_cvt_f32_f64_e32 v40, v[40:41]
	v_min3_f32 v82, v40, v38, v42
	v_add_f64 v[38:39], v[187:188], v[179:180]
	v_add_f64 v[40:41], v[185:186], v[177:178]
	;; [unrolled: 5-line block ×3, first 2 shown]
	v_add_f64 v[8:9], v[8:9], v[183:184]
	v_add_f64 v[6:7], v[6:7], v[181:182]
	v_cvt_f32_f64_e32 v38, v[38:39]
	v_cvt_f32_f64_e32 v40, v[40:41]
	;; [unrolled: 1-line block ×4, first 2 shown]
	v_add_f64 v[8:9], v[10:11], v[181:182]
	v_min3_f32 v80, v40, v38, v44
	v_add_f64 v[38:39], v[12:13], v[179:180]
	v_add_f64 v[40:41], v[10:11], v[177:178]
	v_min3_f32 v72, v6, v7, v191
	v_add_f64 v[6:7], v[12:13], v[183:184]
	v_cvt_f32_f64_e32 v8, v[8:9]
	v_cvt_f32_f64_e32 v38, v[38:39]
	v_cvt_f32_f64_e32 v40, v[40:41]
	v_cvt_f32_f64_e32 v6, v[6:7]
	v_min3_f32 v79, v40, v38, v45
	v_add_f64 v[38:39], v[16:17], v[179:180]
	v_add_f64 v[40:41], v[14:15], v[177:178]
	v_min3_f32 v71, v8, v6, v192
	v_add_f64 v[6:7], v[16:17], v[183:184]
	v_add_f64 v[8:9], v[14:15], v[181:182]
	v_cvt_f32_f64_e32 v38, v[38:39]
	v_cvt_f32_f64_e32 v40, v[40:41]
	v_cvt_f32_f64_e32 v6, v[6:7]
	v_cvt_f32_f64_e32 v8, v[8:9]
	v_min3_f32 v78, v40, v38, v155
	v_add_f64 v[38:39], v[20:21], v[179:180]
	v_add_f64 v[40:41], v[18:19], v[177:178]
	v_min3_f32 v70, v8, v6, v193
	v_add_f64 v[6:7], v[20:21], v[183:184]
	;; [unrolled: 10-line block ×5, first 2 shown]
	v_add_f64 v[8:9], v[30:31], v[181:182]
	v_cvt_f32_f64_e32 v38, v[38:39]
	v_cvt_f32_f64_e32 v40, v[40:41]
	;; [unrolled: 1-line block ×4, first 2 shown]
	v_min3_f32 v74, v40, v38, v189
	v_add_f64 v[38:39], v[187:188], v[183:184]
	v_add_f64 v[40:41], v[185:186], v[181:182]
	v_min3_f32 v66, v8, v6, v197
	v_cvt_f32_f64_e32 v38, v[38:39]
	v_cvt_f32_f64_e32 v40, v[40:41]
	v_min3_f32 v73, v40, v38, v190
	ds_read_b128 v[22:25], v172 offset:272
	ds_read_b128 v[18:21], v172 offset:528
	;; [unrolled: 1-line block ×14, first 2 shown]
	ds_write_b64 v173, v[136:137]
	ds_write2st64_b64 v174, v[134:135], v[138:139] offset1:4
	ds_write2st64_b64 v174, v[140:141], v[142:143] offset0:8 offset1:12
	s_waitcnt lgkmcnt(0)
	s_barrier
	buffer_gl0_inv
	v_add_f64 v[149:150], v[24:25], v[36:37]
	v_add_f64 v[151:152], v[22:23], v[34:35]
	v_cvt_f32_f64_e32 v149, v[149:150]
	v_cvt_f32_f64_e32 v129, v[151:152]
	v_min3_f32 v217, v129, v149, v128
	v_add_f64 v[128:129], v[20:21], v[36:37]
	v_add_f64 v[149:150], v[18:19], v[34:35]
	v_cvt_f32_f64_e32 v128, v[128:129]
	v_cvt_f32_f64_e32 v149, v[149:150]
	v_min3_f32 v216, v149, v128, v127
	;; [unrolled: 5-line block ×5, first 2 shown]
	v_add_f64 v[124:125], v[32:33], v[36:37]
	v_add_f64 v[126:127], v[30:31], v[34:35]
	;; [unrolled: 1-line block ×4, first 2 shown]
	v_cvt_f32_f64_e32 v124, v[124:125]
	v_cvt_f32_f64_e32 v126, v[126:127]
	;; [unrolled: 1-line block ×4, first 2 shown]
	v_add_f64 v[36:37], v[2:3], v[62:63]
	v_min3_f32 v212, v126, v124, v123
	v_min3_f32 v211, v34, v35, v122
	v_add_f64 v[34:35], v[4:5], v[64:65]
	v_cvt_f32_f64_e32 v36, v[36:37]
	v_cvt_f32_f64_e32 v34, v[34:35]
	v_min3_f32 v210, v36, v34, v121
	v_add_f64 v[34:35], v[24:25], v[64:65]
	v_add_f64 v[36:37], v[22:23], v[62:63]
	v_cvt_f32_f64_e32 v34, v[34:35]
	v_cvt_f32_f64_e32 v36, v[36:37]
	v_min3_f32 v209, v36, v34, v120
	v_add_f64 v[34:35], v[20:21], v[64:65]
	;; [unrolled: 5-line block ×40, first 2 shown]
	v_add_f64 v[36:37], v[2:3], v[42:43]
	v_add_f64 v[4:5], v[4:5], v[40:41]
	;; [unrolled: 1-line block ×3, first 2 shown]
	v_cvt_f32_f64_e32 v34, v[34:35]
	v_cvt_f32_f64_e32 v36, v[36:37]
	;; [unrolled: 1-line block ×4, first 2 shown]
	v_add_f64 v[4:5], v[22:23], v[38:39]
	v_min3_f32 v164, v36, v34, v81
	v_add_f64 v[34:35], v[24:25], v[44:45]
	v_add_f64 v[36:37], v[22:23], v[42:43]
	v_min3_f32 v156, v2, v3, v73
	v_add_f64 v[2:3], v[24:25], v[40:41]
	v_cvt_f32_f64_e32 v4, v[4:5]
	v_cvt_f32_f64_e32 v34, v[34:35]
	v_cvt_f32_f64_e32 v36, v[36:37]
	v_cvt_f32_f64_e32 v2, v[2:3]
	v_min3_f32 v163, v36, v34, v80
	v_add_f64 v[34:35], v[20:21], v[44:45]
	v_add_f64 v[36:37], v[18:19], v[42:43]
	v_min3_f32 v155, v4, v2, v72
	v_add_f64 v[2:3], v[20:21], v[40:41]
	v_add_f64 v[4:5], v[18:19], v[38:39]
	v_cvt_f32_f64_e32 v34, v[34:35]
	v_cvt_f32_f64_e32 v36, v[36:37]
	v_cvt_f32_f64_e32 v2, v[2:3]
	v_cvt_f32_f64_e32 v4, v[4:5]
	v_min3_f32 v162, v36, v34, v79
	v_add_f64 v[34:35], v[16:17], v[44:45]
	v_add_f64 v[36:37], v[14:15], v[42:43]
	v_min3_f32 v154, v4, v2, v71
	v_add_f64 v[2:3], v[16:17], v[40:41]
	;; [unrolled: 10-line block ×6, first 2 shown]
	v_add_f64 v[4:5], v[26:27], v[38:39]
	v_cvt_f32_f64_e32 v34, v[34:35]
	v_cvt_f32_f64_e32 v36, v[36:37]
	v_cvt_f32_f64_e32 v2, v[2:3]
	v_cvt_f32_f64_e32 v4, v[4:5]
	v_min3_f32 v157, v36, v34, v74
	v_min3_f32 v149, v4, v2, v66
	s_cbranch_scc1 .LBB177_57
.LBB177_33:                             ; =>This Inner Loop Header: Depth=1
	v_add_nc_u32_e32 v220, s29, v144
                                        ; implicit-def: $vgpr134_vgpr135
	v_add_nc_u32_e32 v2, 8, v220
	v_cmp_le_i32_e64 s6, s14, v2
	s_or_b32 s6, s6, vcc_lo
	s_nor_b32 s7, s15, s6
	s_and_saveexec_b32 s30, s7
	s_xor_b32 s7, exec_lo, s30
	s_cbranch_execz .LBB177_35
; %bb.34:                               ;   in Loop: Header=BB177_33 Depth=1
	global_load_dwordx2 v[2:3], v[132:133], off
	s_waitcnt vmcnt(0)
	v_mul_f64 v[134:135], s[22:23], v[2:3]
.LBB177_35:                             ;   in Loop: Header=BB177_33 Depth=1
	s_andn2_saveexec_b32 s7, s7
; %bb.36:                               ;   in Loop: Header=BB177_33 Depth=1
	v_cndmask_b32_e64 v135, 0, 0x7fefffff, s6
	v_cndmask_b32_e64 v134, 0, -1, s6
; %bb.37:                               ;   in Loop: Header=BB177_33 Depth=1
	s_or_b32 exec_lo, exec_lo, s7
	v_add_nc_u32_e32 v219, s29, v145
	v_add_nc_u32_e32 v4, 8, v219
	v_min_i32_e32 v2, s27, v4
	v_cmp_le_i32_e64 s6, s14, v4
	v_mad_i64_i32 v[2:3], null, v2, s28, 0
	s_or_b32 s30, s0, s6
	v_cndmask_b32_e64 v137, 0, 0x7fefffff, s30
	v_cndmask_b32_e64 v136, 0, -1, s30
	v_lshlrev_b64 v[2:3], 3, v[2:3]
	v_add_co_u32 v2, s7, s24, v2
	v_add_co_ci_u32_e64 v3, null, s25, v3, s7
	s_nor_b32 s7, s15, s30
	s_and_saveexec_b32 s30, s7
	s_cbranch_execz .LBB177_39
; %bb.38:                               ;   in Loop: Header=BB177_33 Depth=1
	v_add_co_u32 v4, s7, v2, v130
	v_add_co_ci_u32_e64 v5, null, v3, v131, s7
	global_load_dwordx2 v[4:5], v[4:5], off
	s_waitcnt vmcnt(0)
	v_mul_f64 v[136:137], s[22:23], v[4:5]
.LBB177_39:                             ;   in Loop: Header=BB177_33 Depth=1
	s_or_b32 exec_lo, exec_lo, s30
	s_or_b32 s7, s1, s6
	v_cndmask_b32_e64 v139, 0, 0x7fefffff, s7
	v_cndmask_b32_e64 v138, 0, -1, s7
	s_nor_b32 s7, s15, s7
	s_and_saveexec_b32 s30, s7
	s_cbranch_execz .LBB177_41
; %bb.40:                               ;   in Loop: Header=BB177_33 Depth=1
	v_add_co_u32 v4, s7, v2, v130
	v_add_co_ci_u32_e64 v5, null, v3, v131, s7
	global_load_dwordx2 v[4:5], v[4:5], off offset:512
	s_waitcnt vmcnt(0)
	v_mul_f64 v[138:139], s[22:23], v[4:5]
.LBB177_41:                             ;   in Loop: Header=BB177_33 Depth=1
	s_or_b32 exec_lo, exec_lo, s30
	s_or_b32 s7, s2, s6
	v_cndmask_b32_e64 v141, 0, 0x7fefffff, s7
	v_cndmask_b32_e64 v140, 0, -1, s7
	s_nor_b32 s7, s15, s7
	s_and_saveexec_b32 s30, s7
	s_cbranch_execz .LBB177_43
; %bb.42:                               ;   in Loop: Header=BB177_33 Depth=1
	v_add_co_u32 v4, s7, v2, v130
	v_add_co_ci_u32_e64 v5, null, v3, v131, s7
	global_load_dwordx2 v[4:5], v[4:5], off offset:1024
	s_waitcnt vmcnt(0)
	v_mul_f64 v[140:141], s[22:23], v[4:5]
.LBB177_43:                             ;   in Loop: Header=BB177_33 Depth=1
	;; [unrolled: 14-line block ×3, first 2 shown]
	s_or_b32 exec_lo, exec_lo, s7
	ds_read_b128 v[126:129], v176
	ds_read_b128 v[62:65], v176 offset:16
	ds_read_b128 v[98:101], v175
	ds_read_b128 v[34:37], v175 offset:16
	ds_read_b128 v[94:97], v175 offset:256
	;; [unrolled: 1-line block ×29, first 2 shown]
	v_add_nc_u32_e32 v220, 12, v220
	ds_write_b64 v171, v[134:135]
	ds_write2st64_b64 v148, v[136:137], v[138:139] offset1:4
	ds_write2st64_b64 v148, v[140:141], v[142:143] offset0:8 offset1:12
	s_waitcnt lgkmcnt(0)
	s_barrier
	buffer_gl0_inv
	v_cmp_le_i32_e64 s6, s14, v220
                                        ; implicit-def: $vgpr136_vgpr137
	s_or_b32 s6, s6, vcc_lo
	s_nor_b32 s7, s15, s6
	s_and_saveexec_b32 s30, s7
	s_xor_b32 s7, exec_lo, s30
	s_cbranch_execz .LBB177_47
; %bb.46:                               ;   in Loop: Header=BB177_33 Depth=1
	global_load_dwordx2 v[134:135], v[132:133], off offset:32
	s_waitcnt vmcnt(0)
	v_mul_f64 v[136:137], s[22:23], v[134:135]
.LBB177_47:                             ;   in Loop: Header=BB177_33 Depth=1
	s_andn2_saveexec_b32 s7, s7
; %bb.48:                               ;   in Loop: Header=BB177_33 Depth=1
	v_cndmask_b32_e64 v137, 0, 0x7fefffff, s6
	v_cndmask_b32_e64 v136, 0, -1, s6
; %bb.49:                               ;   in Loop: Header=BB177_33 Depth=1
	s_or_b32 exec_lo, exec_lo, s7
	v_add_nc_u32_e32 v138, 12, v219
	v_min_i32_e32 v134, s27, v138
	v_cmp_le_i32_e64 s6, s14, v138
	v_mad_i64_i32 v[134:135], null, v134, s28, 0
	s_or_b32 s30, s0, s6
	v_lshlrev_b64 v[138:139], 3, v[134:135]
	v_cndmask_b32_e64 v135, 0, 0x7fefffff, s30
	v_cndmask_b32_e64 v134, 0, -1, s30
	v_add_co_u32 v219, s7, s24, v138
	v_add_co_ci_u32_e64 v220, null, s25, v139, s7
	s_nor_b32 s7, s15, s30
	s_and_saveexec_b32 s30, s7
	s_cbranch_execz .LBB177_51
; %bb.50:                               ;   in Loop: Header=BB177_33 Depth=1
	v_add_co_u32 v134, s7, v219, v130
	v_add_co_ci_u32_e64 v135, null, v220, v131, s7
	global_load_dwordx2 v[134:135], v[134:135], off
	s_waitcnt vmcnt(0)
	v_mul_f64 v[134:135], s[22:23], v[134:135]
.LBB177_51:                             ;   in Loop: Header=BB177_33 Depth=1
	s_or_b32 exec_lo, exec_lo, s30
	s_or_b32 s7, s1, s6
	v_cndmask_b32_e64 v139, 0, 0x7fefffff, s7
	v_cndmask_b32_e64 v138, 0, -1, s7
	s_nor_b32 s7, s15, s7
	s_and_saveexec_b32 s30, s7
	s_cbranch_execz .LBB177_53
; %bb.52:                               ;   in Loop: Header=BB177_33 Depth=1
	v_add_co_u32 v138, s7, v219, v130
	v_add_co_ci_u32_e64 v139, null, v220, v131, s7
	global_load_dwordx2 v[138:139], v[138:139], off offset:512
	s_waitcnt vmcnt(0)
	v_mul_f64 v[138:139], s[22:23], v[138:139]
.LBB177_53:                             ;   in Loop: Header=BB177_33 Depth=1
	s_or_b32 exec_lo, exec_lo, s30
	s_or_b32 s7, s2, s6
	v_cndmask_b32_e64 v141, 0, 0x7fefffff, s7
	v_cndmask_b32_e64 v140, 0, -1, s7
	s_nor_b32 s7, s15, s7
	s_and_saveexec_b32 s30, s7
	s_cbranch_execz .LBB177_55
; %bb.54:                               ;   in Loop: Header=BB177_33 Depth=1
	v_add_co_u32 v140, s7, v219, v130
	v_add_co_ci_u32_e64 v141, null, v220, v131, s7
	global_load_dwordx2 v[140:141], v[140:141], off offset:1024
	s_waitcnt vmcnt(0)
	v_mul_f64 v[140:141], s[22:23], v[140:141]
.LBB177_55:                             ;   in Loop: Header=BB177_33 Depth=1
	s_or_b32 exec_lo, exec_lo, s30
	s_or_b32 s6, s3, s6
	v_cndmask_b32_e64 v143, 0, 0x7fefffff, s6
	v_cndmask_b32_e64 v142, 0, -1, s6
	s_nor_b32 s6, s15, s6
	s_and_saveexec_b32 s7, s6
	s_cbranch_execz .LBB177_32
; %bb.56:                               ;   in Loop: Header=BB177_33 Depth=1
	v_add_co_u32 v142, s6, v219, v130
	v_add_co_ci_u32_e64 v143, null, v220, v131, s6
	global_load_dwordx2 v[142:143], v[142:143], off offset:1536
	s_waitcnt vmcnt(0)
	v_mul_f64 v[142:143], s[22:23], v[142:143]
	s_branch .LBB177_32
.LBB177_57:
	s_clause 0x2
	s_load_dwordx2 s[0:1], s[4:5], 0x78
	s_load_dword s15, s[4:5], 0x58
	s_load_dword s14, s[4:5], 0x70
	ds_read_b128 v[70:73], v147 offset:18432
	ds_read_b128 v[66:69], v147 offset:18448
	;; [unrolled: 1-line block ×16, first 2 shown]
	v_add_nc_u32_e32 v145, s9, v1
	ds_read_b128 v[6:9], v147 offset:20224
	ds_read_b128 v[2:5], v147 offset:20240
	;; [unrolled: 1-line block ×16, first 2 shown]
	v_add_nc_u32_e32 v0, s8, v0
	v_cmp_gt_i32_e64 s8, s13, v145
	v_cndmask_b32_e64 v144, 0, 1, s21
	v_ashrrev_i32_e32 v1, 31, v0
	s_waitcnt lgkmcnt(0)
	s_mul_i32 s1, s1, s20
	v_mad_i64_i32 v[130:131], null, v145, s15, 0
	v_mad_i64_i32 v[132:133], null, v145, s14, 0
	s_mul_hi_u32 s2, s0, s20
	s_mul_i32 s0, s0, s20
	s_add_i32 s1, s2, s1
	s_lshl_b64 s[0:1], s[0:1], 3
	v_lshlrev_b64 v[130:131], 3, v[130:131]
	v_lshlrev_b64 v[132:133], 3, v[132:133]
	s_add_u32 s10, s10, s0
	s_addc_u32 s9, s11, s1
	v_cmp_gt_i32_e64 s0, s12, v0
	v_add_co_u32 v148, vcc_lo, s18, v130
	v_add_co_ci_u32_e64 v171, null, s19, v131, vcc_lo
	v_add_co_u32 v146, vcc_lo, s10, v132
	v_add_co_ci_u32_e64 v147, null, s9, v133, vcc_lo
	s_and_b32 s2, s0, s8
	s_and_saveexec_b32 s1, s2
	s_cbranch_execz .LBB177_62
; %bb.58:
	s_andn2_b32 vcc_lo, exec_lo, s21
	s_cbranch_vccnz .LBB177_60
; %bb.59:
	v_lshlrev_b64 v[130:131], 3, v[0:1]
	v_add_co_u32 v130, vcc_lo, v148, v130
	v_add_co_ci_u32_e64 v131, null, v171, v131, vcc_lo
	global_load_dwordx2 v[130:131], v[130:131], off
	s_waitcnt vmcnt(0)
	v_mul_f64 v[130:131], s[16:17], v[130:131]
	v_cvt_f32_f64_e32 v130, v[130:131]
	s_branch .LBB177_61
.LBB177_60:
	v_mov_b32_e32 v130, 0
.LBB177_61:
	v_add_f64 v[131:132], v[70:71], v[126:127]
	v_add_f64 v[133:134], v[72:73], v[128:129]
	;; [unrolled: 1-line block ×4, first 2 shown]
	v_cvt_f32_f64_e32 v131, v[131:132]
	v_cvt_f32_f64_e32 v132, v[133:134]
	;; [unrolled: 1-line block ×4, first 2 shown]
	v_min3_f32 v131, v131, v132, v218
	v_min_f32_e32 v132, v133, v134
	v_min3_f32 v130, v130, v132, v131
	v_lshlrev_b64 v[132:133], 3, v[0:1]
	v_cvt_f64_f32_e32 v[130:131], v130
	v_add_co_u32 v132, vcc_lo, v146, v132
	v_add_co_ci_u32_e64 v133, null, v147, v133, vcc_lo
	global_store_dwordx2 v[132:133], v[130:131], off
.LBB177_62:
	s_or_b32 exec_lo, exec_lo, s1
	v_add_nc_u32_e32 v130, 8, v0
	v_cmp_gt_i32_e64 s1, s12, v130
	v_ashrrev_i32_e32 v131, 31, v130
	s_and_b32 s3, s1, s8
	s_and_saveexec_b32 s2, s3
	s_cbranch_execz .LBB177_67
; %bb.63:
	v_cmp_ne_u32_e32 vcc_lo, 1, v144
	s_cbranch_vccnz .LBB177_65
; %bb.64:
	v_lshlrev_b64 v[132:133], 3, v[130:131]
	v_add_co_u32 v132, vcc_lo, v148, v132
	v_add_co_ci_u32_e64 v133, null, v171, v133, vcc_lo
	global_load_dwordx2 v[132:133], v[132:133], off
	s_waitcnt vmcnt(0)
	v_mul_f64 v[132:133], s[16:17], v[132:133]
	v_cvt_f32_f64_e32 v132, v[132:133]
	s_branch .LBB177_66
.LBB177_65:
	v_mov_b32_e32 v132, 0
.LBB177_66:
	v_add_f64 v[133:134], v[62:63], v[126:127]
	v_add_f64 v[135:136], v[64:65], v[128:129]
	v_add_f64 v[137:138], v[58:59], v[122:123]
	v_add_f64 v[139:140], v[60:61], v[124:125]
	v_cvt_f32_f64_e32 v133, v[133:134]
	v_cvt_f32_f64_e32 v134, v[135:136]
	v_cvt_f32_f64_e32 v135, v[137:138]
	v_cvt_f32_f64_e32 v136, v[139:140]
	v_min3_f32 v133, v133, v134, v217
	v_min_f32_e32 v134, v135, v136
	v_min3_f32 v132, v132, v134, v133
	v_lshlrev_b64 v[134:135], 3, v[130:131]
	v_cvt_f64_f32_e32 v[132:133], v132
	v_add_co_u32 v134, vcc_lo, v146, v134
	v_add_co_ci_u32_e64 v135, null, v147, v135, vcc_lo
	global_store_dwordx2 v[134:135], v[132:133], off
.LBB177_67:
	s_or_b32 exec_lo, exec_lo, s2
	v_add_nc_u32_e32 v132, 16, v0
	v_cmp_gt_i32_e64 s2, s12, v132
	v_ashrrev_i32_e32 v133, 31, v132
	s_and_b32 s4, s2, s8
	s_and_saveexec_b32 s3, s4
	s_cbranch_execz .LBB177_72
; %bb.68:
	v_cmp_ne_u32_e32 vcc_lo, 1, v144
	s_cbranch_vccnz .LBB177_70
; %bb.69:
	v_lshlrev_b64 v[134:135], 3, v[132:133]
	v_add_co_u32 v134, vcc_lo, v148, v134
	v_add_co_ci_u32_e64 v135, null, v171, v135, vcc_lo
	global_load_dwordx2 v[134:135], v[134:135], off
	s_waitcnt vmcnt(0)
	v_mul_f64 v[134:135], s[16:17], v[134:135]
	v_cvt_f32_f64_e32 v134, v[134:135]
	s_branch .LBB177_71
.LBB177_70:
	v_mov_b32_e32 v134, 0
.LBB177_71:
	v_add_f64 v[135:136], v[54:55], v[126:127]
	v_add_f64 v[137:138], v[56:57], v[128:129]
	v_add_f64 v[139:140], v[50:51], v[122:123]
	v_add_f64 v[141:142], v[52:53], v[124:125]
	v_cvt_f32_f64_e32 v135, v[135:136]
	v_cvt_f32_f64_e32 v136, v[137:138]
	v_cvt_f32_f64_e32 v137, v[139:140]
	v_cvt_f32_f64_e32 v138, v[141:142]
	v_min3_f32 v135, v135, v136, v216
	v_min_f32_e32 v136, v137, v138
	v_min3_f32 v134, v134, v136, v135
	v_lshlrev_b64 v[136:137], 3, v[132:133]
	v_cvt_f64_f32_e32 v[134:135], v134
	v_add_co_u32 v136, vcc_lo, v146, v136
	v_add_co_ci_u32_e64 v137, null, v147, v137, vcc_lo
	global_store_dwordx2 v[136:137], v[134:135], off
.LBB177_72:
	;; [unrolled: 39-line block ×7, first 2 shown]
	s_or_b32 exec_lo, exec_lo, s8
	v_add_nc_u32_e32 v126, 32, v145
	v_mad_i64_i32 v[122:123], null, v126, s15, 0
	v_mad_i64_i32 v[124:125], null, v126, s14, 0
	v_cmp_gt_i32_e64 s8, s13, v126
	v_lshlrev_b64 v[122:123], 3, v[122:123]
	s_and_b32 s12, s0, s8
	v_lshlrev_b64 v[126:127], 3, v[124:125]
	v_add_co_u32 v124, vcc_lo, s18, v122
	v_add_co_ci_u32_e64 v125, null, s19, v123, vcc_lo
	v_add_co_u32 v122, vcc_lo, s10, v126
	v_add_co_ci_u32_e64 v123, null, s9, v127, vcc_lo
	s_and_saveexec_b32 s11, s12
	s_cbranch_execnz .LBB177_105
; %bb.98:
	s_or_b32 exec_lo, exec_lo, s11
	s_and_b32 s12, s1, s8
	s_and_saveexec_b32 s11, s12
	s_cbranch_execnz .LBB177_109
.LBB177_99:
	s_or_b32 exec_lo, exec_lo, s11
	s_and_b32 s12, s2, s8
	s_and_saveexec_b32 s11, s12
	s_cbranch_execnz .LBB177_113
.LBB177_100:
	s_or_b32 exec_lo, exec_lo, s11
	s_and_b32 s12, s3, s8
	s_and_saveexec_b32 s11, s12
	s_cbranch_execnz .LBB177_117
.LBB177_101:
	s_or_b32 exec_lo, exec_lo, s11
	s_and_b32 s12, s4, s8
	s_and_saveexec_b32 s11, s12
	s_cbranch_execnz .LBB177_121
.LBB177_102:
	s_or_b32 exec_lo, exec_lo, s11
	s_and_b32 s12, s5, s8
	s_and_saveexec_b32 s11, s12
	s_cbranch_execnz .LBB177_125
.LBB177_103:
	s_or_b32 exec_lo, exec_lo, s11
	s_and_b32 s12, s6, s8
	s_and_saveexec_b32 s11, s12
	s_cbranch_execnz .LBB177_129
.LBB177_104:
	s_or_b32 exec_lo, exec_lo, s11
	s_and_b32 s11, s7, s8
	s_and_saveexec_b32 s8, s11
	s_cbranch_execnz .LBB177_133
	s_branch .LBB177_137
.LBB177_105:
	v_cmp_ne_u32_e32 vcc_lo, 1, v144
	s_cbranch_vccnz .LBB177_107
; %bb.106:
	v_lshlrev_b64 v[126:127], 3, v[0:1]
	v_add_co_u32 v126, vcc_lo, v124, v126
	v_add_co_ci_u32_e64 v127, null, v125, v127, vcc_lo
	global_load_dwordx2 v[126:127], v[126:127], off
	s_waitcnt vmcnt(0)
	v_mul_f64 v[126:127], s[16:17], v[126:127]
	v_cvt_f32_f64_e32 v126, v[126:127]
	s_branch .LBB177_108
.LBB177_107:
	v_mov_b32_e32 v126, 0
.LBB177_108:
	v_add_f64 v[127:128], v[70:71], v[118:119]
	v_add_f64 v[146:147], v[72:73], v[120:121]
	;; [unrolled: 1-line block ×4, first 2 shown]
	v_cvt_f32_f64_e32 v127, v[127:128]
	v_cvt_f32_f64_e32 v128, v[146:147]
	;; [unrolled: 1-line block ×4, first 2 shown]
	v_min3_f32 v127, v127, v128, v210
	v_min_f32_e32 v128, v129, v146
	v_min3_f32 v126, v126, v128, v127
	v_lshlrev_b64 v[128:129], 3, v[0:1]
	v_cvt_f64_f32_e32 v[126:127], v126
	v_add_co_u32 v128, vcc_lo, v122, v128
	v_add_co_ci_u32_e64 v129, null, v123, v129, vcc_lo
	global_store_dwordx2 v[128:129], v[126:127], off
	s_or_b32 exec_lo, exec_lo, s11
	s_and_b32 s12, s1, s8
	s_and_saveexec_b32 s11, s12
	s_cbranch_execz .LBB177_99
.LBB177_109:
	v_cmp_ne_u32_e32 vcc_lo, 1, v144
	s_cbranch_vccnz .LBB177_111
; %bb.110:
	v_lshlrev_b64 v[126:127], 3, v[130:131]
	v_add_co_u32 v126, vcc_lo, v124, v126
	v_add_co_ci_u32_e64 v127, null, v125, v127, vcc_lo
	global_load_dwordx2 v[126:127], v[126:127], off
	s_waitcnt vmcnt(0)
	v_mul_f64 v[126:127], s[16:17], v[126:127]
	v_cvt_f32_f64_e32 v126, v[126:127]
	s_branch .LBB177_112
.LBB177_111:
	v_mov_b32_e32 v126, 0
.LBB177_112:
	v_add_f64 v[127:128], v[62:63], v[118:119]
	v_add_f64 v[146:147], v[64:65], v[120:121]
	;; [unrolled: 1-line block ×4, first 2 shown]
	v_cvt_f32_f64_e32 v127, v[127:128]
	v_cvt_f32_f64_e32 v128, v[146:147]
	;; [unrolled: 1-line block ×4, first 2 shown]
	v_min3_f32 v127, v127, v128, v209
	v_min_f32_e32 v128, v129, v146
	v_min3_f32 v126, v126, v128, v127
	v_lshlrev_b64 v[128:129], 3, v[130:131]
	v_cvt_f64_f32_e32 v[126:127], v126
	v_add_co_u32 v128, vcc_lo, v122, v128
	v_add_co_ci_u32_e64 v129, null, v123, v129, vcc_lo
	global_store_dwordx2 v[128:129], v[126:127], off
	s_or_b32 exec_lo, exec_lo, s11
	s_and_b32 s12, s2, s8
	s_and_saveexec_b32 s11, s12
	s_cbranch_execz .LBB177_100
.LBB177_113:
	v_cmp_ne_u32_e32 vcc_lo, 1, v144
	s_cbranch_vccnz .LBB177_115
; %bb.114:
	v_lshlrev_b64 v[126:127], 3, v[132:133]
	v_add_co_u32 v126, vcc_lo, v124, v126
	v_add_co_ci_u32_e64 v127, null, v125, v127, vcc_lo
	global_load_dwordx2 v[126:127], v[126:127], off
	s_waitcnt vmcnt(0)
	v_mul_f64 v[126:127], s[16:17], v[126:127]
	v_cvt_f32_f64_e32 v126, v[126:127]
	s_branch .LBB177_116
.LBB177_115:
	v_mov_b32_e32 v126, 0
.LBB177_116:
	v_add_f64 v[127:128], v[54:55], v[118:119]
	v_add_f64 v[146:147], v[56:57], v[120:121]
	;; [unrolled: 1-line block ×4, first 2 shown]
	v_cvt_f32_f64_e32 v127, v[127:128]
	v_cvt_f32_f64_e32 v128, v[146:147]
	;; [unrolled: 1-line block ×4, first 2 shown]
	v_min3_f32 v127, v127, v128, v208
	v_min_f32_e32 v128, v129, v146
	v_min3_f32 v126, v126, v128, v127
	v_lshlrev_b64 v[128:129], 3, v[132:133]
	v_cvt_f64_f32_e32 v[126:127], v126
	v_add_co_u32 v128, vcc_lo, v122, v128
	v_add_co_ci_u32_e64 v129, null, v123, v129, vcc_lo
	global_store_dwordx2 v[128:129], v[126:127], off
	s_or_b32 exec_lo, exec_lo, s11
	s_and_b32 s12, s3, s8
	s_and_saveexec_b32 s11, s12
	s_cbranch_execz .LBB177_101
.LBB177_117:
	v_cmp_ne_u32_e32 vcc_lo, 1, v144
	s_cbranch_vccnz .LBB177_119
; %bb.118:
	v_lshlrev_b64 v[126:127], 3, v[134:135]
	v_add_co_u32 v126, vcc_lo, v124, v126
	v_add_co_ci_u32_e64 v127, null, v125, v127, vcc_lo
	global_load_dwordx2 v[126:127], v[126:127], off
	s_waitcnt vmcnt(0)
	v_mul_f64 v[126:127], s[16:17], v[126:127]
	v_cvt_f32_f64_e32 v126, v[126:127]
	s_branch .LBB177_120
.LBB177_119:
	v_mov_b32_e32 v126, 0
.LBB177_120:
	v_add_f64 v[127:128], v[46:47], v[118:119]
	v_add_f64 v[146:147], v[48:49], v[120:121]
	;; [unrolled: 1-line block ×4, first 2 shown]
	v_cvt_f32_f64_e32 v127, v[127:128]
	v_cvt_f32_f64_e32 v128, v[146:147]
	;; [unrolled: 1-line block ×4, first 2 shown]
	v_min3_f32 v127, v127, v128, v207
	v_min_f32_e32 v128, v129, v146
	v_min3_f32 v126, v126, v128, v127
	v_lshlrev_b64 v[128:129], 3, v[134:135]
	v_cvt_f64_f32_e32 v[126:127], v126
	v_add_co_u32 v128, vcc_lo, v122, v128
	v_add_co_ci_u32_e64 v129, null, v123, v129, vcc_lo
	global_store_dwordx2 v[128:129], v[126:127], off
	s_or_b32 exec_lo, exec_lo, s11
	s_and_b32 s12, s4, s8
	s_and_saveexec_b32 s11, s12
	s_cbranch_execz .LBB177_102
.LBB177_121:
	v_cmp_ne_u32_e32 vcc_lo, 1, v144
	s_cbranch_vccnz .LBB177_123
; %bb.122:
	v_lshlrev_b64 v[126:127], 3, v[136:137]
	v_add_co_u32 v126, vcc_lo, v124, v126
	v_add_co_ci_u32_e64 v127, null, v125, v127, vcc_lo
	global_load_dwordx2 v[126:127], v[126:127], off
	s_waitcnt vmcnt(0)
	v_mul_f64 v[126:127], s[16:17], v[126:127]
	v_cvt_f32_f64_e32 v126, v[126:127]
	s_branch .LBB177_124
.LBB177_123:
	v_mov_b32_e32 v126, 0
.LBB177_124:
	v_add_f64 v[127:128], v[38:39], v[118:119]
	v_add_f64 v[146:147], v[40:41], v[120:121]
	;; [unrolled: 1-line block ×4, first 2 shown]
	v_cvt_f32_f64_e32 v127, v[127:128]
	v_cvt_f32_f64_e32 v128, v[146:147]
	;; [unrolled: 1-line block ×4, first 2 shown]
	v_min3_f32 v127, v127, v128, v206
	v_min_f32_e32 v128, v129, v146
	v_min3_f32 v126, v126, v128, v127
	v_lshlrev_b64 v[128:129], 3, v[136:137]
	v_cvt_f64_f32_e32 v[126:127], v126
	v_add_co_u32 v128, vcc_lo, v122, v128
	v_add_co_ci_u32_e64 v129, null, v123, v129, vcc_lo
	global_store_dwordx2 v[128:129], v[126:127], off
	s_or_b32 exec_lo, exec_lo, s11
	s_and_b32 s12, s5, s8
	s_and_saveexec_b32 s11, s12
	s_cbranch_execz .LBB177_103
.LBB177_125:
	v_cmp_ne_u32_e32 vcc_lo, 1, v144
	s_cbranch_vccnz .LBB177_127
; %bb.126:
	v_lshlrev_b64 v[126:127], 3, v[138:139]
	v_add_co_u32 v126, vcc_lo, v124, v126
	v_add_co_ci_u32_e64 v127, null, v125, v127, vcc_lo
	global_load_dwordx2 v[126:127], v[126:127], off
	s_waitcnt vmcnt(0)
	v_mul_f64 v[126:127], s[16:17], v[126:127]
	v_cvt_f32_f64_e32 v126, v[126:127]
	s_branch .LBB177_128
.LBB177_127:
	v_mov_b32_e32 v126, 0
.LBB177_128:
	v_add_f64 v[127:128], v[30:31], v[118:119]
	v_add_f64 v[146:147], v[32:33], v[120:121]
	;; [unrolled: 1-line block ×4, first 2 shown]
	v_cvt_f32_f64_e32 v127, v[127:128]
	v_cvt_f32_f64_e32 v128, v[146:147]
	;; [unrolled: 1-line block ×4, first 2 shown]
	v_min3_f32 v127, v127, v128, v205
	v_min_f32_e32 v128, v129, v146
	v_min3_f32 v126, v126, v128, v127
	v_lshlrev_b64 v[128:129], 3, v[138:139]
	v_cvt_f64_f32_e32 v[126:127], v126
	v_add_co_u32 v128, vcc_lo, v122, v128
	v_add_co_ci_u32_e64 v129, null, v123, v129, vcc_lo
	global_store_dwordx2 v[128:129], v[126:127], off
	s_or_b32 exec_lo, exec_lo, s11
	s_and_b32 s12, s6, s8
	s_and_saveexec_b32 s11, s12
	s_cbranch_execz .LBB177_104
.LBB177_129:
	v_cmp_ne_u32_e32 vcc_lo, 1, v144
	s_cbranch_vccnz .LBB177_131
; %bb.130:
	v_lshlrev_b64 v[126:127], 3, v[140:141]
	v_add_co_u32 v126, vcc_lo, v124, v126
	v_add_co_ci_u32_e64 v127, null, v125, v127, vcc_lo
	global_load_dwordx2 v[126:127], v[126:127], off
	s_waitcnt vmcnt(0)
	v_mul_f64 v[126:127], s[16:17], v[126:127]
	v_cvt_f32_f64_e32 v126, v[126:127]
	s_branch .LBB177_132
.LBB177_131:
	v_mov_b32_e32 v126, 0
.LBB177_132:
	v_add_f64 v[127:128], v[22:23], v[118:119]
	v_add_f64 v[146:147], v[24:25], v[120:121]
	;; [unrolled: 1-line block ×4, first 2 shown]
	v_cvt_f32_f64_e32 v127, v[127:128]
	v_cvt_f32_f64_e32 v128, v[146:147]
	;; [unrolled: 1-line block ×4, first 2 shown]
	v_min3_f32 v127, v127, v128, v204
	v_min_f32_e32 v128, v129, v146
	v_min3_f32 v126, v126, v128, v127
	v_lshlrev_b64 v[128:129], 3, v[140:141]
	v_cvt_f64_f32_e32 v[126:127], v126
	v_add_co_u32 v128, vcc_lo, v122, v128
	v_add_co_ci_u32_e64 v129, null, v123, v129, vcc_lo
	global_store_dwordx2 v[128:129], v[126:127], off
	s_or_b32 exec_lo, exec_lo, s11
	s_and_b32 s11, s7, s8
	s_and_saveexec_b32 s8, s11
	s_cbranch_execz .LBB177_137
.LBB177_133:
	v_cmp_ne_u32_e32 vcc_lo, 1, v144
	s_cbranch_vccnz .LBB177_135
; %bb.134:
	v_lshlrev_b64 v[126:127], 3, v[142:143]
	v_add_co_u32 v124, vcc_lo, v124, v126
	v_add_co_ci_u32_e64 v125, null, v125, v127, vcc_lo
	global_load_dwordx2 v[124:125], v[124:125], off
	s_waitcnt vmcnt(0)
	v_mul_f64 v[124:125], s[16:17], v[124:125]
	v_cvt_f32_f64_e32 v124, v[124:125]
	s_branch .LBB177_136
.LBB177_135:
	v_mov_b32_e32 v124, 0
.LBB177_136:
	v_add_f64 v[118:119], v[6:7], v[118:119]
	v_add_f64 v[120:121], v[8:9], v[120:121]
	;; [unrolled: 1-line block ×4, first 2 shown]
	v_cvt_f32_f64_e32 v118, v[118:119]
	v_cvt_f32_f64_e32 v119, v[120:121]
	;; [unrolled: 1-line block ×4, first 2 shown]
	v_min3_f32 v116, v118, v119, v203
	v_min_f32_e32 v114, v114, v115
	v_min3_f32 v114, v124, v114, v116
	v_lshlrev_b64 v[116:117], 3, v[142:143]
	v_cvt_f64_f32_e32 v[114:115], v114
	v_add_co_u32 v116, vcc_lo, v122, v116
	v_add_co_ci_u32_e64 v117, null, v123, v117, vcc_lo
	global_store_dwordx2 v[116:117], v[114:115], off
.LBB177_137:
	s_or_b32 exec_lo, exec_lo, s8
	v_add_nc_u32_e32 v118, 64, v145
	v_mad_i64_i32 v[114:115], null, v118, s15, 0
	v_mad_i64_i32 v[116:117], null, v118, s14, 0
	v_cmp_gt_i32_e64 s8, s13, v118
	v_lshlrev_b64 v[114:115], 3, v[114:115]
	s_and_b32 s12, s0, s8
	v_lshlrev_b64 v[118:119], 3, v[116:117]
	v_add_co_u32 v116, vcc_lo, s18, v114
	v_add_co_ci_u32_e64 v117, null, s19, v115, vcc_lo
	v_add_co_u32 v114, vcc_lo, s10, v118
	v_add_co_ci_u32_e64 v115, null, s9, v119, vcc_lo
	s_and_saveexec_b32 s11, s12
	s_cbranch_execnz .LBB177_145
; %bb.138:
	s_or_b32 exec_lo, exec_lo, s11
	s_and_b32 s12, s1, s8
	s_and_saveexec_b32 s11, s12
	s_cbranch_execnz .LBB177_149
.LBB177_139:
	s_or_b32 exec_lo, exec_lo, s11
	s_and_b32 s12, s2, s8
	s_and_saveexec_b32 s11, s12
	s_cbranch_execnz .LBB177_153
.LBB177_140:
	s_or_b32 exec_lo, exec_lo, s11
	s_and_b32 s12, s3, s8
	s_and_saveexec_b32 s11, s12
	s_cbranch_execnz .LBB177_157
.LBB177_141:
	s_or_b32 exec_lo, exec_lo, s11
	s_and_b32 s12, s4, s8
	s_and_saveexec_b32 s11, s12
	s_cbranch_execnz .LBB177_161
.LBB177_142:
	s_or_b32 exec_lo, exec_lo, s11
	s_and_b32 s12, s5, s8
	s_and_saveexec_b32 s11, s12
	s_cbranch_execnz .LBB177_165
.LBB177_143:
	s_or_b32 exec_lo, exec_lo, s11
	s_and_b32 s12, s6, s8
	s_and_saveexec_b32 s11, s12
	s_cbranch_execnz .LBB177_169
.LBB177_144:
	s_or_b32 exec_lo, exec_lo, s11
	s_and_b32 s11, s7, s8
	s_and_saveexec_b32 s8, s11
	s_cbranch_execnz .LBB177_173
	s_branch .LBB177_177
.LBB177_145:
	v_cmp_ne_u32_e32 vcc_lo, 1, v144
	s_cbranch_vccnz .LBB177_147
; %bb.146:
	v_lshlrev_b64 v[118:119], 3, v[0:1]
	v_add_co_u32 v118, vcc_lo, v116, v118
	v_add_co_ci_u32_e64 v119, null, v117, v119, vcc_lo
	global_load_dwordx2 v[118:119], v[118:119], off
	s_waitcnt vmcnt(0)
	v_mul_f64 v[118:119], s[16:17], v[118:119]
	v_cvt_f32_f64_e32 v118, v[118:119]
	s_branch .LBB177_148
.LBB177_147:
	v_mov_b32_e32 v118, 0
.LBB177_148:
	v_add_f64 v[119:120], v[70:71], v[110:111]
	v_add_f64 v[121:122], v[72:73], v[112:113]
	;; [unrolled: 1-line block ×4, first 2 shown]
	v_cvt_f32_f64_e32 v119, v[119:120]
	v_cvt_f32_f64_e32 v120, v[121:122]
	;; [unrolled: 1-line block ×4, first 2 shown]
	v_min3_f32 v119, v119, v120, v202
	v_min_f32_e32 v120, v121, v122
	v_min3_f32 v118, v118, v120, v119
	v_lshlrev_b64 v[120:121], 3, v[0:1]
	v_cvt_f64_f32_e32 v[118:119], v118
	v_add_co_u32 v120, vcc_lo, v114, v120
	v_add_co_ci_u32_e64 v121, null, v115, v121, vcc_lo
	global_store_dwordx2 v[120:121], v[118:119], off
	s_or_b32 exec_lo, exec_lo, s11
	s_and_b32 s12, s1, s8
	s_and_saveexec_b32 s11, s12
	s_cbranch_execz .LBB177_139
.LBB177_149:
	v_cmp_ne_u32_e32 vcc_lo, 1, v144
	s_cbranch_vccnz .LBB177_151
; %bb.150:
	v_lshlrev_b64 v[118:119], 3, v[130:131]
	v_add_co_u32 v118, vcc_lo, v116, v118
	v_add_co_ci_u32_e64 v119, null, v117, v119, vcc_lo
	global_load_dwordx2 v[118:119], v[118:119], off
	s_waitcnt vmcnt(0)
	v_mul_f64 v[118:119], s[16:17], v[118:119]
	v_cvt_f32_f64_e32 v118, v[118:119]
	s_branch .LBB177_152
.LBB177_151:
	v_mov_b32_e32 v118, 0
.LBB177_152:
	v_add_f64 v[119:120], v[62:63], v[110:111]
	v_add_f64 v[121:122], v[64:65], v[112:113]
	;; [unrolled: 1-line block ×4, first 2 shown]
	v_cvt_f32_f64_e32 v119, v[119:120]
	v_cvt_f32_f64_e32 v120, v[121:122]
	;; [unrolled: 1-line block ×4, first 2 shown]
	v_min3_f32 v119, v119, v120, v201
	v_min_f32_e32 v120, v121, v122
	v_min3_f32 v118, v118, v120, v119
	v_lshlrev_b64 v[120:121], 3, v[130:131]
	v_cvt_f64_f32_e32 v[118:119], v118
	v_add_co_u32 v120, vcc_lo, v114, v120
	v_add_co_ci_u32_e64 v121, null, v115, v121, vcc_lo
	global_store_dwordx2 v[120:121], v[118:119], off
	s_or_b32 exec_lo, exec_lo, s11
	s_and_b32 s12, s2, s8
	s_and_saveexec_b32 s11, s12
	s_cbranch_execz .LBB177_140
.LBB177_153:
	v_cmp_ne_u32_e32 vcc_lo, 1, v144
	s_cbranch_vccnz .LBB177_155
; %bb.154:
	v_lshlrev_b64 v[118:119], 3, v[132:133]
	v_add_co_u32 v118, vcc_lo, v116, v118
	v_add_co_ci_u32_e64 v119, null, v117, v119, vcc_lo
	global_load_dwordx2 v[118:119], v[118:119], off
	s_waitcnt vmcnt(0)
	v_mul_f64 v[118:119], s[16:17], v[118:119]
	v_cvt_f32_f64_e32 v118, v[118:119]
	s_branch .LBB177_156
.LBB177_155:
	v_mov_b32_e32 v118, 0
.LBB177_156:
	v_add_f64 v[119:120], v[54:55], v[110:111]
	v_add_f64 v[121:122], v[56:57], v[112:113]
	v_add_f64 v[123:124], v[50:51], v[106:107]
	v_add_f64 v[125:126], v[52:53], v[108:109]
	v_cvt_f32_f64_e32 v119, v[119:120]
	v_cvt_f32_f64_e32 v120, v[121:122]
	;; [unrolled: 1-line block ×4, first 2 shown]
	v_min3_f32 v119, v119, v120, v200
	v_min_f32_e32 v120, v121, v122
	v_min3_f32 v118, v118, v120, v119
	v_lshlrev_b64 v[120:121], 3, v[132:133]
	v_cvt_f64_f32_e32 v[118:119], v118
	v_add_co_u32 v120, vcc_lo, v114, v120
	v_add_co_ci_u32_e64 v121, null, v115, v121, vcc_lo
	global_store_dwordx2 v[120:121], v[118:119], off
	s_or_b32 exec_lo, exec_lo, s11
	s_and_b32 s12, s3, s8
	s_and_saveexec_b32 s11, s12
	s_cbranch_execz .LBB177_141
.LBB177_157:
	v_cmp_ne_u32_e32 vcc_lo, 1, v144
	s_cbranch_vccnz .LBB177_159
; %bb.158:
	v_lshlrev_b64 v[118:119], 3, v[134:135]
	v_add_co_u32 v118, vcc_lo, v116, v118
	v_add_co_ci_u32_e64 v119, null, v117, v119, vcc_lo
	global_load_dwordx2 v[118:119], v[118:119], off
	s_waitcnt vmcnt(0)
	v_mul_f64 v[118:119], s[16:17], v[118:119]
	v_cvt_f32_f64_e32 v118, v[118:119]
	s_branch .LBB177_160
.LBB177_159:
	v_mov_b32_e32 v118, 0
.LBB177_160:
	v_add_f64 v[119:120], v[46:47], v[110:111]
	v_add_f64 v[121:122], v[48:49], v[112:113]
	;; [unrolled: 1-line block ×4, first 2 shown]
	v_cvt_f32_f64_e32 v119, v[119:120]
	v_cvt_f32_f64_e32 v120, v[121:122]
	;; [unrolled: 1-line block ×4, first 2 shown]
	v_min3_f32 v119, v119, v120, v199
	v_min_f32_e32 v120, v121, v122
	v_min3_f32 v118, v118, v120, v119
	v_lshlrev_b64 v[120:121], 3, v[134:135]
	v_cvt_f64_f32_e32 v[118:119], v118
	v_add_co_u32 v120, vcc_lo, v114, v120
	v_add_co_ci_u32_e64 v121, null, v115, v121, vcc_lo
	global_store_dwordx2 v[120:121], v[118:119], off
	s_or_b32 exec_lo, exec_lo, s11
	s_and_b32 s12, s4, s8
	s_and_saveexec_b32 s11, s12
	s_cbranch_execz .LBB177_142
.LBB177_161:
	v_cmp_ne_u32_e32 vcc_lo, 1, v144
	s_cbranch_vccnz .LBB177_163
; %bb.162:
	v_lshlrev_b64 v[118:119], 3, v[136:137]
	v_add_co_u32 v118, vcc_lo, v116, v118
	v_add_co_ci_u32_e64 v119, null, v117, v119, vcc_lo
	global_load_dwordx2 v[118:119], v[118:119], off
	s_waitcnt vmcnt(0)
	v_mul_f64 v[118:119], s[16:17], v[118:119]
	v_cvt_f32_f64_e32 v118, v[118:119]
	s_branch .LBB177_164
.LBB177_163:
	v_mov_b32_e32 v118, 0
.LBB177_164:
	v_add_f64 v[119:120], v[38:39], v[110:111]
	v_add_f64 v[121:122], v[40:41], v[112:113]
	;; [unrolled: 1-line block ×4, first 2 shown]
	v_cvt_f32_f64_e32 v119, v[119:120]
	v_cvt_f32_f64_e32 v120, v[121:122]
	;; [unrolled: 1-line block ×4, first 2 shown]
	v_min3_f32 v119, v119, v120, v198
	v_min_f32_e32 v120, v121, v122
	v_min3_f32 v118, v118, v120, v119
	v_lshlrev_b64 v[120:121], 3, v[136:137]
	v_cvt_f64_f32_e32 v[118:119], v118
	v_add_co_u32 v120, vcc_lo, v114, v120
	v_add_co_ci_u32_e64 v121, null, v115, v121, vcc_lo
	global_store_dwordx2 v[120:121], v[118:119], off
	s_or_b32 exec_lo, exec_lo, s11
	s_and_b32 s12, s5, s8
	s_and_saveexec_b32 s11, s12
	s_cbranch_execz .LBB177_143
.LBB177_165:
	v_cmp_ne_u32_e32 vcc_lo, 1, v144
	s_cbranch_vccnz .LBB177_167
; %bb.166:
	v_lshlrev_b64 v[118:119], 3, v[138:139]
	v_add_co_u32 v118, vcc_lo, v116, v118
	v_add_co_ci_u32_e64 v119, null, v117, v119, vcc_lo
	global_load_dwordx2 v[118:119], v[118:119], off
	s_waitcnt vmcnt(0)
	v_mul_f64 v[118:119], s[16:17], v[118:119]
	v_cvt_f32_f64_e32 v118, v[118:119]
	s_branch .LBB177_168
.LBB177_167:
	v_mov_b32_e32 v118, 0
.LBB177_168:
	v_add_f64 v[119:120], v[30:31], v[110:111]
	v_add_f64 v[121:122], v[32:33], v[112:113]
	;; [unrolled: 1-line block ×4, first 2 shown]
	v_cvt_f32_f64_e32 v119, v[119:120]
	v_cvt_f32_f64_e32 v120, v[121:122]
	;; [unrolled: 1-line block ×4, first 2 shown]
	v_min3_f32 v119, v119, v120, v197
	v_min_f32_e32 v120, v121, v122
	v_min3_f32 v118, v118, v120, v119
	v_lshlrev_b64 v[120:121], 3, v[138:139]
	v_cvt_f64_f32_e32 v[118:119], v118
	v_add_co_u32 v120, vcc_lo, v114, v120
	v_add_co_ci_u32_e64 v121, null, v115, v121, vcc_lo
	global_store_dwordx2 v[120:121], v[118:119], off
	s_or_b32 exec_lo, exec_lo, s11
	s_and_b32 s12, s6, s8
	s_and_saveexec_b32 s11, s12
	s_cbranch_execz .LBB177_144
.LBB177_169:
	v_cmp_ne_u32_e32 vcc_lo, 1, v144
	s_cbranch_vccnz .LBB177_171
; %bb.170:
	v_lshlrev_b64 v[118:119], 3, v[140:141]
	v_add_co_u32 v118, vcc_lo, v116, v118
	v_add_co_ci_u32_e64 v119, null, v117, v119, vcc_lo
	global_load_dwordx2 v[118:119], v[118:119], off
	s_waitcnt vmcnt(0)
	v_mul_f64 v[118:119], s[16:17], v[118:119]
	v_cvt_f32_f64_e32 v118, v[118:119]
	s_branch .LBB177_172
.LBB177_171:
	v_mov_b32_e32 v118, 0
.LBB177_172:
	v_add_f64 v[119:120], v[22:23], v[110:111]
	v_add_f64 v[121:122], v[24:25], v[112:113]
	;; [unrolled: 1-line block ×4, first 2 shown]
	v_cvt_f32_f64_e32 v119, v[119:120]
	v_cvt_f32_f64_e32 v120, v[121:122]
	;; [unrolled: 1-line block ×4, first 2 shown]
	v_min3_f32 v119, v119, v120, v196
	v_min_f32_e32 v120, v121, v122
	v_min3_f32 v118, v118, v120, v119
	v_lshlrev_b64 v[120:121], 3, v[140:141]
	v_cvt_f64_f32_e32 v[118:119], v118
	v_add_co_u32 v120, vcc_lo, v114, v120
	v_add_co_ci_u32_e64 v121, null, v115, v121, vcc_lo
	global_store_dwordx2 v[120:121], v[118:119], off
	s_or_b32 exec_lo, exec_lo, s11
	s_and_b32 s11, s7, s8
	s_and_saveexec_b32 s8, s11
	s_cbranch_execz .LBB177_177
.LBB177_173:
	v_cmp_ne_u32_e32 vcc_lo, 1, v144
	s_cbranch_vccnz .LBB177_175
; %bb.174:
	v_lshlrev_b64 v[118:119], 3, v[142:143]
	v_add_co_u32 v116, vcc_lo, v116, v118
	v_add_co_ci_u32_e64 v117, null, v117, v119, vcc_lo
	global_load_dwordx2 v[116:117], v[116:117], off
	s_waitcnt vmcnt(0)
	v_mul_f64 v[116:117], s[16:17], v[116:117]
	v_cvt_f32_f64_e32 v116, v[116:117]
	s_branch .LBB177_176
.LBB177_175:
	v_mov_b32_e32 v116, 0
.LBB177_176:
	v_add_f64 v[110:111], v[6:7], v[110:111]
	v_add_f64 v[112:113], v[8:9], v[112:113]
	;; [unrolled: 1-line block ×4, first 2 shown]
	v_cvt_f32_f64_e32 v110, v[110:111]
	v_cvt_f32_f64_e32 v111, v[112:113]
	;; [unrolled: 1-line block ×4, first 2 shown]
	v_min3_f32 v108, v110, v111, v195
	v_min_f32_e32 v106, v106, v107
	v_min3_f32 v106, v116, v106, v108
	v_lshlrev_b64 v[108:109], 3, v[142:143]
	v_cvt_f64_f32_e32 v[106:107], v106
	v_add_co_u32 v108, vcc_lo, v114, v108
	v_add_co_ci_u32_e64 v109, null, v115, v109, vcc_lo
	global_store_dwordx2 v[108:109], v[106:107], off
.LBB177_177:
	s_or_b32 exec_lo, exec_lo, s8
	v_add_nc_u32_e32 v110, 0x60, v145
	v_mad_i64_i32 v[106:107], null, v110, s15, 0
	v_mad_i64_i32 v[108:109], null, v110, s14, 0
	v_cmp_gt_i32_e64 s8, s13, v110
	v_lshlrev_b64 v[106:107], 3, v[106:107]
	s_and_b32 s12, s0, s8
	v_lshlrev_b64 v[110:111], 3, v[108:109]
	v_add_co_u32 v108, vcc_lo, s18, v106
	v_add_co_ci_u32_e64 v109, null, s19, v107, vcc_lo
	v_add_co_u32 v106, vcc_lo, s10, v110
	v_add_co_ci_u32_e64 v107, null, s9, v111, vcc_lo
	s_and_saveexec_b32 s11, s12
	s_cbranch_execnz .LBB177_185
; %bb.178:
	s_or_b32 exec_lo, exec_lo, s11
	s_and_b32 s12, s1, s8
	s_and_saveexec_b32 s11, s12
	s_cbranch_execnz .LBB177_189
.LBB177_179:
	s_or_b32 exec_lo, exec_lo, s11
	s_and_b32 s12, s2, s8
	s_and_saveexec_b32 s11, s12
	s_cbranch_execnz .LBB177_193
.LBB177_180:
	s_or_b32 exec_lo, exec_lo, s11
	s_and_b32 s12, s3, s8
	s_and_saveexec_b32 s11, s12
	s_cbranch_execnz .LBB177_197
.LBB177_181:
	s_or_b32 exec_lo, exec_lo, s11
	s_and_b32 s12, s4, s8
	s_and_saveexec_b32 s11, s12
	s_cbranch_execnz .LBB177_201
.LBB177_182:
	s_or_b32 exec_lo, exec_lo, s11
	s_and_b32 s12, s5, s8
	s_and_saveexec_b32 s11, s12
	s_cbranch_execnz .LBB177_205
.LBB177_183:
	s_or_b32 exec_lo, exec_lo, s11
	s_and_b32 s12, s6, s8
	s_and_saveexec_b32 s11, s12
	s_cbranch_execnz .LBB177_209
.LBB177_184:
	s_or_b32 exec_lo, exec_lo, s11
	s_and_b32 s11, s7, s8
	s_and_saveexec_b32 s8, s11
	s_cbranch_execnz .LBB177_213
	s_branch .LBB177_217
.LBB177_185:
	v_cmp_ne_u32_e32 vcc_lo, 1, v144
	s_cbranch_vccnz .LBB177_187
; %bb.186:
	v_lshlrev_b64 v[110:111], 3, v[0:1]
	v_add_co_u32 v110, vcc_lo, v108, v110
	v_add_co_ci_u32_e64 v111, null, v109, v111, vcc_lo
	global_load_dwordx2 v[110:111], v[110:111], off
	s_waitcnt vmcnt(0)
	v_mul_f64 v[110:111], s[16:17], v[110:111]
	v_cvt_f32_f64_e32 v110, v[110:111]
	s_branch .LBB177_188
.LBB177_187:
	v_mov_b32_e32 v110, 0
.LBB177_188:
	v_add_f64 v[111:112], v[70:71], v[102:103]
	v_add_f64 v[113:114], v[72:73], v[104:105]
	;; [unrolled: 1-line block ×4, first 2 shown]
	v_cvt_f32_f64_e32 v111, v[111:112]
	v_cvt_f32_f64_e32 v112, v[113:114]
	;; [unrolled: 1-line block ×4, first 2 shown]
	v_min3_f32 v111, v111, v112, v194
	v_min_f32_e32 v112, v113, v114
	v_min3_f32 v110, v110, v112, v111
	v_lshlrev_b64 v[112:113], 3, v[0:1]
	v_cvt_f64_f32_e32 v[110:111], v110
	v_add_co_u32 v112, vcc_lo, v106, v112
	v_add_co_ci_u32_e64 v113, null, v107, v113, vcc_lo
	global_store_dwordx2 v[112:113], v[110:111], off
	s_or_b32 exec_lo, exec_lo, s11
	s_and_b32 s12, s1, s8
	s_and_saveexec_b32 s11, s12
	s_cbranch_execz .LBB177_179
.LBB177_189:
	v_cmp_ne_u32_e32 vcc_lo, 1, v144
	s_cbranch_vccnz .LBB177_191
; %bb.190:
	v_lshlrev_b64 v[110:111], 3, v[130:131]
	v_add_co_u32 v110, vcc_lo, v108, v110
	v_add_co_ci_u32_e64 v111, null, v109, v111, vcc_lo
	global_load_dwordx2 v[110:111], v[110:111], off
	s_waitcnt vmcnt(0)
	v_mul_f64 v[110:111], s[16:17], v[110:111]
	v_cvt_f32_f64_e32 v110, v[110:111]
	s_branch .LBB177_192
.LBB177_191:
	v_mov_b32_e32 v110, 0
.LBB177_192:
	v_add_f64 v[111:112], v[62:63], v[102:103]
	v_add_f64 v[113:114], v[64:65], v[104:105]
	;; [unrolled: 1-line block ×4, first 2 shown]
	v_cvt_f32_f64_e32 v111, v[111:112]
	v_cvt_f32_f64_e32 v112, v[113:114]
	v_cvt_f32_f64_e32 v113, v[115:116]
	v_cvt_f32_f64_e32 v114, v[117:118]
	v_min3_f32 v111, v111, v112, v193
	v_min_f32_e32 v112, v113, v114
	v_min3_f32 v110, v110, v112, v111
	v_lshlrev_b64 v[112:113], 3, v[130:131]
	v_cvt_f64_f32_e32 v[110:111], v110
	v_add_co_u32 v112, vcc_lo, v106, v112
	v_add_co_ci_u32_e64 v113, null, v107, v113, vcc_lo
	global_store_dwordx2 v[112:113], v[110:111], off
	s_or_b32 exec_lo, exec_lo, s11
	s_and_b32 s12, s2, s8
	s_and_saveexec_b32 s11, s12
	s_cbranch_execz .LBB177_180
.LBB177_193:
	v_cmp_ne_u32_e32 vcc_lo, 1, v144
	s_cbranch_vccnz .LBB177_195
; %bb.194:
	v_lshlrev_b64 v[110:111], 3, v[132:133]
	v_add_co_u32 v110, vcc_lo, v108, v110
	v_add_co_ci_u32_e64 v111, null, v109, v111, vcc_lo
	global_load_dwordx2 v[110:111], v[110:111], off
	s_waitcnt vmcnt(0)
	v_mul_f64 v[110:111], s[16:17], v[110:111]
	v_cvt_f32_f64_e32 v110, v[110:111]
	s_branch .LBB177_196
.LBB177_195:
	v_mov_b32_e32 v110, 0
.LBB177_196:
	v_add_f64 v[111:112], v[54:55], v[102:103]
	v_add_f64 v[113:114], v[56:57], v[104:105]
	v_add_f64 v[115:116], v[50:51], v[98:99]
	v_add_f64 v[117:118], v[52:53], v[100:101]
	v_cvt_f32_f64_e32 v111, v[111:112]
	v_cvt_f32_f64_e32 v112, v[113:114]
	v_cvt_f32_f64_e32 v113, v[115:116]
	v_cvt_f32_f64_e32 v114, v[117:118]
	v_min3_f32 v111, v111, v112, v192
	v_min_f32_e32 v112, v113, v114
	v_min3_f32 v110, v110, v112, v111
	v_lshlrev_b64 v[112:113], 3, v[132:133]
	v_cvt_f64_f32_e32 v[110:111], v110
	v_add_co_u32 v112, vcc_lo, v106, v112
	v_add_co_ci_u32_e64 v113, null, v107, v113, vcc_lo
	global_store_dwordx2 v[112:113], v[110:111], off
	s_or_b32 exec_lo, exec_lo, s11
	s_and_b32 s12, s3, s8
	s_and_saveexec_b32 s11, s12
	s_cbranch_execz .LBB177_181
.LBB177_197:
	v_cmp_ne_u32_e32 vcc_lo, 1, v144
	s_cbranch_vccnz .LBB177_199
; %bb.198:
	v_lshlrev_b64 v[110:111], 3, v[134:135]
	v_add_co_u32 v110, vcc_lo, v108, v110
	v_add_co_ci_u32_e64 v111, null, v109, v111, vcc_lo
	global_load_dwordx2 v[110:111], v[110:111], off
	s_waitcnt vmcnt(0)
	v_mul_f64 v[110:111], s[16:17], v[110:111]
	v_cvt_f32_f64_e32 v110, v[110:111]
	s_branch .LBB177_200
.LBB177_199:
	v_mov_b32_e32 v110, 0
.LBB177_200:
	v_add_f64 v[111:112], v[46:47], v[102:103]
	v_add_f64 v[113:114], v[48:49], v[104:105]
	;; [unrolled: 1-line block ×4, first 2 shown]
	v_cvt_f32_f64_e32 v111, v[111:112]
	v_cvt_f32_f64_e32 v112, v[113:114]
	;; [unrolled: 1-line block ×4, first 2 shown]
	v_min3_f32 v111, v111, v112, v191
	v_min_f32_e32 v112, v113, v114
	v_min3_f32 v110, v110, v112, v111
	v_lshlrev_b64 v[112:113], 3, v[134:135]
	v_cvt_f64_f32_e32 v[110:111], v110
	v_add_co_u32 v112, vcc_lo, v106, v112
	v_add_co_ci_u32_e64 v113, null, v107, v113, vcc_lo
	global_store_dwordx2 v[112:113], v[110:111], off
	s_or_b32 exec_lo, exec_lo, s11
	s_and_b32 s12, s4, s8
	s_and_saveexec_b32 s11, s12
	s_cbranch_execz .LBB177_182
.LBB177_201:
	v_cmp_ne_u32_e32 vcc_lo, 1, v144
	s_cbranch_vccnz .LBB177_203
; %bb.202:
	v_lshlrev_b64 v[110:111], 3, v[136:137]
	v_add_co_u32 v110, vcc_lo, v108, v110
	v_add_co_ci_u32_e64 v111, null, v109, v111, vcc_lo
	global_load_dwordx2 v[110:111], v[110:111], off
	s_waitcnt vmcnt(0)
	v_mul_f64 v[110:111], s[16:17], v[110:111]
	v_cvt_f32_f64_e32 v110, v[110:111]
	s_branch .LBB177_204
.LBB177_203:
	v_mov_b32_e32 v110, 0
.LBB177_204:
	v_add_f64 v[111:112], v[38:39], v[102:103]
	v_add_f64 v[113:114], v[40:41], v[104:105]
	;; [unrolled: 1-line block ×4, first 2 shown]
	v_cvt_f32_f64_e32 v111, v[111:112]
	v_cvt_f32_f64_e32 v112, v[113:114]
	v_cvt_f32_f64_e32 v113, v[115:116]
	v_cvt_f32_f64_e32 v114, v[117:118]
	v_min3_f32 v111, v111, v112, v190
	v_min_f32_e32 v112, v113, v114
	v_min3_f32 v110, v110, v112, v111
	v_lshlrev_b64 v[112:113], 3, v[136:137]
	v_cvt_f64_f32_e32 v[110:111], v110
	v_add_co_u32 v112, vcc_lo, v106, v112
	v_add_co_ci_u32_e64 v113, null, v107, v113, vcc_lo
	global_store_dwordx2 v[112:113], v[110:111], off
	s_or_b32 exec_lo, exec_lo, s11
	s_and_b32 s12, s5, s8
	s_and_saveexec_b32 s11, s12
	s_cbranch_execz .LBB177_183
.LBB177_205:
	v_cmp_ne_u32_e32 vcc_lo, 1, v144
	s_cbranch_vccnz .LBB177_207
; %bb.206:
	v_lshlrev_b64 v[110:111], 3, v[138:139]
	v_add_co_u32 v110, vcc_lo, v108, v110
	v_add_co_ci_u32_e64 v111, null, v109, v111, vcc_lo
	global_load_dwordx2 v[110:111], v[110:111], off
	s_waitcnt vmcnt(0)
	v_mul_f64 v[110:111], s[16:17], v[110:111]
	v_cvt_f32_f64_e32 v110, v[110:111]
	s_branch .LBB177_208
.LBB177_207:
	v_mov_b32_e32 v110, 0
.LBB177_208:
	v_add_f64 v[111:112], v[30:31], v[102:103]
	v_add_f64 v[113:114], v[32:33], v[104:105]
	;; [unrolled: 1-line block ×4, first 2 shown]
	v_cvt_f32_f64_e32 v111, v[111:112]
	v_cvt_f32_f64_e32 v112, v[113:114]
	;; [unrolled: 1-line block ×4, first 2 shown]
	v_min3_f32 v111, v111, v112, v189
	v_min_f32_e32 v112, v113, v114
	v_min3_f32 v110, v110, v112, v111
	v_lshlrev_b64 v[112:113], 3, v[138:139]
	v_cvt_f64_f32_e32 v[110:111], v110
	v_add_co_u32 v112, vcc_lo, v106, v112
	v_add_co_ci_u32_e64 v113, null, v107, v113, vcc_lo
	global_store_dwordx2 v[112:113], v[110:111], off
	s_or_b32 exec_lo, exec_lo, s11
	s_and_b32 s12, s6, s8
	s_and_saveexec_b32 s11, s12
	s_cbranch_execz .LBB177_184
.LBB177_209:
	v_cmp_ne_u32_e32 vcc_lo, 1, v144
	s_cbranch_vccnz .LBB177_211
; %bb.210:
	v_lshlrev_b64 v[110:111], 3, v[140:141]
	v_add_co_u32 v110, vcc_lo, v108, v110
	v_add_co_ci_u32_e64 v111, null, v109, v111, vcc_lo
	global_load_dwordx2 v[110:111], v[110:111], off
	s_waitcnt vmcnt(0)
	v_mul_f64 v[110:111], s[16:17], v[110:111]
	v_cvt_f32_f64_e32 v110, v[110:111]
	s_branch .LBB177_212
.LBB177_211:
	v_mov_b32_e32 v110, 0
.LBB177_212:
	v_add_f64 v[111:112], v[22:23], v[102:103]
	v_add_f64 v[113:114], v[24:25], v[104:105]
	;; [unrolled: 1-line block ×4, first 2 shown]
	v_cvt_f32_f64_e32 v111, v[111:112]
	v_cvt_f32_f64_e32 v112, v[113:114]
	;; [unrolled: 1-line block ×4, first 2 shown]
	v_min3_f32 v111, v111, v112, v188
	v_min_f32_e32 v112, v113, v114
	v_min3_f32 v110, v110, v112, v111
	v_lshlrev_b64 v[112:113], 3, v[140:141]
	v_cvt_f64_f32_e32 v[110:111], v110
	v_add_co_u32 v112, vcc_lo, v106, v112
	v_add_co_ci_u32_e64 v113, null, v107, v113, vcc_lo
	global_store_dwordx2 v[112:113], v[110:111], off
	s_or_b32 exec_lo, exec_lo, s11
	s_and_b32 s11, s7, s8
	s_and_saveexec_b32 s8, s11
	s_cbranch_execz .LBB177_217
.LBB177_213:
	v_cmp_ne_u32_e32 vcc_lo, 1, v144
	s_cbranch_vccnz .LBB177_215
; %bb.214:
	v_lshlrev_b64 v[110:111], 3, v[142:143]
	v_add_co_u32 v108, vcc_lo, v108, v110
	v_add_co_ci_u32_e64 v109, null, v109, v111, vcc_lo
	global_load_dwordx2 v[108:109], v[108:109], off
	s_waitcnt vmcnt(0)
	v_mul_f64 v[108:109], s[16:17], v[108:109]
	v_cvt_f32_f64_e32 v108, v[108:109]
	s_branch .LBB177_216
.LBB177_215:
	v_mov_b32_e32 v108, 0
.LBB177_216:
	v_add_f64 v[102:103], v[6:7], v[102:103]
	v_add_f64 v[104:105], v[8:9], v[104:105]
	;; [unrolled: 1-line block ×4, first 2 shown]
	v_cvt_f32_f64_e32 v102, v[102:103]
	v_cvt_f32_f64_e32 v103, v[104:105]
	;; [unrolled: 1-line block ×4, first 2 shown]
	v_min3_f32 v100, v102, v103, v187
	v_min_f32_e32 v98, v98, v99
	v_min3_f32 v98, v108, v98, v100
	v_lshlrev_b64 v[100:101], 3, v[142:143]
	v_cvt_f64_f32_e32 v[98:99], v98
	v_add_co_u32 v100, vcc_lo, v106, v100
	v_add_co_ci_u32_e64 v101, null, v107, v101, vcc_lo
	global_store_dwordx2 v[100:101], v[98:99], off
.LBB177_217:
	s_or_b32 exec_lo, exec_lo, s8
	v_add_nc_u32_e32 v102, 0x80, v145
	v_mad_i64_i32 v[98:99], null, v102, s15, 0
	v_mad_i64_i32 v[100:101], null, v102, s14, 0
	v_cmp_gt_i32_e64 s8, s13, v102
	v_lshlrev_b64 v[98:99], 3, v[98:99]
	s_and_b32 s12, s0, s8
	v_lshlrev_b64 v[102:103], 3, v[100:101]
	v_add_co_u32 v100, vcc_lo, s18, v98
	v_add_co_ci_u32_e64 v101, null, s19, v99, vcc_lo
	v_add_co_u32 v98, vcc_lo, s10, v102
	v_add_co_ci_u32_e64 v99, null, s9, v103, vcc_lo
	s_and_saveexec_b32 s11, s12
	s_cbranch_execnz .LBB177_225
; %bb.218:
	s_or_b32 exec_lo, exec_lo, s11
	s_and_b32 s12, s1, s8
	s_and_saveexec_b32 s11, s12
	s_cbranch_execnz .LBB177_229
.LBB177_219:
	s_or_b32 exec_lo, exec_lo, s11
	s_and_b32 s12, s2, s8
	s_and_saveexec_b32 s11, s12
	s_cbranch_execnz .LBB177_233
.LBB177_220:
	s_or_b32 exec_lo, exec_lo, s11
	s_and_b32 s12, s3, s8
	s_and_saveexec_b32 s11, s12
	s_cbranch_execnz .LBB177_237
.LBB177_221:
	s_or_b32 exec_lo, exec_lo, s11
	s_and_b32 s12, s4, s8
	s_and_saveexec_b32 s11, s12
	s_cbranch_execnz .LBB177_241
.LBB177_222:
	s_or_b32 exec_lo, exec_lo, s11
	s_and_b32 s12, s5, s8
	s_and_saveexec_b32 s11, s12
	s_cbranch_execnz .LBB177_245
.LBB177_223:
	s_or_b32 exec_lo, exec_lo, s11
	s_and_b32 s12, s6, s8
	s_and_saveexec_b32 s11, s12
	s_cbranch_execnz .LBB177_249
.LBB177_224:
	s_or_b32 exec_lo, exec_lo, s11
	s_and_b32 s11, s7, s8
	s_and_saveexec_b32 s8, s11
	s_cbranch_execnz .LBB177_253
	s_branch .LBB177_257
.LBB177_225:
	v_cmp_ne_u32_e32 vcc_lo, 1, v144
	s_cbranch_vccnz .LBB177_227
; %bb.226:
	v_lshlrev_b64 v[102:103], 3, v[0:1]
	v_add_co_u32 v102, vcc_lo, v100, v102
	v_add_co_ci_u32_e64 v103, null, v101, v103, vcc_lo
	global_load_dwordx2 v[102:103], v[102:103], off
	s_waitcnt vmcnt(0)
	v_mul_f64 v[102:103], s[16:17], v[102:103]
	v_cvt_f32_f64_e32 v102, v[102:103]
	s_branch .LBB177_228
.LBB177_227:
	v_mov_b32_e32 v102, 0
.LBB177_228:
	v_add_f64 v[103:104], v[70:71], v[94:95]
	v_add_f64 v[105:106], v[72:73], v[96:97]
	;; [unrolled: 1-line block ×4, first 2 shown]
	v_cvt_f32_f64_e32 v103, v[103:104]
	v_cvt_f32_f64_e32 v104, v[105:106]
	;; [unrolled: 1-line block ×4, first 2 shown]
	v_min3_f32 v103, v103, v104, v186
	v_min_f32_e32 v104, v105, v106
	v_min3_f32 v102, v102, v104, v103
	v_lshlrev_b64 v[104:105], 3, v[0:1]
	v_cvt_f64_f32_e32 v[102:103], v102
	v_add_co_u32 v104, vcc_lo, v98, v104
	v_add_co_ci_u32_e64 v105, null, v99, v105, vcc_lo
	global_store_dwordx2 v[104:105], v[102:103], off
	s_or_b32 exec_lo, exec_lo, s11
	s_and_b32 s12, s1, s8
	s_and_saveexec_b32 s11, s12
	s_cbranch_execz .LBB177_219
.LBB177_229:
	v_cmp_ne_u32_e32 vcc_lo, 1, v144
	s_cbranch_vccnz .LBB177_231
; %bb.230:
	v_lshlrev_b64 v[102:103], 3, v[130:131]
	v_add_co_u32 v102, vcc_lo, v100, v102
	v_add_co_ci_u32_e64 v103, null, v101, v103, vcc_lo
	global_load_dwordx2 v[102:103], v[102:103], off
	s_waitcnt vmcnt(0)
	v_mul_f64 v[102:103], s[16:17], v[102:103]
	v_cvt_f32_f64_e32 v102, v[102:103]
	s_branch .LBB177_232
.LBB177_231:
	v_mov_b32_e32 v102, 0
.LBB177_232:
	v_add_f64 v[103:104], v[62:63], v[94:95]
	v_add_f64 v[105:106], v[64:65], v[96:97]
	;; [unrolled: 1-line block ×4, first 2 shown]
	v_cvt_f32_f64_e32 v103, v[103:104]
	v_cvt_f32_f64_e32 v104, v[105:106]
	;; [unrolled: 1-line block ×4, first 2 shown]
	v_min3_f32 v103, v103, v104, v185
	v_min_f32_e32 v104, v105, v106
	v_min3_f32 v102, v102, v104, v103
	v_lshlrev_b64 v[104:105], 3, v[130:131]
	v_cvt_f64_f32_e32 v[102:103], v102
	v_add_co_u32 v104, vcc_lo, v98, v104
	v_add_co_ci_u32_e64 v105, null, v99, v105, vcc_lo
	global_store_dwordx2 v[104:105], v[102:103], off
	s_or_b32 exec_lo, exec_lo, s11
	s_and_b32 s12, s2, s8
	s_and_saveexec_b32 s11, s12
	s_cbranch_execz .LBB177_220
.LBB177_233:
	v_cmp_ne_u32_e32 vcc_lo, 1, v144
	s_cbranch_vccnz .LBB177_235
; %bb.234:
	v_lshlrev_b64 v[102:103], 3, v[132:133]
	v_add_co_u32 v102, vcc_lo, v100, v102
	v_add_co_ci_u32_e64 v103, null, v101, v103, vcc_lo
	global_load_dwordx2 v[102:103], v[102:103], off
	s_waitcnt vmcnt(0)
	v_mul_f64 v[102:103], s[16:17], v[102:103]
	v_cvt_f32_f64_e32 v102, v[102:103]
	s_branch .LBB177_236
.LBB177_235:
	v_mov_b32_e32 v102, 0
.LBB177_236:
	v_add_f64 v[103:104], v[54:55], v[94:95]
	v_add_f64 v[105:106], v[56:57], v[96:97]
	;; [unrolled: 1-line block ×4, first 2 shown]
	v_cvt_f32_f64_e32 v103, v[103:104]
	v_cvt_f32_f64_e32 v104, v[105:106]
	;; [unrolled: 1-line block ×4, first 2 shown]
	v_min3_f32 v103, v103, v104, v184
	v_min_f32_e32 v104, v105, v106
	v_min3_f32 v102, v102, v104, v103
	v_lshlrev_b64 v[104:105], 3, v[132:133]
	v_cvt_f64_f32_e32 v[102:103], v102
	v_add_co_u32 v104, vcc_lo, v98, v104
	v_add_co_ci_u32_e64 v105, null, v99, v105, vcc_lo
	global_store_dwordx2 v[104:105], v[102:103], off
	s_or_b32 exec_lo, exec_lo, s11
	s_and_b32 s12, s3, s8
	s_and_saveexec_b32 s11, s12
	s_cbranch_execz .LBB177_221
.LBB177_237:
	v_cmp_ne_u32_e32 vcc_lo, 1, v144
	s_cbranch_vccnz .LBB177_239
; %bb.238:
	v_lshlrev_b64 v[102:103], 3, v[134:135]
	v_add_co_u32 v102, vcc_lo, v100, v102
	v_add_co_ci_u32_e64 v103, null, v101, v103, vcc_lo
	global_load_dwordx2 v[102:103], v[102:103], off
	s_waitcnt vmcnt(0)
	v_mul_f64 v[102:103], s[16:17], v[102:103]
	v_cvt_f32_f64_e32 v102, v[102:103]
	s_branch .LBB177_240
.LBB177_239:
	v_mov_b32_e32 v102, 0
.LBB177_240:
	v_add_f64 v[103:104], v[46:47], v[94:95]
	v_add_f64 v[105:106], v[48:49], v[96:97]
	;; [unrolled: 1-line block ×4, first 2 shown]
	v_cvt_f32_f64_e32 v103, v[103:104]
	v_cvt_f32_f64_e32 v104, v[105:106]
	;; [unrolled: 1-line block ×4, first 2 shown]
	v_min3_f32 v103, v103, v104, v183
	v_min_f32_e32 v104, v105, v106
	v_min3_f32 v102, v102, v104, v103
	v_lshlrev_b64 v[104:105], 3, v[134:135]
	v_cvt_f64_f32_e32 v[102:103], v102
	v_add_co_u32 v104, vcc_lo, v98, v104
	v_add_co_ci_u32_e64 v105, null, v99, v105, vcc_lo
	global_store_dwordx2 v[104:105], v[102:103], off
	s_or_b32 exec_lo, exec_lo, s11
	s_and_b32 s12, s4, s8
	s_and_saveexec_b32 s11, s12
	s_cbranch_execz .LBB177_222
.LBB177_241:
	v_cmp_ne_u32_e32 vcc_lo, 1, v144
	s_cbranch_vccnz .LBB177_243
; %bb.242:
	v_lshlrev_b64 v[102:103], 3, v[136:137]
	v_add_co_u32 v102, vcc_lo, v100, v102
	v_add_co_ci_u32_e64 v103, null, v101, v103, vcc_lo
	global_load_dwordx2 v[102:103], v[102:103], off
	s_waitcnt vmcnt(0)
	v_mul_f64 v[102:103], s[16:17], v[102:103]
	v_cvt_f32_f64_e32 v102, v[102:103]
	s_branch .LBB177_244
.LBB177_243:
	v_mov_b32_e32 v102, 0
.LBB177_244:
	v_add_f64 v[103:104], v[38:39], v[94:95]
	v_add_f64 v[105:106], v[40:41], v[96:97]
	;; [unrolled: 1-line block ×4, first 2 shown]
	v_cvt_f32_f64_e32 v103, v[103:104]
	v_cvt_f32_f64_e32 v104, v[105:106]
	;; [unrolled: 1-line block ×4, first 2 shown]
	v_min3_f32 v103, v103, v104, v182
	v_min_f32_e32 v104, v105, v106
	v_min3_f32 v102, v102, v104, v103
	v_lshlrev_b64 v[104:105], 3, v[136:137]
	v_cvt_f64_f32_e32 v[102:103], v102
	v_add_co_u32 v104, vcc_lo, v98, v104
	v_add_co_ci_u32_e64 v105, null, v99, v105, vcc_lo
	global_store_dwordx2 v[104:105], v[102:103], off
	s_or_b32 exec_lo, exec_lo, s11
	s_and_b32 s12, s5, s8
	s_and_saveexec_b32 s11, s12
	s_cbranch_execz .LBB177_223
.LBB177_245:
	v_cmp_ne_u32_e32 vcc_lo, 1, v144
	s_cbranch_vccnz .LBB177_247
; %bb.246:
	v_lshlrev_b64 v[102:103], 3, v[138:139]
	v_add_co_u32 v102, vcc_lo, v100, v102
	v_add_co_ci_u32_e64 v103, null, v101, v103, vcc_lo
	global_load_dwordx2 v[102:103], v[102:103], off
	s_waitcnt vmcnt(0)
	v_mul_f64 v[102:103], s[16:17], v[102:103]
	v_cvt_f32_f64_e32 v102, v[102:103]
	s_branch .LBB177_248
.LBB177_247:
	v_mov_b32_e32 v102, 0
.LBB177_248:
	v_add_f64 v[103:104], v[30:31], v[94:95]
	v_add_f64 v[105:106], v[32:33], v[96:97]
	;; [unrolled: 1-line block ×4, first 2 shown]
	v_cvt_f32_f64_e32 v103, v[103:104]
	v_cvt_f32_f64_e32 v104, v[105:106]
	;; [unrolled: 1-line block ×4, first 2 shown]
	v_min3_f32 v103, v103, v104, v181
	v_min_f32_e32 v104, v105, v106
	v_min3_f32 v102, v102, v104, v103
	v_lshlrev_b64 v[104:105], 3, v[138:139]
	v_cvt_f64_f32_e32 v[102:103], v102
	v_add_co_u32 v104, vcc_lo, v98, v104
	v_add_co_ci_u32_e64 v105, null, v99, v105, vcc_lo
	global_store_dwordx2 v[104:105], v[102:103], off
	s_or_b32 exec_lo, exec_lo, s11
	s_and_b32 s12, s6, s8
	s_and_saveexec_b32 s11, s12
	s_cbranch_execz .LBB177_224
.LBB177_249:
	v_cmp_ne_u32_e32 vcc_lo, 1, v144
	s_cbranch_vccnz .LBB177_251
; %bb.250:
	v_lshlrev_b64 v[102:103], 3, v[140:141]
	v_add_co_u32 v102, vcc_lo, v100, v102
	v_add_co_ci_u32_e64 v103, null, v101, v103, vcc_lo
	global_load_dwordx2 v[102:103], v[102:103], off
	s_waitcnt vmcnt(0)
	v_mul_f64 v[102:103], s[16:17], v[102:103]
	v_cvt_f32_f64_e32 v102, v[102:103]
	s_branch .LBB177_252
.LBB177_251:
	v_mov_b32_e32 v102, 0
.LBB177_252:
	v_add_f64 v[103:104], v[22:23], v[94:95]
	v_add_f64 v[105:106], v[24:25], v[96:97]
	v_add_f64 v[107:108], v[18:19], v[90:91]
	v_add_f64 v[109:110], v[20:21], v[92:93]
	v_cvt_f32_f64_e32 v103, v[103:104]
	v_cvt_f32_f64_e32 v104, v[105:106]
	;; [unrolled: 1-line block ×4, first 2 shown]
	v_min3_f32 v103, v103, v104, v180
	v_min_f32_e32 v104, v105, v106
	v_min3_f32 v102, v102, v104, v103
	v_lshlrev_b64 v[104:105], 3, v[140:141]
	v_cvt_f64_f32_e32 v[102:103], v102
	v_add_co_u32 v104, vcc_lo, v98, v104
	v_add_co_ci_u32_e64 v105, null, v99, v105, vcc_lo
	global_store_dwordx2 v[104:105], v[102:103], off
	s_or_b32 exec_lo, exec_lo, s11
	s_and_b32 s11, s7, s8
	s_and_saveexec_b32 s8, s11
	s_cbranch_execz .LBB177_257
.LBB177_253:
	v_cmp_ne_u32_e32 vcc_lo, 1, v144
	s_cbranch_vccnz .LBB177_255
; %bb.254:
	v_lshlrev_b64 v[102:103], 3, v[142:143]
	v_add_co_u32 v100, vcc_lo, v100, v102
	v_add_co_ci_u32_e64 v101, null, v101, v103, vcc_lo
	global_load_dwordx2 v[100:101], v[100:101], off
	s_waitcnt vmcnt(0)
	v_mul_f64 v[100:101], s[16:17], v[100:101]
	v_cvt_f32_f64_e32 v100, v[100:101]
	s_branch .LBB177_256
.LBB177_255:
	v_mov_b32_e32 v100, 0
.LBB177_256:
	v_add_f64 v[94:95], v[6:7], v[94:95]
	v_add_f64 v[96:97], v[8:9], v[96:97]
	;; [unrolled: 1-line block ×4, first 2 shown]
	v_cvt_f32_f64_e32 v94, v[94:95]
	v_cvt_f32_f64_e32 v95, v[96:97]
	;; [unrolled: 1-line block ×4, first 2 shown]
	v_min3_f32 v92, v94, v95, v179
	v_min_f32_e32 v90, v90, v91
	v_min3_f32 v90, v100, v90, v92
	v_lshlrev_b64 v[92:93], 3, v[142:143]
	v_cvt_f64_f32_e32 v[90:91], v90
	v_add_co_u32 v92, vcc_lo, v98, v92
	v_add_co_ci_u32_e64 v93, null, v99, v93, vcc_lo
	global_store_dwordx2 v[92:93], v[90:91], off
.LBB177_257:
	s_or_b32 exec_lo, exec_lo, s8
	v_add_nc_u32_e32 v94, 0xa0, v145
	v_mad_i64_i32 v[90:91], null, v94, s15, 0
	v_mad_i64_i32 v[92:93], null, v94, s14, 0
	v_cmp_gt_i32_e64 s8, s13, v94
	v_lshlrev_b64 v[90:91], 3, v[90:91]
	s_and_b32 s12, s0, s8
	v_lshlrev_b64 v[94:95], 3, v[92:93]
	v_add_co_u32 v92, vcc_lo, s18, v90
	v_add_co_ci_u32_e64 v93, null, s19, v91, vcc_lo
	v_add_co_u32 v90, vcc_lo, s10, v94
	v_add_co_ci_u32_e64 v91, null, s9, v95, vcc_lo
	s_and_saveexec_b32 s11, s12
	s_cbranch_execnz .LBB177_265
; %bb.258:
	s_or_b32 exec_lo, exec_lo, s11
	s_and_b32 s12, s1, s8
	s_and_saveexec_b32 s11, s12
	s_cbranch_execnz .LBB177_269
.LBB177_259:
	s_or_b32 exec_lo, exec_lo, s11
	s_and_b32 s12, s2, s8
	s_and_saveexec_b32 s11, s12
	s_cbranch_execnz .LBB177_273
.LBB177_260:
	s_or_b32 exec_lo, exec_lo, s11
	s_and_b32 s12, s3, s8
	s_and_saveexec_b32 s11, s12
	s_cbranch_execnz .LBB177_277
.LBB177_261:
	s_or_b32 exec_lo, exec_lo, s11
	s_and_b32 s12, s4, s8
	s_and_saveexec_b32 s11, s12
	s_cbranch_execnz .LBB177_281
.LBB177_262:
	s_or_b32 exec_lo, exec_lo, s11
	s_and_b32 s12, s5, s8
	s_and_saveexec_b32 s11, s12
	s_cbranch_execnz .LBB177_285
.LBB177_263:
	s_or_b32 exec_lo, exec_lo, s11
	s_and_b32 s12, s6, s8
	s_and_saveexec_b32 s11, s12
	s_cbranch_execnz .LBB177_289
.LBB177_264:
	s_or_b32 exec_lo, exec_lo, s11
	s_and_b32 s11, s7, s8
	s_and_saveexec_b32 s8, s11
	s_cbranch_execnz .LBB177_293
	s_branch .LBB177_297
.LBB177_265:
	v_cmp_ne_u32_e32 vcc_lo, 1, v144
	s_cbranch_vccnz .LBB177_267
; %bb.266:
	v_lshlrev_b64 v[94:95], 3, v[0:1]
	v_add_co_u32 v94, vcc_lo, v92, v94
	v_add_co_ci_u32_e64 v95, null, v93, v95, vcc_lo
	global_load_dwordx2 v[94:95], v[94:95], off
	s_waitcnt vmcnt(0)
	v_mul_f64 v[94:95], s[16:17], v[94:95]
	v_cvt_f32_f64_e32 v94, v[94:95]
	s_branch .LBB177_268
.LBB177_267:
	v_mov_b32_e32 v94, 0
.LBB177_268:
	v_add_f64 v[95:96], v[70:71], v[86:87]
	v_add_f64 v[97:98], v[72:73], v[88:89]
	v_add_f64 v[99:100], v[66:67], v[82:83]
	v_add_f64 v[101:102], v[68:69], v[84:85]
	v_cvt_f32_f64_e32 v95, v[95:96]
	v_cvt_f32_f64_e32 v96, v[97:98]
	;; [unrolled: 1-line block ×4, first 2 shown]
	v_min3_f32 v95, v95, v96, v178
	v_min_f32_e32 v96, v97, v98
	v_min3_f32 v94, v94, v96, v95
	v_lshlrev_b64 v[96:97], 3, v[0:1]
	v_cvt_f64_f32_e32 v[94:95], v94
	v_add_co_u32 v96, vcc_lo, v90, v96
	v_add_co_ci_u32_e64 v97, null, v91, v97, vcc_lo
	global_store_dwordx2 v[96:97], v[94:95], off
	s_or_b32 exec_lo, exec_lo, s11
	s_and_b32 s12, s1, s8
	s_and_saveexec_b32 s11, s12
	s_cbranch_execz .LBB177_259
.LBB177_269:
	v_cmp_ne_u32_e32 vcc_lo, 1, v144
	s_cbranch_vccnz .LBB177_271
; %bb.270:
	v_lshlrev_b64 v[94:95], 3, v[130:131]
	v_add_co_u32 v94, vcc_lo, v92, v94
	v_add_co_ci_u32_e64 v95, null, v93, v95, vcc_lo
	global_load_dwordx2 v[94:95], v[94:95], off
	s_waitcnt vmcnt(0)
	v_mul_f64 v[94:95], s[16:17], v[94:95]
	v_cvt_f32_f64_e32 v94, v[94:95]
	s_branch .LBB177_272
.LBB177_271:
	v_mov_b32_e32 v94, 0
.LBB177_272:
	v_add_f64 v[95:96], v[62:63], v[86:87]
	v_add_f64 v[97:98], v[64:65], v[88:89]
	;; [unrolled: 1-line block ×4, first 2 shown]
	v_cvt_f32_f64_e32 v95, v[95:96]
	v_cvt_f32_f64_e32 v96, v[97:98]
	;; [unrolled: 1-line block ×4, first 2 shown]
	v_min3_f32 v95, v95, v96, v177
	v_min_f32_e32 v96, v97, v98
	v_min3_f32 v94, v94, v96, v95
	v_lshlrev_b64 v[96:97], 3, v[130:131]
	v_cvt_f64_f32_e32 v[94:95], v94
	v_add_co_u32 v96, vcc_lo, v90, v96
	v_add_co_ci_u32_e64 v97, null, v91, v97, vcc_lo
	global_store_dwordx2 v[96:97], v[94:95], off
	s_or_b32 exec_lo, exec_lo, s11
	s_and_b32 s12, s2, s8
	s_and_saveexec_b32 s11, s12
	s_cbranch_execz .LBB177_260
.LBB177_273:
	v_cmp_ne_u32_e32 vcc_lo, 1, v144
	s_cbranch_vccnz .LBB177_275
; %bb.274:
	v_lshlrev_b64 v[94:95], 3, v[132:133]
	v_add_co_u32 v94, vcc_lo, v92, v94
	v_add_co_ci_u32_e64 v95, null, v93, v95, vcc_lo
	global_load_dwordx2 v[94:95], v[94:95], off
	s_waitcnt vmcnt(0)
	v_mul_f64 v[94:95], s[16:17], v[94:95]
	v_cvt_f32_f64_e32 v94, v[94:95]
	s_branch .LBB177_276
.LBB177_275:
	v_mov_b32_e32 v94, 0
.LBB177_276:
	v_add_f64 v[95:96], v[54:55], v[86:87]
	v_add_f64 v[97:98], v[56:57], v[88:89]
	;; [unrolled: 1-line block ×4, first 2 shown]
	v_cvt_f32_f64_e32 v95, v[95:96]
	v_cvt_f32_f64_e32 v96, v[97:98]
	;; [unrolled: 1-line block ×4, first 2 shown]
	v_min3_f32 v95, v95, v96, v170
	v_min_f32_e32 v96, v97, v98
	v_min3_f32 v94, v94, v96, v95
	v_lshlrev_b64 v[96:97], 3, v[132:133]
	v_cvt_f64_f32_e32 v[94:95], v94
	v_add_co_u32 v96, vcc_lo, v90, v96
	v_add_co_ci_u32_e64 v97, null, v91, v97, vcc_lo
	global_store_dwordx2 v[96:97], v[94:95], off
	s_or_b32 exec_lo, exec_lo, s11
	s_and_b32 s12, s3, s8
	s_and_saveexec_b32 s11, s12
	s_cbranch_execz .LBB177_261
.LBB177_277:
	v_cmp_ne_u32_e32 vcc_lo, 1, v144
	s_cbranch_vccnz .LBB177_279
; %bb.278:
	v_lshlrev_b64 v[94:95], 3, v[134:135]
	v_add_co_u32 v94, vcc_lo, v92, v94
	v_add_co_ci_u32_e64 v95, null, v93, v95, vcc_lo
	global_load_dwordx2 v[94:95], v[94:95], off
	s_waitcnt vmcnt(0)
	v_mul_f64 v[94:95], s[16:17], v[94:95]
	v_cvt_f32_f64_e32 v94, v[94:95]
	s_branch .LBB177_280
.LBB177_279:
	v_mov_b32_e32 v94, 0
.LBB177_280:
	v_add_f64 v[95:96], v[46:47], v[86:87]
	v_add_f64 v[97:98], v[48:49], v[88:89]
	;; [unrolled: 1-line block ×4, first 2 shown]
	v_cvt_f32_f64_e32 v95, v[95:96]
	v_cvt_f32_f64_e32 v96, v[97:98]
	;; [unrolled: 1-line block ×4, first 2 shown]
	v_min3_f32 v95, v95, v96, v169
	v_min_f32_e32 v96, v97, v98
	v_min3_f32 v94, v94, v96, v95
	v_lshlrev_b64 v[96:97], 3, v[134:135]
	v_cvt_f64_f32_e32 v[94:95], v94
	v_add_co_u32 v96, vcc_lo, v90, v96
	v_add_co_ci_u32_e64 v97, null, v91, v97, vcc_lo
	global_store_dwordx2 v[96:97], v[94:95], off
	s_or_b32 exec_lo, exec_lo, s11
	s_and_b32 s12, s4, s8
	s_and_saveexec_b32 s11, s12
	s_cbranch_execz .LBB177_262
.LBB177_281:
	v_cmp_ne_u32_e32 vcc_lo, 1, v144
	s_cbranch_vccnz .LBB177_283
; %bb.282:
	v_lshlrev_b64 v[94:95], 3, v[136:137]
	v_add_co_u32 v94, vcc_lo, v92, v94
	v_add_co_ci_u32_e64 v95, null, v93, v95, vcc_lo
	global_load_dwordx2 v[94:95], v[94:95], off
	s_waitcnt vmcnt(0)
	v_mul_f64 v[94:95], s[16:17], v[94:95]
	v_cvt_f32_f64_e32 v94, v[94:95]
	s_branch .LBB177_284
.LBB177_283:
	v_mov_b32_e32 v94, 0
.LBB177_284:
	v_add_f64 v[95:96], v[38:39], v[86:87]
	v_add_f64 v[97:98], v[40:41], v[88:89]
	;; [unrolled: 1-line block ×4, first 2 shown]
	v_cvt_f32_f64_e32 v95, v[95:96]
	v_cvt_f32_f64_e32 v96, v[97:98]
	;; [unrolled: 1-line block ×4, first 2 shown]
	v_min3_f32 v95, v95, v96, v168
	v_min_f32_e32 v96, v97, v98
	v_min3_f32 v94, v94, v96, v95
	v_lshlrev_b64 v[96:97], 3, v[136:137]
	v_cvt_f64_f32_e32 v[94:95], v94
	v_add_co_u32 v96, vcc_lo, v90, v96
	v_add_co_ci_u32_e64 v97, null, v91, v97, vcc_lo
	global_store_dwordx2 v[96:97], v[94:95], off
	s_or_b32 exec_lo, exec_lo, s11
	s_and_b32 s12, s5, s8
	s_and_saveexec_b32 s11, s12
	s_cbranch_execz .LBB177_263
.LBB177_285:
	v_cmp_ne_u32_e32 vcc_lo, 1, v144
	s_cbranch_vccnz .LBB177_287
; %bb.286:
	v_lshlrev_b64 v[94:95], 3, v[138:139]
	v_add_co_u32 v94, vcc_lo, v92, v94
	v_add_co_ci_u32_e64 v95, null, v93, v95, vcc_lo
	global_load_dwordx2 v[94:95], v[94:95], off
	s_waitcnt vmcnt(0)
	v_mul_f64 v[94:95], s[16:17], v[94:95]
	v_cvt_f32_f64_e32 v94, v[94:95]
	s_branch .LBB177_288
.LBB177_287:
	v_mov_b32_e32 v94, 0
.LBB177_288:
	v_add_f64 v[95:96], v[30:31], v[86:87]
	v_add_f64 v[97:98], v[32:33], v[88:89]
	;; [unrolled: 1-line block ×4, first 2 shown]
	v_cvt_f32_f64_e32 v95, v[95:96]
	v_cvt_f32_f64_e32 v96, v[97:98]
	;; [unrolled: 1-line block ×4, first 2 shown]
	v_min3_f32 v95, v95, v96, v167
	v_min_f32_e32 v96, v97, v98
	v_min3_f32 v94, v94, v96, v95
	v_lshlrev_b64 v[96:97], 3, v[138:139]
	v_cvt_f64_f32_e32 v[94:95], v94
	v_add_co_u32 v96, vcc_lo, v90, v96
	v_add_co_ci_u32_e64 v97, null, v91, v97, vcc_lo
	global_store_dwordx2 v[96:97], v[94:95], off
	s_or_b32 exec_lo, exec_lo, s11
	s_and_b32 s12, s6, s8
	s_and_saveexec_b32 s11, s12
	s_cbranch_execz .LBB177_264
.LBB177_289:
	v_cmp_ne_u32_e32 vcc_lo, 1, v144
	s_cbranch_vccnz .LBB177_291
; %bb.290:
	v_lshlrev_b64 v[94:95], 3, v[140:141]
	v_add_co_u32 v94, vcc_lo, v92, v94
	v_add_co_ci_u32_e64 v95, null, v93, v95, vcc_lo
	global_load_dwordx2 v[94:95], v[94:95], off
	s_waitcnt vmcnt(0)
	v_mul_f64 v[94:95], s[16:17], v[94:95]
	v_cvt_f32_f64_e32 v94, v[94:95]
	s_branch .LBB177_292
.LBB177_291:
	v_mov_b32_e32 v94, 0
.LBB177_292:
	v_add_f64 v[95:96], v[22:23], v[86:87]
	v_add_f64 v[97:98], v[24:25], v[88:89]
	;; [unrolled: 1-line block ×4, first 2 shown]
	v_cvt_f32_f64_e32 v95, v[95:96]
	v_cvt_f32_f64_e32 v96, v[97:98]
	;; [unrolled: 1-line block ×4, first 2 shown]
	v_min3_f32 v95, v95, v96, v166
	v_min_f32_e32 v96, v97, v98
	v_min3_f32 v94, v94, v96, v95
	v_lshlrev_b64 v[96:97], 3, v[140:141]
	v_cvt_f64_f32_e32 v[94:95], v94
	v_add_co_u32 v96, vcc_lo, v90, v96
	v_add_co_ci_u32_e64 v97, null, v91, v97, vcc_lo
	global_store_dwordx2 v[96:97], v[94:95], off
	s_or_b32 exec_lo, exec_lo, s11
	s_and_b32 s11, s7, s8
	s_and_saveexec_b32 s8, s11
	s_cbranch_execz .LBB177_297
.LBB177_293:
	v_cmp_ne_u32_e32 vcc_lo, 1, v144
	s_cbranch_vccnz .LBB177_295
; %bb.294:
	v_lshlrev_b64 v[94:95], 3, v[142:143]
	v_add_co_u32 v92, vcc_lo, v92, v94
	v_add_co_ci_u32_e64 v93, null, v93, v95, vcc_lo
	global_load_dwordx2 v[92:93], v[92:93], off
	s_waitcnt vmcnt(0)
	v_mul_f64 v[92:93], s[16:17], v[92:93]
	v_cvt_f32_f64_e32 v92, v[92:93]
	s_branch .LBB177_296
.LBB177_295:
	v_mov_b32_e32 v92, 0
.LBB177_296:
	v_add_f64 v[86:87], v[6:7], v[86:87]
	v_add_f64 v[88:89], v[8:9], v[88:89]
	v_add_f64 v[82:83], v[2:3], v[82:83]
	v_add_f64 v[84:85], v[4:5], v[84:85]
	v_cvt_f32_f64_e32 v86, v[86:87]
	v_cvt_f32_f64_e32 v87, v[88:89]
	;; [unrolled: 1-line block ×4, first 2 shown]
	v_min3_f32 v84, v86, v87, v165
	v_min_f32_e32 v82, v82, v83
	v_min3_f32 v82, v92, v82, v84
	v_lshlrev_b64 v[84:85], 3, v[142:143]
	v_cvt_f64_f32_e32 v[82:83], v82
	v_add_co_u32 v84, vcc_lo, v90, v84
	v_add_co_ci_u32_e64 v85, null, v91, v85, vcc_lo
	global_store_dwordx2 v[84:85], v[82:83], off
.LBB177_297:
	s_or_b32 exec_lo, exec_lo, s8
	v_add_nc_u32_e32 v86, 0xc0, v145
	v_mad_i64_i32 v[82:83], null, v86, s15, 0
	v_mad_i64_i32 v[84:85], null, v86, s14, 0
	v_cmp_gt_i32_e64 s8, s13, v86
	v_lshlrev_b64 v[82:83], 3, v[82:83]
	s_and_b32 s12, s0, s8
	v_lshlrev_b64 v[86:87], 3, v[84:85]
	v_add_co_u32 v84, vcc_lo, s18, v82
	v_add_co_ci_u32_e64 v85, null, s19, v83, vcc_lo
	v_add_co_u32 v82, vcc_lo, s10, v86
	v_add_co_ci_u32_e64 v83, null, s9, v87, vcc_lo
	s_and_saveexec_b32 s11, s12
	s_cbranch_execnz .LBB177_305
; %bb.298:
	s_or_b32 exec_lo, exec_lo, s11
	s_and_b32 s12, s1, s8
	s_and_saveexec_b32 s11, s12
	s_cbranch_execnz .LBB177_309
.LBB177_299:
	s_or_b32 exec_lo, exec_lo, s11
	s_and_b32 s12, s2, s8
	s_and_saveexec_b32 s11, s12
	s_cbranch_execnz .LBB177_313
.LBB177_300:
	s_or_b32 exec_lo, exec_lo, s11
	s_and_b32 s12, s3, s8
	s_and_saveexec_b32 s11, s12
	s_cbranch_execnz .LBB177_317
.LBB177_301:
	s_or_b32 exec_lo, exec_lo, s11
	s_and_b32 s12, s4, s8
	s_and_saveexec_b32 s11, s12
	s_cbranch_execnz .LBB177_321
.LBB177_302:
	s_or_b32 exec_lo, exec_lo, s11
	s_and_b32 s12, s5, s8
	s_and_saveexec_b32 s11, s12
	s_cbranch_execnz .LBB177_325
.LBB177_303:
	s_or_b32 exec_lo, exec_lo, s11
	s_and_b32 s12, s6, s8
	s_and_saveexec_b32 s11, s12
	s_cbranch_execnz .LBB177_329
.LBB177_304:
	s_or_b32 exec_lo, exec_lo, s11
	s_and_b32 s11, s7, s8
	s_and_saveexec_b32 s8, s11
	s_cbranch_execnz .LBB177_333
	s_branch .LBB177_337
.LBB177_305:
	v_cmp_ne_u32_e32 vcc_lo, 1, v144
	s_cbranch_vccnz .LBB177_307
; %bb.306:
	v_lshlrev_b64 v[86:87], 3, v[0:1]
	v_add_co_u32 v86, vcc_lo, v84, v86
	v_add_co_ci_u32_e64 v87, null, v85, v87, vcc_lo
	global_load_dwordx2 v[86:87], v[86:87], off
	s_waitcnt vmcnt(0)
	v_mul_f64 v[86:87], s[16:17], v[86:87]
	v_cvt_f32_f64_e32 v86, v[86:87]
	s_branch .LBB177_308
.LBB177_307:
	v_mov_b32_e32 v86, 0
.LBB177_308:
	v_add_f64 v[87:88], v[70:71], v[78:79]
	v_add_f64 v[89:90], v[72:73], v[80:81]
	;; [unrolled: 1-line block ×4, first 2 shown]
	v_cvt_f32_f64_e32 v87, v[87:88]
	v_cvt_f32_f64_e32 v88, v[89:90]
	;; [unrolled: 1-line block ×4, first 2 shown]
	v_min3_f32 v87, v87, v88, v164
	v_min_f32_e32 v88, v89, v90
	v_min3_f32 v86, v86, v88, v87
	v_lshlrev_b64 v[88:89], 3, v[0:1]
	v_cvt_f64_f32_e32 v[86:87], v86
	v_add_co_u32 v88, vcc_lo, v82, v88
	v_add_co_ci_u32_e64 v89, null, v83, v89, vcc_lo
	global_store_dwordx2 v[88:89], v[86:87], off
	s_or_b32 exec_lo, exec_lo, s11
	s_and_b32 s12, s1, s8
	s_and_saveexec_b32 s11, s12
	s_cbranch_execz .LBB177_299
.LBB177_309:
	v_cmp_ne_u32_e32 vcc_lo, 1, v144
	s_cbranch_vccnz .LBB177_311
; %bb.310:
	v_lshlrev_b64 v[86:87], 3, v[130:131]
	v_add_co_u32 v86, vcc_lo, v84, v86
	v_add_co_ci_u32_e64 v87, null, v85, v87, vcc_lo
	global_load_dwordx2 v[86:87], v[86:87], off
	s_waitcnt vmcnt(0)
	v_mul_f64 v[86:87], s[16:17], v[86:87]
	v_cvt_f32_f64_e32 v86, v[86:87]
	s_branch .LBB177_312
.LBB177_311:
	v_mov_b32_e32 v86, 0
.LBB177_312:
	v_add_f64 v[87:88], v[62:63], v[78:79]
	v_add_f64 v[89:90], v[64:65], v[80:81]
	;; [unrolled: 1-line block ×4, first 2 shown]
	v_cvt_f32_f64_e32 v87, v[87:88]
	v_cvt_f32_f64_e32 v88, v[89:90]
	;; [unrolled: 1-line block ×4, first 2 shown]
	v_min3_f32 v87, v87, v88, v163
	v_min_f32_e32 v88, v89, v90
	v_min3_f32 v86, v86, v88, v87
	v_lshlrev_b64 v[88:89], 3, v[130:131]
	v_cvt_f64_f32_e32 v[86:87], v86
	v_add_co_u32 v88, vcc_lo, v82, v88
	v_add_co_ci_u32_e64 v89, null, v83, v89, vcc_lo
	global_store_dwordx2 v[88:89], v[86:87], off
	s_or_b32 exec_lo, exec_lo, s11
	s_and_b32 s12, s2, s8
	s_and_saveexec_b32 s11, s12
	s_cbranch_execz .LBB177_300
.LBB177_313:
	v_cmp_ne_u32_e32 vcc_lo, 1, v144
	s_cbranch_vccnz .LBB177_315
; %bb.314:
	v_lshlrev_b64 v[86:87], 3, v[132:133]
	v_add_co_u32 v86, vcc_lo, v84, v86
	v_add_co_ci_u32_e64 v87, null, v85, v87, vcc_lo
	global_load_dwordx2 v[86:87], v[86:87], off
	s_waitcnt vmcnt(0)
	v_mul_f64 v[86:87], s[16:17], v[86:87]
	v_cvt_f32_f64_e32 v86, v[86:87]
	s_branch .LBB177_316
.LBB177_315:
	v_mov_b32_e32 v86, 0
.LBB177_316:
	v_add_f64 v[87:88], v[54:55], v[78:79]
	v_add_f64 v[89:90], v[56:57], v[80:81]
	;; [unrolled: 1-line block ×4, first 2 shown]
	v_cvt_f32_f64_e32 v87, v[87:88]
	v_cvt_f32_f64_e32 v88, v[89:90]
	;; [unrolled: 1-line block ×4, first 2 shown]
	v_min3_f32 v87, v87, v88, v162
	v_min_f32_e32 v88, v89, v90
	v_min3_f32 v86, v86, v88, v87
	v_lshlrev_b64 v[88:89], 3, v[132:133]
	v_cvt_f64_f32_e32 v[86:87], v86
	v_add_co_u32 v88, vcc_lo, v82, v88
	v_add_co_ci_u32_e64 v89, null, v83, v89, vcc_lo
	global_store_dwordx2 v[88:89], v[86:87], off
	s_or_b32 exec_lo, exec_lo, s11
	s_and_b32 s12, s3, s8
	s_and_saveexec_b32 s11, s12
	s_cbranch_execz .LBB177_301
.LBB177_317:
	v_cmp_ne_u32_e32 vcc_lo, 1, v144
	s_cbranch_vccnz .LBB177_319
; %bb.318:
	v_lshlrev_b64 v[86:87], 3, v[134:135]
	v_add_co_u32 v86, vcc_lo, v84, v86
	v_add_co_ci_u32_e64 v87, null, v85, v87, vcc_lo
	global_load_dwordx2 v[86:87], v[86:87], off
	s_waitcnt vmcnt(0)
	v_mul_f64 v[86:87], s[16:17], v[86:87]
	v_cvt_f32_f64_e32 v86, v[86:87]
	s_branch .LBB177_320
.LBB177_319:
	v_mov_b32_e32 v86, 0
.LBB177_320:
	v_add_f64 v[87:88], v[46:47], v[78:79]
	v_add_f64 v[89:90], v[48:49], v[80:81]
	;; [unrolled: 1-line block ×4, first 2 shown]
	v_cvt_f32_f64_e32 v87, v[87:88]
	v_cvt_f32_f64_e32 v88, v[89:90]
	v_cvt_f32_f64_e32 v89, v[91:92]
	v_cvt_f32_f64_e32 v90, v[93:94]
	v_min3_f32 v87, v87, v88, v161
	v_min_f32_e32 v88, v89, v90
	v_min3_f32 v86, v86, v88, v87
	v_lshlrev_b64 v[88:89], 3, v[134:135]
	v_cvt_f64_f32_e32 v[86:87], v86
	v_add_co_u32 v88, vcc_lo, v82, v88
	v_add_co_ci_u32_e64 v89, null, v83, v89, vcc_lo
	global_store_dwordx2 v[88:89], v[86:87], off
	s_or_b32 exec_lo, exec_lo, s11
	s_and_b32 s12, s4, s8
	s_and_saveexec_b32 s11, s12
	s_cbranch_execz .LBB177_302
.LBB177_321:
	v_cmp_ne_u32_e32 vcc_lo, 1, v144
	s_cbranch_vccnz .LBB177_323
; %bb.322:
	v_lshlrev_b64 v[86:87], 3, v[136:137]
	v_add_co_u32 v86, vcc_lo, v84, v86
	v_add_co_ci_u32_e64 v87, null, v85, v87, vcc_lo
	global_load_dwordx2 v[86:87], v[86:87], off
	s_waitcnt vmcnt(0)
	v_mul_f64 v[86:87], s[16:17], v[86:87]
	v_cvt_f32_f64_e32 v86, v[86:87]
	s_branch .LBB177_324
.LBB177_323:
	v_mov_b32_e32 v86, 0
.LBB177_324:
	v_add_f64 v[87:88], v[38:39], v[78:79]
	v_add_f64 v[89:90], v[40:41], v[80:81]
	;; [unrolled: 1-line block ×4, first 2 shown]
	v_cvt_f32_f64_e32 v87, v[87:88]
	v_cvt_f32_f64_e32 v88, v[89:90]
	v_cvt_f32_f64_e32 v89, v[91:92]
	v_cvt_f32_f64_e32 v90, v[93:94]
	v_min3_f32 v87, v87, v88, v160
	v_min_f32_e32 v88, v89, v90
	v_min3_f32 v86, v86, v88, v87
	v_lshlrev_b64 v[88:89], 3, v[136:137]
	v_cvt_f64_f32_e32 v[86:87], v86
	v_add_co_u32 v88, vcc_lo, v82, v88
	v_add_co_ci_u32_e64 v89, null, v83, v89, vcc_lo
	global_store_dwordx2 v[88:89], v[86:87], off
	s_or_b32 exec_lo, exec_lo, s11
	s_and_b32 s12, s5, s8
	s_and_saveexec_b32 s11, s12
	s_cbranch_execz .LBB177_303
.LBB177_325:
	v_cmp_ne_u32_e32 vcc_lo, 1, v144
	s_cbranch_vccnz .LBB177_327
; %bb.326:
	v_lshlrev_b64 v[86:87], 3, v[138:139]
	v_add_co_u32 v86, vcc_lo, v84, v86
	v_add_co_ci_u32_e64 v87, null, v85, v87, vcc_lo
	global_load_dwordx2 v[86:87], v[86:87], off
	s_waitcnt vmcnt(0)
	v_mul_f64 v[86:87], s[16:17], v[86:87]
	v_cvt_f32_f64_e32 v86, v[86:87]
	s_branch .LBB177_328
.LBB177_327:
	v_mov_b32_e32 v86, 0
.LBB177_328:
	v_add_f64 v[87:88], v[30:31], v[78:79]
	v_add_f64 v[89:90], v[32:33], v[80:81]
	v_add_f64 v[91:92], v[26:27], v[74:75]
	v_add_f64 v[93:94], v[28:29], v[76:77]
	v_cvt_f32_f64_e32 v87, v[87:88]
	v_cvt_f32_f64_e32 v88, v[89:90]
	;; [unrolled: 1-line block ×4, first 2 shown]
	v_min3_f32 v87, v87, v88, v159
	v_min_f32_e32 v88, v89, v90
	v_min3_f32 v86, v86, v88, v87
	v_lshlrev_b64 v[88:89], 3, v[138:139]
	v_cvt_f64_f32_e32 v[86:87], v86
	v_add_co_u32 v88, vcc_lo, v82, v88
	v_add_co_ci_u32_e64 v89, null, v83, v89, vcc_lo
	global_store_dwordx2 v[88:89], v[86:87], off
	s_or_b32 exec_lo, exec_lo, s11
	s_and_b32 s12, s6, s8
	s_and_saveexec_b32 s11, s12
	s_cbranch_execz .LBB177_304
.LBB177_329:
	v_cmp_ne_u32_e32 vcc_lo, 1, v144
	s_cbranch_vccnz .LBB177_331
; %bb.330:
	v_lshlrev_b64 v[86:87], 3, v[140:141]
	v_add_co_u32 v86, vcc_lo, v84, v86
	v_add_co_ci_u32_e64 v87, null, v85, v87, vcc_lo
	global_load_dwordx2 v[86:87], v[86:87], off
	s_waitcnt vmcnt(0)
	v_mul_f64 v[86:87], s[16:17], v[86:87]
	v_cvt_f32_f64_e32 v86, v[86:87]
	s_branch .LBB177_332
.LBB177_331:
	v_mov_b32_e32 v86, 0
.LBB177_332:
	v_add_f64 v[87:88], v[22:23], v[78:79]
	v_add_f64 v[89:90], v[24:25], v[80:81]
	v_add_f64 v[91:92], v[18:19], v[74:75]
	v_add_f64 v[93:94], v[20:21], v[76:77]
	v_cvt_f32_f64_e32 v87, v[87:88]
	v_cvt_f32_f64_e32 v88, v[89:90]
	;; [unrolled: 1-line block ×4, first 2 shown]
	v_min3_f32 v87, v87, v88, v158
	v_min_f32_e32 v88, v89, v90
	v_min3_f32 v86, v86, v88, v87
	v_lshlrev_b64 v[88:89], 3, v[140:141]
	v_cvt_f64_f32_e32 v[86:87], v86
	v_add_co_u32 v88, vcc_lo, v82, v88
	v_add_co_ci_u32_e64 v89, null, v83, v89, vcc_lo
	global_store_dwordx2 v[88:89], v[86:87], off
	s_or_b32 exec_lo, exec_lo, s11
	s_and_b32 s11, s7, s8
	s_and_saveexec_b32 s8, s11
	s_cbranch_execz .LBB177_337
.LBB177_333:
	v_cmp_ne_u32_e32 vcc_lo, 1, v144
	s_cbranch_vccnz .LBB177_335
; %bb.334:
	v_lshlrev_b64 v[86:87], 3, v[142:143]
	v_add_co_u32 v84, vcc_lo, v84, v86
	v_add_co_ci_u32_e64 v85, null, v85, v87, vcc_lo
	global_load_dwordx2 v[84:85], v[84:85], off
	s_waitcnt vmcnt(0)
	v_mul_f64 v[84:85], s[16:17], v[84:85]
	v_cvt_f32_f64_e32 v84, v[84:85]
	s_branch .LBB177_336
.LBB177_335:
	v_mov_b32_e32 v84, 0
.LBB177_336:
	v_add_f64 v[78:79], v[6:7], v[78:79]
	v_add_f64 v[80:81], v[8:9], v[80:81]
	;; [unrolled: 1-line block ×4, first 2 shown]
	v_cvt_f32_f64_e32 v78, v[78:79]
	v_cvt_f32_f64_e32 v79, v[80:81]
	;; [unrolled: 1-line block ×4, first 2 shown]
	v_min3_f32 v76, v78, v79, v157
	v_min_f32_e32 v74, v74, v75
	v_min3_f32 v74, v84, v74, v76
	v_lshlrev_b64 v[76:77], 3, v[142:143]
	v_cvt_f64_f32_e32 v[74:75], v74
	v_add_co_u32 v76, vcc_lo, v82, v76
	v_add_co_ci_u32_e64 v77, null, v83, v77, vcc_lo
	global_store_dwordx2 v[76:77], v[74:75], off
.LBB177_337:
	s_or_b32 exec_lo, exec_lo, s8
	v_add_nc_u32_e32 v78, 0xe0, v145
	v_mad_i64_i32 v[74:75], null, v78, s15, 0
	v_mad_i64_i32 v[76:77], null, v78, s14, 0
	v_cmp_gt_i32_e64 s8, s13, v78
	v_lshlrev_b64 v[74:75], 3, v[74:75]
	v_lshlrev_b64 v[78:79], 3, v[76:77]
	v_add_co_u32 v76, vcc_lo, s18, v74
	v_add_co_ci_u32_e64 v77, null, s19, v75, vcc_lo
	v_add_co_u32 v74, vcc_lo, s10, v78
	v_add_co_ci_u32_e64 v75, null, s9, v79, vcc_lo
	s_and_b32 s9, s0, s8
	s_and_saveexec_b32 s0, s9
	s_cbranch_execnz .LBB177_346
; %bb.338:
	s_or_b32 exec_lo, exec_lo, s0
	s_and_b32 s1, s1, s8
	s_and_saveexec_b32 s0, s1
	s_cbranch_execnz .LBB177_350
.LBB177_339:
	s_or_b32 exec_lo, exec_lo, s0
	s_and_b32 s1, s2, s8
	s_and_saveexec_b32 s0, s1
	s_cbranch_execnz .LBB177_354
.LBB177_340:
	s_or_b32 exec_lo, exec_lo, s0
	s_and_b32 s1, s3, s8
	s_and_saveexec_b32 s0, s1
	s_cbranch_execnz .LBB177_358
.LBB177_341:
	s_or_b32 exec_lo, exec_lo, s0
	s_and_b32 s1, s4, s8
	s_and_saveexec_b32 s0, s1
	s_cbranch_execnz .LBB177_362
.LBB177_342:
	s_or_b32 exec_lo, exec_lo, s0
	s_and_b32 s1, s5, s8
	s_and_saveexec_b32 s0, s1
	s_cbranch_execnz .LBB177_366
.LBB177_343:
	s_or_b32 exec_lo, exec_lo, s0
	s_and_b32 s1, s6, s8
	s_and_saveexec_b32 s0, s1
	s_cbranch_execnz .LBB177_370
.LBB177_344:
	s_or_b32 exec_lo, exec_lo, s0
	s_and_b32 s0, s7, s8
	s_and_saveexec_b32 s1, s0
	s_cbranch_execnz .LBB177_374
.LBB177_345:
	s_endpgm
.LBB177_346:
	v_cmp_ne_u32_e32 vcc_lo, 1, v144
	v_lshlrev_b64 v[0:1], 3, v[0:1]
	s_cbranch_vccnz .LBB177_348
; %bb.347:
	v_add_co_u32 v78, vcc_lo, v76, v0
	v_add_co_ci_u32_e64 v79, null, v77, v1, vcc_lo
	global_load_dwordx2 v[78:79], v[78:79], off
	s_waitcnt vmcnt(0)
	v_mul_f64 v[78:79], s[16:17], v[78:79]
	v_cvt_f32_f64_e32 v78, v[78:79]
	s_branch .LBB177_349
.LBB177_348:
	v_mov_b32_e32 v78, 0
.LBB177_349:
	v_add_f64 v[70:71], v[70:71], v[14:15]
	v_add_f64 v[72:73], v[72:73], v[16:17]
	;; [unrolled: 1-line block ×4, first 2 shown]
	v_add_co_u32 v0, vcc_lo, v74, v0
	v_add_co_ci_u32_e64 v1, null, v75, v1, vcc_lo
	v_cvt_f32_f64_e32 v70, v[70:71]
	v_cvt_f32_f64_e32 v71, v[72:73]
	;; [unrolled: 1-line block ×4, first 2 shown]
	v_min3_f32 v68, v70, v71, v156
	v_min_f32_e32 v66, v66, v67
	v_min3_f32 v66, v78, v66, v68
	v_cvt_f64_f32_e32 v[66:67], v66
	global_store_dwordx2 v[0:1], v[66:67], off
	s_or_b32 exec_lo, exec_lo, s0
	s_and_b32 s1, s1, s8
	s_and_saveexec_b32 s0, s1
	s_cbranch_execz .LBB177_339
.LBB177_350:
	v_cmp_ne_u32_e32 vcc_lo, 1, v144
	v_lshlrev_b64 v[0:1], 3, v[130:131]
	s_cbranch_vccnz .LBB177_352
; %bb.351:
	v_add_co_u32 v66, vcc_lo, v76, v0
	v_add_co_ci_u32_e64 v67, null, v77, v1, vcc_lo
	global_load_dwordx2 v[66:67], v[66:67], off
	s_waitcnt vmcnt(0)
	v_mul_f64 v[66:67], s[16:17], v[66:67]
	v_cvt_f32_f64_e32 v66, v[66:67]
	s_branch .LBB177_353
.LBB177_352:
	v_mov_b32_e32 v66, 0
.LBB177_353:
	v_add_f64 v[62:63], v[62:63], v[14:15]
	v_add_f64 v[64:65], v[64:65], v[16:17]
	;; [unrolled: 1-line block ×4, first 2 shown]
	v_add_co_u32 v0, vcc_lo, v74, v0
	v_add_co_ci_u32_e64 v1, null, v75, v1, vcc_lo
	v_cvt_f32_f64_e32 v62, v[62:63]
	v_cvt_f32_f64_e32 v63, v[64:65]
	;; [unrolled: 1-line block ×4, first 2 shown]
	v_min3_f32 v60, v62, v63, v155
	v_min_f32_e32 v58, v58, v59
	v_min3_f32 v58, v66, v58, v60
	v_cvt_f64_f32_e32 v[58:59], v58
	global_store_dwordx2 v[0:1], v[58:59], off
	s_or_b32 exec_lo, exec_lo, s0
	s_and_b32 s1, s2, s8
	s_and_saveexec_b32 s0, s1
	s_cbranch_execz .LBB177_340
.LBB177_354:
	v_cmp_ne_u32_e32 vcc_lo, 1, v144
	v_lshlrev_b64 v[0:1], 3, v[132:133]
	s_cbranch_vccnz .LBB177_356
; %bb.355:
	v_add_co_u32 v58, vcc_lo, v76, v0
	v_add_co_ci_u32_e64 v59, null, v77, v1, vcc_lo
	global_load_dwordx2 v[58:59], v[58:59], off
	s_waitcnt vmcnt(0)
	v_mul_f64 v[58:59], s[16:17], v[58:59]
	v_cvt_f32_f64_e32 v58, v[58:59]
	s_branch .LBB177_357
.LBB177_356:
	v_mov_b32_e32 v58, 0
.LBB177_357:
	v_add_f64 v[54:55], v[54:55], v[14:15]
	v_add_f64 v[56:57], v[56:57], v[16:17]
	v_add_f64 v[50:51], v[50:51], v[10:11]
	v_add_f64 v[52:53], v[52:53], v[12:13]
	v_add_co_u32 v0, vcc_lo, v74, v0
	v_add_co_ci_u32_e64 v1, null, v75, v1, vcc_lo
	v_cvt_f32_f64_e32 v54, v[54:55]
	v_cvt_f32_f64_e32 v55, v[56:57]
	;; [unrolled: 1-line block ×4, first 2 shown]
	v_min3_f32 v52, v54, v55, v154
	v_min_f32_e32 v50, v50, v51
	v_min3_f32 v50, v58, v50, v52
	v_cvt_f64_f32_e32 v[50:51], v50
	global_store_dwordx2 v[0:1], v[50:51], off
	s_or_b32 exec_lo, exec_lo, s0
	s_and_b32 s1, s3, s8
	s_and_saveexec_b32 s0, s1
	s_cbranch_execz .LBB177_341
.LBB177_358:
	v_cmp_ne_u32_e32 vcc_lo, 1, v144
	v_lshlrev_b64 v[0:1], 3, v[134:135]
	s_cbranch_vccnz .LBB177_360
; %bb.359:
	v_add_co_u32 v50, vcc_lo, v76, v0
	v_add_co_ci_u32_e64 v51, null, v77, v1, vcc_lo
	global_load_dwordx2 v[50:51], v[50:51], off
	s_waitcnt vmcnt(0)
	v_mul_f64 v[50:51], s[16:17], v[50:51]
	v_cvt_f32_f64_e32 v50, v[50:51]
	s_branch .LBB177_361
.LBB177_360:
	v_mov_b32_e32 v50, 0
.LBB177_361:
	v_add_f64 v[46:47], v[46:47], v[14:15]
	v_add_f64 v[48:49], v[48:49], v[16:17]
	;; [unrolled: 1-line block ×4, first 2 shown]
	v_add_co_u32 v0, vcc_lo, v74, v0
	v_add_co_ci_u32_e64 v1, null, v75, v1, vcc_lo
	v_cvt_f32_f64_e32 v46, v[46:47]
	v_cvt_f32_f64_e32 v47, v[48:49]
	;; [unrolled: 1-line block ×4, first 2 shown]
	v_min3_f32 v44, v46, v47, v153
	v_min_f32_e32 v42, v42, v43
	v_min3_f32 v42, v50, v42, v44
	v_cvt_f64_f32_e32 v[42:43], v42
	global_store_dwordx2 v[0:1], v[42:43], off
	s_or_b32 exec_lo, exec_lo, s0
	s_and_b32 s1, s4, s8
	s_and_saveexec_b32 s0, s1
	s_cbranch_execz .LBB177_342
.LBB177_362:
	v_cmp_ne_u32_e32 vcc_lo, 1, v144
	v_lshlrev_b64 v[0:1], 3, v[136:137]
	s_cbranch_vccnz .LBB177_364
; %bb.363:
	v_add_co_u32 v42, vcc_lo, v76, v0
	v_add_co_ci_u32_e64 v43, null, v77, v1, vcc_lo
	global_load_dwordx2 v[42:43], v[42:43], off
	s_waitcnt vmcnt(0)
	v_mul_f64 v[42:43], s[16:17], v[42:43]
	v_cvt_f32_f64_e32 v42, v[42:43]
	s_branch .LBB177_365
.LBB177_364:
	v_mov_b32_e32 v42, 0
.LBB177_365:
	v_add_f64 v[38:39], v[38:39], v[14:15]
	v_add_f64 v[40:41], v[40:41], v[16:17]
	;; [unrolled: 1-line block ×4, first 2 shown]
	v_add_co_u32 v0, vcc_lo, v74, v0
	v_add_co_ci_u32_e64 v1, null, v75, v1, vcc_lo
	v_cvt_f32_f64_e32 v38, v[38:39]
	v_cvt_f32_f64_e32 v39, v[40:41]
	;; [unrolled: 1-line block ×4, first 2 shown]
	v_min3_f32 v36, v38, v39, v152
	v_min_f32_e32 v34, v34, v35
	v_min3_f32 v34, v42, v34, v36
	v_cvt_f64_f32_e32 v[34:35], v34
	global_store_dwordx2 v[0:1], v[34:35], off
	s_or_b32 exec_lo, exec_lo, s0
	s_and_b32 s1, s5, s8
	s_and_saveexec_b32 s0, s1
	s_cbranch_execz .LBB177_343
.LBB177_366:
	v_cmp_ne_u32_e32 vcc_lo, 1, v144
	v_lshlrev_b64 v[0:1], 3, v[138:139]
	s_cbranch_vccnz .LBB177_368
; %bb.367:
	v_add_co_u32 v34, vcc_lo, v76, v0
	v_add_co_ci_u32_e64 v35, null, v77, v1, vcc_lo
	global_load_dwordx2 v[34:35], v[34:35], off
	s_waitcnt vmcnt(0)
	v_mul_f64 v[34:35], s[16:17], v[34:35]
	v_cvt_f32_f64_e32 v34, v[34:35]
	s_branch .LBB177_369
.LBB177_368:
	v_mov_b32_e32 v34, 0
.LBB177_369:
	v_add_f64 v[30:31], v[30:31], v[14:15]
	v_add_f64 v[32:33], v[32:33], v[16:17]
	;; [unrolled: 1-line block ×4, first 2 shown]
	v_add_co_u32 v0, vcc_lo, v74, v0
	v_add_co_ci_u32_e64 v1, null, v75, v1, vcc_lo
	v_cvt_f32_f64_e32 v30, v[30:31]
	v_cvt_f32_f64_e32 v31, v[32:33]
	v_cvt_f32_f64_e32 v26, v[26:27]
	v_cvt_f32_f64_e32 v27, v[28:29]
	v_min3_f32 v28, v30, v31, v151
	v_min_f32_e32 v26, v26, v27
	v_min3_f32 v26, v34, v26, v28
	v_cvt_f64_f32_e32 v[26:27], v26
	global_store_dwordx2 v[0:1], v[26:27], off
	s_or_b32 exec_lo, exec_lo, s0
	s_and_b32 s1, s6, s8
	s_and_saveexec_b32 s0, s1
	s_cbranch_execz .LBB177_344
.LBB177_370:
	v_cmp_ne_u32_e32 vcc_lo, 1, v144
	v_lshlrev_b64 v[0:1], 3, v[140:141]
	s_cbranch_vccnz .LBB177_372
; %bb.371:
	v_add_co_u32 v26, vcc_lo, v76, v0
	v_add_co_ci_u32_e64 v27, null, v77, v1, vcc_lo
	global_load_dwordx2 v[26:27], v[26:27], off
	s_waitcnt vmcnt(0)
	v_mul_f64 v[26:27], s[16:17], v[26:27]
	v_cvt_f32_f64_e32 v26, v[26:27]
	s_branch .LBB177_373
.LBB177_372:
	v_mov_b32_e32 v26, 0
.LBB177_373:
	v_add_f64 v[22:23], v[22:23], v[14:15]
	v_add_f64 v[24:25], v[24:25], v[16:17]
	v_add_f64 v[18:19], v[18:19], v[10:11]
	v_add_f64 v[20:21], v[20:21], v[12:13]
	v_add_co_u32 v0, vcc_lo, v74, v0
	v_add_co_ci_u32_e64 v1, null, v75, v1, vcc_lo
	v_cvt_f32_f64_e32 v22, v[22:23]
	v_cvt_f32_f64_e32 v23, v[24:25]
	v_cvt_f32_f64_e32 v18, v[18:19]
	v_cvt_f32_f64_e32 v19, v[20:21]
	v_min3_f32 v20, v22, v23, v150
	v_min_f32_e32 v18, v18, v19
	v_min3_f32 v18, v26, v18, v20
	v_cvt_f64_f32_e32 v[18:19], v18
	global_store_dwordx2 v[0:1], v[18:19], off
	s_or_b32 exec_lo, exec_lo, s0
	s_and_b32 s0, s7, s8
	s_and_saveexec_b32 s1, s0
	s_cbranch_execz .LBB177_345
.LBB177_374:
	v_cmp_ne_u32_e32 vcc_lo, 1, v144
	v_lshlrev_b64 v[0:1], 3, v[142:143]
	s_cbranch_vccnz .LBB177_376
; %bb.375:
	v_add_co_u32 v18, vcc_lo, v76, v0
	v_add_co_ci_u32_e64 v19, null, v77, v1, vcc_lo
	global_load_dwordx2 v[18:19], v[18:19], off
	s_waitcnt vmcnt(0)
	v_mul_f64 v[18:19], s[16:17], v[18:19]
	v_cvt_f32_f64_e32 v18, v[18:19]
	s_branch .LBB177_377
.LBB177_376:
	v_mov_b32_e32 v18, 0
.LBB177_377:
	v_add_f64 v[6:7], v[6:7], v[14:15]
	v_add_f64 v[8:9], v[8:9], v[16:17]
	;; [unrolled: 1-line block ×4, first 2 shown]
	v_add_co_u32 v0, vcc_lo, v74, v0
	v_add_co_ci_u32_e64 v1, null, v75, v1, vcc_lo
	v_cvt_f32_f64_e32 v6, v[6:7]
	v_cvt_f32_f64_e32 v7, v[8:9]
	v_cvt_f32_f64_e32 v2, v[2:3]
	v_cvt_f32_f64_e32 v3, v[4:5]
	v_min3_f32 v4, v6, v7, v149
	v_min_f32_e32 v2, v2, v3
	v_min3_f32 v2, v18, v2, v4
	v_cvt_f64_f32_e32 v[2:3], v2
	global_store_dwordx2 v[0:1], v[2:3], off
	s_endpgm
	.section	.rodata,"a",@progbits
	.p2align	6, 0x0
	.amdhsa_kernel _ZN12_GLOBAL__N_120geam_min_plus_kernelId15HIP_vector_typeIdLj2EEdLi8ELi32ELi64ELi256ELi4ELi4ELi64ELi64ELi4ELc84ELc84ELb0ELb1ELb1EPKdS3_dEEviiiT16_PT17_ilS7_ilS5_S7_ilPT18_ili26rocblas_geam_ex_operation_
		.amdhsa_group_segment_fixed_size 20480
		.amdhsa_private_segment_fixed_size 0
		.amdhsa_kernarg_size 136
		.amdhsa_user_sgpr_count 6
		.amdhsa_user_sgpr_private_segment_buffer 1
		.amdhsa_user_sgpr_dispatch_ptr 0
		.amdhsa_user_sgpr_queue_ptr 0
		.amdhsa_user_sgpr_kernarg_segment_ptr 1
		.amdhsa_user_sgpr_dispatch_id 0
		.amdhsa_user_sgpr_flat_scratch_init 0
		.amdhsa_user_sgpr_private_segment_size 0
		.amdhsa_wavefront_size32 1
		.amdhsa_uses_dynamic_stack 0
		.amdhsa_system_sgpr_private_segment_wavefront_offset 0
		.amdhsa_system_sgpr_workgroup_id_x 1
		.amdhsa_system_sgpr_workgroup_id_y 0
		.amdhsa_system_sgpr_workgroup_id_z 1
		.amdhsa_system_sgpr_workgroup_info 0
		.amdhsa_system_vgpr_workitem_id 1
		.amdhsa_next_free_vgpr 223
		.amdhsa_next_free_sgpr 32
		.amdhsa_reserve_vcc 1
		.amdhsa_reserve_flat_scratch 0
		.amdhsa_float_round_mode_32 0
		.amdhsa_float_round_mode_16_64 0
		.amdhsa_float_denorm_mode_32 3
		.amdhsa_float_denorm_mode_16_64 3
		.amdhsa_dx10_clamp 1
		.amdhsa_ieee_mode 1
		.amdhsa_fp16_overflow 0
		.amdhsa_workgroup_processor_mode 1
		.amdhsa_memory_ordered 1
		.amdhsa_forward_progress 1
		.amdhsa_shared_vgpr_count 0
		.amdhsa_exception_fp_ieee_invalid_op 0
		.amdhsa_exception_fp_denorm_src 0
		.amdhsa_exception_fp_ieee_div_zero 0
		.amdhsa_exception_fp_ieee_overflow 0
		.amdhsa_exception_fp_ieee_underflow 0
		.amdhsa_exception_fp_ieee_inexact 0
		.amdhsa_exception_int_div_zero 0
	.end_amdhsa_kernel
	.section	.text._ZN12_GLOBAL__N_120geam_min_plus_kernelId15HIP_vector_typeIdLj2EEdLi8ELi32ELi64ELi256ELi4ELi4ELi64ELi64ELi4ELc84ELc84ELb0ELb1ELb1EPKdS3_dEEviiiT16_PT17_ilS7_ilS5_S7_ilPT18_ili26rocblas_geam_ex_operation_,"axG",@progbits,_ZN12_GLOBAL__N_120geam_min_plus_kernelId15HIP_vector_typeIdLj2EEdLi8ELi32ELi64ELi256ELi4ELi4ELi64ELi64ELi4ELc84ELc84ELb0ELb1ELb1EPKdS3_dEEviiiT16_PT17_ilS7_ilS5_S7_ilPT18_ili26rocblas_geam_ex_operation_,comdat
.Lfunc_end177:
	.size	_ZN12_GLOBAL__N_120geam_min_plus_kernelId15HIP_vector_typeIdLj2EEdLi8ELi32ELi64ELi256ELi4ELi4ELi64ELi64ELi4ELc84ELc84ELb0ELb1ELb1EPKdS3_dEEviiiT16_PT17_ilS7_ilS5_S7_ilPT18_ili26rocblas_geam_ex_operation_, .Lfunc_end177-_ZN12_GLOBAL__N_120geam_min_plus_kernelId15HIP_vector_typeIdLj2EEdLi8ELi32ELi64ELi256ELi4ELi4ELi64ELi64ELi4ELc84ELc84ELb0ELb1ELb1EPKdS3_dEEviiiT16_PT17_ilS7_ilS5_S7_ilPT18_ili26rocblas_geam_ex_operation_
                                        ; -- End function
	.set _ZN12_GLOBAL__N_120geam_min_plus_kernelId15HIP_vector_typeIdLj2EEdLi8ELi32ELi64ELi256ELi4ELi4ELi64ELi64ELi4ELc84ELc84ELb0ELb1ELb1EPKdS3_dEEviiiT16_PT17_ilS7_ilS5_S7_ilPT18_ili26rocblas_geam_ex_operation_.num_vgpr, 223
	.set _ZN12_GLOBAL__N_120geam_min_plus_kernelId15HIP_vector_typeIdLj2EEdLi8ELi32ELi64ELi256ELi4ELi4ELi64ELi64ELi4ELc84ELc84ELb0ELb1ELb1EPKdS3_dEEviiiT16_PT17_ilS7_ilS5_S7_ilPT18_ili26rocblas_geam_ex_operation_.num_agpr, 0
	.set _ZN12_GLOBAL__N_120geam_min_plus_kernelId15HIP_vector_typeIdLj2EEdLi8ELi32ELi64ELi256ELi4ELi4ELi64ELi64ELi4ELc84ELc84ELb0ELb1ELb1EPKdS3_dEEviiiT16_PT17_ilS7_ilS5_S7_ilPT18_ili26rocblas_geam_ex_operation_.numbered_sgpr, 32
	.set _ZN12_GLOBAL__N_120geam_min_plus_kernelId15HIP_vector_typeIdLj2EEdLi8ELi32ELi64ELi256ELi4ELi4ELi64ELi64ELi4ELc84ELc84ELb0ELb1ELb1EPKdS3_dEEviiiT16_PT17_ilS7_ilS5_S7_ilPT18_ili26rocblas_geam_ex_operation_.num_named_barrier, 0
	.set _ZN12_GLOBAL__N_120geam_min_plus_kernelId15HIP_vector_typeIdLj2EEdLi8ELi32ELi64ELi256ELi4ELi4ELi64ELi64ELi4ELc84ELc84ELb0ELb1ELb1EPKdS3_dEEviiiT16_PT17_ilS7_ilS5_S7_ilPT18_ili26rocblas_geam_ex_operation_.private_seg_size, 0
	.set _ZN12_GLOBAL__N_120geam_min_plus_kernelId15HIP_vector_typeIdLj2EEdLi8ELi32ELi64ELi256ELi4ELi4ELi64ELi64ELi4ELc84ELc84ELb0ELb1ELb1EPKdS3_dEEviiiT16_PT17_ilS7_ilS5_S7_ilPT18_ili26rocblas_geam_ex_operation_.uses_vcc, 1
	.set _ZN12_GLOBAL__N_120geam_min_plus_kernelId15HIP_vector_typeIdLj2EEdLi8ELi32ELi64ELi256ELi4ELi4ELi64ELi64ELi4ELc84ELc84ELb0ELb1ELb1EPKdS3_dEEviiiT16_PT17_ilS7_ilS5_S7_ilPT18_ili26rocblas_geam_ex_operation_.uses_flat_scratch, 0
	.set _ZN12_GLOBAL__N_120geam_min_plus_kernelId15HIP_vector_typeIdLj2EEdLi8ELi32ELi64ELi256ELi4ELi4ELi64ELi64ELi4ELc84ELc84ELb0ELb1ELb1EPKdS3_dEEviiiT16_PT17_ilS7_ilS5_S7_ilPT18_ili26rocblas_geam_ex_operation_.has_dyn_sized_stack, 0
	.set _ZN12_GLOBAL__N_120geam_min_plus_kernelId15HIP_vector_typeIdLj2EEdLi8ELi32ELi64ELi256ELi4ELi4ELi64ELi64ELi4ELc84ELc84ELb0ELb1ELb1EPKdS3_dEEviiiT16_PT17_ilS7_ilS5_S7_ilPT18_ili26rocblas_geam_ex_operation_.has_recursion, 0
	.set _ZN12_GLOBAL__N_120geam_min_plus_kernelId15HIP_vector_typeIdLj2EEdLi8ELi32ELi64ELi256ELi4ELi4ELi64ELi64ELi4ELc84ELc84ELb0ELb1ELb1EPKdS3_dEEviiiT16_PT17_ilS7_ilS5_S7_ilPT18_ili26rocblas_geam_ex_operation_.has_indirect_call, 0
	.section	.AMDGPU.csdata,"",@progbits
; Kernel info:
; codeLenInByte = 29768
; TotalNumSgprs: 34
; NumVgprs: 223
; ScratchSize: 0
; MemoryBound: 1
; FloatMode: 240
; IeeeMode: 1
; LDSByteSize: 20480 bytes/workgroup (compile time only)
; SGPRBlocks: 0
; VGPRBlocks: 27
; NumSGPRsForWavesPerEU: 34
; NumVGPRsForWavesPerEU: 223
; Occupancy: 4
; WaveLimiterHint : 0
; COMPUTE_PGM_RSRC2:SCRATCH_EN: 0
; COMPUTE_PGM_RSRC2:USER_SGPR: 6
; COMPUTE_PGM_RSRC2:TRAP_HANDLER: 0
; COMPUTE_PGM_RSRC2:TGID_X_EN: 1
; COMPUTE_PGM_RSRC2:TGID_Y_EN: 0
; COMPUTE_PGM_RSRC2:TGID_Z_EN: 1
; COMPUTE_PGM_RSRC2:TIDIG_COMP_CNT: 1
	.section	.text._ZN12_GLOBAL__N_120geam_min_plus_kernelId15HIP_vector_typeIdLj2EEdLi8ELi32ELi64ELi256ELi4ELi4ELi64ELi64ELi4ELc84ELc84ELb1ELb1ELb1EdKddEEviiiT16_PT17_ilS6_ilS4_S6_ilPT18_ili26rocblas_geam_ex_operation_,"axG",@progbits,_ZN12_GLOBAL__N_120geam_min_plus_kernelId15HIP_vector_typeIdLj2EEdLi8ELi32ELi64ELi256ELi4ELi4ELi64ELi64ELi4ELc84ELc84ELb1ELb1ELb1EdKddEEviiiT16_PT17_ilS6_ilS4_S6_ilPT18_ili26rocblas_geam_ex_operation_,comdat
	.globl	_ZN12_GLOBAL__N_120geam_min_plus_kernelId15HIP_vector_typeIdLj2EEdLi8ELi32ELi64ELi256ELi4ELi4ELi64ELi64ELi4ELc84ELc84ELb1ELb1ELb1EdKddEEviiiT16_PT17_ilS6_ilS4_S6_ilPT18_ili26rocblas_geam_ex_operation_ ; -- Begin function _ZN12_GLOBAL__N_120geam_min_plus_kernelId15HIP_vector_typeIdLj2EEdLi8ELi32ELi64ELi256ELi4ELi4ELi64ELi64ELi4ELc84ELc84ELb1ELb1ELb1EdKddEEviiiT16_PT17_ilS6_ilS4_S6_ilPT18_ili26rocblas_geam_ex_operation_
	.p2align	8
	.type	_ZN12_GLOBAL__N_120geam_min_plus_kernelId15HIP_vector_typeIdLj2EEdLi8ELi32ELi64ELi256ELi4ELi4ELi64ELi64ELi4ELc84ELc84ELb1ELb1ELb1EdKddEEviiiT16_PT17_ilS6_ilS4_S6_ilPT18_ili26rocblas_geam_ex_operation_,@function
_ZN12_GLOBAL__N_120geam_min_plus_kernelId15HIP_vector_typeIdLj2EEdLi8ELi32ELi64ELi256ELi4ELi4ELi64ELi64ELi4ELc84ELc84ELb1ELb1ELb1EdKddEEviiiT16_PT17_ilS6_ilS4_S6_ilPT18_ili26rocblas_geam_ex_operation_: ; @_ZN12_GLOBAL__N_120geam_min_plus_kernelId15HIP_vector_typeIdLj2EEdLi8ELi32ELi64ELi256ELi4ELi4ELi64ELi64ELi4ELc84ELc84ELb1ELb1ELb1EdKddEEviiiT16_PT17_ilS6_ilS4_S6_ilPT18_ili26rocblas_geam_ex_operation_
; %bb.0:
	s_clause 0x1
	s_load_dwordx4 s[8:11], s[4:5], 0x10
	s_load_dwordx4 s[0:3], s[4:5], 0x28
	s_mov_b64 s[22:23], 0
	s_waitcnt lgkmcnt(0)
	v_cmp_eq_f64_e64 s12, s[8:9], 0
	s_and_b32 vcc_lo, exec_lo, s12
	s_cbranch_vccnz .LBB178_2
; %bb.1:
	s_mul_i32 s1, s1, s7
	s_mul_hi_u32 s8, s0, s7
	s_mul_i32 s0, s0, s7
	s_add_i32 s1, s8, s1
	s_lshl_b64 s[0:1], s[0:1], 3
	s_add_u32 s22, s10, s0
	s_addc_u32 s23, s11, s1
.LBB178_2:
	s_clause 0x1
	s_load_dwordx4 s[8:11], s[4:5], 0x40
	s_load_dwordx2 s[0:1], s[4:5], 0x50
	s_andn2_b32 vcc_lo, exec_lo, s12
	s_mov_b32 s12, -1
	s_cbranch_vccnz .LBB178_4
; %bb.3:
	s_mov_b32 s12, 0
.LBB178_4:
	s_mov_b64 s[20:21], 0
	s_andn2_b32 vcc_lo, exec_lo, s12
	s_mov_b64 s[24:25], 0
	s_cbranch_vccnz .LBB178_6
; %bb.5:
	s_waitcnt lgkmcnt(0)
	s_mul_i32 s9, s9, s7
	s_mul_hi_u32 s12, s8, s7
	s_mul_i32 s8, s8, s7
	s_add_i32 s9, s12, s9
	s_lshl_b64 s[8:9], s[8:9], 3
	s_add_u32 s24, s2, s8
	s_addc_u32 s25, s3, s9
.LBB178_6:
	s_waitcnt lgkmcnt(0)
	v_cmp_eq_f64_e64 s2, s[10:11], 0
	v_cmp_neq_f64_e64 s26, s[10:11], 0
	s_load_dwordx4 s[16:19], s[4:5], 0x60
	s_and_b32 vcc_lo, exec_lo, s2
	s_cbranch_vccnz .LBB178_8
; %bb.7:
	s_waitcnt lgkmcnt(0)
	s_mul_i32 s2, s17, s7
	s_mul_hi_u32 s3, s16, s7
	s_add_i32 s3, s3, s2
	s_mul_i32 s2, s16, s7
	s_lshl_b64 s[2:3], s[2:3], 3
	s_add_u32 s20, s0, s2
	s_addc_u32 s21, s1, s3
.LBB178_8:
	s_clause 0x1
	s_load_dwordx4 s[12:15], s[4:5], 0x0
	s_load_dword s9, s[4:5], 0x20
	v_lshl_add_u32 v6, v1, 3, v0
	v_and_b32_e32 v148, 3, v0
	v_mov_b32_e32 v3, 0x7fefffff
	v_lshrrev_b32_e32 v79, 2, v6
	v_lshlrev_b32_e32 v78, 3, v148
	s_waitcnt lgkmcnt(0)
	s_add_i32 s0, s12, -1
	v_cmp_gt_i32_e32 vcc_lo, s14, v148
	s_ashr_i32 s1, s0, 31
	s_lshr_b32 s1, s1, 26
	s_add_i32 s0, s0, s1
	s_ashr_i32 s0, s0, 6
	s_add_i32 s2, s0, 1
	s_not_b32 s0, s0
	v_cvt_f32_u32_e32 v2, s2
	v_rcp_iflag_f32_e32 v2, v2
	v_mul_f32_e32 v2, 0x4f7ffffe, v2
	v_cvt_u32_f32_e32 v2, v2
	v_readfirstlane_b32 s1, v2
	v_mov_b32_e32 v2, -1
	v_mov_b32_e32 v5, v3
	s_mul_i32 s0, s0, s1
	v_mov_b32_e32 v4, v2
	s_mul_hi_u32 s0, s1, s0
	s_add_i32 s1, s1, s0
	s_mul_hi_u32 s0, s6, s1
	s_mul_i32 s1, s0, s2
	s_add_i32 s3, s0, 1
	s_sub_i32 s1, s6, s1
	s_sub_i32 s8, s1, s2
	s_cmp_ge_u32 s1, s2
	s_cselect_b32 s0, s3, s0
	s_cselect_b32 s1, s8, s1
	s_add_i32 s3, s0, 1
	s_cmp_ge_u32 s1, s2
	s_cselect_b32 s1, s3, s0
	s_mul_i32 s29, s1, s2
	s_sub_i32 s0, s6, s29
	s_lshl_b32 s15, s0, 6
	v_add_nc_u32_e32 v13, s15, v79
	v_cmp_gt_i32_e64 s0, s12, v13
	v_cmp_le_i32_e64 s3, s12, v13
	s_and_b32 s2, vcc_lo, s0
	s_and_saveexec_b32 s0, s2
	s_cbranch_execz .LBB178_10
; %bb.9:
	v_mad_i64_i32 v[4:5], null, v13, s9, 0
	v_lshlrev_b64 v[4:5], 3, v[4:5]
	v_add_co_u32 v4, vcc_lo, s22, v4
	v_add_co_ci_u32_e64 v5, null, s23, v5, vcc_lo
	v_add_co_u32 v4, vcc_lo, v4, v78
	v_add_co_ci_u32_e64 v5, null, 0, v5, vcc_lo
	global_load_dwordx2 v[4:5], v[4:5], off
.LBB178_10:
	s_or_b32 exec_lo, exec_lo, s0
	s_load_dword s16, s[4:5], 0x38
	v_lshrrev_b32_e32 v150, 6, v6
	v_and_b32_e32 v12, 63, v6
	s_lshl_b32 s27, s1, 8
	v_cmp_le_i32_e64 s8, s14, v150
	v_or_b32_e32 v66, s27, v12
	v_cmp_le_i32_e32 vcc_lo, s13, v66
	v_ashrrev_i32_e32 v67, 31, v66
	s_waitcnt lgkmcnt(0)
	v_mad_i64_i32 v[7:8], null, s16, v150, 0
	v_lshlrev_b64 v[6:7], 3, v[7:8]
	v_add_co_u32 v14, s0, s24, v6
	v_add_co_ci_u32_e64 v15, null, s25, v7, s0
	s_nor_b32 s0, vcc_lo, s8
	s_and_saveexec_b32 s1, s0
	s_cbranch_execz .LBB178_12
; %bb.11:
	v_lshlrev_b64 v[2:3], 3, v[66:67]
	v_add_co_u32 v2, s0, v14, v2
	v_add_co_ci_u32_e64 v3, null, v15, v3, s0
	global_load_dwordx2 v[2:3], v[2:3], off
.LBB178_12:
	s_or_b32 exec_lo, exec_lo, s1
	v_or_b32_e32 v8, 64, v66
	v_mov_b32_e32 v7, 0x7fefffff
	v_mov_b32_e32 v6, -1
	v_cmp_le_i32_e64 s0, s13, v8
	v_mov_b32_e32 v9, v7
	v_mov_b32_e32 v8, v6
	s_nor_b32 s1, s0, s8
	s_and_saveexec_b32 s2, s1
	s_cbranch_execz .LBB178_14
; %bb.13:
	v_lshlrev_b64 v[8:9], 3, v[66:67]
	v_add_co_u32 v8, s1, v14, v8
	v_add_co_ci_u32_e64 v9, null, v15, v9, s1
	global_load_dwordx2 v[8:9], v[8:9], off offset:512
.LBB178_14:
	s_or_b32 exec_lo, exec_lo, s2
	v_or_b32_e32 v10, 0x80, v66
	s_ashr_i32 s17, s16, 31
	v_cmp_le_i32_e64 s1, s13, v10
	s_nor_b32 s2, s1, s8
	s_and_saveexec_b32 s28, s2
	s_cbranch_execz .LBB178_16
; %bb.15:
	v_lshlrev_b64 v[6:7], 3, v[66:67]
	v_add_co_u32 v6, s2, v14, v6
	v_add_co_ci_u32_e64 v7, null, v15, v7, s2
	global_load_dwordx2 v[6:7], v[6:7], off offset:1024
.LBB178_16:
	s_or_b32 exec_lo, exec_lo, s28
	v_or_b32_e32 v10, 0xc0, v66
	v_mov_b32_e32 v68, -1
	v_mov_b32_e32 v69, 0x7fefffff
	v_cmp_le_i32_e64 s2, s13, v10
	v_mov_b32_e32 v10, v68
	v_mov_b32_e32 v11, v69
	s_nor_b32 s8, s2, s8
	s_and_saveexec_b32 s28, s8
	s_cbranch_execz .LBB178_18
; %bb.17:
	v_lshlrev_b64 v[10:11], 3, v[66:67]
	v_add_co_u32 v10, s8, v14, v10
	v_add_co_ci_u32_e64 v11, null, v15, v11, s8
	global_load_dwordx2 v[10:11], v[10:11], off offset:1536
.LBB178_18:
	s_or_b32 exec_lo, exec_lo, s28
	v_or_b32_e32 v14, 4, v148
	s_xor_b32 s28, s3, -1
	v_cmp_gt_i32_e64 s8, s14, v14
	s_and_b32 s3, s8, s28
	s_and_saveexec_b32 s8, s3
	s_cbranch_execz .LBB178_20
; %bb.19:
	v_mad_i64_i32 v[13:14], null, v13, s9, 0
	v_lshlrev_b64 v[13:14], 3, v[13:14]
	v_add_co_u32 v13, s3, s22, v13
	v_add_co_ci_u32_e64 v14, null, s23, v14, s3
	v_add_co_u32 v13, s3, v13, v78
	v_add_co_ci_u32_e64 v14, null, 0, v14, s3
	global_load_dwordx2 v[68:69], v[13:14], off offset:32
.LBB178_20:
	s_or_b32 exec_lo, exec_lo, s8
	v_add_nc_u32_e32 v16, 4, v150
	v_mov_b32_e32 v71, 0x7fefffff
	v_mov_b32_e32 v70, -1
	v_mad_u64_u32 v[13:14], null, s16, v16, 0
	v_cmp_le_i32_e64 s3, s14, v16
	v_mov_b32_e32 v73, v71
	v_mov_b32_e32 v72, v70
	v_mad_u64_u32 v[14:15], null, s17, v16, v[14:15]
	v_lshlrev_b64 v[13:14], 3, v[13:14]
	v_add_co_u32 v13, s8, s24, v13
	v_add_co_ci_u32_e64 v14, null, s25, v14, s8
	s_nor_b32 s8, vcc_lo, s3
	s_and_saveexec_b32 s30, s8
	s_cbranch_execz .LBB178_22
; %bb.21:
	v_lshlrev_b64 v[15:16], 3, v[66:67]
	v_add_co_u32 v15, s8, v13, v15
	v_add_co_ci_u32_e64 v16, null, v14, v16, s8
	global_load_dwordx2 v[72:73], v[15:16], off
.LBB178_22:
	s_or_b32 exec_lo, exec_lo, s30
	s_nor_b32 s8, s0, s3
	s_and_saveexec_b32 s30, s8
	s_cbranch_execz .LBB178_24
; %bb.23:
	v_lshlrev_b64 v[15:16], 3, v[66:67]
	v_add_co_u32 v15, s8, v13, v15
	v_add_co_ci_u32_e64 v16, null, v14, v16, s8
	global_load_dwordx2 v[70:71], v[15:16], off offset:512
.LBB178_24:
	s_or_b32 exec_lo, exec_lo, s30
	v_mov_b32_e32 v75, 0x7fefffff
	v_mov_b32_e32 v74, -1
	s_nor_b32 s8, s1, s3
	v_mov_b32_e32 v77, v75
	v_mov_b32_e32 v76, v74
	s_and_saveexec_b32 s30, s8
	s_cbranch_execz .LBB178_26
; %bb.25:
	v_lshlrev_b64 v[15:16], 3, v[66:67]
	v_add_co_u32 v15, s8, v13, v15
	v_add_co_ci_u32_e64 v16, null, v14, v16, s8
	global_load_dwordx2 v[76:77], v[15:16], off offset:1024
.LBB178_26:
	s_or_b32 exec_lo, exec_lo, s30
	s_nor_b32 s3, s2, s3
	s_and_saveexec_b32 s8, s3
	s_cbranch_execz .LBB178_28
; %bb.27:
	v_lshlrev_b64 v[15:16], 3, v[66:67]
	v_add_co_u32 v13, s3, v13, v15
	v_add_co_ci_u32_e64 v14, null, v14, v16, s3
	global_load_dwordx2 v[74:75], v[13:14], off offset:1536
.LBB178_28:
	s_or_b32 exec_lo, exec_lo, s8
	v_lshl_or_b32 v80, v79, 5, v78
	v_lshlrev_b32_e32 v151, 5, v0
	v_lshlrev_b32_e32 v149, 5, v1
	s_cmp_lt_i32 s14, 9
	s_waitcnt vmcnt(0)
	ds_write_b64 v80, v[4:5] offset:16384
	v_lshlrev_b32_e32 v4, 5, v12
	v_lshl_add_u32 v152, v150, 3, v4
	ds_write2st64_b64 v152, v[2:3], v[8:9] offset1:4
	ds_write2st64_b64 v152, v[6:7], v[10:11] offset0:8 offset1:12
	s_waitcnt lgkmcnt(0)
	s_barrier
	buffer_gl0_inv
	ds_read_b128 v[10:13], v151 offset:16640
	ds_read_b128 v[14:17], v151 offset:16896
	;; [unrolled: 1-line block ×16, first 2 shown]
	ds_read_b128 v[85:88], v149
	ds_read_b128 v[6:9], v149 offset:16
	s_waitcnt lgkmcnt(1)
	v_add_f64 v[89:90], v[83:84], v[87:88]
	v_add_f64 v[91:92], v[81:82], v[85:86]
	s_waitcnt lgkmcnt(0)
	v_add_f64 v[145:146], v[4:5], v[8:9]
	v_add_f64 v[153:154], v[2:3], v[6:7]
	v_cvt_f32_f64_e32 v89, v[89:90]
	v_cvt_f32_f64_e32 v91, v[91:92]
	;; [unrolled: 1-line block ×4, first 2 shown]
	v_min3_f32 v144, v91, v89, 0x7f800000
	v_add_f64 v[89:90], v[12:13], v[87:88]
	v_add_f64 v[91:92], v[10:11], v[85:86]
	v_min3_f32 v224, v147, v145, v144
	v_cvt_f32_f64_e32 v89, v[89:90]
	v_cvt_f32_f64_e32 v91, v[91:92]
	v_min3_f32 v143, v91, v89, 0x7f800000
	v_add_f64 v[89:90], v[16:17], v[87:88]
	v_add_f64 v[91:92], v[14:15], v[85:86]
	v_cvt_f32_f64_e32 v89, v[89:90]
	v_cvt_f32_f64_e32 v91, v[91:92]
	v_min3_f32 v142, v91, v89, 0x7f800000
	v_add_f64 v[89:90], v[20:21], v[87:88]
	v_add_f64 v[91:92], v[18:19], v[85:86]
	;; [unrolled: 5-line block ×5, first 2 shown]
	v_add_f64 v[87:88], v[36:37], v[87:88]
	v_add_f64 v[85:86], v[34:35], v[85:86]
	v_cvt_f32_f64_e32 v89, v[89:90]
	v_cvt_f32_f64_e32 v91, v[91:92]
	;; [unrolled: 1-line block ×4, first 2 shown]
	v_add_f64 v[87:88], v[81:82], v[38:39]
	v_min3_f32 v138, v91, v89, 0x7f800000
	v_min3_f32 v137, v85, v86, 0x7f800000
	v_add_f64 v[85:86], v[83:84], v[40:41]
	v_cvt_f32_f64_e32 v87, v[87:88]
	v_cvt_f32_f64_e32 v85, v[85:86]
	v_min3_f32 v136, v87, v85, 0x7f800000
	v_add_f64 v[85:86], v[12:13], v[40:41]
	v_add_f64 v[87:88], v[10:11], v[38:39]
	v_cvt_f32_f64_e32 v85, v[85:86]
	v_cvt_f32_f64_e32 v87, v[87:88]
	v_min3_f32 v135, v87, v85, 0x7f800000
	v_add_f64 v[85:86], v[16:17], v[40:41]
	;; [unrolled: 5-line block ×6, first 2 shown]
	v_add_f64 v[87:88], v[30:31], v[38:39]
	v_add_f64 v[40:41], v[36:37], v[40:41]
	;; [unrolled: 1-line block ×3, first 2 shown]
	v_cvt_f32_f64_e32 v85, v[85:86]
	v_cvt_f32_f64_e32 v87, v[87:88]
	;; [unrolled: 1-line block ×4, first 2 shown]
	v_add_f64 v[40:41], v[81:82], v[42:43]
	v_min3_f32 v130, v87, v85, 0x7f800000
	v_min3_f32 v129, v38, v39, 0x7f800000
	v_add_f64 v[38:39], v[83:84], v[44:45]
	v_cvt_f32_f64_e32 v40, v[40:41]
	v_cvt_f32_f64_e32 v38, v[38:39]
	v_min3_f32 v128, v40, v38, 0x7f800000
	v_add_f64 v[38:39], v[12:13], v[44:45]
	v_add_f64 v[40:41], v[10:11], v[42:43]
	v_cvt_f32_f64_e32 v38, v[38:39]
	v_cvt_f32_f64_e32 v40, v[40:41]
	v_min3_f32 v127, v40, v38, 0x7f800000
	v_add_f64 v[38:39], v[16:17], v[44:45]
	;; [unrolled: 5-line block ×33, first 2 shown]
	v_add_f64 v[40:41], v[10:11], v[58:59]
	v_add_f64 v[12:13], v[12:13], v[64:65]
	;; [unrolled: 1-line block ×3, first 2 shown]
	v_cvt_f32_f64_e32 v38, v[38:39]
	v_cvt_f32_f64_e32 v40, v[40:41]
	;; [unrolled: 1-line block ×4, first 2 shown]
	v_add_f64 v[12:13], v[14:15], v[62:63]
	v_min3_f32 v95, v40, v38, 0x7f800000
	v_add_f64 v[38:39], v[16:17], v[60:61]
	v_add_f64 v[40:41], v[14:15], v[58:59]
	v_min3_f32 v87, v10, v11, 0x7f800000
	v_add_f64 v[10:11], v[16:17], v[64:65]
	v_cvt_f32_f64_e32 v12, v[12:13]
	v_cvt_f32_f64_e32 v38, v[38:39]
	;; [unrolled: 1-line block ×4, first 2 shown]
	v_min3_f32 v94, v40, v38, 0x7f800000
	v_add_f64 v[38:39], v[20:21], v[60:61]
	v_add_f64 v[40:41], v[18:19], v[58:59]
	v_min3_f32 v86, v12, v10, 0x7f800000
	v_add_f64 v[10:11], v[20:21], v[64:65]
	v_add_f64 v[12:13], v[18:19], v[62:63]
	v_cvt_f32_f64_e32 v38, v[38:39]
	v_cvt_f32_f64_e32 v40, v[40:41]
	;; [unrolled: 1-line block ×4, first 2 shown]
	v_min3_f32 v93, v40, v38, 0x7f800000
	v_add_f64 v[38:39], v[24:25], v[60:61]
	v_add_f64 v[40:41], v[22:23], v[58:59]
	v_min3_f32 v85, v12, v10, 0x7f800000
	v_add_f64 v[10:11], v[24:25], v[64:65]
	v_add_f64 v[12:13], v[22:23], v[62:63]
	v_cvt_f32_f64_e32 v38, v[38:39]
	v_cvt_f32_f64_e32 v40, v[40:41]
	;; [unrolled: 1-line block ×4, first 2 shown]
	v_min3_f32 v92, v40, v38, 0x7f800000
	v_add_f64 v[38:39], v[28:29], v[60:61]
	v_add_f64 v[40:41], v[26:27], v[58:59]
	v_cvt_f32_f64_e32 v38, v[38:39]
	v_cvt_f32_f64_e32 v40, v[40:41]
	v_min3_f32 v91, v40, v38, 0x7f800000
	v_add_f64 v[38:39], v[32:33], v[60:61]
	v_add_f64 v[40:41], v[30:31], v[58:59]
	v_cvt_f32_f64_e32 v38, v[38:39]
	v_cvt_f32_f64_e32 v40, v[40:41]
	;; [unrolled: 5-line block ×3, first 2 shown]
	v_min3_f32 v89, v40, v38, 0x7f800000
	v_add_f64 v[38:39], v[83:84], v[64:65]
	v_min3_f32 v84, v12, v10, 0x7f800000
	v_add_f64 v[10:11], v[28:29], v[64:65]
	v_add_f64 v[12:13], v[26:27], v[62:63]
	;; [unrolled: 1-line block ×3, first 2 shown]
	v_cvt_f32_f64_e32 v38, v[38:39]
	v_cvt_f32_f64_e32 v10, v[10:11]
	;; [unrolled: 1-line block ×4, first 2 shown]
	v_min3_f32 v83, v12, v10, 0x7f800000
	v_add_f64 v[10:11], v[32:33], v[64:65]
	v_add_f64 v[12:13], v[30:31], v[62:63]
	v_min3_f32 v88, v40, v38, 0x7f800000
	v_cvt_f32_f64_e32 v10, v[10:11]
	v_cvt_f32_f64_e32 v12, v[12:13]
	v_min3_f32 v82, v12, v10, 0x7f800000
	v_add_f64 v[10:11], v[36:37], v[64:65]
	v_add_f64 v[12:13], v[34:35], v[62:63]
	v_cvt_f32_f64_e32 v10, v[10:11]
	v_cvt_f32_f64_e32 v12, v[12:13]
	v_min3_f32 v81, v12, v10, 0x7f800000
	ds_read_b128 v[34:37], v151 offset:16656
	ds_read_b128 v[30:33], v151 offset:16912
	;; [unrolled: 1-line block ×14, first 2 shown]
	ds_write_b64 v80, v[68:69] offset:18432
	ds_write2st64_b64 v152, v[72:73], v[70:71] offset0:16 offset1:20
	ds_write2st64_b64 v152, v[76:77], v[74:75] offset0:24 offset1:28
	s_waitcnt lgkmcnt(0)
	s_barrier
	buffer_gl0_inv
	v_add_f64 v[144:145], v[36:37], v[8:9]
	v_add_f64 v[146:147], v[34:35], v[6:7]
	v_cvt_f32_f64_e32 v144, v[144:145]
	v_cvt_f32_f64_e32 v146, v[146:147]
	v_min3_f32 v223, v146, v144, v143
	v_add_f64 v[143:144], v[32:33], v[8:9]
	v_add_f64 v[145:146], v[30:31], v[6:7]
	v_cvt_f32_f64_e32 v143, v[143:144]
	v_cvt_f32_f64_e32 v145, v[145:146]
	v_min3_f32 v222, v145, v143, v142
	;; [unrolled: 5-line block ×5, first 2 shown]
	v_add_f64 v[139:140], v[16:17], v[8:9]
	v_add_f64 v[141:142], v[14:15], v[6:7]
	;; [unrolled: 1-line block ×4, first 2 shown]
	v_cvt_f32_f64_e32 v139, v[139:140]
	v_cvt_f32_f64_e32 v141, v[141:142]
	;; [unrolled: 1-line block ×4, first 2 shown]
	v_add_f64 v[8:9], v[2:3], v[62:63]
	v_min3_f32 v218, v141, v139, v138
	v_min3_f32 v217, v6, v7, v137
	v_add_f64 v[6:7], v[4:5], v[64:65]
	v_cvt_f32_f64_e32 v8, v[8:9]
	v_cvt_f32_f64_e32 v6, v[6:7]
	v_min3_f32 v216, v8, v6, v136
	v_add_f64 v[6:7], v[36:37], v[64:65]
	v_add_f64 v[8:9], v[34:35], v[62:63]
	v_cvt_f32_f64_e32 v6, v[6:7]
	v_cvt_f32_f64_e32 v8, v[8:9]
	v_min3_f32 v215, v8, v6, v135
	v_add_f64 v[6:7], v[32:33], v[64:65]
	;; [unrolled: 5-line block ×40, first 2 shown]
	v_add_f64 v[8:9], v[2:3], v[42:43]
	v_add_f64 v[4:5], v[4:5], v[40:41]
	;; [unrolled: 1-line block ×3, first 2 shown]
	v_cvt_f32_f64_e32 v6, v[6:7]
	v_cvt_f32_f64_e32 v8, v[8:9]
	;; [unrolled: 1-line block ×4, first 2 shown]
	v_add_f64 v[4:5], v[34:35], v[38:39]
	v_min3_f32 v168, v8, v6, v96
	v_add_f64 v[6:7], v[36:37], v[44:45]
	v_add_f64 v[8:9], v[34:35], v[42:43]
	v_min3_f32 v160, v2, v3, v88
	v_add_f64 v[2:3], v[36:37], v[40:41]
	v_cvt_f32_f64_e32 v4, v[4:5]
	v_cvt_f32_f64_e32 v6, v[6:7]
	v_cvt_f32_f64_e32 v8, v[8:9]
	v_cvt_f32_f64_e32 v2, v[2:3]
	v_min3_f32 v167, v8, v6, v95
	v_add_f64 v[6:7], v[32:33], v[44:45]
	v_add_f64 v[8:9], v[30:31], v[42:43]
	v_min3_f32 v159, v4, v2, v87
	v_add_f64 v[2:3], v[32:33], v[40:41]
	v_add_f64 v[4:5], v[30:31], v[38:39]
	v_cvt_f32_f64_e32 v6, v[6:7]
	v_cvt_f32_f64_e32 v8, v[8:9]
	v_cvt_f32_f64_e32 v2, v[2:3]
	v_cvt_f32_f64_e32 v4, v[4:5]
	v_min3_f32 v166, v8, v6, v94
	v_add_f64 v[6:7], v[28:29], v[44:45]
	v_add_f64 v[8:9], v[26:27], v[42:43]
	v_min3_f32 v158, v4, v2, v86
	v_add_f64 v[2:3], v[28:29], v[40:41]
	;; [unrolled: 10-line block ×6, first 2 shown]
	v_add_f64 v[4:5], v[10:11], v[38:39]
	v_cvt_f32_f64_e32 v6, v[6:7]
	v_cvt_f32_f64_e32 v8, v[8:9]
	v_cvt_f32_f64_e32 v2, v[2:3]
	v_cvt_f32_f64_e32 v4, v[4:5]
	v_min3_f32 v161, v8, v6, v89
	v_min3_f32 v153, v4, v2, v81
	s_cbranch_scc1 .LBB178_51
; %bb.29:
	v_lshl_add_u32 v2, s6, 6, v79
	s_lshl_b32 s3, s29, 6
	v_add_nc_u32_e32 v6, 8, v150
	v_add_nc_u32_e32 v8, 12, v150
	v_lshlrev_b64 v[4:5], 3, v[66:67]
	v_subrev_nc_u32_e32 v2, s3, v2
	v_add_nc_u32_e32 v175, 0x4000, v80
	v_mad_i64_i32 v[6:7], null, v6, s16, 0
	v_or_b32_e32 v176, 0x4000, v151
	v_mad_i64_i32 v[2:3], null, s9, v2, 0
	v_add_nc_u32_e32 v177, 0x4800, v80
	v_add_nc_u32_e32 v178, 0x2000, v152
	v_lshl_add_u32 v179, v0, 5, 0x4800
	v_lshlrev_b64 v[130:131], 3, v[6:7]
	v_lshl_or_b32 v180, v1, 5, 0x2000
	v_mov_b32_e32 v136, -1
	v_lshlrev_b64 v[2:3], 3, v[2:3]
	v_mov_b32_e32 v137, 0x7fefffff
	s_lshl_b64 s[8:9], s[16:17], 6
	v_add_co_u32 v9, s3, v2, v78
	v_add_co_ci_u32_e64 v10, null, 0, v3, s3
	v_mad_i64_i32 v[2:3], null, v8, s16, 0
	v_add_co_u32 v8, s3, s22, v9
	v_add_co_ci_u32_e64 v9, null, s23, v10, s3
	s_add_i32 s22, s14, -8
	v_add_co_u32 v132, s3, v8, 64
	v_add_co_ci_u32_e64 v133, null, 0, v9, s3
	v_add_co_u32 v182, s3, s24, v4
	v_lshlrev_b64 v[134:135], 3, v[2:3]
	v_add_co_ci_u32_e64 v183, null, s25, v5, s3
	s_mov_b32 s16, 0
	s_branch .LBB178_31
.LBB178_30:                             ;   in Loop: Header=BB178_31 Depth=1
	s_or_b32 exec_lo, exec_lo, s6
	v_add_f64 v[225:226], v[100:101], v[128:129]
	v_add_f64 v[227:228], v[98:99], v[126:127]
	v_add_co_u32 v132, s3, v132, 64
	v_add_co_ci_u32_e64 v133, null, 0, v133, s3
	v_add_co_u32 v182, s3, v182, s8
	v_add_co_ci_u32_e64 v183, null, s9, v183, s3
	s_add_i32 s16, s16, 8
	s_cmp_ge_i32 s16, s22
	v_cvt_f32_f64_e32 v225, v[225:226]
	v_cvt_f32_f64_e32 v227, v[227:228]
	v_min3_f32 v224, v227, v225, v224
	v_add_f64 v[225:226], v[96:97], v[128:129]
	v_add_f64 v[227:228], v[94:95], v[126:127]
	v_cvt_f32_f64_e32 v225, v[225:226]
	v_cvt_f32_f64_e32 v227, v[227:228]
	v_min3_f32 v223, v227, v225, v223
	v_add_f64 v[225:226], v[92:93], v[128:129]
	v_add_f64 v[227:228], v[90:91], v[126:127]
	v_cvt_f32_f64_e32 v225, v[225:226]
	v_cvt_f32_f64_e32 v227, v[227:228]
	v_min3_f32 v222, v227, v225, v222
	v_add_f64 v[225:226], v[88:89], v[128:129]
	v_add_f64 v[227:228], v[86:87], v[126:127]
	v_cvt_f32_f64_e32 v225, v[225:226]
	v_cvt_f32_f64_e32 v227, v[227:228]
	v_min3_f32 v221, v227, v225, v221
	v_add_f64 v[225:226], v[84:85], v[128:129]
	v_add_f64 v[227:228], v[82:83], v[126:127]
	v_cvt_f32_f64_e32 v225, v[225:226]
	v_cvt_f32_f64_e32 v227, v[227:228]
	v_min3_f32 v220, v227, v225, v220
	v_add_f64 v[225:226], v[80:81], v[128:129]
	v_add_f64 v[227:228], v[78:79], v[126:127]
	v_cvt_f32_f64_e32 v225, v[225:226]
	v_cvt_f32_f64_e32 v227, v[227:228]
	v_min3_f32 v219, v227, v225, v219
	v_add_f64 v[225:226], v[72:73], v[128:129]
	v_add_f64 v[227:228], v[70:71], v[126:127]
	v_add_f64 v[128:129], v[68:69], v[128:129]
	v_add_f64 v[126:127], v[66:67], v[126:127]
	v_cvt_f32_f64_e32 v225, v[225:226]
	v_cvt_f32_f64_e32 v227, v[227:228]
	v_cvt_f32_f64_e32 v126, v[126:127]
	v_cvt_f32_f64_e32 v127, v[128:129]
	v_add_f64 v[128:129], v[98:99], v[122:123]
	v_min3_f32 v218, v227, v225, v218
	v_min3_f32 v217, v126, v127, v217
	v_add_f64 v[126:127], v[100:101], v[124:125]
	v_cvt_f32_f64_e32 v128, v[128:129]
	v_cvt_f32_f64_e32 v126, v[126:127]
	v_min3_f32 v216, v128, v126, v216
	v_add_f64 v[126:127], v[96:97], v[124:125]
	v_add_f64 v[128:129], v[94:95], v[122:123]
	v_cvt_f32_f64_e32 v126, v[126:127]
	v_cvt_f32_f64_e32 v128, v[128:129]
	v_min3_f32 v215, v128, v126, v215
	v_add_f64 v[126:127], v[92:93], v[124:125]
	v_add_f64 v[128:129], v[90:91], v[122:123]
	v_cvt_f32_f64_e32 v126, v[126:127]
	v_cvt_f32_f64_e32 v128, v[128:129]
	v_min3_f32 v214, v128, v126, v214
	v_add_f64 v[126:127], v[88:89], v[124:125]
	v_add_f64 v[128:129], v[86:87], v[122:123]
	v_cvt_f32_f64_e32 v126, v[126:127]
	v_cvt_f32_f64_e32 v128, v[128:129]
	v_min3_f32 v213, v128, v126, v213
	v_add_f64 v[126:127], v[84:85], v[124:125]
	v_add_f64 v[128:129], v[82:83], v[122:123]
	v_cvt_f32_f64_e32 v126, v[126:127]
	v_cvt_f32_f64_e32 v128, v[128:129]
	v_min3_f32 v212, v128, v126, v212
	v_add_f64 v[126:127], v[80:81], v[124:125]
	v_add_f64 v[128:129], v[78:79], v[122:123]
	v_cvt_f32_f64_e32 v126, v[126:127]
	v_cvt_f32_f64_e32 v128, v[128:129]
	v_min3_f32 v211, v128, v126, v211
	v_add_f64 v[126:127], v[72:73], v[124:125]
	v_add_f64 v[128:129], v[70:71], v[122:123]
	v_add_f64 v[124:125], v[68:69], v[124:125]
	v_add_f64 v[122:123], v[66:67], v[122:123]
	v_cvt_f32_f64_e32 v126, v[126:127]
	v_cvt_f32_f64_e32 v128, v[128:129]
	v_cvt_f32_f64_e32 v122, v[122:123]
	v_cvt_f32_f64_e32 v123, v[124:125]
	v_add_f64 v[124:125], v[98:99], v[118:119]
	v_min3_f32 v210, v128, v126, v210
	v_min3_f32 v209, v122, v123, v209
	v_add_f64 v[122:123], v[100:101], v[120:121]
	;; [unrolled: 40-line block ×3, first 2 shown]
	v_cvt_f32_f64_e32 v120, v[120:121]
	v_cvt_f32_f64_e32 v118, v[118:119]
	v_min3_f32 v200, v120, v118, v200
	v_add_f64 v[118:119], v[96:97], v[116:117]
	v_add_f64 v[120:121], v[94:95], v[114:115]
	v_cvt_f32_f64_e32 v118, v[118:119]
	v_cvt_f32_f64_e32 v120, v[120:121]
	v_min3_f32 v199, v120, v118, v199
	v_add_f64 v[118:119], v[92:93], v[116:117]
	v_add_f64 v[120:121], v[90:91], v[114:115]
	;; [unrolled: 5-line block ×3, first 2 shown]
	v_cvt_f32_f64_e32 v118, v[118:119]
	v_cvt_f32_f64_e32 v120, v[120:121]
	v_add_f64 v[121:122], v[82:83], v[114:115]
	v_min3_f32 v118, v120, v118, v197
	v_add_f64 v[119:120], v[84:85], v[116:117]
	v_cvt_f32_f64_e32 v121, v[121:122]
	v_add_f64 v[122:123], v[78:79], v[114:115]
	v_cvt_f32_f64_e32 v119, v[119:120]
	v_cvt_f32_f64_e32 v122, v[122:123]
	v_add_f64 v[123:124], v[70:71], v[114:115]
	v_add_f64 v[114:115], v[66:67], v[114:115]
	v_min3_f32 v119, v121, v119, v196
	v_add_f64 v[120:121], v[80:81], v[116:117]
	v_cvt_f32_f64_e32 v123, v[123:124]
	v_cvt_f32_f64_e32 v114, v[114:115]
	v_add_f64 v[124:125], v[90:91], v[110:111]
	v_cvt_f32_f64_e32 v120, v[120:121]
	v_min3_f32 v120, v122, v120, v195
	v_add_f64 v[121:122], v[72:73], v[116:117]
	v_add_f64 v[116:117], v[68:69], v[116:117]
	v_cvt_f32_f64_e32 v121, v[121:122]
	v_cvt_f32_f64_e32 v115, v[116:117]
	v_min3_f32 v121, v123, v121, v194
	v_min3_f32 v114, v114, v115, v193
	v_add_f64 v[115:116], v[100:101], v[112:113]
	v_add_f64 v[122:123], v[98:99], v[110:111]
	v_cvt_f32_f64_e32 v115, v[115:116]
	v_cvt_f32_f64_e32 v117, v[122:123]
	v_add_f64 v[122:123], v[94:95], v[110:111]
	v_min3_f32 v115, v117, v115, v192
	v_add_f64 v[116:117], v[96:97], v[112:113]
	v_cvt_f32_f64_e32 v122, v[122:123]
	v_cvt_f32_f64_e32 v116, v[116:117]
	;; [unrolled: 1-line block ×3, first 2 shown]
	v_add_f64 v[124:125], v[86:87], v[110:111]
	v_min3_f32 v116, v122, v116, v191
	v_add_f64 v[122:123], v[92:93], v[112:113]
	v_cvt_f32_f64_e32 v124, v[124:125]
	v_add_f64 v[125:126], v[82:83], v[110:111]
	v_cvt_f32_f64_e32 v122, v[122:123]
	v_cvt_f32_f64_e32 v125, v[125:126]
	v_add_f64 v[126:127], v[78:79], v[110:111]
	v_min3_f32 v117, v117, v122, v190
	v_add_f64 v[122:123], v[88:89], v[112:113]
	v_cvt_f32_f64_e32 v126, v[126:127]
	v_add_f64 v[127:128], v[70:71], v[110:111]
	v_add_f64 v[110:111], v[66:67], v[110:111]
	v_cvt_f32_f64_e32 v122, v[122:123]
	v_cvt_f32_f64_e32 v127, v[127:128]
	v_cvt_f32_f64_e32 v110, v[110:111]
	v_min3_f32 v122, v124, v122, v189
	v_add_f64 v[123:124], v[84:85], v[112:113]
	v_cvt_f32_f64_e32 v123, v[123:124]
	v_min3_f32 v123, v125, v123, v188
	v_add_f64 v[124:125], v[80:81], v[112:113]
	v_cvt_f32_f64_e32 v124, v[124:125]
	v_min3_f32 v124, v126, v124, v187
	v_add_f64 v[125:126], v[72:73], v[112:113]
	v_add_f64 v[112:113], v[68:69], v[112:113]
	v_cvt_f32_f64_e32 v125, v[125:126]
	v_cvt_f32_f64_e32 v111, v[112:113]
	v_min3_f32 v125, v127, v125, v186
	v_min3_f32 v112, v110, v111, v185
	v_add_f64 v[110:111], v[100:101], v[108:109]
	v_add_f64 v[126:127], v[98:99], v[106:107]
	v_cvt_f32_f64_e32 v110, v[110:111]
	v_cvt_f32_f64_e32 v113, v[126:127]
	v_add_f64 v[126:127], v[94:95], v[106:107]
	v_min3_f32 v113, v113, v110, v184
	v_add_f64 v[110:111], v[96:97], v[108:109]
	v_cvt_f32_f64_e32 v126, v[126:127]
	v_add_f64 v[127:128], v[90:91], v[106:107]
	v_cvt_f32_f64_e32 v110, v[110:111]
	v_cvt_f32_f64_e32 v127, v[127:128]
	v_add_f64 v[128:129], v[86:87], v[106:107]
	v_min3_f32 v126, v126, v110, v181
	v_add_f64 v[110:111], v[92:93], v[108:109]
	v_cvt_f32_f64_e32 v128, v[128:129]
	v_cvt_f32_f64_e32 v110, v[110:111]
	v_min3_f32 v127, v127, v110, v174
	v_add_f64 v[110:111], v[88:89], v[108:109]
	v_cvt_f32_f64_e32 v110, v[110:111]
	v_min3_f32 v128, v128, v110, v173
	v_add_f64 v[110:111], v[84:85], v[108:109]
	v_add_f64 v[173:174], v[82:83], v[106:107]
	v_cvt_f32_f64_e32 v110, v[110:111]
	v_cvt_f32_f64_e32 v129, v[173:174]
	v_min3_f32 v129, v129, v110, v172
	v_add_f64 v[110:111], v[80:81], v[108:109]
	v_add_f64 v[172:173], v[78:79], v[106:107]
	v_cvt_f32_f64_e32 v110, v[110:111]
	v_cvt_f32_f64_e32 v172, v[172:173]
	v_min3_f32 v171, v172, v110, v171
	v_add_f64 v[110:111], v[72:73], v[108:109]
	v_add_f64 v[172:173], v[70:71], v[106:107]
	;; [unrolled: 1-line block ×4, first 2 shown]
	v_cvt_f32_f64_e32 v110, v[110:111]
	v_cvt_f32_f64_e32 v172, v[172:173]
	;; [unrolled: 1-line block ×4, first 2 shown]
	v_add_f64 v[108:109], v[98:99], v[102:103]
	v_add_f64 v[98:99], v[98:99], v[74:75]
	v_min3_f32 v170, v172, v110, v170
	v_min3_f32 v169, v106, v107, v169
	v_add_f64 v[106:107], v[100:101], v[104:105]
	v_cvt_f32_f64_e32 v108, v[108:109]
	v_add_f64 v[100:101], v[100:101], v[76:77]
	v_cvt_f32_f64_e32 v98, v[98:99]
	v_cvt_f32_f64_e32 v106, v[106:107]
	;; [unrolled: 1-line block ×3, first 2 shown]
	v_min3_f32 v168, v108, v106, v168
	v_add_f64 v[106:107], v[96:97], v[104:105]
	v_add_f64 v[108:109], v[94:95], v[102:103]
	;; [unrolled: 1-line block ×4, first 2 shown]
	v_min3_f32 v98, v98, v99, v160
	v_add_f64 v[99:100], v[10:11], v[46:47]
	v_cvt_f32_f64_e32 v106, v[106:107]
	v_cvt_f32_f64_e32 v108, v[108:109]
	v_add_f64 v[109:110], v[90:91], v[102:103]
	v_add_f64 v[90:91], v[90:91], v[74:75]
	v_cvt_f32_f64_e32 v94, v[94:95]
	v_cvt_f32_f64_e32 v95, v[96:97]
	v_min3_f32 v106, v108, v106, v167
	v_add_f64 v[107:108], v[92:93], v[104:105]
	v_cvt_f32_f64_e32 v109, v[109:110]
	v_add_f64 v[110:111], v[86:87], v[102:103]
	v_add_f64 v[86:87], v[86:87], v[74:75]
	;; [unrolled: 1-line block ×3, first 2 shown]
	v_cvt_f32_f64_e32 v90, v[90:91]
	v_min3_f32 v94, v94, v95, v159
	v_add_f64 v[95:96], v[6:7], v[50:51]
	v_cvt_f32_f64_e32 v107, v[107:108]
	v_cvt_f32_f64_e32 v110, v[110:111]
	;; [unrolled: 1-line block ×4, first 2 shown]
	v_min3_f32 v107, v109, v107, v166
	v_add_f64 v[108:109], v[88:89], v[104:105]
	v_add_f64 v[88:89], v[88:89], v[76:77]
	v_min3_f32 v90, v90, v91, v158
	v_add_f64 v[91:92], v[26:27], v[50:51]
	v_cvt_f32_f64_e32 v108, v[108:109]
	v_cvt_f32_f64_e32 v87, v[88:89]
	v_min3_f32 v108, v110, v108, v165
	v_add_f64 v[109:110], v[84:85], v[104:105]
	v_add_f64 v[165:166], v[82:83], v[102:103]
	v_add_f64 v[82:83], v[82:83], v[74:75]
	v_add_f64 v[84:85], v[84:85], v[76:77]
	v_min3_f32 v86, v86, v87, v157
	v_add_f64 v[87:88], v[14:15], v[54:55]
	v_cvt_f32_f64_e32 v109, v[109:110]
	v_cvt_f32_f64_e32 v111, v[165:166]
	;; [unrolled: 1-line block ×4, first 2 shown]
	v_min3_f32 v109, v111, v109, v164
	v_add_f64 v[110:111], v[80:81], v[104:105]
	v_add_f64 v[164:165], v[78:79], v[102:103]
	;; [unrolled: 1-line block ×4, first 2 shown]
	v_min3_f32 v82, v82, v83, v156
	v_add_f64 v[83:84], v[10:11], v[58:59]
	v_cvt_f32_f64_e32 v110, v[110:111]
	v_cvt_f32_f64_e32 v164, v[164:165]
	v_add_f64 v[165:166], v[70:71], v[102:103]
	v_add_f64 v[102:103], v[66:67], v[102:103]
	;; [unrolled: 1-line block ×5, first 2 shown]
	v_cvt_f32_f64_e32 v78, v[78:79]
	v_cvt_f32_f64_e32 v79, v[80:81]
	v_min3_f32 v110, v164, v110, v163
	v_add_f64 v[163:164], v[72:73], v[104:105]
	v_add_f64 v[104:105], v[68:69], v[104:105]
	;; [unrolled: 1-line block ×4, first 2 shown]
	v_cvt_f32_f64_e32 v66, v[66:67]
	v_cvt_f32_f64_e32 v70, v[70:71]
	v_add_f64 v[76:77], v[14:15], v[62:63]
	v_min3_f32 v78, v78, v79, v155
	v_add_f64 v[79:80], v[26:27], v[58:59]
	v_cvt_f32_f64_e32 v102, v[102:103]
	v_cvt_f32_f64_e32 v111, v[165:166]
	;; [unrolled: 1-line block ×6, first 2 shown]
	v_add_f64 v[68:69], v[34:35], v[62:63]
	v_min3_f32 v111, v111, v163, v162
	v_min3_f32 v102, v102, v103, v161
	;; [unrolled: 1-line block ×3, first 2 shown]
	v_add_f64 v[66:67], v[36:37], v[64:65]
	v_cvt_f32_f64_e32 v68, v[68:69]
	v_min3_f32 v71, v70, v71, v154
	v_add_f64 v[69:70], v[30:31], v[62:63]
	v_cvt_f32_f64_e32 v66, v[66:67]
	v_cvt_f32_f64_e32 v69, v[69:70]
	;; [unrolled: 1-line block ×3, first 2 shown]
	v_add_f64 v[74:75], v[18:19], v[62:63]
	v_min3_f32 v66, v68, v66, v224
	v_add_f64 v[67:68], v[32:33], v[64:65]
	v_cvt_f32_f64_e32 v72, v[74:75]
	v_add_f64 v[74:75], v[16:17], v[64:65]
	v_cvt_f32_f64_e32 v67, v[67:68]
	v_min3_f32 v67, v69, v67, v223
	v_add_f64 v[68:69], v[28:29], v[64:65]
	v_cvt_f32_f64_e32 v68, v[68:69]
	v_min3_f32 v68, v70, v68, v222
	v_add_f64 v[69:70], v[20:21], v[64:65]
	v_cvt_f32_f64_e32 v69, v[69:70]
	v_cvt_f32_f64_e32 v70, v[76:77]
	v_add_f64 v[76:77], v[10:11], v[62:63]
	v_min3_f32 v69, v72, v69, v221
	v_cvt_f32_f64_e32 v72, v[74:75]
	v_add_f64 v[74:75], v[12:13], v[64:65]
	v_min3_f32 v70, v70, v72, v220
	v_cvt_f32_f64_e32 v72, v[76:77]
	v_cvt_f32_f64_e32 v74, v[74:75]
	v_add_f64 v[76:77], v[6:7], v[62:63]
	v_add_f64 v[62:63], v[2:3], v[62:63]
	v_min3_f32 v72, v72, v74, v219
	v_add_f64 v[74:75], v[8:9], v[64:65]
	v_add_f64 v[64:65], v[4:5], v[64:65]
	v_cvt_f32_f64_e32 v76, v[76:77]
	v_cvt_f32_f64_e32 v62, v[62:63]
	;; [unrolled: 1-line block ×4, first 2 shown]
	v_min3_f32 v74, v76, v74, v218
	v_min3_f32 v62, v62, v63, v217
	v_add_f64 v[63:64], v[36:37], v[60:61]
	v_add_f64 v[75:76], v[34:35], v[58:59]
	v_cvt_f32_f64_e32 v63, v[63:64]
	v_cvt_f32_f64_e32 v65, v[75:76]
	v_add_f64 v[75:76], v[30:31], v[58:59]
	v_min3_f32 v63, v65, v63, v216
	v_add_f64 v[64:65], v[32:33], v[60:61]
	v_cvt_f32_f64_e32 v75, v[75:76]
	v_cvt_f32_f64_e32 v64, v[64:65]
	;; [unrolled: 1-line block ×3, first 2 shown]
	v_add_f64 v[79:80], v[18:19], v[58:59]
	v_min3_f32 v64, v75, v64, v215
	v_add_f64 v[75:76], v[28:29], v[60:61]
	v_cvt_f32_f64_e32 v77, v[79:80]
	v_add_f64 v[79:80], v[14:15], v[58:59]
	v_cvt_f32_f64_e32 v75, v[75:76]
	v_cvt_f32_f64_e32 v79, v[79:80]
	v_min3_f32 v65, v65, v75, v214
	v_add_f64 v[75:76], v[20:21], v[60:61]
	v_cvt_f32_f64_e32 v75, v[75:76]
	v_min3_f32 v75, v77, v75, v213
	v_add_f64 v[76:77], v[16:17], v[60:61]
	v_cvt_f32_f64_e32 v76, v[76:77]
	v_cvt_f32_f64_e32 v77, v[83:84]
	v_add_f64 v[83:84], v[6:7], v[58:59]
	v_add_f64 v[58:59], v[2:3], v[58:59]
	v_min3_f32 v76, v79, v76, v212
	v_add_f64 v[79:80], v[12:13], v[60:61]
	v_cvt_f32_f64_e32 v81, v[83:84]
	v_cvt_f32_f64_e32 v58, v[58:59]
	v_add_f64 v[83:84], v[26:27], v[54:55]
	v_cvt_f32_f64_e32 v79, v[79:80]
	v_min3_f32 v77, v77, v79, v211
	v_add_f64 v[79:80], v[8:9], v[60:61]
	v_add_f64 v[60:61], v[4:5], v[60:61]
	v_cvt_f32_f64_e32 v79, v[79:80]
	v_cvt_f32_f64_e32 v59, v[60:61]
	v_min3_f32 v79, v81, v79, v210
	v_min3_f32 v58, v58, v59, v209
	v_add_f64 v[59:60], v[36:37], v[56:57]
	v_add_f64 v[80:81], v[34:35], v[54:55]
	v_cvt_f32_f64_e32 v59, v[59:60]
	v_cvt_f32_f64_e32 v61, v[80:81]
	v_add_f64 v[80:81], v[30:31], v[54:55]
	v_min3_f32 v59, v61, v59, v208
	v_add_f64 v[60:61], v[32:33], v[56:57]
	v_cvt_f32_f64_e32 v80, v[80:81]
	v_cvt_f32_f64_e32 v60, v[60:61]
	;; [unrolled: 1-line block ×3, first 2 shown]
	v_add_f64 v[83:84], v[18:19], v[54:55]
	v_min3_f32 v60, v80, v60, v207
	v_add_f64 v[80:81], v[28:29], v[56:57]
	v_cvt_f32_f64_e32 v83, v[83:84]
	v_cvt_f32_f64_e32 v80, v[80:81]
	v_min3_f32 v61, v61, v80, v206
	v_add_f64 v[80:81], v[20:21], v[56:57]
	v_cvt_f32_f64_e32 v80, v[80:81]
	v_cvt_f32_f64_e32 v81, v[87:88]
	v_add_f64 v[87:88], v[10:11], v[54:55]
	v_min3_f32 v80, v83, v80, v205
	v_add_f64 v[83:84], v[16:17], v[56:57]
	v_cvt_f32_f64_e32 v85, v[87:88]
	v_add_f64 v[87:88], v[6:7], v[54:55]
	v_add_f64 v[54:55], v[2:3], v[54:55]
	v_cvt_f32_f64_e32 v83, v[83:84]
	v_cvt_f32_f64_e32 v87, v[87:88]
	;; [unrolled: 1-line block ×3, first 2 shown]
	v_min3_f32 v81, v81, v83, v204
	v_add_f64 v[83:84], v[12:13], v[56:57]
	v_cvt_f32_f64_e32 v83, v[83:84]
	v_min3_f32 v83, v85, v83, v203
	v_add_f64 v[84:85], v[8:9], v[56:57]
	v_add_f64 v[56:57], v[4:5], v[56:57]
	v_cvt_f32_f64_e32 v84, v[84:85]
	v_cvt_f32_f64_e32 v55, v[56:57]
	v_min3_f32 v84, v87, v84, v202
	v_min3_f32 v54, v54, v55, v201
	v_add_f64 v[55:56], v[36:37], v[52:53]
	v_add_f64 v[87:88], v[34:35], v[50:51]
	v_cvt_f32_f64_e32 v55, v[55:56]
	v_cvt_f32_f64_e32 v57, v[87:88]
	v_add_f64 v[87:88], v[30:31], v[50:51]
	v_min3_f32 v55, v57, v55, v200
	v_add_f64 v[56:57], v[32:33], v[52:53]
	v_cvt_f32_f64_e32 v85, v[87:88]
	v_add_f64 v[87:88], v[28:29], v[52:53]
	v_cvt_f32_f64_e32 v56, v[56:57]
	v_cvt_f32_f64_e32 v57, v[91:92]
	v_add_f64 v[91:92], v[18:19], v[50:51]
	v_min3_f32 v56, v85, v56, v199
	v_cvt_f32_f64_e32 v85, v[87:88]
	v_add_f64 v[87:88], v[20:21], v[52:53]
	v_min3_f32 v57, v57, v85, v198
	v_cvt_f32_f64_e32 v85, v[91:92]
	v_cvt_f32_f64_e32 v87, v[87:88]
	v_add_f64 v[91:92], v[14:15], v[50:51]
	v_min3_f32 v85, v85, v87, v118
	v_add_f64 v[87:88], v[16:17], v[52:53]
	v_cvt_f32_f64_e32 v89, v[91:92]
	v_add_f64 v[91:92], v[10:11], v[50:51]
	v_add_f64 v[50:51], v[2:3], v[50:51]
	v_cvt_f32_f64_e32 v87, v[87:88]
	v_cvt_f32_f64_e32 v91, v[91:92]
	;; [unrolled: 1-line block ×3, first 2 shown]
	v_min3_f32 v87, v89, v87, v119
	v_add_f64 v[88:89], v[12:13], v[52:53]
	v_cvt_f32_f64_e32 v88, v[88:89]
	v_cvt_f32_f64_e32 v89, v[95:96]
	v_add_f64 v[95:96], v[26:27], v[46:47]
	v_min3_f32 v88, v91, v88, v120
	v_add_f64 v[91:92], v[8:9], v[52:53]
	v_add_f64 v[52:53], v[4:5], v[52:53]
	v_cvt_f32_f64_e32 v91, v[91:92]
	v_cvt_f32_f64_e32 v51, v[52:53]
	v_min3_f32 v89, v89, v91, v121
	v_min3_f32 v50, v50, v51, v114
	v_add_f64 v[51:52], v[36:37], v[48:49]
	v_add_f64 v[91:92], v[34:35], v[46:47]
	v_cvt_f32_f64_e32 v51, v[51:52]
	v_cvt_f32_f64_e32 v53, v[91:92]
	v_add_f64 v[91:92], v[30:31], v[46:47]
	v_min3_f32 v51, v53, v51, v115
	v_add_f64 v[52:53], v[32:33], v[48:49]
	v_cvt_f32_f64_e32 v91, v[91:92]
	v_cvt_f32_f64_e32 v52, v[52:53]
	;; [unrolled: 1-line block ×3, first 2 shown]
	v_add_f64 v[95:96], v[18:19], v[46:47]
	v_min3_f32 v52, v91, v52, v116
	v_add_f64 v[91:92], v[28:29], v[48:49]
	v_cvt_f32_f64_e32 v93, v[95:96]
	v_add_f64 v[95:96], v[14:15], v[46:47]
	v_cvt_f32_f64_e32 v91, v[91:92]
	v_cvt_f32_f64_e32 v95, v[95:96]
	v_min3_f32 v53, v53, v91, v117
	v_add_f64 v[91:92], v[20:21], v[48:49]
	v_cvt_f32_f64_e32 v91, v[91:92]
	v_min3_f32 v91, v93, v91, v122
	v_add_f64 v[92:93], v[16:17], v[48:49]
	v_cvt_f32_f64_e32 v92, v[92:93]
	v_cvt_f32_f64_e32 v93, v[99:100]
	v_add_f64 v[99:100], v[6:7], v[46:47]
	v_add_f64 v[46:47], v[2:3], v[46:47]
	v_min3_f32 v92, v95, v92, v123
	v_add_f64 v[95:96], v[12:13], v[48:49]
	v_cvt_f32_f64_e32 v46, v[46:47]
	v_cvt_f32_f64_e32 v95, v[95:96]
	v_min3_f32 v153, v93, v95, v124
	v_add_f64 v[95:96], v[8:9], v[48:49]
	v_add_f64 v[48:49], v[4:5], v[48:49]
	v_cvt_f32_f64_e32 v93, v[99:100]
	v_add_f64 v[99:100], v[26:27], v[42:43]
	v_cvt_f32_f64_e32 v95, v[95:96]
	v_cvt_f32_f64_e32 v47, v[48:49]
	v_min3_f32 v154, v93, v95, v125
	v_min3_f32 v46, v46, v47, v112
	v_add_f64 v[47:48], v[36:37], v[44:45]
	v_add_f64 v[95:96], v[34:35], v[42:43]
	v_cvt_f32_f64_e32 v47, v[47:48]
	v_cvt_f32_f64_e32 v49, v[95:96]
	v_add_f64 v[95:96], v[30:31], v[42:43]
	v_min3_f32 v47, v49, v47, v113
	v_add_f64 v[48:49], v[32:33], v[44:45]
	v_cvt_f32_f64_e32 v93, v[95:96]
	v_add_f64 v[95:96], v[28:29], v[44:45]
	v_cvt_f32_f64_e32 v48, v[48:49]
	v_cvt_f32_f64_e32 v49, v[99:100]
	v_add_f64 v[99:100], v[18:19], v[42:43]
	v_min3_f32 v48, v93, v48, v126
	v_cvt_f32_f64_e32 v93, v[95:96]
	v_add_f64 v[95:96], v[20:21], v[44:45]
	v_min3_f32 v49, v49, v93, v127
	v_cvt_f32_f64_e32 v93, v[99:100]
	v_cvt_f32_f64_e32 v95, v[95:96]
	v_add_f64 v[99:100], v[14:15], v[42:43]
	v_min3_f32 v155, v93, v95, v128
	v_add_f64 v[95:96], v[16:17], v[44:45]
	v_cvt_f32_f64_e32 v93, v[99:100]
	v_add_f64 v[99:100], v[10:11], v[42:43]
	v_cvt_f32_f64_e32 v95, v[95:96]
	v_min3_f32 v156, v93, v95, v129
	v_add_f64 v[95:96], v[12:13], v[44:45]
	v_cvt_f32_f64_e32 v93, v[99:100]
	v_add_f64 v[99:100], v[6:7], v[42:43]
	v_add_f64 v[42:43], v[2:3], v[42:43]
	v_cvt_f32_f64_e32 v95, v[95:96]
	v_cvt_f32_f64_e32 v42, v[42:43]
	v_min3_f32 v157, v93, v95, v171
	v_add_f64 v[95:96], v[8:9], v[44:45]
	v_add_f64 v[44:45], v[4:5], v[44:45]
	v_cvt_f32_f64_e32 v93, v[99:100]
	v_add_f64 v[99:100], v[26:27], v[38:39]
	v_add_f64 v[26:27], v[26:27], v[22:23]
	v_cvt_f32_f64_e32 v95, v[95:96]
	v_cvt_f32_f64_e32 v43, v[44:45]
	;; [unrolled: 1-line block ×3, first 2 shown]
	v_min3_f32 v158, v93, v95, v170
	v_min3_f32 v42, v42, v43, v169
	v_add_f64 v[43:44], v[36:37], v[40:41]
	v_add_f64 v[95:96], v[34:35], v[38:39]
	;; [unrolled: 1-line block ×4, first 2 shown]
	v_cvt_f32_f64_e32 v43, v[43:44]
	v_cvt_f32_f64_e32 v45, v[95:96]
	v_add_f64 v[95:96], v[30:31], v[38:39]
	v_add_f64 v[30:31], v[30:31], v[22:23]
	v_cvt_f32_f64_e32 v34, v[34:35]
	v_cvt_f32_f64_e32 v35, v[36:37]
	v_min3_f32 v43, v45, v43, v168
	v_add_f64 v[44:45], v[32:33], v[40:41]
	v_cvt_f32_f64_e32 v93, v[95:96]
	v_add_f64 v[95:96], v[28:29], v[40:41]
	v_add_f64 v[32:33], v[32:33], v[24:25]
	;; [unrolled: 1-line block ×3, first 2 shown]
	v_cvt_f32_f64_e32 v30, v[30:31]
	v_min3_f32 v196, v34, v35, v98
	v_cvt_f32_f64_e32 v44, v[44:45]
	v_cvt_f32_f64_e32 v45, v[99:100]
	v_add_f64 v[99:100], v[18:19], v[38:39]
	v_add_f64 v[18:19], v[18:19], v[22:23]
	v_cvt_f32_f64_e32 v31, v[32:33]
	v_cvt_f32_f64_e32 v27, v[28:29]
	v_min3_f32 v44, v93, v44, v106
	v_cvt_f32_f64_e32 v93, v[95:96]
	v_add_f64 v[95:96], v[20:21], v[40:41]
	v_add_f64 v[20:21], v[20:21], v[24:25]
	v_cvt_f32_f64_e32 v18, v[18:19]
	v_min3_f32 v197, v30, v31, v94
	v_min3_f32 v198, v26, v27, v90
	;; [unrolled: 1-line block ×3, first 2 shown]
	v_cvt_f32_f64_e32 v93, v[99:100]
	v_cvt_f32_f64_e32 v95, v[95:96]
	v_add_f64 v[99:100], v[14:15], v[38:39]
	v_add_f64 v[14:15], v[14:15], v[22:23]
	v_cvt_f32_f64_e32 v19, v[20:21]
	v_min3_f32 v159, v93, v95, v108
	v_add_f64 v[95:96], v[16:17], v[40:41]
	v_cvt_f32_f64_e32 v93, v[99:100]
	v_add_f64 v[99:100], v[10:11], v[38:39]
	v_add_f64 v[16:17], v[16:17], v[24:25]
	;; [unrolled: 1-line block ×3, first 2 shown]
	v_cvt_f32_f64_e32 v14, v[14:15]
	v_min3_f32 v199, v18, v19, v86
	v_cvt_f32_f64_e32 v95, v[95:96]
	v_cvt_f32_f64_e32 v15, v[16:17]
	v_cvt_f32_f64_e32 v10, v[10:11]
	v_min3_f32 v160, v93, v95, v109
	v_add_f64 v[95:96], v[12:13], v[40:41]
	v_cvt_f32_f64_e32 v93, v[99:100]
	v_add_f64 v[99:100], v[6:7], v[38:39]
	v_add_f64 v[38:39], v[2:3], v[38:39]
	;; [unrolled: 1-line block ×5, first 2 shown]
	v_min3_f32 v200, v14, v15, v82
	v_cvt_f32_f64_e32 v95, v[95:96]
	v_cvt_f32_f64_e32 v38, v[38:39]
	;; [unrolled: 1-line block ×5, first 2 shown]
	v_min3_f32 v161, v93, v95, v110
	v_add_f64 v[95:96], v[8:9], v[40:41]
	v_add_f64 v[40:41], v[4:5], v[40:41]
	v_add_f64 v[8:9], v[8:9], v[24:25]
	v_add_f64 v[4:5], v[4:5], v[24:25]
	v_cvt_f32_f64_e32 v93, v[99:100]
	v_min3_f32 v201, v10, v11, v78
	v_cvt_f32_f64_e32 v95, v[95:96]
	v_cvt_f32_f64_e32 v39, v[40:41]
	;; [unrolled: 1-line block ×4, first 2 shown]
	v_min3_f32 v174, v93, v95, v111
	v_min3_f32 v181, v38, v39, v102
	;; [unrolled: 1-line block ×4, first 2 shown]
	ds_read_b128 v[6:9], v176 offset:256
	ds_read_b128 v[10:13], v176 offset:512
	;; [unrolled: 1-line block ×14, first 2 shown]
	ds_read_b128 v[97:100], v149
	ds_read_b128 v[34:37], v149 offset:16
	ds_read_b128 v[192:195], v176
	ds_read_b128 v[2:5], v176 offset:16
	s_waitcnt lgkmcnt(1)
	v_add_f64 v[101:102], v[194:195], v[99:100]
	v_add_f64 v[103:104], v[192:193], v[97:98]
	v_cvt_f32_f64_e32 v73, v[101:102]
	v_cvt_f32_f64_e32 v71, v[103:104]
	v_add_f64 v[101:102], v[8:9], v[99:100]
	v_add_f64 v[103:104], v[6:7], v[97:98]
	v_min3_f32 v129, v71, v73, v66
	v_cvt_f32_f64_e32 v71, v[101:102]
	v_cvt_f32_f64_e32 v66, v[103:104]
	v_add_f64 v[101:102], v[10:11], v[97:98]
	v_min3_f32 v128, v66, v71, v67
	v_add_f64 v[66:67], v[12:13], v[99:100]
	v_cvt_f32_f64_e32 v71, v[101:102]
	v_add_f64 v[101:102], v[14:15], v[97:98]
	v_cvt_f32_f64_e32 v66, v[66:67]
	v_min3_f32 v127, v71, v66, v68
	v_add_f64 v[66:67], v[16:17], v[99:100]
	v_cvt_f32_f64_e32 v68, v[101:102]
	v_cvt_f32_f64_e32 v66, v[66:67]
	v_min3_f32 v126, v68, v66, v69
	v_add_f64 v[66:67], v[20:21], v[99:100]
	v_add_f64 v[68:69], v[18:19], v[97:98]
	v_cvt_f32_f64_e32 v66, v[66:67]
	v_cvt_f32_f64_e32 v68, v[68:69]
	v_min3_f32 v125, v68, v66, v70
	v_add_f64 v[66:67], v[24:25], v[99:100]
	;; [unrolled: 5-line block ×11, first 2 shown]
	v_add_f64 v[64:65], v[26:27], v[38:39]
	v_add_f64 v[40:41], v[32:33], v[40:41]
	;; [unrolled: 1-line block ×3, first 2 shown]
	v_cvt_f32_f64_e32 v62, v[62:63]
	v_cvt_f32_f64_e32 v64, v[64:65]
	v_cvt_f32_f64_e32 v38, v[38:39]
	v_cvt_f32_f64_e32 v39, v[40:41]
	v_add_f64 v[40:41], v[192:193], v[93:94]
	v_min3_f32 v115, v64, v62, v79
	v_min3_f32 v114, v38, v39, v58
	v_add_f64 v[38:39], v[194:195], v[95:96]
	v_cvt_f32_f64_e32 v40, v[40:41]
	v_cvt_f32_f64_e32 v38, v[38:39]
	v_min3_f32 v113, v40, v38, v59
	v_add_f64 v[38:39], v[8:9], v[95:96]
	v_add_f64 v[40:41], v[6:7], v[93:94]
	v_cvt_f32_f64_e32 v38, v[38:39]
	v_cvt_f32_f64_e32 v40, v[40:41]
	v_min3_f32 v112, v40, v38, v60
	v_add_f64 v[38:39], v[12:13], v[95:96]
	;; [unrolled: 5-line block ×23, first 2 shown]
	v_add_f64 v[40:41], v[30:31], v[166:167]
	s_waitcnt lgkmcnt(0)
	v_add_f64 v[153:154], v[4:5], v[36:37]
	v_cvt_f32_f64_e32 v38, v[38:39]
	v_cvt_f32_f64_e32 v40, v[40:41]
	v_cvt_f32_f64_e32 v153, v[153:154]
	v_min3_f32 v90, v40, v38, v46
	v_add_f64 v[38:39], v[194:195], v[172:173]
	v_add_f64 v[40:41], v[192:193], v[170:171]
	v_cvt_f32_f64_e32 v38, v[38:39]
	v_cvt_f32_f64_e32 v40, v[40:41]
	v_min3_f32 v89, v40, v38, v47
	v_add_f64 v[38:39], v[8:9], v[172:173]
	v_add_f64 v[40:41], v[6:7], v[170:171]
	v_cvt_f32_f64_e32 v38, v[38:39]
	v_cvt_f32_f64_e32 v40, v[40:41]
	;; [unrolled: 5-line block ×5, first 2 shown]
	v_min3_f32 v85, v40, v38, v156
	v_add_f64 v[38:39], v[24:25], v[172:173]
	v_add_f64 v[40:41], v[22:23], v[170:171]
	v_add_f64 v[155:156], v[2:3], v[34:35]
	v_cvt_f32_f64_e32 v38, v[38:39]
	v_cvt_f32_f64_e32 v40, v[40:41]
	;; [unrolled: 1-line block ×3, first 2 shown]
	v_min3_f32 v84, v40, v38, v157
	v_add_f64 v[38:39], v[28:29], v[172:173]
	v_add_f64 v[40:41], v[26:27], v[170:171]
	v_min3_f32 v224, v155, v153, v129
	v_cvt_f32_f64_e32 v38, v[38:39]
	v_cvt_f32_f64_e32 v40, v[40:41]
	v_min3_f32 v83, v40, v38, v158
	v_add_f64 v[38:39], v[32:33], v[172:173]
	v_add_f64 v[40:41], v[30:31], v[170:171]
	v_cvt_f32_f64_e32 v38, v[38:39]
	v_cvt_f32_f64_e32 v40, v[40:41]
	v_min3_f32 v82, v40, v38, v42
	v_add_f64 v[38:39], v[194:195], v[186:187]
	v_add_f64 v[40:41], v[192:193], v[184:185]
	;; [unrolled: 5-line block ×3, first 2 shown]
	v_add_f64 v[8:9], v[8:9], v[190:191]
	v_add_f64 v[6:7], v[6:7], v[188:189]
	v_cvt_f32_f64_e32 v38, v[38:39]
	v_cvt_f32_f64_e32 v40, v[40:41]
	;; [unrolled: 1-line block ×4, first 2 shown]
	v_add_f64 v[8:9], v[10:11], v[188:189]
	v_min3_f32 v80, v40, v38, v44
	v_add_f64 v[38:39], v[12:13], v[186:187]
	v_add_f64 v[40:41], v[10:11], v[184:185]
	v_min3_f32 v72, v6, v7, v197
	v_add_f64 v[6:7], v[12:13], v[190:191]
	v_cvt_f32_f64_e32 v8, v[8:9]
	v_cvt_f32_f64_e32 v38, v[38:39]
	v_cvt_f32_f64_e32 v40, v[40:41]
	v_cvt_f32_f64_e32 v6, v[6:7]
	v_min3_f32 v79, v40, v38, v45
	v_add_f64 v[38:39], v[16:17], v[186:187]
	v_add_f64 v[40:41], v[14:15], v[184:185]
	v_min3_f32 v71, v8, v6, v198
	v_add_f64 v[6:7], v[16:17], v[190:191]
	v_add_f64 v[8:9], v[14:15], v[188:189]
	v_cvt_f32_f64_e32 v38, v[38:39]
	v_cvt_f32_f64_e32 v40, v[40:41]
	v_cvt_f32_f64_e32 v6, v[6:7]
	v_cvt_f32_f64_e32 v8, v[8:9]
	v_min3_f32 v78, v40, v38, v159
	v_add_f64 v[38:39], v[20:21], v[186:187]
	v_add_f64 v[40:41], v[18:19], v[184:185]
	v_min3_f32 v70, v8, v6, v199
	v_add_f64 v[6:7], v[20:21], v[190:191]
	;; [unrolled: 10-line block ×5, first 2 shown]
	v_add_f64 v[8:9], v[30:31], v[188:189]
	v_cvt_f32_f64_e32 v38, v[38:39]
	v_cvt_f32_f64_e32 v40, v[40:41]
	;; [unrolled: 1-line block ×4, first 2 shown]
	v_min3_f32 v74, v40, v38, v181
	v_add_f64 v[38:39], v[194:195], v[190:191]
	v_add_f64 v[40:41], v[192:193], v[188:189]
	v_min3_f32 v66, v8, v6, v203
	v_cvt_f32_f64_e32 v38, v[38:39]
	v_cvt_f32_f64_e32 v40, v[40:41]
	v_min3_f32 v73, v40, v38, v196
	ds_read_b128 v[22:25], v176 offset:272
	ds_read_b128 v[18:21], v176 offset:528
	;; [unrolled: 1-line block ×14, first 2 shown]
	s_waitcnt vmcnt(0)
	ds_write_b64 v177, v[142:143]
	ds_write2st64_b64 v178, v[138:139], v[140:141] offset1:4
	ds_write2st64_b64 v178, v[144:145], v[146:147] offset0:8 offset1:12
	s_waitcnt lgkmcnt(0)
	s_barrier
	buffer_gl0_inv
	v_add_f64 v[153:154], v[24:25], v[36:37]
	v_add_f64 v[155:156], v[22:23], v[34:35]
	v_cvt_f32_f64_e32 v153, v[153:154]
	v_cvt_f32_f64_e32 v129, v[155:156]
	v_min3_f32 v223, v129, v153, v128
	v_add_f64 v[128:129], v[20:21], v[36:37]
	v_add_f64 v[153:154], v[18:19], v[34:35]
	v_cvt_f32_f64_e32 v128, v[128:129]
	v_cvt_f32_f64_e32 v153, v[153:154]
	v_min3_f32 v222, v153, v128, v127
	;; [unrolled: 5-line block ×5, first 2 shown]
	v_add_f64 v[124:125], v[32:33], v[36:37]
	v_add_f64 v[126:127], v[30:31], v[34:35]
	;; [unrolled: 1-line block ×4, first 2 shown]
	v_cvt_f32_f64_e32 v124, v[124:125]
	v_cvt_f32_f64_e32 v126, v[126:127]
	;; [unrolled: 1-line block ×4, first 2 shown]
	v_add_f64 v[36:37], v[2:3], v[62:63]
	v_min3_f32 v218, v126, v124, v123
	v_min3_f32 v217, v34, v35, v122
	v_add_f64 v[34:35], v[4:5], v[64:65]
	v_cvt_f32_f64_e32 v36, v[36:37]
	v_cvt_f32_f64_e32 v34, v[34:35]
	v_min3_f32 v216, v36, v34, v121
	v_add_f64 v[34:35], v[24:25], v[64:65]
	v_add_f64 v[36:37], v[22:23], v[62:63]
	v_cvt_f32_f64_e32 v34, v[34:35]
	v_cvt_f32_f64_e32 v36, v[36:37]
	v_min3_f32 v215, v36, v34, v120
	v_add_f64 v[34:35], v[20:21], v[64:65]
	;; [unrolled: 5-line block ×40, first 2 shown]
	v_add_f64 v[36:37], v[2:3], v[42:43]
	v_add_f64 v[4:5], v[4:5], v[40:41]
	;; [unrolled: 1-line block ×3, first 2 shown]
	v_cvt_f32_f64_e32 v34, v[34:35]
	v_cvt_f32_f64_e32 v36, v[36:37]
	;; [unrolled: 1-line block ×4, first 2 shown]
	v_add_f64 v[4:5], v[22:23], v[38:39]
	v_min3_f32 v168, v36, v34, v81
	v_add_f64 v[34:35], v[24:25], v[44:45]
	v_add_f64 v[36:37], v[22:23], v[42:43]
	v_min3_f32 v160, v2, v3, v73
	v_add_f64 v[2:3], v[24:25], v[40:41]
	v_cvt_f32_f64_e32 v4, v[4:5]
	v_cvt_f32_f64_e32 v34, v[34:35]
	v_cvt_f32_f64_e32 v36, v[36:37]
	v_cvt_f32_f64_e32 v2, v[2:3]
	v_min3_f32 v167, v36, v34, v80
	v_add_f64 v[34:35], v[20:21], v[44:45]
	v_add_f64 v[36:37], v[18:19], v[42:43]
	v_min3_f32 v159, v4, v2, v72
	v_add_f64 v[2:3], v[20:21], v[40:41]
	v_add_f64 v[4:5], v[18:19], v[38:39]
	v_cvt_f32_f64_e32 v34, v[34:35]
	v_cvt_f32_f64_e32 v36, v[36:37]
	v_cvt_f32_f64_e32 v2, v[2:3]
	v_cvt_f32_f64_e32 v4, v[4:5]
	v_min3_f32 v166, v36, v34, v79
	v_add_f64 v[34:35], v[16:17], v[44:45]
	v_add_f64 v[36:37], v[14:15], v[42:43]
	v_min3_f32 v158, v4, v2, v71
	v_add_f64 v[2:3], v[16:17], v[40:41]
	;; [unrolled: 10-line block ×6, first 2 shown]
	v_add_f64 v[4:5], v[26:27], v[38:39]
	v_cvt_f32_f64_e32 v34, v[34:35]
	v_cvt_f32_f64_e32 v36, v[36:37]
	;; [unrolled: 1-line block ×4, first 2 shown]
	v_min3_f32 v161, v36, v34, v74
	v_min3_f32 v153, v4, v2, v66
	s_cbranch_scc1 .LBB178_51
.LBB178_31:                             ; =>This Inner Loop Header: Depth=1
	v_add_nc_u32_e32 v226, s16, v148
	v_mov_b32_e32 v139, v137
	v_mov_b32_e32 v138, v136
	v_add_nc_u32_e32 v2, 8, v226
	v_cmp_gt_i32_e64 s3, s14, v2
	s_and_b32 s6, s3, s28
	s_and_saveexec_b32 s3, s6
	s_cbranch_execz .LBB178_33
; %bb.32:                               ;   in Loop: Header=BB178_31 Depth=1
	global_load_dwordx2 v[138:139], v[132:133], off
.LBB178_33:                             ;   in Loop: Header=BB178_31 Depth=1
	s_or_b32 exec_lo, exec_lo, s3
	v_add_nc_u32_e32 v225, s16, v150
	v_mov_b32_e32 v141, v137
	v_mov_b32_e32 v140, v136
	v_add_nc_u32_e32 v2, 8, v225
	v_cmp_le_i32_e64 s3, s14, v2
	s_nor_b32 s6, vcc_lo, s3
	s_and_saveexec_b32 s17, s6
	s_cbranch_execz .LBB178_35
; %bb.34:                               ;   in Loop: Header=BB178_31 Depth=1
	v_add_co_u32 v2, s6, v182, v130
	v_add_co_ci_u32_e64 v3, null, v183, v131, s6
	global_load_dwordx2 v[140:141], v[2:3], off
.LBB178_35:                             ;   in Loop: Header=BB178_31 Depth=1
	s_or_b32 exec_lo, exec_lo, s17
	v_mov_b32_e32 v143, v137
	v_mov_b32_e32 v142, v136
	s_nor_b32 s6, s0, s3
	s_and_saveexec_b32 s17, s6
	s_cbranch_execz .LBB178_37
; %bb.36:                               ;   in Loop: Header=BB178_31 Depth=1
	v_add_co_u32 v2, s6, v182, v130
	v_add_co_ci_u32_e64 v3, null, v183, v131, s6
	global_load_dwordx2 v[142:143], v[2:3], off offset:512
.LBB178_37:                             ;   in Loop: Header=BB178_31 Depth=1
	s_or_b32 exec_lo, exec_lo, s17
	v_mov_b32_e32 v145, v137
	v_mov_b32_e32 v144, v136
	s_nor_b32 s6, s1, s3
	s_and_saveexec_b32 s17, s6
	s_cbranch_execz .LBB178_39
; %bb.38:                               ;   in Loop: Header=BB178_31 Depth=1
	v_add_co_u32 v2, s6, v182, v130
	v_add_co_ci_u32_e64 v3, null, v183, v131, s6
	global_load_dwordx2 v[144:145], v[2:3], off offset:1024
.LBB178_39:                             ;   in Loop: Header=BB178_31 Depth=1
	;; [unrolled: 11-line block ×3, first 2 shown]
	s_or_b32 exec_lo, exec_lo, s6
	ds_read_b128 v[126:129], v180
	ds_read_b128 v[62:65], v180 offset:16
	ds_read_b128 v[98:101], v179
	ds_read_b128 v[34:37], v179 offset:16
	ds_read_b128 v[94:97], v179 offset:256
	ds_read_b128 v[30:33], v179 offset:272
	ds_read_b128 v[90:93], v179 offset:512
	ds_read_b128 v[26:29], v179 offset:528
	ds_read_b128 v[86:89], v179 offset:768
	ds_read_b128 v[18:21], v179 offset:784
	ds_read_b128 v[82:85], v179 offset:1024
	ds_read_b128 v[14:17], v179 offset:1040
	ds_read_b128 v[78:81], v179 offset:1280
	ds_read_b128 v[10:13], v179 offset:1296
	ds_read_b128 v[70:73], v179 offset:1536
	ds_read_b128 v[6:9], v179 offset:1552
	ds_read_b128 v[66:69], v179 offset:1792
	ds_read_b128 v[2:5], v179 offset:1808
	ds_read_b128 v[122:125], v180 offset:1024
	ds_read_b128 v[58:61], v180 offset:1040
	ds_read_b128 v[118:121], v180 offset:2048
	ds_read_b128 v[54:57], v180 offset:2064
	ds_read_b128 v[114:117], v180 offset:3072
	ds_read_b128 v[50:53], v180 offset:3088
	ds_read_b128 v[110:113], v180 offset:4096
	ds_read_b128 v[46:49], v180 offset:4112
	ds_read_b128 v[106:109], v180 offset:5120
	ds_read_b128 v[42:45], v180 offset:5136
	ds_read_b128 v[102:105], v180 offset:6144
	ds_read_b128 v[38:41], v180 offset:6160
	ds_read_b128 v[74:77], v180 offset:7168
	ds_read_b128 v[22:25], v180 offset:7184
	v_add_nc_u32_e32 v226, 12, v226
	s_waitcnt vmcnt(0)
	ds_write_b64 v175, v[138:139]
	ds_write2st64_b64 v152, v[140:141], v[142:143] offset1:4
	v_mov_b32_e32 v143, v137
	v_mov_b32_e32 v142, v136
	ds_write2st64_b64 v152, v[144:145], v[146:147] offset0:8 offset1:12
	v_cmp_gt_i32_e64 s3, s14, v226
	s_waitcnt lgkmcnt(0)
	s_barrier
	buffer_gl0_inv
	s_and_b32 s6, s3, s28
	s_and_saveexec_b32 s3, s6
	s_cbranch_execz .LBB178_43
; %bb.42:                               ;   in Loop: Header=BB178_31 Depth=1
	global_load_dwordx2 v[142:143], v[132:133], off offset:32
.LBB178_43:                             ;   in Loop: Header=BB178_31 Depth=1
	s_or_b32 exec_lo, exec_lo, s3
	v_add_nc_u32_e32 v138, 12, v225
	v_cmp_le_i32_e64 s3, s14, v138
	v_mov_b32_e32 v139, v137
	v_mov_b32_e32 v138, v136
	s_nor_b32 s6, vcc_lo, s3
	s_and_saveexec_b32 s17, s6
	s_cbranch_execz .LBB178_45
; %bb.44:                               ;   in Loop: Header=BB178_31 Depth=1
	v_add_co_u32 v138, s6, v182, v134
	v_add_co_ci_u32_e64 v139, null, v183, v135, s6
	global_load_dwordx2 v[138:139], v[138:139], off
.LBB178_45:                             ;   in Loop: Header=BB178_31 Depth=1
	s_or_b32 exec_lo, exec_lo, s17
	v_mov_b32_e32 v141, v137
	v_mov_b32_e32 v140, v136
	s_nor_b32 s6, s0, s3
	s_and_saveexec_b32 s17, s6
	s_cbranch_execz .LBB178_47
; %bb.46:                               ;   in Loop: Header=BB178_31 Depth=1
	v_add_co_u32 v140, s6, v182, v134
	v_add_co_ci_u32_e64 v141, null, v183, v135, s6
	global_load_dwordx2 v[140:141], v[140:141], off offset:512
.LBB178_47:                             ;   in Loop: Header=BB178_31 Depth=1
	s_or_b32 exec_lo, exec_lo, s17
	v_mov_b32_e32 v145, v137
	v_mov_b32_e32 v144, v136
	s_nor_b32 s6, s1, s3
	s_and_saveexec_b32 s17, s6
	s_cbranch_execz .LBB178_49
; %bb.48:                               ;   in Loop: Header=BB178_31 Depth=1
	v_add_co_u32 v144, s6, v182, v134
	v_add_co_ci_u32_e64 v145, null, v183, v135, s6
	global_load_dwordx2 v[144:145], v[144:145], off offset:1024
.LBB178_49:                             ;   in Loop: Header=BB178_31 Depth=1
	s_or_b32 exec_lo, exec_lo, s17
	v_mov_b32_e32 v147, v137
	v_mov_b32_e32 v146, v136
	s_nor_b32 s3, s2, s3
	s_and_saveexec_b32 s6, s3
	s_cbranch_execz .LBB178_30
; %bb.50:                               ;   in Loop: Header=BB178_31 Depth=1
	v_add_co_u32 v146, s3, v182, v134
	v_add_co_ci_u32_e64 v147, null, v183, v135, s3
	global_load_dwordx2 v[146:147], v[146:147], off offset:1536
	s_branch .LBB178_30
.LBB178_51:
	s_clause 0x2
	s_load_dwordx2 s[0:1], s[4:5], 0x78
	s_load_dword s14, s[4:5], 0x58
	s_load_dword s9, s[4:5], 0x70
	ds_read_b128 v[70:73], v151 offset:18432
	ds_read_b128 v[66:69], v151 offset:18448
	ds_read_b128 v[126:129], v149 offset:8192
	ds_read_b128 v[122:125], v149 offset:8208
	ds_read_b128 v[62:65], v151 offset:18688
	ds_read_b128 v[58:61], v151 offset:18704
	ds_read_b128 v[54:57], v151 offset:18944
	ds_read_b128 v[50:53], v151 offset:18960
	ds_read_b128 v[46:49], v151 offset:19200
	ds_read_b128 v[42:45], v151 offset:19216
	ds_read_b128 v[38:41], v151 offset:19456
	ds_read_b128 v[34:37], v151 offset:19472
	ds_read_b128 v[30:33], v151 offset:19712
	ds_read_b128 v[26:29], v151 offset:19728
	ds_read_b128 v[22:25], v151 offset:19968
	ds_read_b128 v[18:21], v151 offset:19984
	v_add_nc_u32_e32 v145, s27, v1
	ds_read_b128 v[6:9], v151 offset:20224
	ds_read_b128 v[2:5], v151 offset:20240
	ds_read_b128 v[118:121], v149 offset:9216
	ds_read_b128 v[114:117], v149 offset:9232
	ds_read_b128 v[110:113], v149 offset:10240
	ds_read_b128 v[106:109], v149 offset:10256
	ds_read_b128 v[102:105], v149 offset:11264
	ds_read_b128 v[98:101], v149 offset:11280
	ds_read_b128 v[94:97], v149 offset:12288
	ds_read_b128 v[90:93], v149 offset:12304
	ds_read_b128 v[86:89], v149 offset:13312
	ds_read_b128 v[82:85], v149 offset:13328
	ds_read_b128 v[78:81], v149 offset:14336
	ds_read_b128 v[74:77], v149 offset:14352
	ds_read_b128 v[14:17], v149 offset:15360
	ds_read_b128 v[10:13], v149 offset:15376
	v_add_nc_u32_e32 v0, s15, v0
	v_cmp_gt_i32_e64 s8, s13, v145
	v_cndmask_b32_e64 v144, 0, 1, s26
	v_ashrrev_i32_e32 v1, 31, v0
	s_waitcnt lgkmcnt(0)
	s_mul_i32 s1, s1, s7
	v_mad_i64_i32 v[130:131], null, v145, s14, 0
	v_mad_i64_i32 v[132:133], null, v145, s9, 0
	s_mul_hi_u32 s2, s0, s7
	s_mul_i32 s0, s0, s7
	s_add_i32 s1, s2, s1
	s_lshl_b64 s[0:1], s[0:1], 3
	v_lshlrev_b64 v[130:131], 3, v[130:131]
	v_lshlrev_b64 v[132:133], 3, v[132:133]
	s_add_u32 s16, s18, s0
	s_addc_u32 s15, s19, s1
	v_cmp_gt_i32_e64 s0, s12, v0
	v_add_co_u32 v148, vcc_lo, s20, v130
	v_add_co_ci_u32_e64 v149, null, s21, v131, vcc_lo
	v_add_co_u32 v146, vcc_lo, s16, v132
	v_add_co_ci_u32_e64 v147, null, s15, v133, vcc_lo
	s_and_b32 s2, s0, s8
	s_and_saveexec_b32 s1, s2
	s_cbranch_execz .LBB178_56
; %bb.52:
	s_andn2_b32 vcc_lo, exec_lo, s26
	s_cbranch_vccnz .LBB178_54
; %bb.53:
	v_lshlrev_b64 v[130:131], 3, v[0:1]
	v_add_co_u32 v130, vcc_lo, v148, v130
	v_add_co_ci_u32_e64 v131, null, v149, v131, vcc_lo
	global_load_dwordx2 v[130:131], v[130:131], off
	s_waitcnt vmcnt(0)
	v_mul_f64 v[130:131], s[10:11], v[130:131]
	v_cvt_f32_f64_e32 v130, v[130:131]
	s_branch .LBB178_55
.LBB178_54:
	v_mov_b32_e32 v130, 0
.LBB178_55:
	v_add_f64 v[131:132], v[70:71], v[126:127]
	v_add_f64 v[133:134], v[72:73], v[128:129]
	;; [unrolled: 1-line block ×4, first 2 shown]
	v_cvt_f32_f64_e32 v131, v[131:132]
	v_cvt_f32_f64_e32 v132, v[133:134]
	;; [unrolled: 1-line block ×4, first 2 shown]
	v_min3_f32 v131, v131, v132, v224
	v_min_f32_e32 v132, v133, v134
	v_min3_f32 v130, v130, v132, v131
	v_lshlrev_b64 v[132:133], 3, v[0:1]
	v_cvt_f64_f32_e32 v[130:131], v130
	v_add_co_u32 v132, vcc_lo, v146, v132
	v_add_co_ci_u32_e64 v133, null, v147, v133, vcc_lo
	global_store_dwordx2 v[132:133], v[130:131], off
.LBB178_56:
	s_or_b32 exec_lo, exec_lo, s1
	v_add_nc_u32_e32 v130, 8, v0
	v_cmp_gt_i32_e64 s1, s12, v130
	v_ashrrev_i32_e32 v131, 31, v130
	s_and_b32 s3, s1, s8
	s_and_saveexec_b32 s2, s3
	s_cbranch_execz .LBB178_61
; %bb.57:
	v_cmp_ne_u32_e32 vcc_lo, 1, v144
	s_cbranch_vccnz .LBB178_59
; %bb.58:
	v_lshlrev_b64 v[132:133], 3, v[130:131]
	v_add_co_u32 v132, vcc_lo, v148, v132
	v_add_co_ci_u32_e64 v133, null, v149, v133, vcc_lo
	global_load_dwordx2 v[132:133], v[132:133], off
	s_waitcnt vmcnt(0)
	v_mul_f64 v[132:133], s[10:11], v[132:133]
	v_cvt_f32_f64_e32 v132, v[132:133]
	s_branch .LBB178_60
.LBB178_59:
	v_mov_b32_e32 v132, 0
.LBB178_60:
	v_add_f64 v[133:134], v[62:63], v[126:127]
	v_add_f64 v[135:136], v[64:65], v[128:129]
	v_add_f64 v[137:138], v[58:59], v[122:123]
	v_add_f64 v[139:140], v[60:61], v[124:125]
	v_cvt_f32_f64_e32 v133, v[133:134]
	v_cvt_f32_f64_e32 v134, v[135:136]
	v_cvt_f32_f64_e32 v135, v[137:138]
	v_cvt_f32_f64_e32 v136, v[139:140]
	v_min3_f32 v133, v133, v134, v223
	v_min_f32_e32 v134, v135, v136
	v_min3_f32 v132, v132, v134, v133
	v_lshlrev_b64 v[134:135], 3, v[130:131]
	v_cvt_f64_f32_e32 v[132:133], v132
	v_add_co_u32 v134, vcc_lo, v146, v134
	v_add_co_ci_u32_e64 v135, null, v147, v135, vcc_lo
	global_store_dwordx2 v[134:135], v[132:133], off
.LBB178_61:
	s_or_b32 exec_lo, exec_lo, s2
	v_add_nc_u32_e32 v132, 16, v0
	v_cmp_gt_i32_e64 s2, s12, v132
	v_ashrrev_i32_e32 v133, 31, v132
	s_and_b32 s4, s2, s8
	s_and_saveexec_b32 s3, s4
	s_cbranch_execz .LBB178_66
; %bb.62:
	v_cmp_ne_u32_e32 vcc_lo, 1, v144
	s_cbranch_vccnz .LBB178_64
; %bb.63:
	v_lshlrev_b64 v[134:135], 3, v[132:133]
	v_add_co_u32 v134, vcc_lo, v148, v134
	v_add_co_ci_u32_e64 v135, null, v149, v135, vcc_lo
	global_load_dwordx2 v[134:135], v[134:135], off
	s_waitcnt vmcnt(0)
	v_mul_f64 v[134:135], s[10:11], v[134:135]
	v_cvt_f32_f64_e32 v134, v[134:135]
	s_branch .LBB178_65
.LBB178_64:
	v_mov_b32_e32 v134, 0
.LBB178_65:
	v_add_f64 v[135:136], v[54:55], v[126:127]
	v_add_f64 v[137:138], v[56:57], v[128:129]
	v_add_f64 v[139:140], v[50:51], v[122:123]
	v_add_f64 v[141:142], v[52:53], v[124:125]
	v_cvt_f32_f64_e32 v135, v[135:136]
	v_cvt_f32_f64_e32 v136, v[137:138]
	v_cvt_f32_f64_e32 v137, v[139:140]
	v_cvt_f32_f64_e32 v138, v[141:142]
	v_min3_f32 v135, v135, v136, v222
	v_min_f32_e32 v136, v137, v138
	v_min3_f32 v134, v134, v136, v135
	v_lshlrev_b64 v[136:137], 3, v[132:133]
	v_cvt_f64_f32_e32 v[134:135], v134
	v_add_co_u32 v136, vcc_lo, v146, v136
	v_add_co_ci_u32_e64 v137, null, v147, v137, vcc_lo
	global_store_dwordx2 v[136:137], v[134:135], off
.LBB178_66:
	;; [unrolled: 39-line block ×7, first 2 shown]
	s_or_b32 exec_lo, exec_lo, s8
	v_add_nc_u32_e32 v126, 32, v145
	v_mad_i64_i32 v[122:123], null, v126, s14, 0
	v_mad_i64_i32 v[124:125], null, v126, s9, 0
	v_cmp_gt_i32_e64 s8, s13, v126
	v_lshlrev_b64 v[122:123], 3, v[122:123]
	s_and_b32 s17, s0, s8
	v_lshlrev_b64 v[126:127], 3, v[124:125]
	v_add_co_u32 v124, vcc_lo, s20, v122
	v_add_co_ci_u32_e64 v125, null, s21, v123, vcc_lo
	v_add_co_u32 v122, vcc_lo, s16, v126
	v_add_co_ci_u32_e64 v123, null, s15, v127, vcc_lo
	s_and_saveexec_b32 s12, s17
	s_cbranch_execnz .LBB178_99
; %bb.92:
	s_or_b32 exec_lo, exec_lo, s12
	s_and_b32 s17, s1, s8
	s_and_saveexec_b32 s12, s17
	s_cbranch_execnz .LBB178_103
.LBB178_93:
	s_or_b32 exec_lo, exec_lo, s12
	s_and_b32 s17, s2, s8
	s_and_saveexec_b32 s12, s17
	s_cbranch_execnz .LBB178_107
.LBB178_94:
	s_or_b32 exec_lo, exec_lo, s12
	s_and_b32 s17, s3, s8
	s_and_saveexec_b32 s12, s17
	s_cbranch_execnz .LBB178_111
.LBB178_95:
	s_or_b32 exec_lo, exec_lo, s12
	s_and_b32 s17, s4, s8
	s_and_saveexec_b32 s12, s17
	s_cbranch_execnz .LBB178_115
.LBB178_96:
	s_or_b32 exec_lo, exec_lo, s12
	s_and_b32 s17, s5, s8
	s_and_saveexec_b32 s12, s17
	s_cbranch_execnz .LBB178_119
.LBB178_97:
	s_or_b32 exec_lo, exec_lo, s12
	s_and_b32 s17, s6, s8
	s_and_saveexec_b32 s12, s17
	s_cbranch_execnz .LBB178_123
.LBB178_98:
	s_or_b32 exec_lo, exec_lo, s12
	s_and_b32 s12, s7, s8
	s_and_saveexec_b32 s8, s12
	s_cbranch_execnz .LBB178_127
	s_branch .LBB178_131
.LBB178_99:
	v_cmp_ne_u32_e32 vcc_lo, 1, v144
	s_cbranch_vccnz .LBB178_101
; %bb.100:
	v_lshlrev_b64 v[126:127], 3, v[0:1]
	v_add_co_u32 v126, vcc_lo, v124, v126
	v_add_co_ci_u32_e64 v127, null, v125, v127, vcc_lo
	global_load_dwordx2 v[126:127], v[126:127], off
	s_waitcnt vmcnt(0)
	v_mul_f64 v[126:127], s[10:11], v[126:127]
	v_cvt_f32_f64_e32 v126, v[126:127]
	s_branch .LBB178_102
.LBB178_101:
	v_mov_b32_e32 v126, 0
.LBB178_102:
	v_add_f64 v[127:128], v[70:71], v[118:119]
	v_add_f64 v[146:147], v[72:73], v[120:121]
	;; [unrolled: 1-line block ×4, first 2 shown]
	v_cvt_f32_f64_e32 v127, v[127:128]
	v_cvt_f32_f64_e32 v128, v[146:147]
	;; [unrolled: 1-line block ×4, first 2 shown]
	v_min3_f32 v127, v127, v128, v216
	v_min_f32_e32 v128, v129, v146
	v_min3_f32 v126, v126, v128, v127
	v_lshlrev_b64 v[128:129], 3, v[0:1]
	v_cvt_f64_f32_e32 v[126:127], v126
	v_add_co_u32 v128, vcc_lo, v122, v128
	v_add_co_ci_u32_e64 v129, null, v123, v129, vcc_lo
	global_store_dwordx2 v[128:129], v[126:127], off
	s_or_b32 exec_lo, exec_lo, s12
	s_and_b32 s17, s1, s8
	s_and_saveexec_b32 s12, s17
	s_cbranch_execz .LBB178_93
.LBB178_103:
	v_cmp_ne_u32_e32 vcc_lo, 1, v144
	s_cbranch_vccnz .LBB178_105
; %bb.104:
	v_lshlrev_b64 v[126:127], 3, v[130:131]
	v_add_co_u32 v126, vcc_lo, v124, v126
	v_add_co_ci_u32_e64 v127, null, v125, v127, vcc_lo
	global_load_dwordx2 v[126:127], v[126:127], off
	s_waitcnt vmcnt(0)
	v_mul_f64 v[126:127], s[10:11], v[126:127]
	v_cvt_f32_f64_e32 v126, v[126:127]
	s_branch .LBB178_106
.LBB178_105:
	v_mov_b32_e32 v126, 0
.LBB178_106:
	v_add_f64 v[127:128], v[62:63], v[118:119]
	v_add_f64 v[146:147], v[64:65], v[120:121]
	;; [unrolled: 1-line block ×4, first 2 shown]
	v_cvt_f32_f64_e32 v127, v[127:128]
	v_cvt_f32_f64_e32 v128, v[146:147]
	;; [unrolled: 1-line block ×4, first 2 shown]
	v_min3_f32 v127, v127, v128, v215
	v_min_f32_e32 v128, v129, v146
	v_min3_f32 v126, v126, v128, v127
	v_lshlrev_b64 v[128:129], 3, v[130:131]
	v_cvt_f64_f32_e32 v[126:127], v126
	v_add_co_u32 v128, vcc_lo, v122, v128
	v_add_co_ci_u32_e64 v129, null, v123, v129, vcc_lo
	global_store_dwordx2 v[128:129], v[126:127], off
	s_or_b32 exec_lo, exec_lo, s12
	s_and_b32 s17, s2, s8
	s_and_saveexec_b32 s12, s17
	s_cbranch_execz .LBB178_94
.LBB178_107:
	v_cmp_ne_u32_e32 vcc_lo, 1, v144
	s_cbranch_vccnz .LBB178_109
; %bb.108:
	v_lshlrev_b64 v[126:127], 3, v[132:133]
	v_add_co_u32 v126, vcc_lo, v124, v126
	v_add_co_ci_u32_e64 v127, null, v125, v127, vcc_lo
	global_load_dwordx2 v[126:127], v[126:127], off
	s_waitcnt vmcnt(0)
	v_mul_f64 v[126:127], s[10:11], v[126:127]
	v_cvt_f32_f64_e32 v126, v[126:127]
	s_branch .LBB178_110
.LBB178_109:
	v_mov_b32_e32 v126, 0
.LBB178_110:
	v_add_f64 v[127:128], v[54:55], v[118:119]
	v_add_f64 v[146:147], v[56:57], v[120:121]
	;; [unrolled: 1-line block ×4, first 2 shown]
	v_cvt_f32_f64_e32 v127, v[127:128]
	v_cvt_f32_f64_e32 v128, v[146:147]
	;; [unrolled: 1-line block ×4, first 2 shown]
	v_min3_f32 v127, v127, v128, v214
	v_min_f32_e32 v128, v129, v146
	v_min3_f32 v126, v126, v128, v127
	v_lshlrev_b64 v[128:129], 3, v[132:133]
	v_cvt_f64_f32_e32 v[126:127], v126
	v_add_co_u32 v128, vcc_lo, v122, v128
	v_add_co_ci_u32_e64 v129, null, v123, v129, vcc_lo
	global_store_dwordx2 v[128:129], v[126:127], off
	s_or_b32 exec_lo, exec_lo, s12
	s_and_b32 s17, s3, s8
	s_and_saveexec_b32 s12, s17
	s_cbranch_execz .LBB178_95
.LBB178_111:
	v_cmp_ne_u32_e32 vcc_lo, 1, v144
	s_cbranch_vccnz .LBB178_113
; %bb.112:
	v_lshlrev_b64 v[126:127], 3, v[134:135]
	v_add_co_u32 v126, vcc_lo, v124, v126
	v_add_co_ci_u32_e64 v127, null, v125, v127, vcc_lo
	global_load_dwordx2 v[126:127], v[126:127], off
	s_waitcnt vmcnt(0)
	v_mul_f64 v[126:127], s[10:11], v[126:127]
	v_cvt_f32_f64_e32 v126, v[126:127]
	s_branch .LBB178_114
.LBB178_113:
	v_mov_b32_e32 v126, 0
.LBB178_114:
	v_add_f64 v[127:128], v[46:47], v[118:119]
	v_add_f64 v[146:147], v[48:49], v[120:121]
	;; [unrolled: 1-line block ×4, first 2 shown]
	v_cvt_f32_f64_e32 v127, v[127:128]
	v_cvt_f32_f64_e32 v128, v[146:147]
	;; [unrolled: 1-line block ×4, first 2 shown]
	v_min3_f32 v127, v127, v128, v213
	v_min_f32_e32 v128, v129, v146
	v_min3_f32 v126, v126, v128, v127
	v_lshlrev_b64 v[128:129], 3, v[134:135]
	v_cvt_f64_f32_e32 v[126:127], v126
	v_add_co_u32 v128, vcc_lo, v122, v128
	v_add_co_ci_u32_e64 v129, null, v123, v129, vcc_lo
	global_store_dwordx2 v[128:129], v[126:127], off
	s_or_b32 exec_lo, exec_lo, s12
	s_and_b32 s17, s4, s8
	s_and_saveexec_b32 s12, s17
	s_cbranch_execz .LBB178_96
.LBB178_115:
	v_cmp_ne_u32_e32 vcc_lo, 1, v144
	s_cbranch_vccnz .LBB178_117
; %bb.116:
	v_lshlrev_b64 v[126:127], 3, v[136:137]
	v_add_co_u32 v126, vcc_lo, v124, v126
	v_add_co_ci_u32_e64 v127, null, v125, v127, vcc_lo
	global_load_dwordx2 v[126:127], v[126:127], off
	s_waitcnt vmcnt(0)
	v_mul_f64 v[126:127], s[10:11], v[126:127]
	v_cvt_f32_f64_e32 v126, v[126:127]
	s_branch .LBB178_118
.LBB178_117:
	v_mov_b32_e32 v126, 0
.LBB178_118:
	v_add_f64 v[127:128], v[38:39], v[118:119]
	v_add_f64 v[146:147], v[40:41], v[120:121]
	;; [unrolled: 1-line block ×4, first 2 shown]
	v_cvt_f32_f64_e32 v127, v[127:128]
	v_cvt_f32_f64_e32 v128, v[146:147]
	;; [unrolled: 1-line block ×4, first 2 shown]
	v_min3_f32 v127, v127, v128, v212
	v_min_f32_e32 v128, v129, v146
	v_min3_f32 v126, v126, v128, v127
	v_lshlrev_b64 v[128:129], 3, v[136:137]
	v_cvt_f64_f32_e32 v[126:127], v126
	v_add_co_u32 v128, vcc_lo, v122, v128
	v_add_co_ci_u32_e64 v129, null, v123, v129, vcc_lo
	global_store_dwordx2 v[128:129], v[126:127], off
	s_or_b32 exec_lo, exec_lo, s12
	s_and_b32 s17, s5, s8
	s_and_saveexec_b32 s12, s17
	s_cbranch_execz .LBB178_97
.LBB178_119:
	v_cmp_ne_u32_e32 vcc_lo, 1, v144
	s_cbranch_vccnz .LBB178_121
; %bb.120:
	v_lshlrev_b64 v[126:127], 3, v[138:139]
	v_add_co_u32 v126, vcc_lo, v124, v126
	v_add_co_ci_u32_e64 v127, null, v125, v127, vcc_lo
	global_load_dwordx2 v[126:127], v[126:127], off
	s_waitcnt vmcnt(0)
	v_mul_f64 v[126:127], s[10:11], v[126:127]
	v_cvt_f32_f64_e32 v126, v[126:127]
	s_branch .LBB178_122
.LBB178_121:
	v_mov_b32_e32 v126, 0
.LBB178_122:
	v_add_f64 v[127:128], v[30:31], v[118:119]
	v_add_f64 v[146:147], v[32:33], v[120:121]
	;; [unrolled: 1-line block ×4, first 2 shown]
	v_cvt_f32_f64_e32 v127, v[127:128]
	v_cvt_f32_f64_e32 v128, v[146:147]
	;; [unrolled: 1-line block ×4, first 2 shown]
	v_min3_f32 v127, v127, v128, v211
	v_min_f32_e32 v128, v129, v146
	v_min3_f32 v126, v126, v128, v127
	v_lshlrev_b64 v[128:129], 3, v[138:139]
	v_cvt_f64_f32_e32 v[126:127], v126
	v_add_co_u32 v128, vcc_lo, v122, v128
	v_add_co_ci_u32_e64 v129, null, v123, v129, vcc_lo
	global_store_dwordx2 v[128:129], v[126:127], off
	s_or_b32 exec_lo, exec_lo, s12
	s_and_b32 s17, s6, s8
	s_and_saveexec_b32 s12, s17
	s_cbranch_execz .LBB178_98
.LBB178_123:
	v_cmp_ne_u32_e32 vcc_lo, 1, v144
	s_cbranch_vccnz .LBB178_125
; %bb.124:
	v_lshlrev_b64 v[126:127], 3, v[140:141]
	v_add_co_u32 v126, vcc_lo, v124, v126
	v_add_co_ci_u32_e64 v127, null, v125, v127, vcc_lo
	global_load_dwordx2 v[126:127], v[126:127], off
	s_waitcnt vmcnt(0)
	v_mul_f64 v[126:127], s[10:11], v[126:127]
	v_cvt_f32_f64_e32 v126, v[126:127]
	s_branch .LBB178_126
.LBB178_125:
	v_mov_b32_e32 v126, 0
.LBB178_126:
	v_add_f64 v[127:128], v[22:23], v[118:119]
	v_add_f64 v[146:147], v[24:25], v[120:121]
	;; [unrolled: 1-line block ×4, first 2 shown]
	v_cvt_f32_f64_e32 v127, v[127:128]
	v_cvt_f32_f64_e32 v128, v[146:147]
	;; [unrolled: 1-line block ×4, first 2 shown]
	v_min3_f32 v127, v127, v128, v210
	v_min_f32_e32 v128, v129, v146
	v_min3_f32 v126, v126, v128, v127
	v_lshlrev_b64 v[128:129], 3, v[140:141]
	v_cvt_f64_f32_e32 v[126:127], v126
	v_add_co_u32 v128, vcc_lo, v122, v128
	v_add_co_ci_u32_e64 v129, null, v123, v129, vcc_lo
	global_store_dwordx2 v[128:129], v[126:127], off
	s_or_b32 exec_lo, exec_lo, s12
	s_and_b32 s12, s7, s8
	s_and_saveexec_b32 s8, s12
	s_cbranch_execz .LBB178_131
.LBB178_127:
	v_cmp_ne_u32_e32 vcc_lo, 1, v144
	s_cbranch_vccnz .LBB178_129
; %bb.128:
	v_lshlrev_b64 v[126:127], 3, v[142:143]
	v_add_co_u32 v124, vcc_lo, v124, v126
	v_add_co_ci_u32_e64 v125, null, v125, v127, vcc_lo
	global_load_dwordx2 v[124:125], v[124:125], off
	s_waitcnt vmcnt(0)
	v_mul_f64 v[124:125], s[10:11], v[124:125]
	v_cvt_f32_f64_e32 v124, v[124:125]
	s_branch .LBB178_130
.LBB178_129:
	v_mov_b32_e32 v124, 0
.LBB178_130:
	v_add_f64 v[118:119], v[6:7], v[118:119]
	v_add_f64 v[120:121], v[8:9], v[120:121]
	;; [unrolled: 1-line block ×4, first 2 shown]
	v_cvt_f32_f64_e32 v118, v[118:119]
	v_cvt_f32_f64_e32 v119, v[120:121]
	v_cvt_f32_f64_e32 v114, v[114:115]
	v_cvt_f32_f64_e32 v115, v[116:117]
	v_min3_f32 v116, v118, v119, v209
	v_min_f32_e32 v114, v114, v115
	v_min3_f32 v114, v124, v114, v116
	v_lshlrev_b64 v[116:117], 3, v[142:143]
	v_cvt_f64_f32_e32 v[114:115], v114
	v_add_co_u32 v116, vcc_lo, v122, v116
	v_add_co_ci_u32_e64 v117, null, v123, v117, vcc_lo
	global_store_dwordx2 v[116:117], v[114:115], off
.LBB178_131:
	s_or_b32 exec_lo, exec_lo, s8
	v_add_nc_u32_e32 v118, 64, v145
	v_mad_i64_i32 v[114:115], null, v118, s14, 0
	v_mad_i64_i32 v[116:117], null, v118, s9, 0
	v_cmp_gt_i32_e64 s8, s13, v118
	v_lshlrev_b64 v[114:115], 3, v[114:115]
	s_and_b32 s17, s0, s8
	v_lshlrev_b64 v[118:119], 3, v[116:117]
	v_add_co_u32 v116, vcc_lo, s20, v114
	v_add_co_ci_u32_e64 v117, null, s21, v115, vcc_lo
	v_add_co_u32 v114, vcc_lo, s16, v118
	v_add_co_ci_u32_e64 v115, null, s15, v119, vcc_lo
	s_and_saveexec_b32 s12, s17
	s_cbranch_execnz .LBB178_139
; %bb.132:
	s_or_b32 exec_lo, exec_lo, s12
	s_and_b32 s17, s1, s8
	s_and_saveexec_b32 s12, s17
	s_cbranch_execnz .LBB178_143
.LBB178_133:
	s_or_b32 exec_lo, exec_lo, s12
	s_and_b32 s17, s2, s8
	s_and_saveexec_b32 s12, s17
	s_cbranch_execnz .LBB178_147
.LBB178_134:
	s_or_b32 exec_lo, exec_lo, s12
	s_and_b32 s17, s3, s8
	s_and_saveexec_b32 s12, s17
	s_cbranch_execnz .LBB178_151
.LBB178_135:
	s_or_b32 exec_lo, exec_lo, s12
	s_and_b32 s17, s4, s8
	s_and_saveexec_b32 s12, s17
	s_cbranch_execnz .LBB178_155
.LBB178_136:
	s_or_b32 exec_lo, exec_lo, s12
	s_and_b32 s17, s5, s8
	s_and_saveexec_b32 s12, s17
	s_cbranch_execnz .LBB178_159
.LBB178_137:
	s_or_b32 exec_lo, exec_lo, s12
	s_and_b32 s17, s6, s8
	s_and_saveexec_b32 s12, s17
	s_cbranch_execnz .LBB178_163
.LBB178_138:
	s_or_b32 exec_lo, exec_lo, s12
	s_and_b32 s12, s7, s8
	s_and_saveexec_b32 s8, s12
	s_cbranch_execnz .LBB178_167
	s_branch .LBB178_171
.LBB178_139:
	v_cmp_ne_u32_e32 vcc_lo, 1, v144
	s_cbranch_vccnz .LBB178_141
; %bb.140:
	v_lshlrev_b64 v[118:119], 3, v[0:1]
	v_add_co_u32 v118, vcc_lo, v116, v118
	v_add_co_ci_u32_e64 v119, null, v117, v119, vcc_lo
	global_load_dwordx2 v[118:119], v[118:119], off
	s_waitcnt vmcnt(0)
	v_mul_f64 v[118:119], s[10:11], v[118:119]
	v_cvt_f32_f64_e32 v118, v[118:119]
	s_branch .LBB178_142
.LBB178_141:
	v_mov_b32_e32 v118, 0
.LBB178_142:
	v_add_f64 v[119:120], v[70:71], v[110:111]
	v_add_f64 v[121:122], v[72:73], v[112:113]
	;; [unrolled: 1-line block ×4, first 2 shown]
	v_cvt_f32_f64_e32 v119, v[119:120]
	v_cvt_f32_f64_e32 v120, v[121:122]
	;; [unrolled: 1-line block ×4, first 2 shown]
	v_min3_f32 v119, v119, v120, v208
	v_min_f32_e32 v120, v121, v122
	v_min3_f32 v118, v118, v120, v119
	v_lshlrev_b64 v[120:121], 3, v[0:1]
	v_cvt_f64_f32_e32 v[118:119], v118
	v_add_co_u32 v120, vcc_lo, v114, v120
	v_add_co_ci_u32_e64 v121, null, v115, v121, vcc_lo
	global_store_dwordx2 v[120:121], v[118:119], off
	s_or_b32 exec_lo, exec_lo, s12
	s_and_b32 s17, s1, s8
	s_and_saveexec_b32 s12, s17
	s_cbranch_execz .LBB178_133
.LBB178_143:
	v_cmp_ne_u32_e32 vcc_lo, 1, v144
	s_cbranch_vccnz .LBB178_145
; %bb.144:
	v_lshlrev_b64 v[118:119], 3, v[130:131]
	v_add_co_u32 v118, vcc_lo, v116, v118
	v_add_co_ci_u32_e64 v119, null, v117, v119, vcc_lo
	global_load_dwordx2 v[118:119], v[118:119], off
	s_waitcnt vmcnt(0)
	v_mul_f64 v[118:119], s[10:11], v[118:119]
	v_cvt_f32_f64_e32 v118, v[118:119]
	s_branch .LBB178_146
.LBB178_145:
	v_mov_b32_e32 v118, 0
.LBB178_146:
	v_add_f64 v[119:120], v[62:63], v[110:111]
	v_add_f64 v[121:122], v[64:65], v[112:113]
	;; [unrolled: 1-line block ×4, first 2 shown]
	v_cvt_f32_f64_e32 v119, v[119:120]
	v_cvt_f32_f64_e32 v120, v[121:122]
	v_cvt_f32_f64_e32 v121, v[123:124]
	v_cvt_f32_f64_e32 v122, v[125:126]
	v_min3_f32 v119, v119, v120, v207
	v_min_f32_e32 v120, v121, v122
	v_min3_f32 v118, v118, v120, v119
	v_lshlrev_b64 v[120:121], 3, v[130:131]
	v_cvt_f64_f32_e32 v[118:119], v118
	v_add_co_u32 v120, vcc_lo, v114, v120
	v_add_co_ci_u32_e64 v121, null, v115, v121, vcc_lo
	global_store_dwordx2 v[120:121], v[118:119], off
	s_or_b32 exec_lo, exec_lo, s12
	s_and_b32 s17, s2, s8
	s_and_saveexec_b32 s12, s17
	s_cbranch_execz .LBB178_134
.LBB178_147:
	v_cmp_ne_u32_e32 vcc_lo, 1, v144
	s_cbranch_vccnz .LBB178_149
; %bb.148:
	v_lshlrev_b64 v[118:119], 3, v[132:133]
	v_add_co_u32 v118, vcc_lo, v116, v118
	v_add_co_ci_u32_e64 v119, null, v117, v119, vcc_lo
	global_load_dwordx2 v[118:119], v[118:119], off
	s_waitcnt vmcnt(0)
	v_mul_f64 v[118:119], s[10:11], v[118:119]
	v_cvt_f32_f64_e32 v118, v[118:119]
	s_branch .LBB178_150
.LBB178_149:
	v_mov_b32_e32 v118, 0
.LBB178_150:
	v_add_f64 v[119:120], v[54:55], v[110:111]
	v_add_f64 v[121:122], v[56:57], v[112:113]
	v_add_f64 v[123:124], v[50:51], v[106:107]
	v_add_f64 v[125:126], v[52:53], v[108:109]
	v_cvt_f32_f64_e32 v119, v[119:120]
	v_cvt_f32_f64_e32 v120, v[121:122]
	;; [unrolled: 1-line block ×4, first 2 shown]
	v_min3_f32 v119, v119, v120, v206
	v_min_f32_e32 v120, v121, v122
	v_min3_f32 v118, v118, v120, v119
	v_lshlrev_b64 v[120:121], 3, v[132:133]
	v_cvt_f64_f32_e32 v[118:119], v118
	v_add_co_u32 v120, vcc_lo, v114, v120
	v_add_co_ci_u32_e64 v121, null, v115, v121, vcc_lo
	global_store_dwordx2 v[120:121], v[118:119], off
	s_or_b32 exec_lo, exec_lo, s12
	s_and_b32 s17, s3, s8
	s_and_saveexec_b32 s12, s17
	s_cbranch_execz .LBB178_135
.LBB178_151:
	v_cmp_ne_u32_e32 vcc_lo, 1, v144
	s_cbranch_vccnz .LBB178_153
; %bb.152:
	v_lshlrev_b64 v[118:119], 3, v[134:135]
	v_add_co_u32 v118, vcc_lo, v116, v118
	v_add_co_ci_u32_e64 v119, null, v117, v119, vcc_lo
	global_load_dwordx2 v[118:119], v[118:119], off
	s_waitcnt vmcnt(0)
	v_mul_f64 v[118:119], s[10:11], v[118:119]
	v_cvt_f32_f64_e32 v118, v[118:119]
	s_branch .LBB178_154
.LBB178_153:
	v_mov_b32_e32 v118, 0
.LBB178_154:
	v_add_f64 v[119:120], v[46:47], v[110:111]
	v_add_f64 v[121:122], v[48:49], v[112:113]
	;; [unrolled: 1-line block ×4, first 2 shown]
	v_cvt_f32_f64_e32 v119, v[119:120]
	v_cvt_f32_f64_e32 v120, v[121:122]
	;; [unrolled: 1-line block ×4, first 2 shown]
	v_min3_f32 v119, v119, v120, v205
	v_min_f32_e32 v120, v121, v122
	v_min3_f32 v118, v118, v120, v119
	v_lshlrev_b64 v[120:121], 3, v[134:135]
	v_cvt_f64_f32_e32 v[118:119], v118
	v_add_co_u32 v120, vcc_lo, v114, v120
	v_add_co_ci_u32_e64 v121, null, v115, v121, vcc_lo
	global_store_dwordx2 v[120:121], v[118:119], off
	s_or_b32 exec_lo, exec_lo, s12
	s_and_b32 s17, s4, s8
	s_and_saveexec_b32 s12, s17
	s_cbranch_execz .LBB178_136
.LBB178_155:
	v_cmp_ne_u32_e32 vcc_lo, 1, v144
	s_cbranch_vccnz .LBB178_157
; %bb.156:
	v_lshlrev_b64 v[118:119], 3, v[136:137]
	v_add_co_u32 v118, vcc_lo, v116, v118
	v_add_co_ci_u32_e64 v119, null, v117, v119, vcc_lo
	global_load_dwordx2 v[118:119], v[118:119], off
	s_waitcnt vmcnt(0)
	v_mul_f64 v[118:119], s[10:11], v[118:119]
	v_cvt_f32_f64_e32 v118, v[118:119]
	s_branch .LBB178_158
.LBB178_157:
	v_mov_b32_e32 v118, 0
.LBB178_158:
	v_add_f64 v[119:120], v[38:39], v[110:111]
	v_add_f64 v[121:122], v[40:41], v[112:113]
	;; [unrolled: 1-line block ×4, first 2 shown]
	v_cvt_f32_f64_e32 v119, v[119:120]
	v_cvt_f32_f64_e32 v120, v[121:122]
	;; [unrolled: 1-line block ×4, first 2 shown]
	v_min3_f32 v119, v119, v120, v204
	v_min_f32_e32 v120, v121, v122
	v_min3_f32 v118, v118, v120, v119
	v_lshlrev_b64 v[120:121], 3, v[136:137]
	v_cvt_f64_f32_e32 v[118:119], v118
	v_add_co_u32 v120, vcc_lo, v114, v120
	v_add_co_ci_u32_e64 v121, null, v115, v121, vcc_lo
	global_store_dwordx2 v[120:121], v[118:119], off
	s_or_b32 exec_lo, exec_lo, s12
	s_and_b32 s17, s5, s8
	s_and_saveexec_b32 s12, s17
	s_cbranch_execz .LBB178_137
.LBB178_159:
	v_cmp_ne_u32_e32 vcc_lo, 1, v144
	s_cbranch_vccnz .LBB178_161
; %bb.160:
	v_lshlrev_b64 v[118:119], 3, v[138:139]
	v_add_co_u32 v118, vcc_lo, v116, v118
	v_add_co_ci_u32_e64 v119, null, v117, v119, vcc_lo
	global_load_dwordx2 v[118:119], v[118:119], off
	s_waitcnt vmcnt(0)
	v_mul_f64 v[118:119], s[10:11], v[118:119]
	v_cvt_f32_f64_e32 v118, v[118:119]
	s_branch .LBB178_162
.LBB178_161:
	v_mov_b32_e32 v118, 0
.LBB178_162:
	v_add_f64 v[119:120], v[30:31], v[110:111]
	v_add_f64 v[121:122], v[32:33], v[112:113]
	;; [unrolled: 1-line block ×4, first 2 shown]
	v_cvt_f32_f64_e32 v119, v[119:120]
	v_cvt_f32_f64_e32 v120, v[121:122]
	;; [unrolled: 1-line block ×4, first 2 shown]
	v_min3_f32 v119, v119, v120, v203
	v_min_f32_e32 v120, v121, v122
	v_min3_f32 v118, v118, v120, v119
	v_lshlrev_b64 v[120:121], 3, v[138:139]
	v_cvt_f64_f32_e32 v[118:119], v118
	v_add_co_u32 v120, vcc_lo, v114, v120
	v_add_co_ci_u32_e64 v121, null, v115, v121, vcc_lo
	global_store_dwordx2 v[120:121], v[118:119], off
	s_or_b32 exec_lo, exec_lo, s12
	s_and_b32 s17, s6, s8
	s_and_saveexec_b32 s12, s17
	s_cbranch_execz .LBB178_138
.LBB178_163:
	v_cmp_ne_u32_e32 vcc_lo, 1, v144
	s_cbranch_vccnz .LBB178_165
; %bb.164:
	v_lshlrev_b64 v[118:119], 3, v[140:141]
	v_add_co_u32 v118, vcc_lo, v116, v118
	v_add_co_ci_u32_e64 v119, null, v117, v119, vcc_lo
	global_load_dwordx2 v[118:119], v[118:119], off
	s_waitcnt vmcnt(0)
	v_mul_f64 v[118:119], s[10:11], v[118:119]
	v_cvt_f32_f64_e32 v118, v[118:119]
	s_branch .LBB178_166
.LBB178_165:
	v_mov_b32_e32 v118, 0
.LBB178_166:
	v_add_f64 v[119:120], v[22:23], v[110:111]
	v_add_f64 v[121:122], v[24:25], v[112:113]
	;; [unrolled: 1-line block ×4, first 2 shown]
	v_cvt_f32_f64_e32 v119, v[119:120]
	v_cvt_f32_f64_e32 v120, v[121:122]
	;; [unrolled: 1-line block ×4, first 2 shown]
	v_min3_f32 v119, v119, v120, v202
	v_min_f32_e32 v120, v121, v122
	v_min3_f32 v118, v118, v120, v119
	v_lshlrev_b64 v[120:121], 3, v[140:141]
	v_cvt_f64_f32_e32 v[118:119], v118
	v_add_co_u32 v120, vcc_lo, v114, v120
	v_add_co_ci_u32_e64 v121, null, v115, v121, vcc_lo
	global_store_dwordx2 v[120:121], v[118:119], off
	s_or_b32 exec_lo, exec_lo, s12
	s_and_b32 s12, s7, s8
	s_and_saveexec_b32 s8, s12
	s_cbranch_execz .LBB178_171
.LBB178_167:
	v_cmp_ne_u32_e32 vcc_lo, 1, v144
	s_cbranch_vccnz .LBB178_169
; %bb.168:
	v_lshlrev_b64 v[118:119], 3, v[142:143]
	v_add_co_u32 v116, vcc_lo, v116, v118
	v_add_co_ci_u32_e64 v117, null, v117, v119, vcc_lo
	global_load_dwordx2 v[116:117], v[116:117], off
	s_waitcnt vmcnt(0)
	v_mul_f64 v[116:117], s[10:11], v[116:117]
	v_cvt_f32_f64_e32 v116, v[116:117]
	s_branch .LBB178_170
.LBB178_169:
	v_mov_b32_e32 v116, 0
.LBB178_170:
	v_add_f64 v[110:111], v[6:7], v[110:111]
	v_add_f64 v[112:113], v[8:9], v[112:113]
	;; [unrolled: 1-line block ×4, first 2 shown]
	v_cvt_f32_f64_e32 v110, v[110:111]
	v_cvt_f32_f64_e32 v111, v[112:113]
	;; [unrolled: 1-line block ×4, first 2 shown]
	v_min3_f32 v108, v110, v111, v201
	v_min_f32_e32 v106, v106, v107
	v_min3_f32 v106, v116, v106, v108
	v_lshlrev_b64 v[108:109], 3, v[142:143]
	v_cvt_f64_f32_e32 v[106:107], v106
	v_add_co_u32 v108, vcc_lo, v114, v108
	v_add_co_ci_u32_e64 v109, null, v115, v109, vcc_lo
	global_store_dwordx2 v[108:109], v[106:107], off
.LBB178_171:
	s_or_b32 exec_lo, exec_lo, s8
	v_add_nc_u32_e32 v110, 0x60, v145
	v_mad_i64_i32 v[106:107], null, v110, s14, 0
	v_mad_i64_i32 v[108:109], null, v110, s9, 0
	v_cmp_gt_i32_e64 s8, s13, v110
	v_lshlrev_b64 v[106:107], 3, v[106:107]
	s_and_b32 s17, s0, s8
	v_lshlrev_b64 v[110:111], 3, v[108:109]
	v_add_co_u32 v108, vcc_lo, s20, v106
	v_add_co_ci_u32_e64 v109, null, s21, v107, vcc_lo
	v_add_co_u32 v106, vcc_lo, s16, v110
	v_add_co_ci_u32_e64 v107, null, s15, v111, vcc_lo
	s_and_saveexec_b32 s12, s17
	s_cbranch_execnz .LBB178_179
; %bb.172:
	s_or_b32 exec_lo, exec_lo, s12
	s_and_b32 s17, s1, s8
	s_and_saveexec_b32 s12, s17
	s_cbranch_execnz .LBB178_183
.LBB178_173:
	s_or_b32 exec_lo, exec_lo, s12
	s_and_b32 s17, s2, s8
	s_and_saveexec_b32 s12, s17
	s_cbranch_execnz .LBB178_187
.LBB178_174:
	s_or_b32 exec_lo, exec_lo, s12
	s_and_b32 s17, s3, s8
	s_and_saveexec_b32 s12, s17
	s_cbranch_execnz .LBB178_191
.LBB178_175:
	s_or_b32 exec_lo, exec_lo, s12
	s_and_b32 s17, s4, s8
	s_and_saveexec_b32 s12, s17
	s_cbranch_execnz .LBB178_195
.LBB178_176:
	s_or_b32 exec_lo, exec_lo, s12
	s_and_b32 s17, s5, s8
	s_and_saveexec_b32 s12, s17
	s_cbranch_execnz .LBB178_199
.LBB178_177:
	s_or_b32 exec_lo, exec_lo, s12
	s_and_b32 s17, s6, s8
	s_and_saveexec_b32 s12, s17
	s_cbranch_execnz .LBB178_203
.LBB178_178:
	s_or_b32 exec_lo, exec_lo, s12
	s_and_b32 s12, s7, s8
	s_and_saveexec_b32 s8, s12
	s_cbranch_execnz .LBB178_207
	s_branch .LBB178_211
.LBB178_179:
	v_cmp_ne_u32_e32 vcc_lo, 1, v144
	s_cbranch_vccnz .LBB178_181
; %bb.180:
	v_lshlrev_b64 v[110:111], 3, v[0:1]
	v_add_co_u32 v110, vcc_lo, v108, v110
	v_add_co_ci_u32_e64 v111, null, v109, v111, vcc_lo
	global_load_dwordx2 v[110:111], v[110:111], off
	s_waitcnt vmcnt(0)
	v_mul_f64 v[110:111], s[10:11], v[110:111]
	v_cvt_f32_f64_e32 v110, v[110:111]
	s_branch .LBB178_182
.LBB178_181:
	v_mov_b32_e32 v110, 0
.LBB178_182:
	v_add_f64 v[111:112], v[70:71], v[102:103]
	v_add_f64 v[113:114], v[72:73], v[104:105]
	;; [unrolled: 1-line block ×4, first 2 shown]
	v_cvt_f32_f64_e32 v111, v[111:112]
	v_cvt_f32_f64_e32 v112, v[113:114]
	v_cvt_f32_f64_e32 v113, v[115:116]
	v_cvt_f32_f64_e32 v114, v[117:118]
	v_min3_f32 v111, v111, v112, v200
	v_min_f32_e32 v112, v113, v114
	v_min3_f32 v110, v110, v112, v111
	v_lshlrev_b64 v[112:113], 3, v[0:1]
	v_cvt_f64_f32_e32 v[110:111], v110
	v_add_co_u32 v112, vcc_lo, v106, v112
	v_add_co_ci_u32_e64 v113, null, v107, v113, vcc_lo
	global_store_dwordx2 v[112:113], v[110:111], off
	s_or_b32 exec_lo, exec_lo, s12
	s_and_b32 s17, s1, s8
	s_and_saveexec_b32 s12, s17
	s_cbranch_execz .LBB178_173
.LBB178_183:
	v_cmp_ne_u32_e32 vcc_lo, 1, v144
	s_cbranch_vccnz .LBB178_185
; %bb.184:
	v_lshlrev_b64 v[110:111], 3, v[130:131]
	v_add_co_u32 v110, vcc_lo, v108, v110
	v_add_co_ci_u32_e64 v111, null, v109, v111, vcc_lo
	global_load_dwordx2 v[110:111], v[110:111], off
	s_waitcnt vmcnt(0)
	v_mul_f64 v[110:111], s[10:11], v[110:111]
	v_cvt_f32_f64_e32 v110, v[110:111]
	s_branch .LBB178_186
.LBB178_185:
	v_mov_b32_e32 v110, 0
.LBB178_186:
	v_add_f64 v[111:112], v[62:63], v[102:103]
	v_add_f64 v[113:114], v[64:65], v[104:105]
	;; [unrolled: 1-line block ×4, first 2 shown]
	v_cvt_f32_f64_e32 v111, v[111:112]
	v_cvt_f32_f64_e32 v112, v[113:114]
	;; [unrolled: 1-line block ×4, first 2 shown]
	v_min3_f32 v111, v111, v112, v199
	v_min_f32_e32 v112, v113, v114
	v_min3_f32 v110, v110, v112, v111
	v_lshlrev_b64 v[112:113], 3, v[130:131]
	v_cvt_f64_f32_e32 v[110:111], v110
	v_add_co_u32 v112, vcc_lo, v106, v112
	v_add_co_ci_u32_e64 v113, null, v107, v113, vcc_lo
	global_store_dwordx2 v[112:113], v[110:111], off
	s_or_b32 exec_lo, exec_lo, s12
	s_and_b32 s17, s2, s8
	s_and_saveexec_b32 s12, s17
	s_cbranch_execz .LBB178_174
.LBB178_187:
	v_cmp_ne_u32_e32 vcc_lo, 1, v144
	s_cbranch_vccnz .LBB178_189
; %bb.188:
	v_lshlrev_b64 v[110:111], 3, v[132:133]
	v_add_co_u32 v110, vcc_lo, v108, v110
	v_add_co_ci_u32_e64 v111, null, v109, v111, vcc_lo
	global_load_dwordx2 v[110:111], v[110:111], off
	s_waitcnt vmcnt(0)
	v_mul_f64 v[110:111], s[10:11], v[110:111]
	v_cvt_f32_f64_e32 v110, v[110:111]
	s_branch .LBB178_190
.LBB178_189:
	v_mov_b32_e32 v110, 0
.LBB178_190:
	v_add_f64 v[111:112], v[54:55], v[102:103]
	v_add_f64 v[113:114], v[56:57], v[104:105]
	v_add_f64 v[115:116], v[50:51], v[98:99]
	v_add_f64 v[117:118], v[52:53], v[100:101]
	v_cvt_f32_f64_e32 v111, v[111:112]
	v_cvt_f32_f64_e32 v112, v[113:114]
	;; [unrolled: 1-line block ×4, first 2 shown]
	v_min3_f32 v111, v111, v112, v198
	v_min_f32_e32 v112, v113, v114
	v_min3_f32 v110, v110, v112, v111
	v_lshlrev_b64 v[112:113], 3, v[132:133]
	v_cvt_f64_f32_e32 v[110:111], v110
	v_add_co_u32 v112, vcc_lo, v106, v112
	v_add_co_ci_u32_e64 v113, null, v107, v113, vcc_lo
	global_store_dwordx2 v[112:113], v[110:111], off
	s_or_b32 exec_lo, exec_lo, s12
	s_and_b32 s17, s3, s8
	s_and_saveexec_b32 s12, s17
	s_cbranch_execz .LBB178_175
.LBB178_191:
	v_cmp_ne_u32_e32 vcc_lo, 1, v144
	s_cbranch_vccnz .LBB178_193
; %bb.192:
	v_lshlrev_b64 v[110:111], 3, v[134:135]
	v_add_co_u32 v110, vcc_lo, v108, v110
	v_add_co_ci_u32_e64 v111, null, v109, v111, vcc_lo
	global_load_dwordx2 v[110:111], v[110:111], off
	s_waitcnt vmcnt(0)
	v_mul_f64 v[110:111], s[10:11], v[110:111]
	v_cvt_f32_f64_e32 v110, v[110:111]
	s_branch .LBB178_194
.LBB178_193:
	v_mov_b32_e32 v110, 0
.LBB178_194:
	v_add_f64 v[111:112], v[46:47], v[102:103]
	v_add_f64 v[113:114], v[48:49], v[104:105]
	;; [unrolled: 1-line block ×4, first 2 shown]
	v_cvt_f32_f64_e32 v111, v[111:112]
	v_cvt_f32_f64_e32 v112, v[113:114]
	;; [unrolled: 1-line block ×4, first 2 shown]
	v_min3_f32 v111, v111, v112, v197
	v_min_f32_e32 v112, v113, v114
	v_min3_f32 v110, v110, v112, v111
	v_lshlrev_b64 v[112:113], 3, v[134:135]
	v_cvt_f64_f32_e32 v[110:111], v110
	v_add_co_u32 v112, vcc_lo, v106, v112
	v_add_co_ci_u32_e64 v113, null, v107, v113, vcc_lo
	global_store_dwordx2 v[112:113], v[110:111], off
	s_or_b32 exec_lo, exec_lo, s12
	s_and_b32 s17, s4, s8
	s_and_saveexec_b32 s12, s17
	s_cbranch_execz .LBB178_176
.LBB178_195:
	v_cmp_ne_u32_e32 vcc_lo, 1, v144
	s_cbranch_vccnz .LBB178_197
; %bb.196:
	v_lshlrev_b64 v[110:111], 3, v[136:137]
	v_add_co_u32 v110, vcc_lo, v108, v110
	v_add_co_ci_u32_e64 v111, null, v109, v111, vcc_lo
	global_load_dwordx2 v[110:111], v[110:111], off
	s_waitcnt vmcnt(0)
	v_mul_f64 v[110:111], s[10:11], v[110:111]
	v_cvt_f32_f64_e32 v110, v[110:111]
	s_branch .LBB178_198
.LBB178_197:
	v_mov_b32_e32 v110, 0
.LBB178_198:
	v_add_f64 v[111:112], v[38:39], v[102:103]
	v_add_f64 v[113:114], v[40:41], v[104:105]
	;; [unrolled: 1-line block ×4, first 2 shown]
	v_cvt_f32_f64_e32 v111, v[111:112]
	v_cvt_f32_f64_e32 v112, v[113:114]
	;; [unrolled: 1-line block ×4, first 2 shown]
	v_min3_f32 v111, v111, v112, v196
	v_min_f32_e32 v112, v113, v114
	v_min3_f32 v110, v110, v112, v111
	v_lshlrev_b64 v[112:113], 3, v[136:137]
	v_cvt_f64_f32_e32 v[110:111], v110
	v_add_co_u32 v112, vcc_lo, v106, v112
	v_add_co_ci_u32_e64 v113, null, v107, v113, vcc_lo
	global_store_dwordx2 v[112:113], v[110:111], off
	s_or_b32 exec_lo, exec_lo, s12
	s_and_b32 s17, s5, s8
	s_and_saveexec_b32 s12, s17
	s_cbranch_execz .LBB178_177
.LBB178_199:
	v_cmp_ne_u32_e32 vcc_lo, 1, v144
	s_cbranch_vccnz .LBB178_201
; %bb.200:
	v_lshlrev_b64 v[110:111], 3, v[138:139]
	v_add_co_u32 v110, vcc_lo, v108, v110
	v_add_co_ci_u32_e64 v111, null, v109, v111, vcc_lo
	global_load_dwordx2 v[110:111], v[110:111], off
	s_waitcnt vmcnt(0)
	v_mul_f64 v[110:111], s[10:11], v[110:111]
	v_cvt_f32_f64_e32 v110, v[110:111]
	s_branch .LBB178_202
.LBB178_201:
	v_mov_b32_e32 v110, 0
.LBB178_202:
	v_add_f64 v[111:112], v[30:31], v[102:103]
	v_add_f64 v[113:114], v[32:33], v[104:105]
	;; [unrolled: 1-line block ×4, first 2 shown]
	v_cvt_f32_f64_e32 v111, v[111:112]
	v_cvt_f32_f64_e32 v112, v[113:114]
	;; [unrolled: 1-line block ×4, first 2 shown]
	v_min3_f32 v111, v111, v112, v195
	v_min_f32_e32 v112, v113, v114
	v_min3_f32 v110, v110, v112, v111
	v_lshlrev_b64 v[112:113], 3, v[138:139]
	v_cvt_f64_f32_e32 v[110:111], v110
	v_add_co_u32 v112, vcc_lo, v106, v112
	v_add_co_ci_u32_e64 v113, null, v107, v113, vcc_lo
	global_store_dwordx2 v[112:113], v[110:111], off
	s_or_b32 exec_lo, exec_lo, s12
	s_and_b32 s17, s6, s8
	s_and_saveexec_b32 s12, s17
	s_cbranch_execz .LBB178_178
.LBB178_203:
	v_cmp_ne_u32_e32 vcc_lo, 1, v144
	s_cbranch_vccnz .LBB178_205
; %bb.204:
	v_lshlrev_b64 v[110:111], 3, v[140:141]
	v_add_co_u32 v110, vcc_lo, v108, v110
	v_add_co_ci_u32_e64 v111, null, v109, v111, vcc_lo
	global_load_dwordx2 v[110:111], v[110:111], off
	s_waitcnt vmcnt(0)
	v_mul_f64 v[110:111], s[10:11], v[110:111]
	v_cvt_f32_f64_e32 v110, v[110:111]
	s_branch .LBB178_206
.LBB178_205:
	v_mov_b32_e32 v110, 0
.LBB178_206:
	v_add_f64 v[111:112], v[22:23], v[102:103]
	v_add_f64 v[113:114], v[24:25], v[104:105]
	;; [unrolled: 1-line block ×4, first 2 shown]
	v_cvt_f32_f64_e32 v111, v[111:112]
	v_cvt_f32_f64_e32 v112, v[113:114]
	v_cvt_f32_f64_e32 v113, v[115:116]
	v_cvt_f32_f64_e32 v114, v[117:118]
	v_min3_f32 v111, v111, v112, v194
	v_min_f32_e32 v112, v113, v114
	v_min3_f32 v110, v110, v112, v111
	v_lshlrev_b64 v[112:113], 3, v[140:141]
	v_cvt_f64_f32_e32 v[110:111], v110
	v_add_co_u32 v112, vcc_lo, v106, v112
	v_add_co_ci_u32_e64 v113, null, v107, v113, vcc_lo
	global_store_dwordx2 v[112:113], v[110:111], off
	s_or_b32 exec_lo, exec_lo, s12
	s_and_b32 s12, s7, s8
	s_and_saveexec_b32 s8, s12
	s_cbranch_execz .LBB178_211
.LBB178_207:
	v_cmp_ne_u32_e32 vcc_lo, 1, v144
	s_cbranch_vccnz .LBB178_209
; %bb.208:
	v_lshlrev_b64 v[110:111], 3, v[142:143]
	v_add_co_u32 v108, vcc_lo, v108, v110
	v_add_co_ci_u32_e64 v109, null, v109, v111, vcc_lo
	global_load_dwordx2 v[108:109], v[108:109], off
	s_waitcnt vmcnt(0)
	v_mul_f64 v[108:109], s[10:11], v[108:109]
	v_cvt_f32_f64_e32 v108, v[108:109]
	s_branch .LBB178_210
.LBB178_209:
	v_mov_b32_e32 v108, 0
.LBB178_210:
	v_add_f64 v[102:103], v[6:7], v[102:103]
	v_add_f64 v[104:105], v[8:9], v[104:105]
	;; [unrolled: 1-line block ×4, first 2 shown]
	v_cvt_f32_f64_e32 v102, v[102:103]
	v_cvt_f32_f64_e32 v103, v[104:105]
	;; [unrolled: 1-line block ×4, first 2 shown]
	v_min3_f32 v100, v102, v103, v193
	v_min_f32_e32 v98, v98, v99
	v_min3_f32 v98, v108, v98, v100
	v_lshlrev_b64 v[100:101], 3, v[142:143]
	v_cvt_f64_f32_e32 v[98:99], v98
	v_add_co_u32 v100, vcc_lo, v106, v100
	v_add_co_ci_u32_e64 v101, null, v107, v101, vcc_lo
	global_store_dwordx2 v[100:101], v[98:99], off
.LBB178_211:
	s_or_b32 exec_lo, exec_lo, s8
	v_add_nc_u32_e32 v102, 0x80, v145
	v_mad_i64_i32 v[98:99], null, v102, s14, 0
	v_mad_i64_i32 v[100:101], null, v102, s9, 0
	v_cmp_gt_i32_e64 s8, s13, v102
	v_lshlrev_b64 v[98:99], 3, v[98:99]
	s_and_b32 s17, s0, s8
	v_lshlrev_b64 v[102:103], 3, v[100:101]
	v_add_co_u32 v100, vcc_lo, s20, v98
	v_add_co_ci_u32_e64 v101, null, s21, v99, vcc_lo
	v_add_co_u32 v98, vcc_lo, s16, v102
	v_add_co_ci_u32_e64 v99, null, s15, v103, vcc_lo
	s_and_saveexec_b32 s12, s17
	s_cbranch_execnz .LBB178_219
; %bb.212:
	s_or_b32 exec_lo, exec_lo, s12
	s_and_b32 s17, s1, s8
	s_and_saveexec_b32 s12, s17
	s_cbranch_execnz .LBB178_223
.LBB178_213:
	s_or_b32 exec_lo, exec_lo, s12
	s_and_b32 s17, s2, s8
	s_and_saveexec_b32 s12, s17
	s_cbranch_execnz .LBB178_227
.LBB178_214:
	s_or_b32 exec_lo, exec_lo, s12
	s_and_b32 s17, s3, s8
	s_and_saveexec_b32 s12, s17
	s_cbranch_execnz .LBB178_231
.LBB178_215:
	s_or_b32 exec_lo, exec_lo, s12
	s_and_b32 s17, s4, s8
	s_and_saveexec_b32 s12, s17
	s_cbranch_execnz .LBB178_235
.LBB178_216:
	s_or_b32 exec_lo, exec_lo, s12
	s_and_b32 s17, s5, s8
	s_and_saveexec_b32 s12, s17
	s_cbranch_execnz .LBB178_239
.LBB178_217:
	s_or_b32 exec_lo, exec_lo, s12
	s_and_b32 s17, s6, s8
	s_and_saveexec_b32 s12, s17
	s_cbranch_execnz .LBB178_243
.LBB178_218:
	s_or_b32 exec_lo, exec_lo, s12
	s_and_b32 s12, s7, s8
	s_and_saveexec_b32 s8, s12
	s_cbranch_execnz .LBB178_247
	s_branch .LBB178_251
.LBB178_219:
	v_cmp_ne_u32_e32 vcc_lo, 1, v144
	s_cbranch_vccnz .LBB178_221
; %bb.220:
	v_lshlrev_b64 v[102:103], 3, v[0:1]
	v_add_co_u32 v102, vcc_lo, v100, v102
	v_add_co_ci_u32_e64 v103, null, v101, v103, vcc_lo
	global_load_dwordx2 v[102:103], v[102:103], off
	s_waitcnt vmcnt(0)
	v_mul_f64 v[102:103], s[10:11], v[102:103]
	v_cvt_f32_f64_e32 v102, v[102:103]
	s_branch .LBB178_222
.LBB178_221:
	v_mov_b32_e32 v102, 0
.LBB178_222:
	v_add_f64 v[103:104], v[70:71], v[94:95]
	v_add_f64 v[105:106], v[72:73], v[96:97]
	;; [unrolled: 1-line block ×4, first 2 shown]
	v_cvt_f32_f64_e32 v103, v[103:104]
	v_cvt_f32_f64_e32 v104, v[105:106]
	v_cvt_f32_f64_e32 v105, v[107:108]
	v_cvt_f32_f64_e32 v106, v[109:110]
	v_min3_f32 v103, v103, v104, v192
	v_min_f32_e32 v104, v105, v106
	v_min3_f32 v102, v102, v104, v103
	v_lshlrev_b64 v[104:105], 3, v[0:1]
	v_cvt_f64_f32_e32 v[102:103], v102
	v_add_co_u32 v104, vcc_lo, v98, v104
	v_add_co_ci_u32_e64 v105, null, v99, v105, vcc_lo
	global_store_dwordx2 v[104:105], v[102:103], off
	s_or_b32 exec_lo, exec_lo, s12
	s_and_b32 s17, s1, s8
	s_and_saveexec_b32 s12, s17
	s_cbranch_execz .LBB178_213
.LBB178_223:
	v_cmp_ne_u32_e32 vcc_lo, 1, v144
	s_cbranch_vccnz .LBB178_225
; %bb.224:
	v_lshlrev_b64 v[102:103], 3, v[130:131]
	v_add_co_u32 v102, vcc_lo, v100, v102
	v_add_co_ci_u32_e64 v103, null, v101, v103, vcc_lo
	global_load_dwordx2 v[102:103], v[102:103], off
	s_waitcnt vmcnt(0)
	v_mul_f64 v[102:103], s[10:11], v[102:103]
	v_cvt_f32_f64_e32 v102, v[102:103]
	s_branch .LBB178_226
.LBB178_225:
	v_mov_b32_e32 v102, 0
.LBB178_226:
	v_add_f64 v[103:104], v[62:63], v[94:95]
	v_add_f64 v[105:106], v[64:65], v[96:97]
	;; [unrolled: 1-line block ×4, first 2 shown]
	v_cvt_f32_f64_e32 v103, v[103:104]
	v_cvt_f32_f64_e32 v104, v[105:106]
	;; [unrolled: 1-line block ×4, first 2 shown]
	v_min3_f32 v103, v103, v104, v191
	v_min_f32_e32 v104, v105, v106
	v_min3_f32 v102, v102, v104, v103
	v_lshlrev_b64 v[104:105], 3, v[130:131]
	v_cvt_f64_f32_e32 v[102:103], v102
	v_add_co_u32 v104, vcc_lo, v98, v104
	v_add_co_ci_u32_e64 v105, null, v99, v105, vcc_lo
	global_store_dwordx2 v[104:105], v[102:103], off
	s_or_b32 exec_lo, exec_lo, s12
	s_and_b32 s17, s2, s8
	s_and_saveexec_b32 s12, s17
	s_cbranch_execz .LBB178_214
.LBB178_227:
	v_cmp_ne_u32_e32 vcc_lo, 1, v144
	s_cbranch_vccnz .LBB178_229
; %bb.228:
	v_lshlrev_b64 v[102:103], 3, v[132:133]
	v_add_co_u32 v102, vcc_lo, v100, v102
	v_add_co_ci_u32_e64 v103, null, v101, v103, vcc_lo
	global_load_dwordx2 v[102:103], v[102:103], off
	s_waitcnt vmcnt(0)
	v_mul_f64 v[102:103], s[10:11], v[102:103]
	v_cvt_f32_f64_e32 v102, v[102:103]
	s_branch .LBB178_230
.LBB178_229:
	v_mov_b32_e32 v102, 0
.LBB178_230:
	v_add_f64 v[103:104], v[54:55], v[94:95]
	v_add_f64 v[105:106], v[56:57], v[96:97]
	;; [unrolled: 1-line block ×4, first 2 shown]
	v_cvt_f32_f64_e32 v103, v[103:104]
	v_cvt_f32_f64_e32 v104, v[105:106]
	;; [unrolled: 1-line block ×4, first 2 shown]
	v_min3_f32 v103, v103, v104, v190
	v_min_f32_e32 v104, v105, v106
	v_min3_f32 v102, v102, v104, v103
	v_lshlrev_b64 v[104:105], 3, v[132:133]
	v_cvt_f64_f32_e32 v[102:103], v102
	v_add_co_u32 v104, vcc_lo, v98, v104
	v_add_co_ci_u32_e64 v105, null, v99, v105, vcc_lo
	global_store_dwordx2 v[104:105], v[102:103], off
	s_or_b32 exec_lo, exec_lo, s12
	s_and_b32 s17, s3, s8
	s_and_saveexec_b32 s12, s17
	s_cbranch_execz .LBB178_215
.LBB178_231:
	v_cmp_ne_u32_e32 vcc_lo, 1, v144
	s_cbranch_vccnz .LBB178_233
; %bb.232:
	v_lshlrev_b64 v[102:103], 3, v[134:135]
	v_add_co_u32 v102, vcc_lo, v100, v102
	v_add_co_ci_u32_e64 v103, null, v101, v103, vcc_lo
	global_load_dwordx2 v[102:103], v[102:103], off
	s_waitcnt vmcnt(0)
	v_mul_f64 v[102:103], s[10:11], v[102:103]
	v_cvt_f32_f64_e32 v102, v[102:103]
	s_branch .LBB178_234
.LBB178_233:
	v_mov_b32_e32 v102, 0
.LBB178_234:
	v_add_f64 v[103:104], v[46:47], v[94:95]
	v_add_f64 v[105:106], v[48:49], v[96:97]
	;; [unrolled: 1-line block ×4, first 2 shown]
	v_cvt_f32_f64_e32 v103, v[103:104]
	v_cvt_f32_f64_e32 v104, v[105:106]
	;; [unrolled: 1-line block ×4, first 2 shown]
	v_min3_f32 v103, v103, v104, v189
	v_min_f32_e32 v104, v105, v106
	v_min3_f32 v102, v102, v104, v103
	v_lshlrev_b64 v[104:105], 3, v[134:135]
	v_cvt_f64_f32_e32 v[102:103], v102
	v_add_co_u32 v104, vcc_lo, v98, v104
	v_add_co_ci_u32_e64 v105, null, v99, v105, vcc_lo
	global_store_dwordx2 v[104:105], v[102:103], off
	s_or_b32 exec_lo, exec_lo, s12
	s_and_b32 s17, s4, s8
	s_and_saveexec_b32 s12, s17
	s_cbranch_execz .LBB178_216
.LBB178_235:
	v_cmp_ne_u32_e32 vcc_lo, 1, v144
	s_cbranch_vccnz .LBB178_237
; %bb.236:
	v_lshlrev_b64 v[102:103], 3, v[136:137]
	v_add_co_u32 v102, vcc_lo, v100, v102
	v_add_co_ci_u32_e64 v103, null, v101, v103, vcc_lo
	global_load_dwordx2 v[102:103], v[102:103], off
	s_waitcnt vmcnt(0)
	v_mul_f64 v[102:103], s[10:11], v[102:103]
	v_cvt_f32_f64_e32 v102, v[102:103]
	s_branch .LBB178_238
.LBB178_237:
	v_mov_b32_e32 v102, 0
.LBB178_238:
	v_add_f64 v[103:104], v[38:39], v[94:95]
	v_add_f64 v[105:106], v[40:41], v[96:97]
	;; [unrolled: 1-line block ×4, first 2 shown]
	v_cvt_f32_f64_e32 v103, v[103:104]
	v_cvt_f32_f64_e32 v104, v[105:106]
	;; [unrolled: 1-line block ×4, first 2 shown]
	v_min3_f32 v103, v103, v104, v188
	v_min_f32_e32 v104, v105, v106
	v_min3_f32 v102, v102, v104, v103
	v_lshlrev_b64 v[104:105], 3, v[136:137]
	v_cvt_f64_f32_e32 v[102:103], v102
	v_add_co_u32 v104, vcc_lo, v98, v104
	v_add_co_ci_u32_e64 v105, null, v99, v105, vcc_lo
	global_store_dwordx2 v[104:105], v[102:103], off
	s_or_b32 exec_lo, exec_lo, s12
	s_and_b32 s17, s5, s8
	s_and_saveexec_b32 s12, s17
	s_cbranch_execz .LBB178_217
.LBB178_239:
	v_cmp_ne_u32_e32 vcc_lo, 1, v144
	s_cbranch_vccnz .LBB178_241
; %bb.240:
	v_lshlrev_b64 v[102:103], 3, v[138:139]
	v_add_co_u32 v102, vcc_lo, v100, v102
	v_add_co_ci_u32_e64 v103, null, v101, v103, vcc_lo
	global_load_dwordx2 v[102:103], v[102:103], off
	s_waitcnt vmcnt(0)
	v_mul_f64 v[102:103], s[10:11], v[102:103]
	v_cvt_f32_f64_e32 v102, v[102:103]
	s_branch .LBB178_242
.LBB178_241:
	v_mov_b32_e32 v102, 0
.LBB178_242:
	v_add_f64 v[103:104], v[30:31], v[94:95]
	v_add_f64 v[105:106], v[32:33], v[96:97]
	;; [unrolled: 1-line block ×4, first 2 shown]
	v_cvt_f32_f64_e32 v103, v[103:104]
	v_cvt_f32_f64_e32 v104, v[105:106]
	;; [unrolled: 1-line block ×4, first 2 shown]
	v_min3_f32 v103, v103, v104, v187
	v_min_f32_e32 v104, v105, v106
	v_min3_f32 v102, v102, v104, v103
	v_lshlrev_b64 v[104:105], 3, v[138:139]
	v_cvt_f64_f32_e32 v[102:103], v102
	v_add_co_u32 v104, vcc_lo, v98, v104
	v_add_co_ci_u32_e64 v105, null, v99, v105, vcc_lo
	global_store_dwordx2 v[104:105], v[102:103], off
	s_or_b32 exec_lo, exec_lo, s12
	s_and_b32 s17, s6, s8
	s_and_saveexec_b32 s12, s17
	s_cbranch_execz .LBB178_218
.LBB178_243:
	v_cmp_ne_u32_e32 vcc_lo, 1, v144
	s_cbranch_vccnz .LBB178_245
; %bb.244:
	v_lshlrev_b64 v[102:103], 3, v[140:141]
	v_add_co_u32 v102, vcc_lo, v100, v102
	v_add_co_ci_u32_e64 v103, null, v101, v103, vcc_lo
	global_load_dwordx2 v[102:103], v[102:103], off
	s_waitcnt vmcnt(0)
	v_mul_f64 v[102:103], s[10:11], v[102:103]
	v_cvt_f32_f64_e32 v102, v[102:103]
	s_branch .LBB178_246
.LBB178_245:
	v_mov_b32_e32 v102, 0
.LBB178_246:
	v_add_f64 v[103:104], v[22:23], v[94:95]
	v_add_f64 v[105:106], v[24:25], v[96:97]
	;; [unrolled: 1-line block ×4, first 2 shown]
	v_cvt_f32_f64_e32 v103, v[103:104]
	v_cvt_f32_f64_e32 v104, v[105:106]
	;; [unrolled: 1-line block ×4, first 2 shown]
	v_min3_f32 v103, v103, v104, v186
	v_min_f32_e32 v104, v105, v106
	v_min3_f32 v102, v102, v104, v103
	v_lshlrev_b64 v[104:105], 3, v[140:141]
	v_cvt_f64_f32_e32 v[102:103], v102
	v_add_co_u32 v104, vcc_lo, v98, v104
	v_add_co_ci_u32_e64 v105, null, v99, v105, vcc_lo
	global_store_dwordx2 v[104:105], v[102:103], off
	s_or_b32 exec_lo, exec_lo, s12
	s_and_b32 s12, s7, s8
	s_and_saveexec_b32 s8, s12
	s_cbranch_execz .LBB178_251
.LBB178_247:
	v_cmp_ne_u32_e32 vcc_lo, 1, v144
	s_cbranch_vccnz .LBB178_249
; %bb.248:
	v_lshlrev_b64 v[102:103], 3, v[142:143]
	v_add_co_u32 v100, vcc_lo, v100, v102
	v_add_co_ci_u32_e64 v101, null, v101, v103, vcc_lo
	global_load_dwordx2 v[100:101], v[100:101], off
	s_waitcnt vmcnt(0)
	v_mul_f64 v[100:101], s[10:11], v[100:101]
	v_cvt_f32_f64_e32 v100, v[100:101]
	s_branch .LBB178_250
.LBB178_249:
	v_mov_b32_e32 v100, 0
.LBB178_250:
	v_add_f64 v[94:95], v[6:7], v[94:95]
	v_add_f64 v[96:97], v[8:9], v[96:97]
	v_add_f64 v[90:91], v[2:3], v[90:91]
	v_add_f64 v[92:93], v[4:5], v[92:93]
	v_cvt_f32_f64_e32 v94, v[94:95]
	v_cvt_f32_f64_e32 v95, v[96:97]
	;; [unrolled: 1-line block ×4, first 2 shown]
	v_min3_f32 v92, v94, v95, v185
	v_min_f32_e32 v90, v90, v91
	v_min3_f32 v90, v100, v90, v92
	v_lshlrev_b64 v[92:93], 3, v[142:143]
	v_cvt_f64_f32_e32 v[90:91], v90
	v_add_co_u32 v92, vcc_lo, v98, v92
	v_add_co_ci_u32_e64 v93, null, v99, v93, vcc_lo
	global_store_dwordx2 v[92:93], v[90:91], off
.LBB178_251:
	s_or_b32 exec_lo, exec_lo, s8
	v_add_nc_u32_e32 v94, 0xa0, v145
	v_mad_i64_i32 v[90:91], null, v94, s14, 0
	v_mad_i64_i32 v[92:93], null, v94, s9, 0
	v_cmp_gt_i32_e64 s8, s13, v94
	v_lshlrev_b64 v[90:91], 3, v[90:91]
	s_and_b32 s17, s0, s8
	v_lshlrev_b64 v[94:95], 3, v[92:93]
	v_add_co_u32 v92, vcc_lo, s20, v90
	v_add_co_ci_u32_e64 v93, null, s21, v91, vcc_lo
	v_add_co_u32 v90, vcc_lo, s16, v94
	v_add_co_ci_u32_e64 v91, null, s15, v95, vcc_lo
	s_and_saveexec_b32 s12, s17
	s_cbranch_execnz .LBB178_259
; %bb.252:
	s_or_b32 exec_lo, exec_lo, s12
	s_and_b32 s17, s1, s8
	s_and_saveexec_b32 s12, s17
	s_cbranch_execnz .LBB178_263
.LBB178_253:
	s_or_b32 exec_lo, exec_lo, s12
	s_and_b32 s17, s2, s8
	s_and_saveexec_b32 s12, s17
	s_cbranch_execnz .LBB178_267
.LBB178_254:
	s_or_b32 exec_lo, exec_lo, s12
	s_and_b32 s17, s3, s8
	s_and_saveexec_b32 s12, s17
	s_cbranch_execnz .LBB178_271
.LBB178_255:
	s_or_b32 exec_lo, exec_lo, s12
	s_and_b32 s17, s4, s8
	s_and_saveexec_b32 s12, s17
	s_cbranch_execnz .LBB178_275
.LBB178_256:
	s_or_b32 exec_lo, exec_lo, s12
	s_and_b32 s17, s5, s8
	s_and_saveexec_b32 s12, s17
	s_cbranch_execnz .LBB178_279
.LBB178_257:
	s_or_b32 exec_lo, exec_lo, s12
	s_and_b32 s17, s6, s8
	s_and_saveexec_b32 s12, s17
	s_cbranch_execnz .LBB178_283
.LBB178_258:
	s_or_b32 exec_lo, exec_lo, s12
	s_and_b32 s12, s7, s8
	s_and_saveexec_b32 s8, s12
	s_cbranch_execnz .LBB178_287
	s_branch .LBB178_291
.LBB178_259:
	v_cmp_ne_u32_e32 vcc_lo, 1, v144
	s_cbranch_vccnz .LBB178_261
; %bb.260:
	v_lshlrev_b64 v[94:95], 3, v[0:1]
	v_add_co_u32 v94, vcc_lo, v92, v94
	v_add_co_ci_u32_e64 v95, null, v93, v95, vcc_lo
	global_load_dwordx2 v[94:95], v[94:95], off
	s_waitcnt vmcnt(0)
	v_mul_f64 v[94:95], s[10:11], v[94:95]
	v_cvt_f32_f64_e32 v94, v[94:95]
	s_branch .LBB178_262
.LBB178_261:
	v_mov_b32_e32 v94, 0
.LBB178_262:
	v_add_f64 v[95:96], v[70:71], v[86:87]
	v_add_f64 v[97:98], v[72:73], v[88:89]
	;; [unrolled: 1-line block ×4, first 2 shown]
	v_cvt_f32_f64_e32 v95, v[95:96]
	v_cvt_f32_f64_e32 v96, v[97:98]
	;; [unrolled: 1-line block ×4, first 2 shown]
	v_min3_f32 v95, v95, v96, v184
	v_min_f32_e32 v96, v97, v98
	v_min3_f32 v94, v94, v96, v95
	v_lshlrev_b64 v[96:97], 3, v[0:1]
	v_cvt_f64_f32_e32 v[94:95], v94
	v_add_co_u32 v96, vcc_lo, v90, v96
	v_add_co_ci_u32_e64 v97, null, v91, v97, vcc_lo
	global_store_dwordx2 v[96:97], v[94:95], off
	s_or_b32 exec_lo, exec_lo, s12
	s_and_b32 s17, s1, s8
	s_and_saveexec_b32 s12, s17
	s_cbranch_execz .LBB178_253
.LBB178_263:
	v_cmp_ne_u32_e32 vcc_lo, 1, v144
	s_cbranch_vccnz .LBB178_265
; %bb.264:
	v_lshlrev_b64 v[94:95], 3, v[130:131]
	v_add_co_u32 v94, vcc_lo, v92, v94
	v_add_co_ci_u32_e64 v95, null, v93, v95, vcc_lo
	global_load_dwordx2 v[94:95], v[94:95], off
	s_waitcnt vmcnt(0)
	v_mul_f64 v[94:95], s[10:11], v[94:95]
	v_cvt_f32_f64_e32 v94, v[94:95]
	s_branch .LBB178_266
.LBB178_265:
	v_mov_b32_e32 v94, 0
.LBB178_266:
	v_add_f64 v[95:96], v[62:63], v[86:87]
	v_add_f64 v[97:98], v[64:65], v[88:89]
	;; [unrolled: 1-line block ×4, first 2 shown]
	v_cvt_f32_f64_e32 v95, v[95:96]
	v_cvt_f32_f64_e32 v96, v[97:98]
	;; [unrolled: 1-line block ×4, first 2 shown]
	v_min3_f32 v95, v95, v96, v181
	v_min_f32_e32 v96, v97, v98
	v_min3_f32 v94, v94, v96, v95
	v_lshlrev_b64 v[96:97], 3, v[130:131]
	v_cvt_f64_f32_e32 v[94:95], v94
	v_add_co_u32 v96, vcc_lo, v90, v96
	v_add_co_ci_u32_e64 v97, null, v91, v97, vcc_lo
	global_store_dwordx2 v[96:97], v[94:95], off
	s_or_b32 exec_lo, exec_lo, s12
	s_and_b32 s17, s2, s8
	s_and_saveexec_b32 s12, s17
	s_cbranch_execz .LBB178_254
.LBB178_267:
	v_cmp_ne_u32_e32 vcc_lo, 1, v144
	s_cbranch_vccnz .LBB178_269
; %bb.268:
	v_lshlrev_b64 v[94:95], 3, v[132:133]
	v_add_co_u32 v94, vcc_lo, v92, v94
	v_add_co_ci_u32_e64 v95, null, v93, v95, vcc_lo
	global_load_dwordx2 v[94:95], v[94:95], off
	s_waitcnt vmcnt(0)
	v_mul_f64 v[94:95], s[10:11], v[94:95]
	v_cvt_f32_f64_e32 v94, v[94:95]
	s_branch .LBB178_270
.LBB178_269:
	v_mov_b32_e32 v94, 0
.LBB178_270:
	v_add_f64 v[95:96], v[54:55], v[86:87]
	v_add_f64 v[97:98], v[56:57], v[88:89]
	;; [unrolled: 1-line block ×4, first 2 shown]
	v_cvt_f32_f64_e32 v95, v[95:96]
	v_cvt_f32_f64_e32 v96, v[97:98]
	;; [unrolled: 1-line block ×4, first 2 shown]
	v_min3_f32 v95, v95, v96, v174
	v_min_f32_e32 v96, v97, v98
	v_min3_f32 v94, v94, v96, v95
	v_lshlrev_b64 v[96:97], 3, v[132:133]
	v_cvt_f64_f32_e32 v[94:95], v94
	v_add_co_u32 v96, vcc_lo, v90, v96
	v_add_co_ci_u32_e64 v97, null, v91, v97, vcc_lo
	global_store_dwordx2 v[96:97], v[94:95], off
	s_or_b32 exec_lo, exec_lo, s12
	s_and_b32 s17, s3, s8
	s_and_saveexec_b32 s12, s17
	s_cbranch_execz .LBB178_255
.LBB178_271:
	v_cmp_ne_u32_e32 vcc_lo, 1, v144
	s_cbranch_vccnz .LBB178_273
; %bb.272:
	v_lshlrev_b64 v[94:95], 3, v[134:135]
	v_add_co_u32 v94, vcc_lo, v92, v94
	v_add_co_ci_u32_e64 v95, null, v93, v95, vcc_lo
	global_load_dwordx2 v[94:95], v[94:95], off
	s_waitcnt vmcnt(0)
	v_mul_f64 v[94:95], s[10:11], v[94:95]
	v_cvt_f32_f64_e32 v94, v[94:95]
	s_branch .LBB178_274
.LBB178_273:
	v_mov_b32_e32 v94, 0
.LBB178_274:
	v_add_f64 v[95:96], v[46:47], v[86:87]
	v_add_f64 v[97:98], v[48:49], v[88:89]
	;; [unrolled: 1-line block ×4, first 2 shown]
	v_cvt_f32_f64_e32 v95, v[95:96]
	v_cvt_f32_f64_e32 v96, v[97:98]
	;; [unrolled: 1-line block ×4, first 2 shown]
	v_min3_f32 v95, v95, v96, v173
	v_min_f32_e32 v96, v97, v98
	v_min3_f32 v94, v94, v96, v95
	v_lshlrev_b64 v[96:97], 3, v[134:135]
	v_cvt_f64_f32_e32 v[94:95], v94
	v_add_co_u32 v96, vcc_lo, v90, v96
	v_add_co_ci_u32_e64 v97, null, v91, v97, vcc_lo
	global_store_dwordx2 v[96:97], v[94:95], off
	s_or_b32 exec_lo, exec_lo, s12
	s_and_b32 s17, s4, s8
	s_and_saveexec_b32 s12, s17
	s_cbranch_execz .LBB178_256
.LBB178_275:
	v_cmp_ne_u32_e32 vcc_lo, 1, v144
	s_cbranch_vccnz .LBB178_277
; %bb.276:
	v_lshlrev_b64 v[94:95], 3, v[136:137]
	v_add_co_u32 v94, vcc_lo, v92, v94
	v_add_co_ci_u32_e64 v95, null, v93, v95, vcc_lo
	global_load_dwordx2 v[94:95], v[94:95], off
	s_waitcnt vmcnt(0)
	v_mul_f64 v[94:95], s[10:11], v[94:95]
	v_cvt_f32_f64_e32 v94, v[94:95]
	s_branch .LBB178_278
.LBB178_277:
	v_mov_b32_e32 v94, 0
.LBB178_278:
	v_add_f64 v[95:96], v[38:39], v[86:87]
	v_add_f64 v[97:98], v[40:41], v[88:89]
	;; [unrolled: 1-line block ×4, first 2 shown]
	v_cvt_f32_f64_e32 v95, v[95:96]
	v_cvt_f32_f64_e32 v96, v[97:98]
	;; [unrolled: 1-line block ×4, first 2 shown]
	v_min3_f32 v95, v95, v96, v172
	v_min_f32_e32 v96, v97, v98
	v_min3_f32 v94, v94, v96, v95
	v_lshlrev_b64 v[96:97], 3, v[136:137]
	v_cvt_f64_f32_e32 v[94:95], v94
	v_add_co_u32 v96, vcc_lo, v90, v96
	v_add_co_ci_u32_e64 v97, null, v91, v97, vcc_lo
	global_store_dwordx2 v[96:97], v[94:95], off
	s_or_b32 exec_lo, exec_lo, s12
	s_and_b32 s17, s5, s8
	s_and_saveexec_b32 s12, s17
	s_cbranch_execz .LBB178_257
.LBB178_279:
	v_cmp_ne_u32_e32 vcc_lo, 1, v144
	s_cbranch_vccnz .LBB178_281
; %bb.280:
	v_lshlrev_b64 v[94:95], 3, v[138:139]
	v_add_co_u32 v94, vcc_lo, v92, v94
	v_add_co_ci_u32_e64 v95, null, v93, v95, vcc_lo
	global_load_dwordx2 v[94:95], v[94:95], off
	s_waitcnt vmcnt(0)
	v_mul_f64 v[94:95], s[10:11], v[94:95]
	v_cvt_f32_f64_e32 v94, v[94:95]
	s_branch .LBB178_282
.LBB178_281:
	v_mov_b32_e32 v94, 0
.LBB178_282:
	v_add_f64 v[95:96], v[30:31], v[86:87]
	v_add_f64 v[97:98], v[32:33], v[88:89]
	;; [unrolled: 1-line block ×4, first 2 shown]
	v_cvt_f32_f64_e32 v95, v[95:96]
	v_cvt_f32_f64_e32 v96, v[97:98]
	;; [unrolled: 1-line block ×4, first 2 shown]
	v_min3_f32 v95, v95, v96, v171
	v_min_f32_e32 v96, v97, v98
	v_min3_f32 v94, v94, v96, v95
	v_lshlrev_b64 v[96:97], 3, v[138:139]
	v_cvt_f64_f32_e32 v[94:95], v94
	v_add_co_u32 v96, vcc_lo, v90, v96
	v_add_co_ci_u32_e64 v97, null, v91, v97, vcc_lo
	global_store_dwordx2 v[96:97], v[94:95], off
	s_or_b32 exec_lo, exec_lo, s12
	s_and_b32 s17, s6, s8
	s_and_saveexec_b32 s12, s17
	s_cbranch_execz .LBB178_258
.LBB178_283:
	v_cmp_ne_u32_e32 vcc_lo, 1, v144
	s_cbranch_vccnz .LBB178_285
; %bb.284:
	v_lshlrev_b64 v[94:95], 3, v[140:141]
	v_add_co_u32 v94, vcc_lo, v92, v94
	v_add_co_ci_u32_e64 v95, null, v93, v95, vcc_lo
	global_load_dwordx2 v[94:95], v[94:95], off
	s_waitcnt vmcnt(0)
	v_mul_f64 v[94:95], s[10:11], v[94:95]
	v_cvt_f32_f64_e32 v94, v[94:95]
	s_branch .LBB178_286
.LBB178_285:
	v_mov_b32_e32 v94, 0
.LBB178_286:
	v_add_f64 v[95:96], v[22:23], v[86:87]
	v_add_f64 v[97:98], v[24:25], v[88:89]
	;; [unrolled: 1-line block ×4, first 2 shown]
	v_cvt_f32_f64_e32 v95, v[95:96]
	v_cvt_f32_f64_e32 v96, v[97:98]
	;; [unrolled: 1-line block ×4, first 2 shown]
	v_min3_f32 v95, v95, v96, v170
	v_min_f32_e32 v96, v97, v98
	v_min3_f32 v94, v94, v96, v95
	v_lshlrev_b64 v[96:97], 3, v[140:141]
	v_cvt_f64_f32_e32 v[94:95], v94
	v_add_co_u32 v96, vcc_lo, v90, v96
	v_add_co_ci_u32_e64 v97, null, v91, v97, vcc_lo
	global_store_dwordx2 v[96:97], v[94:95], off
	s_or_b32 exec_lo, exec_lo, s12
	s_and_b32 s12, s7, s8
	s_and_saveexec_b32 s8, s12
	s_cbranch_execz .LBB178_291
.LBB178_287:
	v_cmp_ne_u32_e32 vcc_lo, 1, v144
	s_cbranch_vccnz .LBB178_289
; %bb.288:
	v_lshlrev_b64 v[94:95], 3, v[142:143]
	v_add_co_u32 v92, vcc_lo, v92, v94
	v_add_co_ci_u32_e64 v93, null, v93, v95, vcc_lo
	global_load_dwordx2 v[92:93], v[92:93], off
	s_waitcnt vmcnt(0)
	v_mul_f64 v[92:93], s[10:11], v[92:93]
	v_cvt_f32_f64_e32 v92, v[92:93]
	s_branch .LBB178_290
.LBB178_289:
	v_mov_b32_e32 v92, 0
.LBB178_290:
	v_add_f64 v[86:87], v[6:7], v[86:87]
	v_add_f64 v[88:89], v[8:9], v[88:89]
	;; [unrolled: 1-line block ×4, first 2 shown]
	v_cvt_f32_f64_e32 v86, v[86:87]
	v_cvt_f32_f64_e32 v87, v[88:89]
	;; [unrolled: 1-line block ×4, first 2 shown]
	v_min3_f32 v84, v86, v87, v169
	v_min_f32_e32 v82, v82, v83
	v_min3_f32 v82, v92, v82, v84
	v_lshlrev_b64 v[84:85], 3, v[142:143]
	v_cvt_f64_f32_e32 v[82:83], v82
	v_add_co_u32 v84, vcc_lo, v90, v84
	v_add_co_ci_u32_e64 v85, null, v91, v85, vcc_lo
	global_store_dwordx2 v[84:85], v[82:83], off
.LBB178_291:
	s_or_b32 exec_lo, exec_lo, s8
	v_add_nc_u32_e32 v86, 0xc0, v145
	v_mad_i64_i32 v[82:83], null, v86, s14, 0
	v_mad_i64_i32 v[84:85], null, v86, s9, 0
	v_cmp_gt_i32_e64 s8, s13, v86
	v_lshlrev_b64 v[82:83], 3, v[82:83]
	s_and_b32 s17, s0, s8
	v_lshlrev_b64 v[86:87], 3, v[84:85]
	v_add_co_u32 v84, vcc_lo, s20, v82
	v_add_co_ci_u32_e64 v85, null, s21, v83, vcc_lo
	v_add_co_u32 v82, vcc_lo, s16, v86
	v_add_co_ci_u32_e64 v83, null, s15, v87, vcc_lo
	s_and_saveexec_b32 s12, s17
	s_cbranch_execnz .LBB178_299
; %bb.292:
	s_or_b32 exec_lo, exec_lo, s12
	s_and_b32 s17, s1, s8
	s_and_saveexec_b32 s12, s17
	s_cbranch_execnz .LBB178_303
.LBB178_293:
	s_or_b32 exec_lo, exec_lo, s12
	s_and_b32 s17, s2, s8
	s_and_saveexec_b32 s12, s17
	s_cbranch_execnz .LBB178_307
.LBB178_294:
	s_or_b32 exec_lo, exec_lo, s12
	s_and_b32 s17, s3, s8
	s_and_saveexec_b32 s12, s17
	s_cbranch_execnz .LBB178_311
.LBB178_295:
	s_or_b32 exec_lo, exec_lo, s12
	s_and_b32 s17, s4, s8
	s_and_saveexec_b32 s12, s17
	s_cbranch_execnz .LBB178_315
.LBB178_296:
	s_or_b32 exec_lo, exec_lo, s12
	s_and_b32 s17, s5, s8
	s_and_saveexec_b32 s12, s17
	s_cbranch_execnz .LBB178_319
.LBB178_297:
	s_or_b32 exec_lo, exec_lo, s12
	s_and_b32 s17, s6, s8
	s_and_saveexec_b32 s12, s17
	s_cbranch_execnz .LBB178_323
.LBB178_298:
	s_or_b32 exec_lo, exec_lo, s12
	s_and_b32 s12, s7, s8
	s_and_saveexec_b32 s8, s12
	s_cbranch_execnz .LBB178_327
	s_branch .LBB178_331
.LBB178_299:
	v_cmp_ne_u32_e32 vcc_lo, 1, v144
	s_cbranch_vccnz .LBB178_301
; %bb.300:
	v_lshlrev_b64 v[86:87], 3, v[0:1]
	v_add_co_u32 v86, vcc_lo, v84, v86
	v_add_co_ci_u32_e64 v87, null, v85, v87, vcc_lo
	global_load_dwordx2 v[86:87], v[86:87], off
	s_waitcnt vmcnt(0)
	v_mul_f64 v[86:87], s[10:11], v[86:87]
	v_cvt_f32_f64_e32 v86, v[86:87]
	s_branch .LBB178_302
.LBB178_301:
	v_mov_b32_e32 v86, 0
.LBB178_302:
	v_add_f64 v[87:88], v[70:71], v[78:79]
	v_add_f64 v[89:90], v[72:73], v[80:81]
	;; [unrolled: 1-line block ×4, first 2 shown]
	v_cvt_f32_f64_e32 v87, v[87:88]
	v_cvt_f32_f64_e32 v88, v[89:90]
	;; [unrolled: 1-line block ×4, first 2 shown]
	v_min3_f32 v87, v87, v88, v168
	v_min_f32_e32 v88, v89, v90
	v_min3_f32 v86, v86, v88, v87
	v_lshlrev_b64 v[88:89], 3, v[0:1]
	v_cvt_f64_f32_e32 v[86:87], v86
	v_add_co_u32 v88, vcc_lo, v82, v88
	v_add_co_ci_u32_e64 v89, null, v83, v89, vcc_lo
	global_store_dwordx2 v[88:89], v[86:87], off
	s_or_b32 exec_lo, exec_lo, s12
	s_and_b32 s17, s1, s8
	s_and_saveexec_b32 s12, s17
	s_cbranch_execz .LBB178_293
.LBB178_303:
	v_cmp_ne_u32_e32 vcc_lo, 1, v144
	s_cbranch_vccnz .LBB178_305
; %bb.304:
	v_lshlrev_b64 v[86:87], 3, v[130:131]
	v_add_co_u32 v86, vcc_lo, v84, v86
	v_add_co_ci_u32_e64 v87, null, v85, v87, vcc_lo
	global_load_dwordx2 v[86:87], v[86:87], off
	s_waitcnt vmcnt(0)
	v_mul_f64 v[86:87], s[10:11], v[86:87]
	v_cvt_f32_f64_e32 v86, v[86:87]
	s_branch .LBB178_306
.LBB178_305:
	v_mov_b32_e32 v86, 0
.LBB178_306:
	v_add_f64 v[87:88], v[62:63], v[78:79]
	v_add_f64 v[89:90], v[64:65], v[80:81]
	;; [unrolled: 1-line block ×4, first 2 shown]
	v_cvt_f32_f64_e32 v87, v[87:88]
	v_cvt_f32_f64_e32 v88, v[89:90]
	;; [unrolled: 1-line block ×4, first 2 shown]
	v_min3_f32 v87, v87, v88, v167
	v_min_f32_e32 v88, v89, v90
	v_min3_f32 v86, v86, v88, v87
	v_lshlrev_b64 v[88:89], 3, v[130:131]
	v_cvt_f64_f32_e32 v[86:87], v86
	v_add_co_u32 v88, vcc_lo, v82, v88
	v_add_co_ci_u32_e64 v89, null, v83, v89, vcc_lo
	global_store_dwordx2 v[88:89], v[86:87], off
	s_or_b32 exec_lo, exec_lo, s12
	s_and_b32 s17, s2, s8
	s_and_saveexec_b32 s12, s17
	s_cbranch_execz .LBB178_294
.LBB178_307:
	v_cmp_ne_u32_e32 vcc_lo, 1, v144
	s_cbranch_vccnz .LBB178_309
; %bb.308:
	v_lshlrev_b64 v[86:87], 3, v[132:133]
	v_add_co_u32 v86, vcc_lo, v84, v86
	v_add_co_ci_u32_e64 v87, null, v85, v87, vcc_lo
	global_load_dwordx2 v[86:87], v[86:87], off
	s_waitcnt vmcnt(0)
	v_mul_f64 v[86:87], s[10:11], v[86:87]
	v_cvt_f32_f64_e32 v86, v[86:87]
	s_branch .LBB178_310
.LBB178_309:
	v_mov_b32_e32 v86, 0
.LBB178_310:
	v_add_f64 v[87:88], v[54:55], v[78:79]
	v_add_f64 v[89:90], v[56:57], v[80:81]
	;; [unrolled: 1-line block ×4, first 2 shown]
	v_cvt_f32_f64_e32 v87, v[87:88]
	v_cvt_f32_f64_e32 v88, v[89:90]
	;; [unrolled: 1-line block ×4, first 2 shown]
	v_min3_f32 v87, v87, v88, v166
	v_min_f32_e32 v88, v89, v90
	v_min3_f32 v86, v86, v88, v87
	v_lshlrev_b64 v[88:89], 3, v[132:133]
	v_cvt_f64_f32_e32 v[86:87], v86
	v_add_co_u32 v88, vcc_lo, v82, v88
	v_add_co_ci_u32_e64 v89, null, v83, v89, vcc_lo
	global_store_dwordx2 v[88:89], v[86:87], off
	s_or_b32 exec_lo, exec_lo, s12
	s_and_b32 s17, s3, s8
	s_and_saveexec_b32 s12, s17
	s_cbranch_execz .LBB178_295
.LBB178_311:
	v_cmp_ne_u32_e32 vcc_lo, 1, v144
	s_cbranch_vccnz .LBB178_313
; %bb.312:
	v_lshlrev_b64 v[86:87], 3, v[134:135]
	v_add_co_u32 v86, vcc_lo, v84, v86
	v_add_co_ci_u32_e64 v87, null, v85, v87, vcc_lo
	global_load_dwordx2 v[86:87], v[86:87], off
	s_waitcnt vmcnt(0)
	v_mul_f64 v[86:87], s[10:11], v[86:87]
	v_cvt_f32_f64_e32 v86, v[86:87]
	s_branch .LBB178_314
.LBB178_313:
	v_mov_b32_e32 v86, 0
.LBB178_314:
	v_add_f64 v[87:88], v[46:47], v[78:79]
	v_add_f64 v[89:90], v[48:49], v[80:81]
	;; [unrolled: 1-line block ×4, first 2 shown]
	v_cvt_f32_f64_e32 v87, v[87:88]
	v_cvt_f32_f64_e32 v88, v[89:90]
	;; [unrolled: 1-line block ×4, first 2 shown]
	v_min3_f32 v87, v87, v88, v165
	v_min_f32_e32 v88, v89, v90
	v_min3_f32 v86, v86, v88, v87
	v_lshlrev_b64 v[88:89], 3, v[134:135]
	v_cvt_f64_f32_e32 v[86:87], v86
	v_add_co_u32 v88, vcc_lo, v82, v88
	v_add_co_ci_u32_e64 v89, null, v83, v89, vcc_lo
	global_store_dwordx2 v[88:89], v[86:87], off
	s_or_b32 exec_lo, exec_lo, s12
	s_and_b32 s17, s4, s8
	s_and_saveexec_b32 s12, s17
	s_cbranch_execz .LBB178_296
.LBB178_315:
	v_cmp_ne_u32_e32 vcc_lo, 1, v144
	s_cbranch_vccnz .LBB178_317
; %bb.316:
	v_lshlrev_b64 v[86:87], 3, v[136:137]
	v_add_co_u32 v86, vcc_lo, v84, v86
	v_add_co_ci_u32_e64 v87, null, v85, v87, vcc_lo
	global_load_dwordx2 v[86:87], v[86:87], off
	s_waitcnt vmcnt(0)
	v_mul_f64 v[86:87], s[10:11], v[86:87]
	v_cvt_f32_f64_e32 v86, v[86:87]
	s_branch .LBB178_318
.LBB178_317:
	v_mov_b32_e32 v86, 0
.LBB178_318:
	v_add_f64 v[87:88], v[38:39], v[78:79]
	v_add_f64 v[89:90], v[40:41], v[80:81]
	;; [unrolled: 1-line block ×4, first 2 shown]
	v_cvt_f32_f64_e32 v87, v[87:88]
	v_cvt_f32_f64_e32 v88, v[89:90]
	v_cvt_f32_f64_e32 v89, v[91:92]
	v_cvt_f32_f64_e32 v90, v[93:94]
	v_min3_f32 v87, v87, v88, v164
	v_min_f32_e32 v88, v89, v90
	v_min3_f32 v86, v86, v88, v87
	v_lshlrev_b64 v[88:89], 3, v[136:137]
	v_cvt_f64_f32_e32 v[86:87], v86
	v_add_co_u32 v88, vcc_lo, v82, v88
	v_add_co_ci_u32_e64 v89, null, v83, v89, vcc_lo
	global_store_dwordx2 v[88:89], v[86:87], off
	s_or_b32 exec_lo, exec_lo, s12
	s_and_b32 s17, s5, s8
	s_and_saveexec_b32 s12, s17
	s_cbranch_execz .LBB178_297
.LBB178_319:
	v_cmp_ne_u32_e32 vcc_lo, 1, v144
	s_cbranch_vccnz .LBB178_321
; %bb.320:
	v_lshlrev_b64 v[86:87], 3, v[138:139]
	v_add_co_u32 v86, vcc_lo, v84, v86
	v_add_co_ci_u32_e64 v87, null, v85, v87, vcc_lo
	global_load_dwordx2 v[86:87], v[86:87], off
	s_waitcnt vmcnt(0)
	v_mul_f64 v[86:87], s[10:11], v[86:87]
	v_cvt_f32_f64_e32 v86, v[86:87]
	s_branch .LBB178_322
.LBB178_321:
	v_mov_b32_e32 v86, 0
.LBB178_322:
	v_add_f64 v[87:88], v[30:31], v[78:79]
	v_add_f64 v[89:90], v[32:33], v[80:81]
	;; [unrolled: 1-line block ×4, first 2 shown]
	v_cvt_f32_f64_e32 v87, v[87:88]
	v_cvt_f32_f64_e32 v88, v[89:90]
	;; [unrolled: 1-line block ×4, first 2 shown]
	v_min3_f32 v87, v87, v88, v163
	v_min_f32_e32 v88, v89, v90
	v_min3_f32 v86, v86, v88, v87
	v_lshlrev_b64 v[88:89], 3, v[138:139]
	v_cvt_f64_f32_e32 v[86:87], v86
	v_add_co_u32 v88, vcc_lo, v82, v88
	v_add_co_ci_u32_e64 v89, null, v83, v89, vcc_lo
	global_store_dwordx2 v[88:89], v[86:87], off
	s_or_b32 exec_lo, exec_lo, s12
	s_and_b32 s17, s6, s8
	s_and_saveexec_b32 s12, s17
	s_cbranch_execz .LBB178_298
.LBB178_323:
	v_cmp_ne_u32_e32 vcc_lo, 1, v144
	s_cbranch_vccnz .LBB178_325
; %bb.324:
	v_lshlrev_b64 v[86:87], 3, v[140:141]
	v_add_co_u32 v86, vcc_lo, v84, v86
	v_add_co_ci_u32_e64 v87, null, v85, v87, vcc_lo
	global_load_dwordx2 v[86:87], v[86:87], off
	s_waitcnt vmcnt(0)
	v_mul_f64 v[86:87], s[10:11], v[86:87]
	v_cvt_f32_f64_e32 v86, v[86:87]
	s_branch .LBB178_326
.LBB178_325:
	v_mov_b32_e32 v86, 0
.LBB178_326:
	v_add_f64 v[87:88], v[22:23], v[78:79]
	v_add_f64 v[89:90], v[24:25], v[80:81]
	v_add_f64 v[91:92], v[18:19], v[74:75]
	v_add_f64 v[93:94], v[20:21], v[76:77]
	v_cvt_f32_f64_e32 v87, v[87:88]
	v_cvt_f32_f64_e32 v88, v[89:90]
	;; [unrolled: 1-line block ×4, first 2 shown]
	v_min3_f32 v87, v87, v88, v162
	v_min_f32_e32 v88, v89, v90
	v_min3_f32 v86, v86, v88, v87
	v_lshlrev_b64 v[88:89], 3, v[140:141]
	v_cvt_f64_f32_e32 v[86:87], v86
	v_add_co_u32 v88, vcc_lo, v82, v88
	v_add_co_ci_u32_e64 v89, null, v83, v89, vcc_lo
	global_store_dwordx2 v[88:89], v[86:87], off
	s_or_b32 exec_lo, exec_lo, s12
	s_and_b32 s12, s7, s8
	s_and_saveexec_b32 s8, s12
	s_cbranch_execz .LBB178_331
.LBB178_327:
	v_cmp_ne_u32_e32 vcc_lo, 1, v144
	s_cbranch_vccnz .LBB178_329
; %bb.328:
	v_lshlrev_b64 v[86:87], 3, v[142:143]
	v_add_co_u32 v84, vcc_lo, v84, v86
	v_add_co_ci_u32_e64 v85, null, v85, v87, vcc_lo
	global_load_dwordx2 v[84:85], v[84:85], off
	s_waitcnt vmcnt(0)
	v_mul_f64 v[84:85], s[10:11], v[84:85]
	v_cvt_f32_f64_e32 v84, v[84:85]
	s_branch .LBB178_330
.LBB178_329:
	v_mov_b32_e32 v84, 0
.LBB178_330:
	v_add_f64 v[78:79], v[6:7], v[78:79]
	v_add_f64 v[80:81], v[8:9], v[80:81]
	;; [unrolled: 1-line block ×4, first 2 shown]
	v_cvt_f32_f64_e32 v78, v[78:79]
	v_cvt_f32_f64_e32 v79, v[80:81]
	v_cvt_f32_f64_e32 v74, v[74:75]
	v_cvt_f32_f64_e32 v75, v[76:77]
	v_min3_f32 v76, v78, v79, v161
	v_min_f32_e32 v74, v74, v75
	v_min3_f32 v74, v84, v74, v76
	v_lshlrev_b64 v[76:77], 3, v[142:143]
	v_cvt_f64_f32_e32 v[74:75], v74
	v_add_co_u32 v76, vcc_lo, v82, v76
	v_add_co_ci_u32_e64 v77, null, v83, v77, vcc_lo
	global_store_dwordx2 v[76:77], v[74:75], off
.LBB178_331:
	s_or_b32 exec_lo, exec_lo, s8
	v_add_nc_u32_e32 v78, 0xe0, v145
	v_mad_i64_i32 v[74:75], null, v78, s14, 0
	v_mad_i64_i32 v[76:77], null, v78, s9, 0
	v_cmp_gt_i32_e64 s8, s13, v78
	v_lshlrev_b64 v[74:75], 3, v[74:75]
	s_and_b32 s9, s0, s8
	v_lshlrev_b64 v[78:79], 3, v[76:77]
	v_add_co_u32 v76, vcc_lo, s20, v74
	v_add_co_ci_u32_e64 v77, null, s21, v75, vcc_lo
	v_add_co_u32 v74, vcc_lo, s16, v78
	v_add_co_ci_u32_e64 v75, null, s15, v79, vcc_lo
	s_and_saveexec_b32 s0, s9
	s_cbranch_execnz .LBB178_340
; %bb.332:
	s_or_b32 exec_lo, exec_lo, s0
	s_and_b32 s1, s1, s8
	s_and_saveexec_b32 s0, s1
	s_cbranch_execnz .LBB178_344
.LBB178_333:
	s_or_b32 exec_lo, exec_lo, s0
	s_and_b32 s1, s2, s8
	s_and_saveexec_b32 s0, s1
	s_cbranch_execnz .LBB178_348
.LBB178_334:
	s_or_b32 exec_lo, exec_lo, s0
	s_and_b32 s1, s3, s8
	s_and_saveexec_b32 s0, s1
	s_cbranch_execnz .LBB178_352
.LBB178_335:
	s_or_b32 exec_lo, exec_lo, s0
	s_and_b32 s1, s4, s8
	s_and_saveexec_b32 s0, s1
	s_cbranch_execnz .LBB178_356
.LBB178_336:
	s_or_b32 exec_lo, exec_lo, s0
	s_and_b32 s1, s5, s8
	s_and_saveexec_b32 s0, s1
	s_cbranch_execnz .LBB178_360
.LBB178_337:
	s_or_b32 exec_lo, exec_lo, s0
	s_and_b32 s1, s6, s8
	s_and_saveexec_b32 s0, s1
	s_cbranch_execnz .LBB178_364
.LBB178_338:
	s_or_b32 exec_lo, exec_lo, s0
	s_and_b32 s0, s7, s8
	s_and_saveexec_b32 s1, s0
	s_cbranch_execnz .LBB178_368
.LBB178_339:
	s_endpgm
.LBB178_340:
	v_cmp_ne_u32_e32 vcc_lo, 1, v144
	v_lshlrev_b64 v[0:1], 3, v[0:1]
	s_cbranch_vccnz .LBB178_342
; %bb.341:
	v_add_co_u32 v78, vcc_lo, v76, v0
	v_add_co_ci_u32_e64 v79, null, v77, v1, vcc_lo
	global_load_dwordx2 v[78:79], v[78:79], off
	s_waitcnt vmcnt(0)
	v_mul_f64 v[78:79], s[10:11], v[78:79]
	v_cvt_f32_f64_e32 v78, v[78:79]
	s_branch .LBB178_343
.LBB178_342:
	v_mov_b32_e32 v78, 0
.LBB178_343:
	v_add_f64 v[70:71], v[70:71], v[14:15]
	v_add_f64 v[72:73], v[72:73], v[16:17]
	;; [unrolled: 1-line block ×4, first 2 shown]
	v_add_co_u32 v0, vcc_lo, v74, v0
	v_add_co_ci_u32_e64 v1, null, v75, v1, vcc_lo
	v_cvt_f32_f64_e32 v70, v[70:71]
	v_cvt_f32_f64_e32 v71, v[72:73]
	v_cvt_f32_f64_e32 v66, v[66:67]
	v_cvt_f32_f64_e32 v67, v[68:69]
	v_min3_f32 v68, v70, v71, v160
	v_min_f32_e32 v66, v66, v67
	v_min3_f32 v66, v78, v66, v68
	v_cvt_f64_f32_e32 v[66:67], v66
	global_store_dwordx2 v[0:1], v[66:67], off
	s_or_b32 exec_lo, exec_lo, s0
	s_and_b32 s1, s1, s8
	s_and_saveexec_b32 s0, s1
	s_cbranch_execz .LBB178_333
.LBB178_344:
	v_cmp_ne_u32_e32 vcc_lo, 1, v144
	v_lshlrev_b64 v[0:1], 3, v[130:131]
	s_cbranch_vccnz .LBB178_346
; %bb.345:
	v_add_co_u32 v66, vcc_lo, v76, v0
	v_add_co_ci_u32_e64 v67, null, v77, v1, vcc_lo
	global_load_dwordx2 v[66:67], v[66:67], off
	s_waitcnt vmcnt(0)
	v_mul_f64 v[66:67], s[10:11], v[66:67]
	v_cvt_f32_f64_e32 v66, v[66:67]
	s_branch .LBB178_347
.LBB178_346:
	v_mov_b32_e32 v66, 0
.LBB178_347:
	v_add_f64 v[62:63], v[62:63], v[14:15]
	v_add_f64 v[64:65], v[64:65], v[16:17]
	;; [unrolled: 1-line block ×4, first 2 shown]
	v_add_co_u32 v0, vcc_lo, v74, v0
	v_add_co_ci_u32_e64 v1, null, v75, v1, vcc_lo
	v_cvt_f32_f64_e32 v62, v[62:63]
	v_cvt_f32_f64_e32 v63, v[64:65]
	;; [unrolled: 1-line block ×4, first 2 shown]
	v_min3_f32 v60, v62, v63, v159
	v_min_f32_e32 v58, v58, v59
	v_min3_f32 v58, v66, v58, v60
	v_cvt_f64_f32_e32 v[58:59], v58
	global_store_dwordx2 v[0:1], v[58:59], off
	s_or_b32 exec_lo, exec_lo, s0
	s_and_b32 s1, s2, s8
	s_and_saveexec_b32 s0, s1
	s_cbranch_execz .LBB178_334
.LBB178_348:
	v_cmp_ne_u32_e32 vcc_lo, 1, v144
	v_lshlrev_b64 v[0:1], 3, v[132:133]
	s_cbranch_vccnz .LBB178_350
; %bb.349:
	v_add_co_u32 v58, vcc_lo, v76, v0
	v_add_co_ci_u32_e64 v59, null, v77, v1, vcc_lo
	global_load_dwordx2 v[58:59], v[58:59], off
	s_waitcnt vmcnt(0)
	v_mul_f64 v[58:59], s[10:11], v[58:59]
	v_cvt_f32_f64_e32 v58, v[58:59]
	s_branch .LBB178_351
.LBB178_350:
	v_mov_b32_e32 v58, 0
.LBB178_351:
	v_add_f64 v[54:55], v[54:55], v[14:15]
	v_add_f64 v[56:57], v[56:57], v[16:17]
	;; [unrolled: 1-line block ×4, first 2 shown]
	v_add_co_u32 v0, vcc_lo, v74, v0
	v_add_co_ci_u32_e64 v1, null, v75, v1, vcc_lo
	v_cvt_f32_f64_e32 v54, v[54:55]
	v_cvt_f32_f64_e32 v55, v[56:57]
	;; [unrolled: 1-line block ×4, first 2 shown]
	v_min3_f32 v52, v54, v55, v158
	v_min_f32_e32 v50, v50, v51
	v_min3_f32 v50, v58, v50, v52
	v_cvt_f64_f32_e32 v[50:51], v50
	global_store_dwordx2 v[0:1], v[50:51], off
	s_or_b32 exec_lo, exec_lo, s0
	s_and_b32 s1, s3, s8
	s_and_saveexec_b32 s0, s1
	s_cbranch_execz .LBB178_335
.LBB178_352:
	v_cmp_ne_u32_e32 vcc_lo, 1, v144
	v_lshlrev_b64 v[0:1], 3, v[134:135]
	s_cbranch_vccnz .LBB178_354
; %bb.353:
	v_add_co_u32 v50, vcc_lo, v76, v0
	v_add_co_ci_u32_e64 v51, null, v77, v1, vcc_lo
	global_load_dwordx2 v[50:51], v[50:51], off
	s_waitcnt vmcnt(0)
	v_mul_f64 v[50:51], s[10:11], v[50:51]
	v_cvt_f32_f64_e32 v50, v[50:51]
	s_branch .LBB178_355
.LBB178_354:
	v_mov_b32_e32 v50, 0
.LBB178_355:
	v_add_f64 v[46:47], v[46:47], v[14:15]
	v_add_f64 v[48:49], v[48:49], v[16:17]
	;; [unrolled: 1-line block ×4, first 2 shown]
	v_add_co_u32 v0, vcc_lo, v74, v0
	v_add_co_ci_u32_e64 v1, null, v75, v1, vcc_lo
	v_cvt_f32_f64_e32 v46, v[46:47]
	v_cvt_f32_f64_e32 v47, v[48:49]
	;; [unrolled: 1-line block ×4, first 2 shown]
	v_min3_f32 v44, v46, v47, v157
	v_min_f32_e32 v42, v42, v43
	v_min3_f32 v42, v50, v42, v44
	v_cvt_f64_f32_e32 v[42:43], v42
	global_store_dwordx2 v[0:1], v[42:43], off
	s_or_b32 exec_lo, exec_lo, s0
	s_and_b32 s1, s4, s8
	s_and_saveexec_b32 s0, s1
	s_cbranch_execz .LBB178_336
.LBB178_356:
	v_cmp_ne_u32_e32 vcc_lo, 1, v144
	v_lshlrev_b64 v[0:1], 3, v[136:137]
	s_cbranch_vccnz .LBB178_358
; %bb.357:
	v_add_co_u32 v42, vcc_lo, v76, v0
	v_add_co_ci_u32_e64 v43, null, v77, v1, vcc_lo
	global_load_dwordx2 v[42:43], v[42:43], off
	s_waitcnt vmcnt(0)
	v_mul_f64 v[42:43], s[10:11], v[42:43]
	v_cvt_f32_f64_e32 v42, v[42:43]
	s_branch .LBB178_359
.LBB178_358:
	v_mov_b32_e32 v42, 0
.LBB178_359:
	v_add_f64 v[38:39], v[38:39], v[14:15]
	v_add_f64 v[40:41], v[40:41], v[16:17]
	;; [unrolled: 1-line block ×4, first 2 shown]
	v_add_co_u32 v0, vcc_lo, v74, v0
	v_add_co_ci_u32_e64 v1, null, v75, v1, vcc_lo
	v_cvt_f32_f64_e32 v38, v[38:39]
	v_cvt_f32_f64_e32 v39, v[40:41]
	;; [unrolled: 1-line block ×4, first 2 shown]
	v_min3_f32 v36, v38, v39, v156
	v_min_f32_e32 v34, v34, v35
	v_min3_f32 v34, v42, v34, v36
	v_cvt_f64_f32_e32 v[34:35], v34
	global_store_dwordx2 v[0:1], v[34:35], off
	s_or_b32 exec_lo, exec_lo, s0
	s_and_b32 s1, s5, s8
	s_and_saveexec_b32 s0, s1
	s_cbranch_execz .LBB178_337
.LBB178_360:
	v_cmp_ne_u32_e32 vcc_lo, 1, v144
	v_lshlrev_b64 v[0:1], 3, v[138:139]
	s_cbranch_vccnz .LBB178_362
; %bb.361:
	v_add_co_u32 v34, vcc_lo, v76, v0
	v_add_co_ci_u32_e64 v35, null, v77, v1, vcc_lo
	global_load_dwordx2 v[34:35], v[34:35], off
	s_waitcnt vmcnt(0)
	v_mul_f64 v[34:35], s[10:11], v[34:35]
	v_cvt_f32_f64_e32 v34, v[34:35]
	s_branch .LBB178_363
.LBB178_362:
	v_mov_b32_e32 v34, 0
.LBB178_363:
	v_add_f64 v[30:31], v[30:31], v[14:15]
	v_add_f64 v[32:33], v[32:33], v[16:17]
	;; [unrolled: 1-line block ×4, first 2 shown]
	v_add_co_u32 v0, vcc_lo, v74, v0
	v_add_co_ci_u32_e64 v1, null, v75, v1, vcc_lo
	v_cvt_f32_f64_e32 v30, v[30:31]
	v_cvt_f32_f64_e32 v31, v[32:33]
	;; [unrolled: 1-line block ×4, first 2 shown]
	v_min3_f32 v28, v30, v31, v155
	v_min_f32_e32 v26, v26, v27
	v_min3_f32 v26, v34, v26, v28
	v_cvt_f64_f32_e32 v[26:27], v26
	global_store_dwordx2 v[0:1], v[26:27], off
	s_or_b32 exec_lo, exec_lo, s0
	s_and_b32 s1, s6, s8
	s_and_saveexec_b32 s0, s1
	s_cbranch_execz .LBB178_338
.LBB178_364:
	v_cmp_ne_u32_e32 vcc_lo, 1, v144
	v_lshlrev_b64 v[0:1], 3, v[140:141]
	s_cbranch_vccnz .LBB178_366
; %bb.365:
	v_add_co_u32 v26, vcc_lo, v76, v0
	v_add_co_ci_u32_e64 v27, null, v77, v1, vcc_lo
	global_load_dwordx2 v[26:27], v[26:27], off
	s_waitcnt vmcnt(0)
	v_mul_f64 v[26:27], s[10:11], v[26:27]
	v_cvt_f32_f64_e32 v26, v[26:27]
	s_branch .LBB178_367
.LBB178_366:
	v_mov_b32_e32 v26, 0
.LBB178_367:
	v_add_f64 v[22:23], v[22:23], v[14:15]
	v_add_f64 v[24:25], v[24:25], v[16:17]
	;; [unrolled: 1-line block ×4, first 2 shown]
	v_add_co_u32 v0, vcc_lo, v74, v0
	v_add_co_ci_u32_e64 v1, null, v75, v1, vcc_lo
	v_cvt_f32_f64_e32 v22, v[22:23]
	v_cvt_f32_f64_e32 v23, v[24:25]
	;; [unrolled: 1-line block ×4, first 2 shown]
	v_min3_f32 v20, v22, v23, v154
	v_min_f32_e32 v18, v18, v19
	v_min3_f32 v18, v26, v18, v20
	v_cvt_f64_f32_e32 v[18:19], v18
	global_store_dwordx2 v[0:1], v[18:19], off
	s_or_b32 exec_lo, exec_lo, s0
	s_and_b32 s0, s7, s8
	s_and_saveexec_b32 s1, s0
	s_cbranch_execz .LBB178_339
.LBB178_368:
	v_cmp_ne_u32_e32 vcc_lo, 1, v144
	v_lshlrev_b64 v[0:1], 3, v[142:143]
	s_cbranch_vccnz .LBB178_370
; %bb.369:
	v_add_co_u32 v18, vcc_lo, v76, v0
	v_add_co_ci_u32_e64 v19, null, v77, v1, vcc_lo
	global_load_dwordx2 v[18:19], v[18:19], off
	s_waitcnt vmcnt(0)
	v_mul_f64 v[18:19], s[10:11], v[18:19]
	v_cvt_f32_f64_e32 v18, v[18:19]
	s_branch .LBB178_371
.LBB178_370:
	v_mov_b32_e32 v18, 0
.LBB178_371:
	v_add_f64 v[6:7], v[6:7], v[14:15]
	v_add_f64 v[8:9], v[8:9], v[16:17]
	;; [unrolled: 1-line block ×4, first 2 shown]
	v_add_co_u32 v0, vcc_lo, v74, v0
	v_add_co_ci_u32_e64 v1, null, v75, v1, vcc_lo
	v_cvt_f32_f64_e32 v6, v[6:7]
	v_cvt_f32_f64_e32 v7, v[8:9]
	;; [unrolled: 1-line block ×4, first 2 shown]
	v_min3_f32 v4, v6, v7, v153
	v_min_f32_e32 v2, v2, v3
	v_min3_f32 v2, v18, v2, v4
	v_cvt_f64_f32_e32 v[2:3], v2
	global_store_dwordx2 v[0:1], v[2:3], off
	s_endpgm
	.section	.rodata,"a",@progbits
	.p2align	6, 0x0
	.amdhsa_kernel _ZN12_GLOBAL__N_120geam_min_plus_kernelId15HIP_vector_typeIdLj2EEdLi8ELi32ELi64ELi256ELi4ELi4ELi64ELi64ELi4ELc84ELc84ELb1ELb1ELb1EdKddEEviiiT16_PT17_ilS6_ilS4_S6_ilPT18_ili26rocblas_geam_ex_operation_
		.amdhsa_group_segment_fixed_size 20480
		.amdhsa_private_segment_fixed_size 0
		.amdhsa_kernarg_size 136
		.amdhsa_user_sgpr_count 6
		.amdhsa_user_sgpr_private_segment_buffer 1
		.amdhsa_user_sgpr_dispatch_ptr 0
		.amdhsa_user_sgpr_queue_ptr 0
		.amdhsa_user_sgpr_kernarg_segment_ptr 1
		.amdhsa_user_sgpr_dispatch_id 0
		.amdhsa_user_sgpr_flat_scratch_init 0
		.amdhsa_user_sgpr_private_segment_size 0
		.amdhsa_wavefront_size32 1
		.amdhsa_uses_dynamic_stack 0
		.amdhsa_system_sgpr_private_segment_wavefront_offset 0
		.amdhsa_system_sgpr_workgroup_id_x 1
		.amdhsa_system_sgpr_workgroup_id_y 0
		.amdhsa_system_sgpr_workgroup_id_z 1
		.amdhsa_system_sgpr_workgroup_info 0
		.amdhsa_system_vgpr_workitem_id 1
		.amdhsa_next_free_vgpr 229
		.amdhsa_next_free_sgpr 31
		.amdhsa_reserve_vcc 1
		.amdhsa_reserve_flat_scratch 0
		.amdhsa_float_round_mode_32 0
		.amdhsa_float_round_mode_16_64 0
		.amdhsa_float_denorm_mode_32 3
		.amdhsa_float_denorm_mode_16_64 3
		.amdhsa_dx10_clamp 1
		.amdhsa_ieee_mode 1
		.amdhsa_fp16_overflow 0
		.amdhsa_workgroup_processor_mode 1
		.amdhsa_memory_ordered 1
		.amdhsa_forward_progress 1
		.amdhsa_shared_vgpr_count 0
		.amdhsa_exception_fp_ieee_invalid_op 0
		.amdhsa_exception_fp_denorm_src 0
		.amdhsa_exception_fp_ieee_div_zero 0
		.amdhsa_exception_fp_ieee_overflow 0
		.amdhsa_exception_fp_ieee_underflow 0
		.amdhsa_exception_fp_ieee_inexact 0
		.amdhsa_exception_int_div_zero 0
	.end_amdhsa_kernel
	.section	.text._ZN12_GLOBAL__N_120geam_min_plus_kernelId15HIP_vector_typeIdLj2EEdLi8ELi32ELi64ELi256ELi4ELi4ELi64ELi64ELi4ELc84ELc84ELb1ELb1ELb1EdKddEEviiiT16_PT17_ilS6_ilS4_S6_ilPT18_ili26rocblas_geam_ex_operation_,"axG",@progbits,_ZN12_GLOBAL__N_120geam_min_plus_kernelId15HIP_vector_typeIdLj2EEdLi8ELi32ELi64ELi256ELi4ELi4ELi64ELi64ELi4ELc84ELc84ELb1ELb1ELb1EdKddEEviiiT16_PT17_ilS6_ilS4_S6_ilPT18_ili26rocblas_geam_ex_operation_,comdat
.Lfunc_end178:
	.size	_ZN12_GLOBAL__N_120geam_min_plus_kernelId15HIP_vector_typeIdLj2EEdLi8ELi32ELi64ELi256ELi4ELi4ELi64ELi64ELi4ELc84ELc84ELb1ELb1ELb1EdKddEEviiiT16_PT17_ilS6_ilS4_S6_ilPT18_ili26rocblas_geam_ex_operation_, .Lfunc_end178-_ZN12_GLOBAL__N_120geam_min_plus_kernelId15HIP_vector_typeIdLj2EEdLi8ELi32ELi64ELi256ELi4ELi4ELi64ELi64ELi4ELc84ELc84ELb1ELb1ELb1EdKddEEviiiT16_PT17_ilS6_ilS4_S6_ilPT18_ili26rocblas_geam_ex_operation_
                                        ; -- End function
	.set _ZN12_GLOBAL__N_120geam_min_plus_kernelId15HIP_vector_typeIdLj2EEdLi8ELi32ELi64ELi256ELi4ELi4ELi64ELi64ELi4ELc84ELc84ELb1ELb1ELb1EdKddEEviiiT16_PT17_ilS6_ilS4_S6_ilPT18_ili26rocblas_geam_ex_operation_.num_vgpr, 229
	.set _ZN12_GLOBAL__N_120geam_min_plus_kernelId15HIP_vector_typeIdLj2EEdLi8ELi32ELi64ELi256ELi4ELi4ELi64ELi64ELi4ELc84ELc84ELb1ELb1ELb1EdKddEEviiiT16_PT17_ilS6_ilS4_S6_ilPT18_ili26rocblas_geam_ex_operation_.num_agpr, 0
	.set _ZN12_GLOBAL__N_120geam_min_plus_kernelId15HIP_vector_typeIdLj2EEdLi8ELi32ELi64ELi256ELi4ELi4ELi64ELi64ELi4ELc84ELc84ELb1ELb1ELb1EdKddEEviiiT16_PT17_ilS6_ilS4_S6_ilPT18_ili26rocblas_geam_ex_operation_.numbered_sgpr, 31
	.set _ZN12_GLOBAL__N_120geam_min_plus_kernelId15HIP_vector_typeIdLj2EEdLi8ELi32ELi64ELi256ELi4ELi4ELi64ELi64ELi4ELc84ELc84ELb1ELb1ELb1EdKddEEviiiT16_PT17_ilS6_ilS4_S6_ilPT18_ili26rocblas_geam_ex_operation_.num_named_barrier, 0
	.set _ZN12_GLOBAL__N_120geam_min_plus_kernelId15HIP_vector_typeIdLj2EEdLi8ELi32ELi64ELi256ELi4ELi4ELi64ELi64ELi4ELc84ELc84ELb1ELb1ELb1EdKddEEviiiT16_PT17_ilS6_ilS4_S6_ilPT18_ili26rocblas_geam_ex_operation_.private_seg_size, 0
	.set _ZN12_GLOBAL__N_120geam_min_plus_kernelId15HIP_vector_typeIdLj2EEdLi8ELi32ELi64ELi256ELi4ELi4ELi64ELi64ELi4ELc84ELc84ELb1ELb1ELb1EdKddEEviiiT16_PT17_ilS6_ilS4_S6_ilPT18_ili26rocblas_geam_ex_operation_.uses_vcc, 1
	.set _ZN12_GLOBAL__N_120geam_min_plus_kernelId15HIP_vector_typeIdLj2EEdLi8ELi32ELi64ELi256ELi4ELi4ELi64ELi64ELi4ELc84ELc84ELb1ELb1ELb1EdKddEEviiiT16_PT17_ilS6_ilS4_S6_ilPT18_ili26rocblas_geam_ex_operation_.uses_flat_scratch, 0
	.set _ZN12_GLOBAL__N_120geam_min_plus_kernelId15HIP_vector_typeIdLj2EEdLi8ELi32ELi64ELi256ELi4ELi4ELi64ELi64ELi4ELc84ELc84ELb1ELb1ELb1EdKddEEviiiT16_PT17_ilS6_ilS4_S6_ilPT18_ili26rocblas_geam_ex_operation_.has_dyn_sized_stack, 0
	.set _ZN12_GLOBAL__N_120geam_min_plus_kernelId15HIP_vector_typeIdLj2EEdLi8ELi32ELi64ELi256ELi4ELi4ELi64ELi64ELi4ELc84ELc84ELb1ELb1ELb1EdKddEEviiiT16_PT17_ilS6_ilS4_S6_ilPT18_ili26rocblas_geam_ex_operation_.has_recursion, 0
	.set _ZN12_GLOBAL__N_120geam_min_plus_kernelId15HIP_vector_typeIdLj2EEdLi8ELi32ELi64ELi256ELi4ELi4ELi64ELi64ELi4ELc84ELc84ELb1ELb1ELb1EdKddEEviiiT16_PT17_ilS6_ilS4_S6_ilPT18_ili26rocblas_geam_ex_operation_.has_indirect_call, 0
	.section	.AMDGPU.csdata,"",@progbits
; Kernel info:
; codeLenInByte = 29152
; TotalNumSgprs: 33
; NumVgprs: 229
; ScratchSize: 0
; MemoryBound: 0
; FloatMode: 240
; IeeeMode: 1
; LDSByteSize: 20480 bytes/workgroup (compile time only)
; SGPRBlocks: 0
; VGPRBlocks: 28
; NumSGPRsForWavesPerEU: 33
; NumVGPRsForWavesPerEU: 229
; Occupancy: 4
; WaveLimiterHint : 0
; COMPUTE_PGM_RSRC2:SCRATCH_EN: 0
; COMPUTE_PGM_RSRC2:USER_SGPR: 6
; COMPUTE_PGM_RSRC2:TRAP_HANDLER: 0
; COMPUTE_PGM_RSRC2:TGID_X_EN: 1
; COMPUTE_PGM_RSRC2:TGID_Y_EN: 0
; COMPUTE_PGM_RSRC2:TGID_Z_EN: 1
; COMPUTE_PGM_RSRC2:TIDIG_COMP_CNT: 1
	.section	.text._ZN12_GLOBAL__N_120geam_min_plus_kernelId15HIP_vector_typeIdLj2EEdLi8ELi32ELi64ELi256ELi4ELi4ELi64ELi64ELi4ELc84ELc84ELb0ELb1ELb1EdKddEEviiiT16_PT17_ilS6_ilS4_S6_ilPT18_ili26rocblas_geam_ex_operation_,"axG",@progbits,_ZN12_GLOBAL__N_120geam_min_plus_kernelId15HIP_vector_typeIdLj2EEdLi8ELi32ELi64ELi256ELi4ELi4ELi64ELi64ELi4ELc84ELc84ELb0ELb1ELb1EdKddEEviiiT16_PT17_ilS6_ilS4_S6_ilPT18_ili26rocblas_geam_ex_operation_,comdat
	.globl	_ZN12_GLOBAL__N_120geam_min_plus_kernelId15HIP_vector_typeIdLj2EEdLi8ELi32ELi64ELi256ELi4ELi4ELi64ELi64ELi4ELc84ELc84ELb0ELb1ELb1EdKddEEviiiT16_PT17_ilS6_ilS4_S6_ilPT18_ili26rocblas_geam_ex_operation_ ; -- Begin function _ZN12_GLOBAL__N_120geam_min_plus_kernelId15HIP_vector_typeIdLj2EEdLi8ELi32ELi64ELi256ELi4ELi4ELi64ELi64ELi4ELc84ELc84ELb0ELb1ELb1EdKddEEviiiT16_PT17_ilS6_ilS4_S6_ilPT18_ili26rocblas_geam_ex_operation_
	.p2align	8
	.type	_ZN12_GLOBAL__N_120geam_min_plus_kernelId15HIP_vector_typeIdLj2EEdLi8ELi32ELi64ELi256ELi4ELi4ELi64ELi64ELi4ELc84ELc84ELb0ELb1ELb1EdKddEEviiiT16_PT17_ilS6_ilS4_S6_ilPT18_ili26rocblas_geam_ex_operation_,@function
_ZN12_GLOBAL__N_120geam_min_plus_kernelId15HIP_vector_typeIdLj2EEdLi8ELi32ELi64ELi256ELi4ELi4ELi64ELi64ELi4ELc84ELc84ELb0ELb1ELb1EdKddEEviiiT16_PT17_ilS6_ilS4_S6_ilPT18_ili26rocblas_geam_ex_operation_: ; @_ZN12_GLOBAL__N_120geam_min_plus_kernelId15HIP_vector_typeIdLj2EEdLi8ELi32ELi64ELi256ELi4ELi4ELi64ELi64ELi4ELc84ELc84ELb0ELb1ELb1EdKddEEviiiT16_PT17_ilS6_ilS4_S6_ilPT18_ili26rocblas_geam_ex_operation_
; %bb.0:
	s_clause 0x1
	s_load_dwordx4 s[20:23], s[4:5], 0x10
	s_load_dwordx4 s[0:3], s[4:5], 0x28
	s_mov_b64 s[26:27], 0
	s_waitcnt lgkmcnt(0)
	v_cmp_eq_f64_e64 s12, s[20:21], 0
	s_and_b32 vcc_lo, exec_lo, s12
	s_cbranch_vccnz .LBB179_2
; %bb.1:
	s_mul_i32 s1, s1, s7
	s_mul_hi_u32 s8, s0, s7
	s_mul_i32 s0, s0, s7
	s_add_i32 s1, s8, s1
	s_lshl_b64 s[0:1], s[0:1], 3
	s_add_u32 s26, s22, s0
	s_addc_u32 s27, s23, s1
.LBB179_2:
	s_clause 0x1
	s_load_dwordx4 s[8:11], s[4:5], 0x40
	s_load_dwordx2 s[0:1], s[4:5], 0x50
	s_andn2_b32 vcc_lo, exec_lo, s12
	s_mov_b32 s12, -1
	s_cbranch_vccnz .LBB179_4
; %bb.3:
	s_mov_b32 s12, 0
.LBB179_4:
	s_mov_b64 s[22:23], 0
	s_andn2_b32 vcc_lo, exec_lo, s12
	s_mov_b64 s[24:25], 0
	s_cbranch_vccnz .LBB179_6
; %bb.5:
	s_waitcnt lgkmcnt(0)
	s_mul_i32 s9, s9, s7
	s_mul_hi_u32 s12, s8, s7
	s_mul_i32 s8, s8, s7
	s_add_i32 s9, s12, s9
	s_lshl_b64 s[8:9], s[8:9], 3
	s_add_u32 s24, s2, s8
	s_addc_u32 s25, s3, s9
.LBB179_6:
	s_waitcnt lgkmcnt(0)
	v_cmp_eq_f64_e64 s2, s[10:11], 0
	v_cmp_neq_f64_e64 s9, s[10:11], 0
	s_load_dwordx4 s[16:19], s[4:5], 0x60
	s_and_b32 vcc_lo, exec_lo, s2
	s_cbranch_vccnz .LBB179_8
; %bb.7:
	s_waitcnt lgkmcnt(0)
	s_mul_i32 s2, s17, s7
	s_mul_hi_u32 s3, s16, s7
	s_add_i32 s3, s3, s2
	s_mul_i32 s2, s16, s7
	s_lshl_b64 s[2:3], s[2:3], 3
	s_add_u32 s22, s0, s2
	s_addc_u32 s23, s1, s3
.LBB179_8:
	s_clause 0x1
	s_load_dwordx4 s[12:15], s[4:5], 0x0
	s_load_dword s29, s[4:5], 0x20
	v_lshl_add_u32 v4, v1, 3, v0
	s_waitcnt lgkmcnt(0)
	v_cmp_eq_f64_e64 s17, s[20:21], 0
	v_and_b32_e32 v144, 3, v0
	v_lshrrev_b32_e32 v12, 2, v4
	s_add_i32 s0, s12, -1
	s_ashr_i32 s1, s0, 31
	s_lshr_b32 s1, s1, 26
	s_add_i32 s0, s0, s1
	s_ashr_i32 s0, s0, 6
	s_add_i32 s2, s0, 1
	s_not_b32 s0, s0
	v_cvt_f32_u32_e32 v2, s2
	v_rcp_iflag_f32_e32 v2, v2
	v_mul_f32_e32 v2, 0x4f7ffffe, v2
	v_cvt_u32_f32_e32 v2, v2
	v_readfirstlane_b32 s1, v2
                                        ; implicit-def: $vgpr2_vgpr3
	s_mul_i32 s0, s0, s1
	s_mul_hi_u32 s0, s1, s0
	s_add_i32 s1, s1, s0
	s_mul_hi_u32 s0, s6, s1
	s_mul_i32 s1, s0, s2
	s_add_i32 s3, s0, 1
	s_sub_i32 s1, s6, s1
	s_sub_i32 s8, s1, s2
	s_cmp_ge_u32 s1, s2
	s_cselect_b32 s0, s3, s0
	s_cselect_b32 s1, s8, s1
	s_add_i32 s3, s0, 1
	s_cmp_ge_u32 s1, s2
	s_cselect_b32 s1, s3, s0
	s_mul_i32 s0, s1, s2
	s_sub_i32 s0, s6, s0
                                        ; implicit-def: $sgpr6
	s_lshl_b32 s15, s0, 6
	v_cmp_le_i32_e64 s0, s14, v144
	v_add_nc_u32_e32 v78, s15, v12
	v_cmp_le_i32_e32 vcc_lo, s12, v78
	s_or_b32 s2, s0, vcc_lo
	s_nor_b32 s0, s17, s2
	s_and_saveexec_b32 s3, s0
	s_xor_b32 s3, exec_lo, s3
	s_cbranch_execz .LBB179_10
; %bb.9:
	v_mad_i64_i32 v[2:3], null, v78, s29, 0
	s_add_i32 s6, s14, -1
	v_min_u32_e32 v5, s6, v144
	v_lshlrev_b64 v[2:3], 3, v[2:3]
	v_lshlrev_b32_e32 v5, 3, v5
	v_add_co_u32 v2, s0, s26, v2
	v_add_co_ci_u32_e64 v3, null, s27, v3, s0
	v_add_co_u32 v2, s0, v2, v5
	v_add_co_ci_u32_e64 v3, null, 0, v3, s0
	global_load_dwordx2 v[2:3], v[2:3], off
	s_waitcnt vmcnt(0)
	v_mul_f64 v[2:3], s[20:21], v[2:3]
.LBB179_10:
	s_or_saveexec_b32 s0, s3
	v_mov_b32_e32 v5, s6
	s_xor_b32 exec_lo, exec_lo, s0
; %bb.11:
	s_add_i32 s3, s14, -1
	v_cndmask_b32_e64 v3, 0, 0x7fefffff, s2
	v_cndmask_b32_e64 v2, 0, -1, s2
	v_mov_b32_e32 v5, s3
; %bb.12:
	s_or_b32 exec_lo, exec_lo, s0
	s_load_dword s28, s[4:5], 0x38
	v_lshrrev_b32_e32 v145, 6, v4
	v_and_b32_e32 v13, 63, v4
	s_lshl_b32 s16, s1, 8
	v_min_i32_e32 v4, v145, v5
	v_or_b32_e32 v66, s16, v13
	v_cmp_le_i32_e64 s6, s14, v145
	v_cmp_le_i32_e64 s0, s13, v66
	v_ashrrev_i32_e32 v67, 31, v66
	s_or_b32 s2, s0, s6
	s_waitcnt lgkmcnt(0)
	v_mad_i64_i32 v[4:5], null, v4, s28, 0
	v_lshlrev_b64 v[6:7], 3, v[4:5]
	v_cndmask_b32_e64 v5, 0, 0x7fefffff, s2
	v_cndmask_b32_e64 v4, 0, -1, s2
	v_add_co_u32 v14, s1, s24, v6
	v_add_co_ci_u32_e64 v15, null, s25, v7, s1
	s_nor_b32 s1, s17, s2
	s_and_saveexec_b32 s2, s1
	s_cbranch_execz .LBB179_14
; %bb.13:
	v_lshlrev_b64 v[4:5], 3, v[66:67]
	v_add_co_u32 v4, s1, v14, v4
	v_add_co_ci_u32_e64 v5, null, v15, v5, s1
	global_load_dwordx2 v[4:5], v[4:5], off
	s_waitcnt vmcnt(0)
	v_mul_f64 v[4:5], s[20:21], v[4:5]
.LBB179_14:
	s_or_b32 exec_lo, exec_lo, s2
	v_or_b32_e32 v6, 64, v66
	v_cmp_le_i32_e64 s1, s13, v6
	s_or_b32 s2, s1, s6
	v_cndmask_b32_e64 v7, 0, 0x7fefffff, s2
	v_cndmask_b32_e64 v6, 0, -1, s2
	s_nor_b32 s2, s17, s2
	s_and_saveexec_b32 s3, s2
	s_cbranch_execz .LBB179_16
; %bb.15:
	v_lshlrev_b64 v[6:7], 3, v[66:67]
	v_add_co_u32 v6, s2, v14, v6
	v_add_co_ci_u32_e64 v7, null, v15, v7, s2
	global_load_dwordx2 v[6:7], v[6:7], off offset:512
	s_waitcnt vmcnt(0)
	v_mul_f64 v[6:7], s[20:21], v[6:7]
.LBB179_16:
	s_or_b32 exec_lo, exec_lo, s3
	v_or_b32_e32 v8, 0x80, v66
	v_cmp_le_i32_e64 s2, s13, v8
	s_or_b32 s3, s2, s6
	v_cndmask_b32_e64 v9, 0, 0x7fefffff, s3
	v_cndmask_b32_e64 v8, 0, -1, s3
	s_nor_b32 s3, s17, s3
	s_and_saveexec_b32 s8, s3
	s_cbranch_execz .LBB179_18
; %bb.17:
	v_lshlrev_b64 v[8:9], 3, v[66:67]
	v_add_co_u32 v8, s3, v14, v8
	v_add_co_ci_u32_e64 v9, null, v15, v9, s3
	global_load_dwordx2 v[8:9], v[8:9], off offset:1024
	s_waitcnt vmcnt(0)
	v_mul_f64 v[8:9], s[20:21], v[8:9]
.LBB179_18:
	;; [unrolled: 17-line block ×3, first 2 shown]
	s_or_b32 exec_lo, exec_lo, s8
	v_or_b32_e32 v14, 4, v144
                                        ; implicit-def: $vgpr68_vgpr69
                                        ; implicit-def: $sgpr31
	v_cmp_le_i32_e64 s6, s14, v14
	s_or_b32 s8, s6, vcc_lo
	s_nor_b32 s6, s17, s8
	s_and_saveexec_b32 s30, s6
	s_xor_b32 s30, exec_lo, s30
	s_cbranch_execz .LBB179_22
; %bb.21:
	v_mad_i64_i32 v[15:16], null, v78, s29, 0
	s_add_i32 s31, s14, -1
	v_min_u32_e32 v17, s31, v14
	v_lshlrev_b64 v[14:15], 3, v[15:16]
	v_lshlrev_b32_e32 v16, 3, v17
	v_add_co_u32 v14, s6, s26, v14
	v_add_co_ci_u32_e64 v15, null, s27, v15, s6
	v_add_co_u32 v14, s6, v14, v16
	v_add_co_ci_u32_e64 v15, null, 0, v15, s6
	global_load_dwordx2 v[14:15], v[14:15], off
	s_waitcnt vmcnt(0)
	v_mul_f64 v[68:69], s[20:21], v[14:15]
.LBB179_22:
	s_or_saveexec_b32 s6, s30
	v_mov_b32_e32 v14, s31
	s_xor_b32 exec_lo, exec_lo, s6
; %bb.23:
	s_add_i32 s30, s14, -1
	v_cndmask_b32_e64 v69, 0, 0x7fefffff, s8
	v_cndmask_b32_e64 v68, 0, -1, s8
	v_mov_b32_e32 v14, s30
; %bb.24:
	s_or_b32 exec_lo, exec_lo, s6
	v_add_nc_u32_e32 v16, 4, v145
	v_min_i32_e32 v14, v16, v14
	v_cmp_le_i32_e64 s6, s14, v16
	v_mad_i64_i32 v[14:15], null, v14, s28, 0
	s_or_b32 s30, s0, s6
	v_cndmask_b32_e64 v71, 0, 0x7fefffff, s30
	v_cndmask_b32_e64 v70, 0, -1, s30
	v_lshlrev_b64 v[14:15], 3, v[14:15]
	v_add_co_u32 v14, s8, s24, v14
	v_add_co_ci_u32_e64 v15, null, s25, v15, s8
	s_nor_b32 s8, s17, s30
	s_and_saveexec_b32 s30, s8
	s_cbranch_execz .LBB179_26
; %bb.25:
	v_lshlrev_b64 v[16:17], 3, v[66:67]
	v_add_co_u32 v16, s8, v14, v16
	v_add_co_ci_u32_e64 v17, null, v15, v17, s8
	global_load_dwordx2 v[16:17], v[16:17], off
	s_waitcnt vmcnt(0)
	v_mul_f64 v[70:71], s[20:21], v[16:17]
.LBB179_26:
	s_or_b32 exec_lo, exec_lo, s30
	s_or_b32 s8, s1, s6
	v_cndmask_b32_e64 v73, 0, 0x7fefffff, s8
	v_cndmask_b32_e64 v72, 0, -1, s8
	s_nor_b32 s8, s17, s8
	s_and_saveexec_b32 s30, s8
	s_cbranch_execz .LBB179_28
; %bb.27:
	v_lshlrev_b64 v[16:17], 3, v[66:67]
	v_add_co_u32 v16, s8, v14, v16
	v_add_co_ci_u32_e64 v17, null, v15, v17, s8
	global_load_dwordx2 v[16:17], v[16:17], off offset:512
	s_waitcnt vmcnt(0)
	v_mul_f64 v[72:73], s[20:21], v[16:17]
.LBB179_28:
	s_or_b32 exec_lo, exec_lo, s30
	s_or_b32 s8, s2, s6
	v_cndmask_b32_e64 v75, 0, 0x7fefffff, s8
	v_cndmask_b32_e64 v74, 0, -1, s8
	s_nor_b32 s8, s17, s8
	s_and_saveexec_b32 s30, s8
	s_cbranch_execz .LBB179_30
; %bb.29:
	v_lshlrev_b64 v[16:17], 3, v[66:67]
	v_add_co_u32 v16, s8, v14, v16
	v_add_co_ci_u32_e64 v17, null, v15, v17, s8
	global_load_dwordx2 v[16:17], v[16:17], off offset:1024
	s_waitcnt vmcnt(0)
	v_mul_f64 v[74:75], s[20:21], v[16:17]
.LBB179_30:
	;; [unrolled: 15-line block ×3, first 2 shown]
	s_or_b32 exec_lo, exec_lo, s8
	v_lshlrev_b32_e32 v79, 3, v144
	v_lshlrev_b32_e32 v147, 5, v0
	;; [unrolled: 1-line block ×3, first 2 shown]
	s_cmp_lt_i32 s14, 9
	v_lshl_or_b32 v80, v12, 5, v79
	ds_write_b64 v80, v[2:3] offset:16384
	v_lshlrev_b32_e32 v2, 5, v13
	v_lshl_add_u32 v148, v145, 3, v2
	ds_write2st64_b64 v148, v[4:5], v[6:7] offset1:4
	ds_write2st64_b64 v148, v[8:9], v[10:11] offset0:8 offset1:12
	s_waitcnt lgkmcnt(0)
	s_barrier
	buffer_gl0_inv
	ds_read_b128 v[10:13], v147 offset:16640
	ds_read_b128 v[14:17], v147 offset:16896
	;; [unrolled: 1-line block ×16, first 2 shown]
	ds_read_b128 v[85:88], v146
	ds_read_b128 v[6:9], v146 offset:16
	s_waitcnt lgkmcnt(1)
	v_add_f64 v[89:90], v[83:84], v[87:88]
	v_add_f64 v[91:92], v[81:82], v[85:86]
	s_waitcnt lgkmcnt(0)
	v_add_f64 v[150:151], v[4:5], v[8:9]
	v_add_f64 v[152:153], v[2:3], v[6:7]
	v_cvt_f32_f64_e32 v89, v[89:90]
	v_cvt_f32_f64_e32 v91, v[91:92]
	;; [unrolled: 1-line block ×4, first 2 shown]
	v_min3_f32 v149, v91, v89, 0x7f800000
	v_add_f64 v[89:90], v[12:13], v[87:88]
	v_add_f64 v[91:92], v[10:11], v[85:86]
	v_min3_f32 v218, v152, v150, v149
	v_cvt_f32_f64_e32 v89, v[89:90]
	v_cvt_f32_f64_e32 v91, v[91:92]
	v_min3_f32 v143, v91, v89, 0x7f800000
	v_add_f64 v[89:90], v[16:17], v[87:88]
	v_add_f64 v[91:92], v[14:15], v[85:86]
	v_cvt_f32_f64_e32 v89, v[89:90]
	v_cvt_f32_f64_e32 v91, v[91:92]
	v_min3_f32 v142, v91, v89, 0x7f800000
	v_add_f64 v[89:90], v[20:21], v[87:88]
	v_add_f64 v[91:92], v[18:19], v[85:86]
	;; [unrolled: 5-line block ×5, first 2 shown]
	v_add_f64 v[87:88], v[36:37], v[87:88]
	v_add_f64 v[85:86], v[34:35], v[85:86]
	v_cvt_f32_f64_e32 v89, v[89:90]
	v_cvt_f32_f64_e32 v91, v[91:92]
	;; [unrolled: 1-line block ×4, first 2 shown]
	v_add_f64 v[87:88], v[81:82], v[38:39]
	v_min3_f32 v138, v91, v89, 0x7f800000
	v_min3_f32 v137, v85, v86, 0x7f800000
	v_add_f64 v[85:86], v[83:84], v[40:41]
	v_cvt_f32_f64_e32 v87, v[87:88]
	v_cvt_f32_f64_e32 v85, v[85:86]
	v_min3_f32 v136, v87, v85, 0x7f800000
	v_add_f64 v[85:86], v[12:13], v[40:41]
	v_add_f64 v[87:88], v[10:11], v[38:39]
	v_cvt_f32_f64_e32 v85, v[85:86]
	v_cvt_f32_f64_e32 v87, v[87:88]
	v_min3_f32 v135, v87, v85, 0x7f800000
	v_add_f64 v[85:86], v[16:17], v[40:41]
	;; [unrolled: 5-line block ×6, first 2 shown]
	v_add_f64 v[87:88], v[30:31], v[38:39]
	v_add_f64 v[40:41], v[36:37], v[40:41]
	;; [unrolled: 1-line block ×3, first 2 shown]
	v_cvt_f32_f64_e32 v85, v[85:86]
	v_cvt_f32_f64_e32 v87, v[87:88]
	;; [unrolled: 1-line block ×4, first 2 shown]
	v_add_f64 v[40:41], v[81:82], v[42:43]
	v_min3_f32 v130, v87, v85, 0x7f800000
	v_min3_f32 v129, v38, v39, 0x7f800000
	v_add_f64 v[38:39], v[83:84], v[44:45]
	v_cvt_f32_f64_e32 v40, v[40:41]
	v_cvt_f32_f64_e32 v38, v[38:39]
	v_min3_f32 v128, v40, v38, 0x7f800000
	v_add_f64 v[38:39], v[12:13], v[44:45]
	v_add_f64 v[40:41], v[10:11], v[42:43]
	v_cvt_f32_f64_e32 v38, v[38:39]
	v_cvt_f32_f64_e32 v40, v[40:41]
	v_min3_f32 v127, v40, v38, 0x7f800000
	v_add_f64 v[38:39], v[16:17], v[44:45]
	;; [unrolled: 5-line block ×33, first 2 shown]
	v_add_f64 v[40:41], v[10:11], v[58:59]
	v_add_f64 v[12:13], v[12:13], v[64:65]
	;; [unrolled: 1-line block ×3, first 2 shown]
	v_cvt_f32_f64_e32 v38, v[38:39]
	v_cvt_f32_f64_e32 v40, v[40:41]
	;; [unrolled: 1-line block ×4, first 2 shown]
	v_add_f64 v[12:13], v[14:15], v[62:63]
	v_min3_f32 v95, v40, v38, 0x7f800000
	v_add_f64 v[38:39], v[16:17], v[60:61]
	v_add_f64 v[40:41], v[14:15], v[58:59]
	v_min3_f32 v87, v10, v11, 0x7f800000
	v_add_f64 v[10:11], v[16:17], v[64:65]
	v_cvt_f32_f64_e32 v12, v[12:13]
	v_cvt_f32_f64_e32 v38, v[38:39]
	;; [unrolled: 1-line block ×4, first 2 shown]
	v_min3_f32 v94, v40, v38, 0x7f800000
	v_add_f64 v[38:39], v[20:21], v[60:61]
	v_add_f64 v[40:41], v[18:19], v[58:59]
	v_min3_f32 v86, v12, v10, 0x7f800000
	v_add_f64 v[10:11], v[20:21], v[64:65]
	v_add_f64 v[12:13], v[18:19], v[62:63]
	v_cvt_f32_f64_e32 v38, v[38:39]
	v_cvt_f32_f64_e32 v40, v[40:41]
	;; [unrolled: 1-line block ×4, first 2 shown]
	v_min3_f32 v93, v40, v38, 0x7f800000
	v_add_f64 v[38:39], v[24:25], v[60:61]
	v_add_f64 v[40:41], v[22:23], v[58:59]
	v_min3_f32 v85, v12, v10, 0x7f800000
	v_add_f64 v[10:11], v[24:25], v[64:65]
	v_add_f64 v[12:13], v[22:23], v[62:63]
	v_cvt_f32_f64_e32 v38, v[38:39]
	v_cvt_f32_f64_e32 v40, v[40:41]
	;; [unrolled: 1-line block ×4, first 2 shown]
	v_min3_f32 v92, v40, v38, 0x7f800000
	v_add_f64 v[38:39], v[28:29], v[60:61]
	v_add_f64 v[40:41], v[26:27], v[58:59]
	v_cvt_f32_f64_e32 v38, v[38:39]
	v_cvt_f32_f64_e32 v40, v[40:41]
	v_min3_f32 v91, v40, v38, 0x7f800000
	v_add_f64 v[38:39], v[32:33], v[60:61]
	v_add_f64 v[40:41], v[30:31], v[58:59]
	v_cvt_f32_f64_e32 v38, v[38:39]
	v_cvt_f32_f64_e32 v40, v[40:41]
	;; [unrolled: 5-line block ×3, first 2 shown]
	v_min3_f32 v89, v40, v38, 0x7f800000
	v_add_f64 v[38:39], v[83:84], v[64:65]
	v_min3_f32 v84, v12, v10, 0x7f800000
	v_add_f64 v[10:11], v[28:29], v[64:65]
	v_add_f64 v[12:13], v[26:27], v[62:63]
	v_add_f64 v[40:41], v[81:82], v[62:63]
	v_cvt_f32_f64_e32 v38, v[38:39]
	v_cvt_f32_f64_e32 v10, v[10:11]
	;; [unrolled: 1-line block ×4, first 2 shown]
	v_min3_f32 v83, v12, v10, 0x7f800000
	v_add_f64 v[10:11], v[32:33], v[64:65]
	v_add_f64 v[12:13], v[30:31], v[62:63]
	v_min3_f32 v88, v40, v38, 0x7f800000
	v_cvt_f32_f64_e32 v10, v[10:11]
	v_cvt_f32_f64_e32 v12, v[12:13]
	v_min3_f32 v82, v12, v10, 0x7f800000
	v_add_f64 v[10:11], v[36:37], v[64:65]
	v_add_f64 v[12:13], v[34:35], v[62:63]
	v_cvt_f32_f64_e32 v10, v[10:11]
	v_cvt_f32_f64_e32 v12, v[12:13]
	v_min3_f32 v81, v12, v10, 0x7f800000
	ds_read_b128 v[34:37], v147 offset:16656
	ds_read_b128 v[30:33], v147 offset:16912
	;; [unrolled: 1-line block ×14, first 2 shown]
	ds_write_b64 v80, v[68:69] offset:18432
	ds_write2st64_b64 v148, v[70:71], v[72:73] offset0:16 offset1:20
	ds_write2st64_b64 v148, v[74:75], v[76:77] offset0:24 offset1:28
	s_waitcnt lgkmcnt(0)
	s_barrier
	buffer_gl0_inv
	v_add_f64 v[149:150], v[36:37], v[8:9]
	v_add_f64 v[151:152], v[34:35], v[6:7]
	v_cvt_f32_f64_e32 v149, v[149:150]
	v_cvt_f32_f64_e32 v151, v[151:152]
	v_min3_f32 v217, v151, v149, v143
	v_add_f64 v[149:150], v[32:33], v[8:9]
	v_add_f64 v[151:152], v[30:31], v[6:7]
	v_cvt_f32_f64_e32 v149, v[149:150]
	v_cvt_f32_f64_e32 v143, v[151:152]
	v_min3_f32 v216, v143, v149, v142
	;; [unrolled: 5-line block ×5, first 2 shown]
	v_add_f64 v[139:140], v[16:17], v[8:9]
	v_add_f64 v[141:142], v[14:15], v[6:7]
	;; [unrolled: 1-line block ×4, first 2 shown]
	v_cvt_f32_f64_e32 v139, v[139:140]
	v_cvt_f32_f64_e32 v141, v[141:142]
	;; [unrolled: 1-line block ×4, first 2 shown]
	v_add_f64 v[8:9], v[2:3], v[62:63]
	v_min3_f32 v212, v141, v139, v138
	v_min3_f32 v211, v6, v7, v137
	v_add_f64 v[6:7], v[4:5], v[64:65]
	v_cvt_f32_f64_e32 v8, v[8:9]
	v_cvt_f32_f64_e32 v6, v[6:7]
	v_min3_f32 v210, v8, v6, v136
	v_add_f64 v[6:7], v[36:37], v[64:65]
	v_add_f64 v[8:9], v[34:35], v[62:63]
	v_cvt_f32_f64_e32 v6, v[6:7]
	v_cvt_f32_f64_e32 v8, v[8:9]
	v_min3_f32 v209, v8, v6, v135
	v_add_f64 v[6:7], v[32:33], v[64:65]
	;; [unrolled: 5-line block ×40, first 2 shown]
	v_add_f64 v[8:9], v[2:3], v[42:43]
	v_add_f64 v[4:5], v[4:5], v[40:41]
	;; [unrolled: 1-line block ×3, first 2 shown]
	v_cvt_f32_f64_e32 v6, v[6:7]
	v_cvt_f32_f64_e32 v8, v[8:9]
	;; [unrolled: 1-line block ×4, first 2 shown]
	v_add_f64 v[4:5], v[34:35], v[38:39]
	v_min3_f32 v164, v8, v6, v96
	v_add_f64 v[6:7], v[36:37], v[44:45]
	v_add_f64 v[8:9], v[34:35], v[42:43]
	v_min3_f32 v156, v2, v3, v88
	v_add_f64 v[2:3], v[36:37], v[40:41]
	v_cvt_f32_f64_e32 v4, v[4:5]
	v_cvt_f32_f64_e32 v6, v[6:7]
	v_cvt_f32_f64_e32 v8, v[8:9]
	v_cvt_f32_f64_e32 v2, v[2:3]
	v_min3_f32 v163, v8, v6, v95
	v_add_f64 v[6:7], v[32:33], v[44:45]
	v_add_f64 v[8:9], v[30:31], v[42:43]
	v_min3_f32 v155, v4, v2, v87
	v_add_f64 v[2:3], v[32:33], v[40:41]
	v_add_f64 v[4:5], v[30:31], v[38:39]
	v_cvt_f32_f64_e32 v6, v[6:7]
	v_cvt_f32_f64_e32 v8, v[8:9]
	v_cvt_f32_f64_e32 v2, v[2:3]
	v_cvt_f32_f64_e32 v4, v[4:5]
	v_min3_f32 v162, v8, v6, v94
	v_add_f64 v[6:7], v[28:29], v[44:45]
	v_add_f64 v[8:9], v[26:27], v[42:43]
	v_min3_f32 v154, v4, v2, v86
	v_add_f64 v[2:3], v[28:29], v[40:41]
	;; [unrolled: 10-line block ×6, first 2 shown]
	v_add_f64 v[4:5], v[10:11], v[38:39]
	v_cvt_f32_f64_e32 v6, v[6:7]
	v_cvt_f32_f64_e32 v8, v[8:9]
	;; [unrolled: 1-line block ×4, first 2 shown]
	v_min3_f32 v157, v8, v6, v89
	v_min3_f32 v149, v4, v2, v81
	s_cbranch_scc1 .LBB179_59
; %bb.33:
	v_mad_i64_i32 v[2:3], null, s29, v78, 0
	v_lshlrev_b64 v[130:131], 3, v[66:67]
	v_add_nc_u32_e32 v171, 0x4000, v80
	v_or_b32_e32 v172, 0x4000, v147
	v_add_nc_u32_e32 v173, 0x4800, v80
	v_add_nc_u32_e32 v174, 0x2000, v148
	v_lshl_add_u32 v175, v0, 5, 0x4800
	v_lshlrev_b64 v[2:3], 3, v[2:3]
	v_lshl_or_b32 v176, v1, 5, 0x2000
	s_mov_b32 s29, 0
	v_add_co_u32 v2, s6, v2, v79
	v_add_co_ci_u32_e64 v3, null, 0, v3, s6
	v_add_co_u32 v2, s6, s26, v2
	v_add_co_ci_u32_e64 v3, null, s27, v3, s6
	s_add_i32 s26, s14, -8
	v_add_co_u32 v132, s6, v2, 64
	v_add_co_ci_u32_e64 v133, null, 0, v3, s6
	s_add_i32 s27, s14, -1
	s_branch .LBB179_35
.LBB179_34:                             ;   in Loop: Header=BB179_35 Depth=1
	s_or_b32 exec_lo, exec_lo, s8
	v_add_f64 v[219:220], v[100:101], v[128:129]
	v_add_f64 v[221:222], v[98:99], v[126:127]
	v_add_co_u32 v132, s6, v132, 64
	v_add_co_ci_u32_e64 v133, null, 0, v133, s6
	s_add_i32 s29, s29, 8
	s_cmp_ge_i32 s29, s26
	v_cvt_f32_f64_e32 v219, v[219:220]
	v_cvt_f32_f64_e32 v221, v[221:222]
	v_min3_f32 v218, v221, v219, v218
	v_add_f64 v[219:220], v[96:97], v[128:129]
	v_add_f64 v[221:222], v[94:95], v[126:127]
	v_cvt_f32_f64_e32 v219, v[219:220]
	v_cvt_f32_f64_e32 v221, v[221:222]
	v_min3_f32 v217, v221, v219, v217
	v_add_f64 v[219:220], v[92:93], v[128:129]
	v_add_f64 v[221:222], v[90:91], v[126:127]
	;; [unrolled: 5-line block ×6, first 2 shown]
	v_add_f64 v[128:129], v[68:69], v[128:129]
	v_add_f64 v[126:127], v[66:67], v[126:127]
	v_cvt_f32_f64_e32 v219, v[219:220]
	v_cvt_f32_f64_e32 v221, v[221:222]
	;; [unrolled: 1-line block ×4, first 2 shown]
	v_add_f64 v[128:129], v[98:99], v[122:123]
	v_min3_f32 v212, v221, v219, v212
	v_min3_f32 v211, v126, v127, v211
	v_add_f64 v[126:127], v[100:101], v[124:125]
	v_cvt_f32_f64_e32 v128, v[128:129]
	v_cvt_f32_f64_e32 v126, v[126:127]
	v_min3_f32 v210, v128, v126, v210
	v_add_f64 v[126:127], v[96:97], v[124:125]
	v_add_f64 v[128:129], v[94:95], v[122:123]
	v_cvt_f32_f64_e32 v126, v[126:127]
	v_cvt_f32_f64_e32 v128, v[128:129]
	v_min3_f32 v209, v128, v126, v209
	v_add_f64 v[126:127], v[92:93], v[124:125]
	;; [unrolled: 5-line block ×6, first 2 shown]
	v_add_f64 v[128:129], v[70:71], v[122:123]
	v_add_f64 v[124:125], v[68:69], v[124:125]
	;; [unrolled: 1-line block ×3, first 2 shown]
	v_cvt_f32_f64_e32 v126, v[126:127]
	v_cvt_f32_f64_e32 v128, v[128:129]
	v_cvt_f32_f64_e32 v122, v[122:123]
	v_cvt_f32_f64_e32 v123, v[124:125]
	v_add_f64 v[124:125], v[98:99], v[118:119]
	v_min3_f32 v204, v128, v126, v204
	v_min3_f32 v203, v122, v123, v203
	v_add_f64 v[122:123], v[100:101], v[120:121]
	v_cvt_f32_f64_e32 v124, v[124:125]
	v_add_f64 v[125:126], v[94:95], v[118:119]
	v_cvt_f32_f64_e32 v122, v[122:123]
	v_cvt_f32_f64_e32 v125, v[125:126]
	v_min3_f32 v122, v124, v122, v202
	v_add_f64 v[123:124], v[96:97], v[120:121]
	v_cvt_f32_f64_e32 v123, v[123:124]
	v_min3_f32 v201, v125, v123, v201
	v_add_f64 v[123:124], v[92:93], v[120:121]
	v_add_f64 v[125:126], v[90:91], v[118:119]
	v_cvt_f32_f64_e32 v123, v[123:124]
	v_cvt_f32_f64_e32 v125, v[125:126]
	v_min3_f32 v200, v125, v123, v200
	v_add_f64 v[123:124], v[88:89], v[120:121]
	v_add_f64 v[125:126], v[86:87], v[118:119]
	v_cvt_f32_f64_e32 v123, v[123:124]
	;; [unrolled: 5-line block ×4, first 2 shown]
	v_cvt_f32_f64_e32 v125, v[125:126]
	v_min3_f32 v197, v125, v123, v197
	v_add_f64 v[123:124], v[72:73], v[120:121]
	v_add_f64 v[125:126], v[70:71], v[118:119]
	v_add_f64 v[120:121], v[68:69], v[120:121]
	v_add_f64 v[118:119], v[66:67], v[118:119]
	v_cvt_f32_f64_e32 v123, v[123:124]
	v_cvt_f32_f64_e32 v125, v[125:126]
	;; [unrolled: 1-line block ×4, first 2 shown]
	v_add_f64 v[120:121], v[98:99], v[114:115]
	v_min3_f32 v196, v125, v123, v196
	v_add_f64 v[123:124], v[82:83], v[114:115]
	v_add_f64 v[125:126], v[70:71], v[114:115]
	v_min3_f32 v195, v118, v119, v195
	v_add_f64 v[118:119], v[100:101], v[116:117]
	v_cvt_f32_f64_e32 v120, v[120:121]
	v_cvt_f32_f64_e32 v118, v[118:119]
	v_min3_f32 v194, v120, v118, v194
	v_add_f64 v[118:119], v[96:97], v[116:117]
	v_add_f64 v[120:121], v[94:95], v[114:115]
	v_cvt_f32_f64_e32 v118, v[118:119]
	v_cvt_f32_f64_e32 v120, v[120:121]
	v_min3_f32 v193, v120, v118, v193
	v_add_f64 v[118:119], v[92:93], v[116:117]
	;; [unrolled: 5-line block ×3, first 2 shown]
	v_add_f64 v[120:121], v[86:87], v[114:115]
	v_cvt_f32_f64_e32 v118, v[118:119]
	v_cvt_f32_f64_e32 v120, v[120:121]
	v_cvt_f32_f64_e32 v121, v[123:124]
	v_add_f64 v[123:124], v[78:79], v[114:115]
	v_add_f64 v[114:115], v[66:67], v[114:115]
	v_min3_f32 v118, v120, v118, v191
	v_add_f64 v[119:120], v[84:85], v[116:117]
	v_cvt_f32_f64_e32 v123, v[123:124]
	v_cvt_f32_f64_e32 v114, v[114:115]
	;; [unrolled: 1-line block ×3, first 2 shown]
	v_min3_f32 v119, v121, v119, v190
	v_add_f64 v[120:121], v[80:81], v[116:117]
	v_cvt_f32_f64_e32 v120, v[120:121]
	v_cvt_f32_f64_e32 v121, v[125:126]
	v_add_f64 v[125:126], v[90:91], v[110:111]
	v_min3_f32 v120, v123, v120, v189
	v_add_f64 v[123:124], v[72:73], v[116:117]
	v_add_f64 v[116:117], v[68:69], v[116:117]
	v_cvt_f32_f64_e32 v123, v[123:124]
	v_cvt_f32_f64_e32 v115, v[116:117]
	v_min3_f32 v121, v121, v123, v188
	v_min3_f32 v114, v114, v115, v187
	v_add_f64 v[115:116], v[100:101], v[112:113]
	v_add_f64 v[123:124], v[98:99], v[110:111]
	v_cvt_f32_f64_e32 v115, v[115:116]
	v_cvt_f32_f64_e32 v117, v[123:124]
	v_add_f64 v[123:124], v[94:95], v[110:111]
	v_min3_f32 v115, v117, v115, v186
	v_add_f64 v[116:117], v[96:97], v[112:113]
	v_cvt_f32_f64_e32 v123, v[123:124]
	v_cvt_f32_f64_e32 v116, v[116:117]
	;; [unrolled: 1-line block ×3, first 2 shown]
	v_add_f64 v[125:126], v[86:87], v[110:111]
	v_min3_f32 v116, v123, v116, v185
	v_add_f64 v[123:124], v[92:93], v[112:113]
	v_cvt_f32_f64_e32 v125, v[125:126]
	v_add_f64 v[126:127], v[82:83], v[110:111]
	v_cvt_f32_f64_e32 v123, v[123:124]
	v_cvt_f32_f64_e32 v126, v[126:127]
	v_add_f64 v[127:128], v[78:79], v[110:111]
	v_min3_f32 v117, v117, v123, v184
	v_add_f64 v[123:124], v[88:89], v[112:113]
	v_cvt_f32_f64_e32 v127, v[127:128]
	v_cvt_f32_f64_e32 v123, v[123:124]
	v_min3_f32 v123, v125, v123, v183
	v_add_f64 v[124:125], v[84:85], v[112:113]
	v_cvt_f32_f64_e32 v124, v[124:125]
	v_min3_f32 v124, v126, v124, v182
	v_add_f64 v[125:126], v[80:81], v[112:113]
	;; [unrolled: 3-line block ×3, first 2 shown]
	v_add_f64 v[127:128], v[70:71], v[110:111]
	v_add_f64 v[112:113], v[68:69], v[112:113]
	;; [unrolled: 1-line block ×3, first 2 shown]
	v_cvt_f32_f64_e32 v125, v[125:126]
	v_cvt_f32_f64_e32 v127, v[127:128]
	;; [unrolled: 1-line block ×4, first 2 shown]
	v_min3_f32 v125, v127, v125, v180
	v_add_f64 v[126:127], v[98:99], v[106:107]
	v_min3_f32 v112, v110, v111, v179
	v_add_f64 v[110:111], v[100:101], v[108:109]
	v_cvt_f32_f64_e32 v113, v[126:127]
	v_add_f64 v[126:127], v[94:95], v[106:107]
	v_cvt_f32_f64_e32 v110, v[110:111]
	v_cvt_f32_f64_e32 v126, v[126:127]
	v_add_f64 v[127:128], v[90:91], v[106:107]
	v_min3_f32 v113, v113, v110, v178
	v_add_f64 v[110:111], v[96:97], v[108:109]
	v_cvt_f32_f64_e32 v127, v[127:128]
	v_add_f64 v[128:129], v[86:87], v[106:107]
	v_cvt_f32_f64_e32 v110, v[110:111]
	v_cvt_f32_f64_e32 v128, v[128:129]
	v_min3_f32 v126, v126, v110, v177
	v_add_f64 v[110:111], v[92:93], v[108:109]
	v_cvt_f32_f64_e32 v110, v[110:111]
	v_min3_f32 v127, v127, v110, v170
	v_add_f64 v[110:111], v[88:89], v[108:109]
	;; [unrolled: 3-line block ×3, first 2 shown]
	v_add_f64 v[169:170], v[82:83], v[106:107]
	v_cvt_f32_f64_e32 v110, v[110:111]
	v_cvt_f32_f64_e32 v129, v[169:170]
	v_min3_f32 v129, v129, v110, v168
	v_add_f64 v[110:111], v[80:81], v[108:109]
	v_add_f64 v[168:169], v[78:79], v[106:107]
	v_cvt_f32_f64_e32 v110, v[110:111]
	v_cvt_f32_f64_e32 v168, v[168:169]
	v_min3_f32 v167, v168, v110, v167
	v_add_f64 v[110:111], v[72:73], v[108:109]
	v_add_f64 v[168:169], v[70:71], v[106:107]
	;; [unrolled: 1-line block ×4, first 2 shown]
	v_cvt_f32_f64_e32 v110, v[110:111]
	v_cvt_f32_f64_e32 v168, v[168:169]
	;; [unrolled: 1-line block ×4, first 2 shown]
	v_add_f64 v[108:109], v[98:99], v[102:103]
	v_add_f64 v[98:99], v[98:99], v[74:75]
	v_min3_f32 v166, v168, v110, v166
	v_min3_f32 v165, v106, v107, v165
	v_add_f64 v[106:107], v[100:101], v[104:105]
	v_cvt_f32_f64_e32 v108, v[108:109]
	v_add_f64 v[100:101], v[100:101], v[76:77]
	v_cvt_f32_f64_e32 v98, v[98:99]
	v_cvt_f32_f64_e32 v106, v[106:107]
	;; [unrolled: 1-line block ×3, first 2 shown]
	v_min3_f32 v164, v108, v106, v164
	v_add_f64 v[106:107], v[96:97], v[104:105]
	v_add_f64 v[108:109], v[94:95], v[102:103]
	;; [unrolled: 1-line block ×4, first 2 shown]
	v_min3_f32 v98, v98, v99, v156
	v_add_f64 v[99:100], v[10:11], v[46:47]
	v_cvt_f32_f64_e32 v106, v[106:107]
	v_cvt_f32_f64_e32 v108, v[108:109]
	v_add_f64 v[109:110], v[90:91], v[102:103]
	v_add_f64 v[90:91], v[90:91], v[74:75]
	v_cvt_f32_f64_e32 v94, v[94:95]
	v_cvt_f32_f64_e32 v95, v[96:97]
	v_min3_f32 v106, v108, v106, v163
	v_add_f64 v[107:108], v[92:93], v[104:105]
	v_cvt_f32_f64_e32 v109, v[109:110]
	v_add_f64 v[110:111], v[86:87], v[102:103]
	v_add_f64 v[86:87], v[86:87], v[74:75]
	;; [unrolled: 1-line block ×3, first 2 shown]
	v_cvt_f32_f64_e32 v90, v[90:91]
	v_min3_f32 v94, v94, v95, v155
	v_add_f64 v[95:96], v[6:7], v[50:51]
	v_cvt_f32_f64_e32 v107, v[107:108]
	v_cvt_f32_f64_e32 v110, v[110:111]
	;; [unrolled: 1-line block ×4, first 2 shown]
	v_min3_f32 v107, v109, v107, v162
	v_add_f64 v[108:109], v[88:89], v[104:105]
	v_add_f64 v[88:89], v[88:89], v[76:77]
	v_min3_f32 v90, v90, v91, v154
	v_add_f64 v[91:92], v[26:27], v[50:51]
	v_cvt_f32_f64_e32 v108, v[108:109]
	v_cvt_f32_f64_e32 v87, v[88:89]
	v_min3_f32 v108, v110, v108, v161
	v_add_f64 v[109:110], v[84:85], v[104:105]
	v_add_f64 v[161:162], v[82:83], v[102:103]
	;; [unrolled: 1-line block ×4, first 2 shown]
	v_min3_f32 v86, v86, v87, v153
	v_add_f64 v[87:88], v[14:15], v[54:55]
	v_cvt_f32_f64_e32 v109, v[109:110]
	v_cvt_f32_f64_e32 v111, v[161:162]
	;; [unrolled: 1-line block ×4, first 2 shown]
	v_min3_f32 v109, v111, v109, v160
	v_add_f64 v[110:111], v[80:81], v[104:105]
	v_add_f64 v[160:161], v[78:79], v[102:103]
	;; [unrolled: 1-line block ×4, first 2 shown]
	v_min3_f32 v82, v82, v83, v152
	v_add_f64 v[83:84], v[10:11], v[58:59]
	v_cvt_f32_f64_e32 v110, v[110:111]
	v_cvt_f32_f64_e32 v160, v[160:161]
	v_add_f64 v[161:162], v[70:71], v[102:103]
	v_add_f64 v[102:103], v[66:67], v[102:103]
	;; [unrolled: 1-line block ×5, first 2 shown]
	v_cvt_f32_f64_e32 v78, v[78:79]
	v_cvt_f32_f64_e32 v79, v[80:81]
	v_min3_f32 v110, v160, v110, v159
	v_add_f64 v[159:160], v[72:73], v[104:105]
	v_add_f64 v[104:105], v[68:69], v[104:105]
	;; [unrolled: 1-line block ×4, first 2 shown]
	v_cvt_f32_f64_e32 v66, v[66:67]
	v_cvt_f32_f64_e32 v70, v[70:71]
	v_add_f64 v[76:77], v[14:15], v[62:63]
	v_min3_f32 v78, v78, v79, v151
	v_add_f64 v[79:80], v[26:27], v[58:59]
	v_cvt_f32_f64_e32 v102, v[102:103]
	v_cvt_f32_f64_e32 v111, v[161:162]
	;; [unrolled: 1-line block ×6, first 2 shown]
	v_add_f64 v[68:69], v[34:35], v[62:63]
	v_min3_f32 v111, v111, v159, v158
	v_min3_f32 v102, v102, v103, v157
	;; [unrolled: 1-line block ×3, first 2 shown]
	v_add_f64 v[66:67], v[36:37], v[64:65]
	v_cvt_f32_f64_e32 v68, v[68:69]
	v_min3_f32 v71, v70, v71, v150
	v_add_f64 v[69:70], v[30:31], v[62:63]
	v_cvt_f32_f64_e32 v66, v[66:67]
	v_cvt_f32_f64_e32 v69, v[69:70]
	;; [unrolled: 1-line block ×3, first 2 shown]
	v_add_f64 v[74:75], v[18:19], v[62:63]
	v_min3_f32 v66, v68, v66, v218
	v_add_f64 v[67:68], v[32:33], v[64:65]
	v_cvt_f32_f64_e32 v72, v[74:75]
	v_add_f64 v[74:75], v[16:17], v[64:65]
	v_cvt_f32_f64_e32 v67, v[67:68]
	v_min3_f32 v67, v69, v67, v217
	v_add_f64 v[68:69], v[28:29], v[64:65]
	v_cvt_f32_f64_e32 v68, v[68:69]
	v_min3_f32 v68, v70, v68, v216
	v_add_f64 v[69:70], v[20:21], v[64:65]
	v_cvt_f32_f64_e32 v69, v[69:70]
	v_cvt_f32_f64_e32 v70, v[76:77]
	v_add_f64 v[76:77], v[10:11], v[62:63]
	v_min3_f32 v69, v72, v69, v215
	v_cvt_f32_f64_e32 v72, v[74:75]
	v_add_f64 v[74:75], v[12:13], v[64:65]
	v_min3_f32 v70, v70, v72, v214
	v_cvt_f32_f64_e32 v72, v[76:77]
	v_cvt_f32_f64_e32 v74, v[74:75]
	v_add_f64 v[76:77], v[6:7], v[62:63]
	v_add_f64 v[62:63], v[2:3], v[62:63]
	v_min3_f32 v72, v72, v74, v213
	v_add_f64 v[74:75], v[8:9], v[64:65]
	v_add_f64 v[64:65], v[4:5], v[64:65]
	v_cvt_f32_f64_e32 v76, v[76:77]
	v_cvt_f32_f64_e32 v62, v[62:63]
	;; [unrolled: 1-line block ×4, first 2 shown]
	v_min3_f32 v74, v76, v74, v212
	v_min3_f32 v62, v62, v63, v211
	v_add_f64 v[63:64], v[36:37], v[60:61]
	v_add_f64 v[75:76], v[34:35], v[58:59]
	v_cvt_f32_f64_e32 v63, v[63:64]
	v_cvt_f32_f64_e32 v65, v[75:76]
	v_add_f64 v[75:76], v[30:31], v[58:59]
	v_min3_f32 v63, v65, v63, v210
	v_add_f64 v[64:65], v[32:33], v[60:61]
	v_cvt_f32_f64_e32 v75, v[75:76]
	v_cvt_f32_f64_e32 v64, v[64:65]
	;; [unrolled: 1-line block ×3, first 2 shown]
	v_add_f64 v[79:80], v[18:19], v[58:59]
	v_min3_f32 v64, v75, v64, v209
	v_add_f64 v[75:76], v[28:29], v[60:61]
	v_cvt_f32_f64_e32 v77, v[79:80]
	v_add_f64 v[79:80], v[14:15], v[58:59]
	v_cvt_f32_f64_e32 v75, v[75:76]
	v_cvt_f32_f64_e32 v79, v[79:80]
	v_min3_f32 v65, v65, v75, v208
	v_add_f64 v[75:76], v[20:21], v[60:61]
	v_cvt_f32_f64_e32 v75, v[75:76]
	v_min3_f32 v75, v77, v75, v207
	v_add_f64 v[76:77], v[16:17], v[60:61]
	v_cvt_f32_f64_e32 v76, v[76:77]
	v_cvt_f32_f64_e32 v77, v[83:84]
	v_add_f64 v[83:84], v[6:7], v[58:59]
	v_add_f64 v[58:59], v[2:3], v[58:59]
	v_min3_f32 v76, v79, v76, v206
	v_add_f64 v[79:80], v[12:13], v[60:61]
	v_cvt_f32_f64_e32 v81, v[83:84]
	v_cvt_f32_f64_e32 v58, v[58:59]
	v_add_f64 v[83:84], v[26:27], v[54:55]
	v_cvt_f32_f64_e32 v79, v[79:80]
	v_min3_f32 v77, v77, v79, v205
	v_add_f64 v[79:80], v[8:9], v[60:61]
	v_add_f64 v[60:61], v[4:5], v[60:61]
	v_cvt_f32_f64_e32 v79, v[79:80]
	v_cvt_f32_f64_e32 v59, v[60:61]
	v_min3_f32 v79, v81, v79, v204
	v_min3_f32 v58, v58, v59, v203
	v_add_f64 v[59:60], v[36:37], v[56:57]
	v_add_f64 v[80:81], v[34:35], v[54:55]
	v_cvt_f32_f64_e32 v59, v[59:60]
	v_cvt_f32_f64_e32 v61, v[80:81]
	v_add_f64 v[80:81], v[30:31], v[54:55]
	v_min3_f32 v59, v61, v59, v122
	v_add_f64 v[60:61], v[32:33], v[56:57]
	v_cvt_f32_f64_e32 v80, v[80:81]
	v_cvt_f32_f64_e32 v60, v[60:61]
	;; [unrolled: 1-line block ×3, first 2 shown]
	v_add_f64 v[83:84], v[18:19], v[54:55]
	v_min3_f32 v60, v80, v60, v201
	v_add_f64 v[80:81], v[28:29], v[56:57]
	v_cvt_f32_f64_e32 v83, v[83:84]
	v_cvt_f32_f64_e32 v80, v[80:81]
	v_min3_f32 v61, v61, v80, v200
	v_add_f64 v[80:81], v[20:21], v[56:57]
	v_cvt_f32_f64_e32 v80, v[80:81]
	v_cvt_f32_f64_e32 v81, v[87:88]
	v_add_f64 v[87:88], v[10:11], v[54:55]
	v_min3_f32 v80, v83, v80, v199
	v_add_f64 v[83:84], v[16:17], v[56:57]
	v_cvt_f32_f64_e32 v85, v[87:88]
	v_add_f64 v[87:88], v[6:7], v[54:55]
	v_add_f64 v[54:55], v[2:3], v[54:55]
	v_cvt_f32_f64_e32 v83, v[83:84]
	v_cvt_f32_f64_e32 v87, v[87:88]
	;; [unrolled: 1-line block ×3, first 2 shown]
	v_min3_f32 v81, v81, v83, v198
	v_add_f64 v[83:84], v[12:13], v[56:57]
	v_cvt_f32_f64_e32 v83, v[83:84]
	v_min3_f32 v83, v85, v83, v197
	v_add_f64 v[84:85], v[8:9], v[56:57]
	v_add_f64 v[56:57], v[4:5], v[56:57]
	v_cvt_f32_f64_e32 v84, v[84:85]
	v_cvt_f32_f64_e32 v55, v[56:57]
	v_min3_f32 v84, v87, v84, v196
	v_min3_f32 v54, v54, v55, v195
	v_add_f64 v[55:56], v[36:37], v[52:53]
	v_add_f64 v[87:88], v[34:35], v[50:51]
	v_cvt_f32_f64_e32 v55, v[55:56]
	v_cvt_f32_f64_e32 v57, v[87:88]
	v_add_f64 v[87:88], v[30:31], v[50:51]
	v_min3_f32 v55, v57, v55, v194
	v_add_f64 v[56:57], v[32:33], v[52:53]
	v_cvt_f32_f64_e32 v85, v[87:88]
	v_add_f64 v[87:88], v[28:29], v[52:53]
	v_cvt_f32_f64_e32 v56, v[56:57]
	v_cvt_f32_f64_e32 v57, v[91:92]
	v_add_f64 v[91:92], v[18:19], v[50:51]
	v_min3_f32 v56, v85, v56, v193
	v_cvt_f32_f64_e32 v85, v[87:88]
	v_add_f64 v[87:88], v[20:21], v[52:53]
	v_min3_f32 v57, v57, v85, v192
	v_cvt_f32_f64_e32 v85, v[91:92]
	v_cvt_f32_f64_e32 v87, v[87:88]
	v_add_f64 v[91:92], v[14:15], v[50:51]
	v_min3_f32 v85, v85, v87, v118
	v_add_f64 v[87:88], v[16:17], v[52:53]
	v_cvt_f32_f64_e32 v89, v[91:92]
	v_add_f64 v[91:92], v[10:11], v[50:51]
	v_add_f64 v[50:51], v[2:3], v[50:51]
	v_cvt_f32_f64_e32 v87, v[87:88]
	v_cvt_f32_f64_e32 v91, v[91:92]
	;; [unrolled: 1-line block ×3, first 2 shown]
	v_min3_f32 v87, v89, v87, v119
	v_add_f64 v[88:89], v[12:13], v[52:53]
	v_cvt_f32_f64_e32 v88, v[88:89]
	v_cvt_f32_f64_e32 v89, v[95:96]
	v_add_f64 v[95:96], v[26:27], v[46:47]
	v_min3_f32 v88, v91, v88, v120
	v_add_f64 v[91:92], v[8:9], v[52:53]
	v_add_f64 v[52:53], v[4:5], v[52:53]
	v_cvt_f32_f64_e32 v91, v[91:92]
	v_cvt_f32_f64_e32 v51, v[52:53]
	v_min3_f32 v89, v89, v91, v121
	v_min3_f32 v50, v50, v51, v114
	v_add_f64 v[51:52], v[36:37], v[48:49]
	v_add_f64 v[91:92], v[34:35], v[46:47]
	v_cvt_f32_f64_e32 v51, v[51:52]
	v_cvt_f32_f64_e32 v53, v[91:92]
	v_add_f64 v[91:92], v[30:31], v[46:47]
	v_min3_f32 v51, v53, v51, v115
	v_add_f64 v[52:53], v[32:33], v[48:49]
	v_cvt_f32_f64_e32 v91, v[91:92]
	v_cvt_f32_f64_e32 v52, v[52:53]
	;; [unrolled: 1-line block ×3, first 2 shown]
	v_add_f64 v[95:96], v[18:19], v[46:47]
	v_min3_f32 v52, v91, v52, v116
	v_add_f64 v[91:92], v[28:29], v[48:49]
	v_cvt_f32_f64_e32 v93, v[95:96]
	v_add_f64 v[95:96], v[14:15], v[46:47]
	v_cvt_f32_f64_e32 v91, v[91:92]
	v_cvt_f32_f64_e32 v95, v[95:96]
	v_min3_f32 v53, v53, v91, v117
	v_add_f64 v[91:92], v[20:21], v[48:49]
	v_cvt_f32_f64_e32 v91, v[91:92]
	v_min3_f32 v91, v93, v91, v123
	v_add_f64 v[92:93], v[16:17], v[48:49]
	v_cvt_f32_f64_e32 v92, v[92:93]
	v_cvt_f32_f64_e32 v93, v[99:100]
	v_add_f64 v[99:100], v[6:7], v[46:47]
	v_add_f64 v[46:47], v[2:3], v[46:47]
	v_min3_f32 v92, v95, v92, v124
	v_add_f64 v[95:96], v[12:13], v[48:49]
	v_cvt_f32_f64_e32 v46, v[46:47]
	v_cvt_f32_f64_e32 v95, v[95:96]
	v_min3_f32 v149, v93, v95, v181
	v_add_f64 v[95:96], v[8:9], v[48:49]
	v_add_f64 v[48:49], v[4:5], v[48:49]
	v_cvt_f32_f64_e32 v93, v[99:100]
	v_add_f64 v[99:100], v[26:27], v[42:43]
	v_cvt_f32_f64_e32 v95, v[95:96]
	v_cvt_f32_f64_e32 v47, v[48:49]
	v_min3_f32 v150, v93, v95, v125
	v_min3_f32 v46, v46, v47, v112
	v_add_f64 v[47:48], v[36:37], v[44:45]
	v_add_f64 v[95:96], v[34:35], v[42:43]
	v_cvt_f32_f64_e32 v47, v[47:48]
	v_cvt_f32_f64_e32 v49, v[95:96]
	v_add_f64 v[95:96], v[30:31], v[42:43]
	v_min3_f32 v47, v49, v47, v113
	v_add_f64 v[48:49], v[32:33], v[44:45]
	v_cvt_f32_f64_e32 v93, v[95:96]
	v_add_f64 v[95:96], v[28:29], v[44:45]
	v_cvt_f32_f64_e32 v48, v[48:49]
	v_cvt_f32_f64_e32 v49, v[99:100]
	v_add_f64 v[99:100], v[18:19], v[42:43]
	v_min3_f32 v48, v93, v48, v126
	v_cvt_f32_f64_e32 v93, v[95:96]
	v_add_f64 v[95:96], v[20:21], v[44:45]
	v_min3_f32 v49, v49, v93, v127
	v_cvt_f32_f64_e32 v93, v[99:100]
	v_cvt_f32_f64_e32 v95, v[95:96]
	v_add_f64 v[99:100], v[14:15], v[42:43]
	v_min3_f32 v151, v93, v95, v128
	v_add_f64 v[95:96], v[16:17], v[44:45]
	v_cvt_f32_f64_e32 v93, v[99:100]
	v_add_f64 v[99:100], v[10:11], v[42:43]
	v_cvt_f32_f64_e32 v95, v[95:96]
	v_min3_f32 v152, v93, v95, v129
	v_add_f64 v[95:96], v[12:13], v[44:45]
	v_cvt_f32_f64_e32 v93, v[99:100]
	v_add_f64 v[99:100], v[6:7], v[42:43]
	v_add_f64 v[42:43], v[2:3], v[42:43]
	v_cvt_f32_f64_e32 v95, v[95:96]
	v_cvt_f32_f64_e32 v42, v[42:43]
	v_min3_f32 v153, v93, v95, v167
	v_add_f64 v[95:96], v[8:9], v[44:45]
	v_add_f64 v[44:45], v[4:5], v[44:45]
	v_cvt_f32_f64_e32 v93, v[99:100]
	v_add_f64 v[99:100], v[26:27], v[38:39]
	v_add_f64 v[26:27], v[26:27], v[22:23]
	v_cvt_f32_f64_e32 v95, v[95:96]
	v_cvt_f32_f64_e32 v43, v[44:45]
	;; [unrolled: 1-line block ×3, first 2 shown]
	v_min3_f32 v154, v93, v95, v166
	v_min3_f32 v42, v42, v43, v165
	v_add_f64 v[43:44], v[36:37], v[40:41]
	v_add_f64 v[95:96], v[34:35], v[38:39]
	;; [unrolled: 1-line block ×4, first 2 shown]
	v_cvt_f32_f64_e32 v43, v[43:44]
	v_cvt_f32_f64_e32 v45, v[95:96]
	v_add_f64 v[95:96], v[30:31], v[38:39]
	v_add_f64 v[30:31], v[30:31], v[22:23]
	v_cvt_f32_f64_e32 v34, v[34:35]
	v_cvt_f32_f64_e32 v35, v[36:37]
	v_min3_f32 v43, v45, v43, v164
	v_add_f64 v[44:45], v[32:33], v[40:41]
	v_cvt_f32_f64_e32 v93, v[95:96]
	v_add_f64 v[95:96], v[28:29], v[40:41]
	v_add_f64 v[32:33], v[32:33], v[24:25]
	;; [unrolled: 1-line block ×3, first 2 shown]
	v_cvt_f32_f64_e32 v30, v[30:31]
	v_min3_f32 v190, v34, v35, v98
	v_cvt_f32_f64_e32 v44, v[44:45]
	v_cvt_f32_f64_e32 v45, v[99:100]
	v_add_f64 v[99:100], v[18:19], v[38:39]
	v_add_f64 v[18:19], v[18:19], v[22:23]
	v_cvt_f32_f64_e32 v31, v[32:33]
	v_cvt_f32_f64_e32 v27, v[28:29]
	v_min3_f32 v44, v93, v44, v106
	v_cvt_f32_f64_e32 v93, v[95:96]
	v_add_f64 v[95:96], v[20:21], v[40:41]
	v_add_f64 v[20:21], v[20:21], v[24:25]
	v_cvt_f32_f64_e32 v18, v[18:19]
	v_min3_f32 v191, v30, v31, v94
	v_min3_f32 v192, v26, v27, v90
	;; [unrolled: 1-line block ×3, first 2 shown]
	v_cvt_f32_f64_e32 v93, v[99:100]
	v_cvt_f32_f64_e32 v95, v[95:96]
	v_add_f64 v[99:100], v[14:15], v[38:39]
	v_add_f64 v[14:15], v[14:15], v[22:23]
	v_cvt_f32_f64_e32 v19, v[20:21]
	v_min3_f32 v155, v93, v95, v108
	v_add_f64 v[95:96], v[16:17], v[40:41]
	v_cvt_f32_f64_e32 v93, v[99:100]
	v_add_f64 v[99:100], v[10:11], v[38:39]
	v_add_f64 v[16:17], v[16:17], v[24:25]
	;; [unrolled: 1-line block ×3, first 2 shown]
	v_cvt_f32_f64_e32 v14, v[14:15]
	v_min3_f32 v193, v18, v19, v86
	v_cvt_f32_f64_e32 v95, v[95:96]
	v_cvt_f32_f64_e32 v15, v[16:17]
	;; [unrolled: 1-line block ×3, first 2 shown]
	v_min3_f32 v156, v93, v95, v109
	v_add_f64 v[95:96], v[12:13], v[40:41]
	v_cvt_f32_f64_e32 v93, v[99:100]
	v_add_f64 v[99:100], v[6:7], v[38:39]
	v_add_f64 v[38:39], v[2:3], v[38:39]
	;; [unrolled: 1-line block ×5, first 2 shown]
	v_min3_f32 v194, v14, v15, v82
	v_cvt_f32_f64_e32 v95, v[95:96]
	v_cvt_f32_f64_e32 v38, v[38:39]
	;; [unrolled: 1-line block ×5, first 2 shown]
	v_min3_f32 v157, v93, v95, v110
	v_add_f64 v[95:96], v[8:9], v[40:41]
	v_add_f64 v[40:41], v[4:5], v[40:41]
	;; [unrolled: 1-line block ×4, first 2 shown]
	v_cvt_f32_f64_e32 v93, v[99:100]
	v_min3_f32 v195, v10, v11, v78
	v_cvt_f32_f64_e32 v95, v[95:96]
	v_cvt_f32_f64_e32 v39, v[40:41]
	;; [unrolled: 1-line block ×4, first 2 shown]
	v_min3_f32 v170, v93, v95, v111
	v_min3_f32 v189, v38, v39, v102
	;; [unrolled: 1-line block ×4, first 2 shown]
	ds_read_b128 v[6:9], v172 offset:256
	ds_read_b128 v[10:13], v172 offset:512
	;; [unrolled: 1-line block ×14, first 2 shown]
	ds_read_b128 v[97:100], v146
	ds_read_b128 v[34:37], v146 offset:16
	ds_read_b128 v[185:188], v172
	ds_read_b128 v[2:5], v172 offset:16
	s_waitcnt lgkmcnt(1)
	v_add_f64 v[101:102], v[187:188], v[99:100]
	v_add_f64 v[103:104], v[185:186], v[97:98]
	v_cvt_f32_f64_e32 v73, v[101:102]
	v_cvt_f32_f64_e32 v71, v[103:104]
	v_add_f64 v[101:102], v[8:9], v[99:100]
	v_add_f64 v[103:104], v[6:7], v[97:98]
	v_min3_f32 v129, v71, v73, v66
	v_cvt_f32_f64_e32 v71, v[101:102]
	v_cvt_f32_f64_e32 v66, v[103:104]
	v_add_f64 v[101:102], v[10:11], v[97:98]
	v_min3_f32 v128, v66, v71, v67
	v_add_f64 v[66:67], v[12:13], v[99:100]
	v_cvt_f32_f64_e32 v71, v[101:102]
	v_add_f64 v[101:102], v[14:15], v[97:98]
	v_cvt_f32_f64_e32 v66, v[66:67]
	v_min3_f32 v127, v71, v66, v68
	v_add_f64 v[66:67], v[16:17], v[99:100]
	v_cvt_f32_f64_e32 v68, v[101:102]
	v_cvt_f32_f64_e32 v66, v[66:67]
	v_min3_f32 v126, v68, v66, v69
	v_add_f64 v[66:67], v[20:21], v[99:100]
	v_add_f64 v[68:69], v[18:19], v[97:98]
	v_cvt_f32_f64_e32 v66, v[66:67]
	v_cvt_f32_f64_e32 v68, v[68:69]
	v_min3_f32 v125, v68, v66, v70
	v_add_f64 v[66:67], v[24:25], v[99:100]
	;; [unrolled: 5-line block ×11, first 2 shown]
	v_add_f64 v[64:65], v[26:27], v[38:39]
	v_add_f64 v[40:41], v[32:33], v[40:41]
	;; [unrolled: 1-line block ×3, first 2 shown]
	v_cvt_f32_f64_e32 v62, v[62:63]
	v_cvt_f32_f64_e32 v64, v[64:65]
	v_cvt_f32_f64_e32 v38, v[38:39]
	v_cvt_f32_f64_e32 v39, v[40:41]
	v_add_f64 v[40:41], v[185:186], v[93:94]
	v_min3_f32 v115, v64, v62, v79
	v_min3_f32 v114, v38, v39, v58
	v_add_f64 v[38:39], v[187:188], v[95:96]
	v_cvt_f32_f64_e32 v40, v[40:41]
	v_cvt_f32_f64_e32 v38, v[38:39]
	v_min3_f32 v113, v40, v38, v59
	v_add_f64 v[38:39], v[8:9], v[95:96]
	v_add_f64 v[40:41], v[6:7], v[93:94]
	v_cvt_f32_f64_e32 v38, v[38:39]
	v_cvt_f32_f64_e32 v40, v[40:41]
	v_min3_f32 v112, v40, v38, v60
	v_add_f64 v[38:39], v[12:13], v[95:96]
	;; [unrolled: 5-line block ×23, first 2 shown]
	v_add_f64 v[40:41], v[30:31], v[162:163]
	s_waitcnt lgkmcnt(0)
	v_add_f64 v[149:150], v[4:5], v[36:37]
	v_cvt_f32_f64_e32 v38, v[38:39]
	v_cvt_f32_f64_e32 v40, v[40:41]
	;; [unrolled: 1-line block ×3, first 2 shown]
	v_min3_f32 v90, v40, v38, v46
	v_add_f64 v[38:39], v[187:188], v[168:169]
	v_add_f64 v[40:41], v[185:186], v[166:167]
	v_cvt_f32_f64_e32 v38, v[38:39]
	v_cvt_f32_f64_e32 v40, v[40:41]
	v_min3_f32 v89, v40, v38, v47
	v_add_f64 v[38:39], v[8:9], v[168:169]
	v_add_f64 v[40:41], v[6:7], v[166:167]
	v_cvt_f32_f64_e32 v38, v[38:39]
	v_cvt_f32_f64_e32 v40, v[40:41]
	;; [unrolled: 5-line block ×5, first 2 shown]
	v_min3_f32 v85, v40, v38, v152
	v_add_f64 v[38:39], v[24:25], v[168:169]
	v_add_f64 v[40:41], v[22:23], v[166:167]
	;; [unrolled: 1-line block ×3, first 2 shown]
	v_cvt_f32_f64_e32 v38, v[38:39]
	v_cvt_f32_f64_e32 v40, v[40:41]
	;; [unrolled: 1-line block ×3, first 2 shown]
	v_min3_f32 v84, v40, v38, v153
	v_add_f64 v[38:39], v[28:29], v[168:169]
	v_add_f64 v[40:41], v[26:27], v[166:167]
	v_min3_f32 v218, v151, v149, v129
	v_cvt_f32_f64_e32 v38, v[38:39]
	v_cvt_f32_f64_e32 v40, v[40:41]
	v_min3_f32 v83, v40, v38, v154
	v_add_f64 v[38:39], v[32:33], v[168:169]
	v_add_f64 v[40:41], v[30:31], v[166:167]
	v_cvt_f32_f64_e32 v38, v[38:39]
	v_cvt_f32_f64_e32 v40, v[40:41]
	v_min3_f32 v82, v40, v38, v42
	v_add_f64 v[38:39], v[187:188], v[179:180]
	v_add_f64 v[40:41], v[185:186], v[177:178]
	;; [unrolled: 5-line block ×3, first 2 shown]
	v_add_f64 v[8:9], v[8:9], v[183:184]
	v_add_f64 v[6:7], v[6:7], v[181:182]
	v_cvt_f32_f64_e32 v38, v[38:39]
	v_cvt_f32_f64_e32 v40, v[40:41]
	;; [unrolled: 1-line block ×4, first 2 shown]
	v_add_f64 v[8:9], v[10:11], v[181:182]
	v_min3_f32 v80, v40, v38, v44
	v_add_f64 v[38:39], v[12:13], v[179:180]
	v_add_f64 v[40:41], v[10:11], v[177:178]
	v_min3_f32 v72, v6, v7, v191
	v_add_f64 v[6:7], v[12:13], v[183:184]
	v_cvt_f32_f64_e32 v8, v[8:9]
	v_cvt_f32_f64_e32 v38, v[38:39]
	v_cvt_f32_f64_e32 v40, v[40:41]
	v_cvt_f32_f64_e32 v6, v[6:7]
	v_min3_f32 v79, v40, v38, v45
	v_add_f64 v[38:39], v[16:17], v[179:180]
	v_add_f64 v[40:41], v[14:15], v[177:178]
	v_min3_f32 v71, v8, v6, v192
	v_add_f64 v[6:7], v[16:17], v[183:184]
	v_add_f64 v[8:9], v[14:15], v[181:182]
	v_cvt_f32_f64_e32 v38, v[38:39]
	v_cvt_f32_f64_e32 v40, v[40:41]
	v_cvt_f32_f64_e32 v6, v[6:7]
	v_cvt_f32_f64_e32 v8, v[8:9]
	v_min3_f32 v78, v40, v38, v155
	v_add_f64 v[38:39], v[20:21], v[179:180]
	v_add_f64 v[40:41], v[18:19], v[177:178]
	v_min3_f32 v70, v8, v6, v193
	v_add_f64 v[6:7], v[20:21], v[183:184]
	v_add_f64 v[8:9], v[18:19], v[181:182]
	v_cvt_f32_f64_e32 v38, v[38:39]
	v_cvt_f32_f64_e32 v40, v[40:41]
	v_cvt_f32_f64_e32 v6, v[6:7]
	v_cvt_f32_f64_e32 v8, v[8:9]
	v_min3_f32 v77, v40, v38, v156
	v_add_f64 v[38:39], v[24:25], v[179:180]
	v_add_f64 v[40:41], v[22:23], v[177:178]
	v_min3_f32 v69, v8, v6, v194
	v_add_f64 v[6:7], v[24:25], v[183:184]
	v_add_f64 v[8:9], v[22:23], v[181:182]
	v_cvt_f32_f64_e32 v38, v[38:39]
	v_cvt_f32_f64_e32 v40, v[40:41]
	v_cvt_f32_f64_e32 v6, v[6:7]
	v_cvt_f32_f64_e32 v8, v[8:9]
	v_min3_f32 v76, v40, v38, v157
	v_add_f64 v[38:39], v[28:29], v[179:180]
	v_add_f64 v[40:41], v[26:27], v[177:178]
	v_min3_f32 v68, v8, v6, v195
	v_add_f64 v[6:7], v[28:29], v[183:184]
	v_add_f64 v[8:9], v[26:27], v[181:182]
	v_cvt_f32_f64_e32 v38, v[38:39]
	v_cvt_f32_f64_e32 v40, v[40:41]
	v_cvt_f32_f64_e32 v6, v[6:7]
	v_cvt_f32_f64_e32 v8, v[8:9]
	v_min3_f32 v75, v40, v38, v170
	v_add_f64 v[38:39], v[32:33], v[179:180]
	v_add_f64 v[40:41], v[30:31], v[177:178]
	v_min3_f32 v67, v8, v6, v196
	v_add_f64 v[6:7], v[32:33], v[183:184]
	v_add_f64 v[8:9], v[30:31], v[181:182]
	v_cvt_f32_f64_e32 v38, v[38:39]
	v_cvt_f32_f64_e32 v40, v[40:41]
	;; [unrolled: 1-line block ×4, first 2 shown]
	v_min3_f32 v74, v40, v38, v189
	v_add_f64 v[38:39], v[187:188], v[183:184]
	v_add_f64 v[40:41], v[185:186], v[181:182]
	v_min3_f32 v66, v8, v6, v197
	v_cvt_f32_f64_e32 v38, v[38:39]
	v_cvt_f32_f64_e32 v40, v[40:41]
	v_min3_f32 v73, v40, v38, v190
	ds_read_b128 v[22:25], v172 offset:272
	ds_read_b128 v[18:21], v172 offset:528
	;; [unrolled: 1-line block ×14, first 2 shown]
	ds_write_b64 v173, v[136:137]
	ds_write2st64_b64 v174, v[134:135], v[138:139] offset1:4
	ds_write2st64_b64 v174, v[140:141], v[142:143] offset0:8 offset1:12
	s_waitcnt lgkmcnt(0)
	s_barrier
	buffer_gl0_inv
	v_add_f64 v[149:150], v[24:25], v[36:37]
	v_add_f64 v[151:152], v[22:23], v[34:35]
	v_cvt_f32_f64_e32 v149, v[149:150]
	v_cvt_f32_f64_e32 v129, v[151:152]
	v_min3_f32 v217, v129, v149, v128
	v_add_f64 v[128:129], v[20:21], v[36:37]
	v_add_f64 v[149:150], v[18:19], v[34:35]
	v_cvt_f32_f64_e32 v128, v[128:129]
	v_cvt_f32_f64_e32 v149, v[149:150]
	v_min3_f32 v216, v149, v128, v127
	;; [unrolled: 5-line block ×5, first 2 shown]
	v_add_f64 v[124:125], v[32:33], v[36:37]
	v_add_f64 v[126:127], v[30:31], v[34:35]
	v_add_f64 v[36:37], v[28:29], v[36:37]
	v_add_f64 v[34:35], v[26:27], v[34:35]
	v_cvt_f32_f64_e32 v124, v[124:125]
	v_cvt_f32_f64_e32 v126, v[126:127]
	v_cvt_f32_f64_e32 v34, v[34:35]
	v_cvt_f32_f64_e32 v35, v[36:37]
	v_add_f64 v[36:37], v[2:3], v[62:63]
	v_min3_f32 v212, v126, v124, v123
	v_min3_f32 v211, v34, v35, v122
	v_add_f64 v[34:35], v[4:5], v[64:65]
	v_cvt_f32_f64_e32 v36, v[36:37]
	v_cvt_f32_f64_e32 v34, v[34:35]
	v_min3_f32 v210, v36, v34, v121
	v_add_f64 v[34:35], v[24:25], v[64:65]
	v_add_f64 v[36:37], v[22:23], v[62:63]
	v_cvt_f32_f64_e32 v34, v[34:35]
	v_cvt_f32_f64_e32 v36, v[36:37]
	v_min3_f32 v209, v36, v34, v120
	v_add_f64 v[34:35], v[20:21], v[64:65]
	;; [unrolled: 5-line block ×40, first 2 shown]
	v_add_f64 v[36:37], v[2:3], v[42:43]
	v_add_f64 v[4:5], v[4:5], v[40:41]
	;; [unrolled: 1-line block ×3, first 2 shown]
	v_cvt_f32_f64_e32 v34, v[34:35]
	v_cvt_f32_f64_e32 v36, v[36:37]
	;; [unrolled: 1-line block ×4, first 2 shown]
	v_add_f64 v[4:5], v[22:23], v[38:39]
	v_min3_f32 v164, v36, v34, v81
	v_add_f64 v[34:35], v[24:25], v[44:45]
	v_add_f64 v[36:37], v[22:23], v[42:43]
	v_min3_f32 v156, v2, v3, v73
	v_add_f64 v[2:3], v[24:25], v[40:41]
	v_cvt_f32_f64_e32 v4, v[4:5]
	v_cvt_f32_f64_e32 v34, v[34:35]
	v_cvt_f32_f64_e32 v36, v[36:37]
	v_cvt_f32_f64_e32 v2, v[2:3]
	v_min3_f32 v163, v36, v34, v80
	v_add_f64 v[34:35], v[20:21], v[44:45]
	v_add_f64 v[36:37], v[18:19], v[42:43]
	v_min3_f32 v155, v4, v2, v72
	v_add_f64 v[2:3], v[20:21], v[40:41]
	v_add_f64 v[4:5], v[18:19], v[38:39]
	v_cvt_f32_f64_e32 v34, v[34:35]
	v_cvt_f32_f64_e32 v36, v[36:37]
	v_cvt_f32_f64_e32 v2, v[2:3]
	v_cvt_f32_f64_e32 v4, v[4:5]
	v_min3_f32 v162, v36, v34, v79
	v_add_f64 v[34:35], v[16:17], v[44:45]
	v_add_f64 v[36:37], v[14:15], v[42:43]
	v_min3_f32 v154, v4, v2, v71
	v_add_f64 v[2:3], v[16:17], v[40:41]
	;; [unrolled: 10-line block ×6, first 2 shown]
	v_add_f64 v[4:5], v[26:27], v[38:39]
	v_cvt_f32_f64_e32 v34, v[34:35]
	v_cvt_f32_f64_e32 v36, v[36:37]
	;; [unrolled: 1-line block ×4, first 2 shown]
	v_min3_f32 v157, v36, v34, v74
	v_min3_f32 v149, v4, v2, v66
	s_cbranch_scc1 .LBB179_59
.LBB179_35:                             ; =>This Inner Loop Header: Depth=1
	v_add_nc_u32_e32 v220, s29, v144
                                        ; implicit-def: $vgpr134_vgpr135
	v_add_nc_u32_e32 v2, 8, v220
	v_cmp_le_i32_e64 s6, s14, v2
	s_or_b32 s6, s6, vcc_lo
	s_nor_b32 s8, s17, s6
	s_and_saveexec_b32 s30, s8
	s_xor_b32 s8, exec_lo, s30
	s_cbranch_execz .LBB179_37
; %bb.36:                               ;   in Loop: Header=BB179_35 Depth=1
	global_load_dwordx2 v[2:3], v[132:133], off
	s_waitcnt vmcnt(0)
	v_mul_f64 v[134:135], s[20:21], v[2:3]
.LBB179_37:                             ;   in Loop: Header=BB179_35 Depth=1
	s_andn2_saveexec_b32 s8, s8
; %bb.38:                               ;   in Loop: Header=BB179_35 Depth=1
	v_cndmask_b32_e64 v135, 0, 0x7fefffff, s6
	v_cndmask_b32_e64 v134, 0, -1, s6
; %bb.39:                               ;   in Loop: Header=BB179_35 Depth=1
	s_or_b32 exec_lo, exec_lo, s8
	v_add_nc_u32_e32 v219, s29, v145
	v_add_nc_u32_e32 v4, 8, v219
	v_min_i32_e32 v2, s27, v4
	v_cmp_le_i32_e64 s6, s14, v4
	v_mad_i64_i32 v[2:3], null, v2, s28, 0
	s_or_b32 s30, s0, s6
	v_cndmask_b32_e64 v137, 0, 0x7fefffff, s30
	v_cndmask_b32_e64 v136, 0, -1, s30
	v_lshlrev_b64 v[2:3], 3, v[2:3]
	v_add_co_u32 v2, s8, s24, v2
	v_add_co_ci_u32_e64 v3, null, s25, v3, s8
	s_nor_b32 s8, s17, s30
	s_and_saveexec_b32 s30, s8
	s_cbranch_execz .LBB179_41
; %bb.40:                               ;   in Loop: Header=BB179_35 Depth=1
	v_add_co_u32 v4, s8, v2, v130
	v_add_co_ci_u32_e64 v5, null, v3, v131, s8
	global_load_dwordx2 v[4:5], v[4:5], off
	s_waitcnt vmcnt(0)
	v_mul_f64 v[136:137], s[20:21], v[4:5]
.LBB179_41:                             ;   in Loop: Header=BB179_35 Depth=1
	s_or_b32 exec_lo, exec_lo, s30
	s_or_b32 s8, s1, s6
	v_cndmask_b32_e64 v139, 0, 0x7fefffff, s8
	v_cndmask_b32_e64 v138, 0, -1, s8
	s_nor_b32 s8, s17, s8
	s_and_saveexec_b32 s30, s8
	s_cbranch_execz .LBB179_43
; %bb.42:                               ;   in Loop: Header=BB179_35 Depth=1
	v_add_co_u32 v4, s8, v2, v130
	v_add_co_ci_u32_e64 v5, null, v3, v131, s8
	global_load_dwordx2 v[4:5], v[4:5], off offset:512
	s_waitcnt vmcnt(0)
	v_mul_f64 v[138:139], s[20:21], v[4:5]
.LBB179_43:                             ;   in Loop: Header=BB179_35 Depth=1
	s_or_b32 exec_lo, exec_lo, s30
	s_or_b32 s8, s2, s6
	v_cndmask_b32_e64 v141, 0, 0x7fefffff, s8
	v_cndmask_b32_e64 v140, 0, -1, s8
	s_nor_b32 s8, s17, s8
	s_and_saveexec_b32 s30, s8
	s_cbranch_execz .LBB179_45
; %bb.44:                               ;   in Loop: Header=BB179_35 Depth=1
	v_add_co_u32 v4, s8, v2, v130
	v_add_co_ci_u32_e64 v5, null, v3, v131, s8
	global_load_dwordx2 v[4:5], v[4:5], off offset:1024
	s_waitcnt vmcnt(0)
	v_mul_f64 v[140:141], s[20:21], v[4:5]
.LBB179_45:                             ;   in Loop: Header=BB179_35 Depth=1
	;; [unrolled: 14-line block ×3, first 2 shown]
	s_or_b32 exec_lo, exec_lo, s8
	ds_read_b128 v[126:129], v176
	ds_read_b128 v[62:65], v176 offset:16
	ds_read_b128 v[98:101], v175
	ds_read_b128 v[34:37], v175 offset:16
	ds_read_b128 v[94:97], v175 offset:256
	;; [unrolled: 1-line block ×29, first 2 shown]
	v_add_nc_u32_e32 v220, 12, v220
	ds_write_b64 v171, v[134:135]
	ds_write2st64_b64 v148, v[136:137], v[138:139] offset1:4
	ds_write2st64_b64 v148, v[140:141], v[142:143] offset0:8 offset1:12
	s_waitcnt lgkmcnt(0)
	s_barrier
	buffer_gl0_inv
	v_cmp_le_i32_e64 s6, s14, v220
                                        ; implicit-def: $vgpr136_vgpr137
	s_or_b32 s6, s6, vcc_lo
	s_nor_b32 s8, s17, s6
	s_and_saveexec_b32 s30, s8
	s_xor_b32 s8, exec_lo, s30
	s_cbranch_execz .LBB179_49
; %bb.48:                               ;   in Loop: Header=BB179_35 Depth=1
	global_load_dwordx2 v[134:135], v[132:133], off offset:32
	s_waitcnt vmcnt(0)
	v_mul_f64 v[136:137], s[20:21], v[134:135]
.LBB179_49:                             ;   in Loop: Header=BB179_35 Depth=1
	s_andn2_saveexec_b32 s8, s8
; %bb.50:                               ;   in Loop: Header=BB179_35 Depth=1
	v_cndmask_b32_e64 v137, 0, 0x7fefffff, s6
	v_cndmask_b32_e64 v136, 0, -1, s6
; %bb.51:                               ;   in Loop: Header=BB179_35 Depth=1
	s_or_b32 exec_lo, exec_lo, s8
	v_add_nc_u32_e32 v138, 12, v219
	v_min_i32_e32 v134, s27, v138
	v_cmp_le_i32_e64 s6, s14, v138
	v_mad_i64_i32 v[134:135], null, v134, s28, 0
	s_or_b32 s30, s0, s6
	v_lshlrev_b64 v[138:139], 3, v[134:135]
	v_cndmask_b32_e64 v135, 0, 0x7fefffff, s30
	v_cndmask_b32_e64 v134, 0, -1, s30
	v_add_co_u32 v219, s8, s24, v138
	v_add_co_ci_u32_e64 v220, null, s25, v139, s8
	s_nor_b32 s8, s17, s30
	s_and_saveexec_b32 s30, s8
	s_cbranch_execz .LBB179_53
; %bb.52:                               ;   in Loop: Header=BB179_35 Depth=1
	v_add_co_u32 v134, s8, v219, v130
	v_add_co_ci_u32_e64 v135, null, v220, v131, s8
	global_load_dwordx2 v[134:135], v[134:135], off
	s_waitcnt vmcnt(0)
	v_mul_f64 v[134:135], s[20:21], v[134:135]
.LBB179_53:                             ;   in Loop: Header=BB179_35 Depth=1
	s_or_b32 exec_lo, exec_lo, s30
	s_or_b32 s8, s1, s6
	v_cndmask_b32_e64 v139, 0, 0x7fefffff, s8
	v_cndmask_b32_e64 v138, 0, -1, s8
	s_nor_b32 s8, s17, s8
	s_and_saveexec_b32 s30, s8
	s_cbranch_execz .LBB179_55
; %bb.54:                               ;   in Loop: Header=BB179_35 Depth=1
	v_add_co_u32 v138, s8, v219, v130
	v_add_co_ci_u32_e64 v139, null, v220, v131, s8
	global_load_dwordx2 v[138:139], v[138:139], off offset:512
	s_waitcnt vmcnt(0)
	v_mul_f64 v[138:139], s[20:21], v[138:139]
.LBB179_55:                             ;   in Loop: Header=BB179_35 Depth=1
	s_or_b32 exec_lo, exec_lo, s30
	s_or_b32 s8, s2, s6
	v_cndmask_b32_e64 v141, 0, 0x7fefffff, s8
	v_cndmask_b32_e64 v140, 0, -1, s8
	s_nor_b32 s8, s17, s8
	s_and_saveexec_b32 s30, s8
	s_cbranch_execz .LBB179_57
; %bb.56:                               ;   in Loop: Header=BB179_35 Depth=1
	v_add_co_u32 v140, s8, v219, v130
	v_add_co_ci_u32_e64 v141, null, v220, v131, s8
	global_load_dwordx2 v[140:141], v[140:141], off offset:1024
	s_waitcnt vmcnt(0)
	v_mul_f64 v[140:141], s[20:21], v[140:141]
.LBB179_57:                             ;   in Loop: Header=BB179_35 Depth=1
	s_or_b32 exec_lo, exec_lo, s30
	s_or_b32 s6, s3, s6
	v_cndmask_b32_e64 v143, 0, 0x7fefffff, s6
	v_cndmask_b32_e64 v142, 0, -1, s6
	s_nor_b32 s6, s17, s6
	s_and_saveexec_b32 s8, s6
	s_cbranch_execz .LBB179_34
; %bb.58:                               ;   in Loop: Header=BB179_35 Depth=1
	v_add_co_u32 v142, s6, v219, v130
	v_add_co_ci_u32_e64 v143, null, v220, v131, s6
	global_load_dwordx2 v[142:143], v[142:143], off offset:1536
	s_waitcnt vmcnt(0)
	v_mul_f64 v[142:143], s[20:21], v[142:143]
	s_branch .LBB179_34
.LBB179_59:
	s_clause 0x2
	s_load_dwordx2 s[0:1], s[4:5], 0x78
	s_load_dword s17, s[4:5], 0x58
	s_load_dword s14, s[4:5], 0x70
	ds_read_b128 v[70:73], v147 offset:18432
	ds_read_b128 v[66:69], v147 offset:18448
	ds_read_b128 v[126:129], v146 offset:8192
	ds_read_b128 v[122:125], v146 offset:8208
	ds_read_b128 v[62:65], v147 offset:18688
	ds_read_b128 v[58:61], v147 offset:18704
	ds_read_b128 v[54:57], v147 offset:18944
	ds_read_b128 v[50:53], v147 offset:18960
	ds_read_b128 v[46:49], v147 offset:19200
	ds_read_b128 v[42:45], v147 offset:19216
	ds_read_b128 v[38:41], v147 offset:19456
	ds_read_b128 v[34:37], v147 offset:19472
	ds_read_b128 v[30:33], v147 offset:19712
	ds_read_b128 v[26:29], v147 offset:19728
	ds_read_b128 v[22:25], v147 offset:19968
	ds_read_b128 v[18:21], v147 offset:19984
	v_add_nc_u32_e32 v145, s16, v1
	ds_read_b128 v[6:9], v147 offset:20224
	ds_read_b128 v[2:5], v147 offset:20240
	;; [unrolled: 1-line block ×16, first 2 shown]
	v_add_nc_u32_e32 v0, s15, v0
	v_cmp_gt_i32_e64 s8, s13, v145
	v_cndmask_b32_e64 v144, 0, 1, s9
	v_ashrrev_i32_e32 v1, 31, v0
	s_waitcnt lgkmcnt(0)
	s_mul_i32 s1, s1, s7
	v_mad_i64_i32 v[130:131], null, v145, s17, 0
	v_mad_i64_i32 v[132:133], null, v145, s14, 0
	s_mul_hi_u32 s2, s0, s7
	s_mul_i32 s0, s0, s7
	s_add_i32 s1, s2, s1
	s_lshl_b64 s[0:1], s[0:1], 3
	v_lshlrev_b64 v[130:131], 3, v[130:131]
	v_lshlrev_b64 v[132:133], 3, v[132:133]
	s_add_u32 s18, s18, s0
	s_addc_u32 s15, s19, s1
	v_cmp_gt_i32_e64 s0, s12, v0
	v_add_co_u32 v148, vcc_lo, s22, v130
	v_add_co_ci_u32_e64 v171, null, s23, v131, vcc_lo
	v_add_co_u32 v146, vcc_lo, s18, v132
	v_add_co_ci_u32_e64 v147, null, s15, v133, vcc_lo
	s_and_b32 s2, s0, s8
	s_and_saveexec_b32 s1, s2
	s_cbranch_execz .LBB179_64
; %bb.60:
	s_andn2_b32 vcc_lo, exec_lo, s9
	s_cbranch_vccnz .LBB179_62
; %bb.61:
	v_lshlrev_b64 v[130:131], 3, v[0:1]
	v_add_co_u32 v130, vcc_lo, v148, v130
	v_add_co_ci_u32_e64 v131, null, v171, v131, vcc_lo
	global_load_dwordx2 v[130:131], v[130:131], off
	s_waitcnt vmcnt(0)
	v_mul_f64 v[130:131], s[10:11], v[130:131]
	v_cvt_f32_f64_e32 v130, v[130:131]
	s_branch .LBB179_63
.LBB179_62:
	v_mov_b32_e32 v130, 0
.LBB179_63:
	v_add_f64 v[131:132], v[70:71], v[126:127]
	v_add_f64 v[133:134], v[72:73], v[128:129]
	;; [unrolled: 1-line block ×4, first 2 shown]
	v_cvt_f32_f64_e32 v131, v[131:132]
	v_cvt_f32_f64_e32 v132, v[133:134]
	;; [unrolled: 1-line block ×4, first 2 shown]
	v_min3_f32 v131, v131, v132, v218
	v_min_f32_e32 v132, v133, v134
	v_min3_f32 v130, v130, v132, v131
	v_lshlrev_b64 v[132:133], 3, v[0:1]
	v_cvt_f64_f32_e32 v[130:131], v130
	v_add_co_u32 v132, vcc_lo, v146, v132
	v_add_co_ci_u32_e64 v133, null, v147, v133, vcc_lo
	global_store_dwordx2 v[132:133], v[130:131], off
.LBB179_64:
	s_or_b32 exec_lo, exec_lo, s1
	v_add_nc_u32_e32 v130, 8, v0
	v_cmp_gt_i32_e64 s1, s12, v130
	v_ashrrev_i32_e32 v131, 31, v130
	s_and_b32 s3, s1, s8
	s_and_saveexec_b32 s2, s3
	s_cbranch_execz .LBB179_69
; %bb.65:
	v_cmp_ne_u32_e32 vcc_lo, 1, v144
	s_cbranch_vccnz .LBB179_67
; %bb.66:
	v_lshlrev_b64 v[132:133], 3, v[130:131]
	v_add_co_u32 v132, vcc_lo, v148, v132
	v_add_co_ci_u32_e64 v133, null, v171, v133, vcc_lo
	global_load_dwordx2 v[132:133], v[132:133], off
	s_waitcnt vmcnt(0)
	v_mul_f64 v[132:133], s[10:11], v[132:133]
	v_cvt_f32_f64_e32 v132, v[132:133]
	s_branch .LBB179_68
.LBB179_67:
	v_mov_b32_e32 v132, 0
.LBB179_68:
	v_add_f64 v[133:134], v[62:63], v[126:127]
	v_add_f64 v[135:136], v[64:65], v[128:129]
	v_add_f64 v[137:138], v[58:59], v[122:123]
	v_add_f64 v[139:140], v[60:61], v[124:125]
	v_cvt_f32_f64_e32 v133, v[133:134]
	v_cvt_f32_f64_e32 v134, v[135:136]
	v_cvt_f32_f64_e32 v135, v[137:138]
	v_cvt_f32_f64_e32 v136, v[139:140]
	v_min3_f32 v133, v133, v134, v217
	v_min_f32_e32 v134, v135, v136
	v_min3_f32 v132, v132, v134, v133
	v_lshlrev_b64 v[134:135], 3, v[130:131]
	v_cvt_f64_f32_e32 v[132:133], v132
	v_add_co_u32 v134, vcc_lo, v146, v134
	v_add_co_ci_u32_e64 v135, null, v147, v135, vcc_lo
	global_store_dwordx2 v[134:135], v[132:133], off
.LBB179_69:
	s_or_b32 exec_lo, exec_lo, s2
	v_add_nc_u32_e32 v132, 16, v0
	v_cmp_gt_i32_e64 s2, s12, v132
	v_ashrrev_i32_e32 v133, 31, v132
	s_and_b32 s4, s2, s8
	s_and_saveexec_b32 s3, s4
	s_cbranch_execz .LBB179_74
; %bb.70:
	v_cmp_ne_u32_e32 vcc_lo, 1, v144
	s_cbranch_vccnz .LBB179_72
; %bb.71:
	v_lshlrev_b64 v[134:135], 3, v[132:133]
	v_add_co_u32 v134, vcc_lo, v148, v134
	v_add_co_ci_u32_e64 v135, null, v171, v135, vcc_lo
	global_load_dwordx2 v[134:135], v[134:135], off
	s_waitcnt vmcnt(0)
	v_mul_f64 v[134:135], s[10:11], v[134:135]
	v_cvt_f32_f64_e32 v134, v[134:135]
	s_branch .LBB179_73
.LBB179_72:
	v_mov_b32_e32 v134, 0
.LBB179_73:
	v_add_f64 v[135:136], v[54:55], v[126:127]
	v_add_f64 v[137:138], v[56:57], v[128:129]
	v_add_f64 v[139:140], v[50:51], v[122:123]
	v_add_f64 v[141:142], v[52:53], v[124:125]
	v_cvt_f32_f64_e32 v135, v[135:136]
	v_cvt_f32_f64_e32 v136, v[137:138]
	v_cvt_f32_f64_e32 v137, v[139:140]
	v_cvt_f32_f64_e32 v138, v[141:142]
	v_min3_f32 v135, v135, v136, v216
	v_min_f32_e32 v136, v137, v138
	v_min3_f32 v134, v134, v136, v135
	v_lshlrev_b64 v[136:137], 3, v[132:133]
	v_cvt_f64_f32_e32 v[134:135], v134
	v_add_co_u32 v136, vcc_lo, v146, v136
	v_add_co_ci_u32_e64 v137, null, v147, v137, vcc_lo
	global_store_dwordx2 v[136:137], v[134:135], off
.LBB179_74:
	;; [unrolled: 39-line block ×7, first 2 shown]
	s_or_b32 exec_lo, exec_lo, s8
	v_add_nc_u32_e32 v126, 32, v145
	v_mad_i64_i32 v[122:123], null, v126, s17, 0
	v_mad_i64_i32 v[124:125], null, v126, s14, 0
	v_cmp_gt_i32_e64 s8, s13, v126
	v_lshlrev_b64 v[122:123], 3, v[122:123]
	s_and_b32 s12, s0, s8
	v_lshlrev_b64 v[126:127], 3, v[124:125]
	v_add_co_u32 v124, vcc_lo, s22, v122
	v_add_co_ci_u32_e64 v125, null, s23, v123, vcc_lo
	v_add_co_u32 v122, vcc_lo, s18, v126
	v_add_co_ci_u32_e64 v123, null, s15, v127, vcc_lo
	s_and_saveexec_b32 s9, s12
	s_cbranch_execnz .LBB179_107
; %bb.100:
	s_or_b32 exec_lo, exec_lo, s9
	s_and_b32 s12, s1, s8
	s_and_saveexec_b32 s9, s12
	s_cbranch_execnz .LBB179_111
.LBB179_101:
	s_or_b32 exec_lo, exec_lo, s9
	s_and_b32 s12, s2, s8
	s_and_saveexec_b32 s9, s12
	s_cbranch_execnz .LBB179_115
.LBB179_102:
	s_or_b32 exec_lo, exec_lo, s9
	s_and_b32 s12, s3, s8
	s_and_saveexec_b32 s9, s12
	s_cbranch_execnz .LBB179_119
.LBB179_103:
	s_or_b32 exec_lo, exec_lo, s9
	s_and_b32 s12, s4, s8
	s_and_saveexec_b32 s9, s12
	s_cbranch_execnz .LBB179_123
.LBB179_104:
	s_or_b32 exec_lo, exec_lo, s9
	s_and_b32 s12, s5, s8
	s_and_saveexec_b32 s9, s12
	s_cbranch_execnz .LBB179_127
.LBB179_105:
	s_or_b32 exec_lo, exec_lo, s9
	s_and_b32 s12, s6, s8
	s_and_saveexec_b32 s9, s12
	s_cbranch_execnz .LBB179_131
.LBB179_106:
	s_or_b32 exec_lo, exec_lo, s9
	s_and_b32 s9, s7, s8
	s_and_saveexec_b32 s8, s9
	s_cbranch_execnz .LBB179_135
	s_branch .LBB179_139
.LBB179_107:
	v_cmp_ne_u32_e32 vcc_lo, 1, v144
	s_cbranch_vccnz .LBB179_109
; %bb.108:
	v_lshlrev_b64 v[126:127], 3, v[0:1]
	v_add_co_u32 v126, vcc_lo, v124, v126
	v_add_co_ci_u32_e64 v127, null, v125, v127, vcc_lo
	global_load_dwordx2 v[126:127], v[126:127], off
	s_waitcnt vmcnt(0)
	v_mul_f64 v[126:127], s[10:11], v[126:127]
	v_cvt_f32_f64_e32 v126, v[126:127]
	s_branch .LBB179_110
.LBB179_109:
	v_mov_b32_e32 v126, 0
.LBB179_110:
	v_add_f64 v[127:128], v[70:71], v[118:119]
	v_add_f64 v[146:147], v[72:73], v[120:121]
	;; [unrolled: 1-line block ×4, first 2 shown]
	v_cvt_f32_f64_e32 v127, v[127:128]
	v_cvt_f32_f64_e32 v128, v[146:147]
	v_cvt_f32_f64_e32 v129, v[171:172]
	v_cvt_f32_f64_e32 v146, v[173:174]
	v_min3_f32 v127, v127, v128, v210
	v_min_f32_e32 v128, v129, v146
	v_min3_f32 v126, v126, v128, v127
	v_lshlrev_b64 v[128:129], 3, v[0:1]
	v_cvt_f64_f32_e32 v[126:127], v126
	v_add_co_u32 v128, vcc_lo, v122, v128
	v_add_co_ci_u32_e64 v129, null, v123, v129, vcc_lo
	global_store_dwordx2 v[128:129], v[126:127], off
	s_or_b32 exec_lo, exec_lo, s9
	s_and_b32 s12, s1, s8
	s_and_saveexec_b32 s9, s12
	s_cbranch_execz .LBB179_101
.LBB179_111:
	v_cmp_ne_u32_e32 vcc_lo, 1, v144
	s_cbranch_vccnz .LBB179_113
; %bb.112:
	v_lshlrev_b64 v[126:127], 3, v[130:131]
	v_add_co_u32 v126, vcc_lo, v124, v126
	v_add_co_ci_u32_e64 v127, null, v125, v127, vcc_lo
	global_load_dwordx2 v[126:127], v[126:127], off
	s_waitcnt vmcnt(0)
	v_mul_f64 v[126:127], s[10:11], v[126:127]
	v_cvt_f32_f64_e32 v126, v[126:127]
	s_branch .LBB179_114
.LBB179_113:
	v_mov_b32_e32 v126, 0
.LBB179_114:
	v_add_f64 v[127:128], v[62:63], v[118:119]
	v_add_f64 v[146:147], v[64:65], v[120:121]
	;; [unrolled: 1-line block ×4, first 2 shown]
	v_cvt_f32_f64_e32 v127, v[127:128]
	v_cvt_f32_f64_e32 v128, v[146:147]
	;; [unrolled: 1-line block ×4, first 2 shown]
	v_min3_f32 v127, v127, v128, v209
	v_min_f32_e32 v128, v129, v146
	v_min3_f32 v126, v126, v128, v127
	v_lshlrev_b64 v[128:129], 3, v[130:131]
	v_cvt_f64_f32_e32 v[126:127], v126
	v_add_co_u32 v128, vcc_lo, v122, v128
	v_add_co_ci_u32_e64 v129, null, v123, v129, vcc_lo
	global_store_dwordx2 v[128:129], v[126:127], off
	s_or_b32 exec_lo, exec_lo, s9
	s_and_b32 s12, s2, s8
	s_and_saveexec_b32 s9, s12
	s_cbranch_execz .LBB179_102
.LBB179_115:
	v_cmp_ne_u32_e32 vcc_lo, 1, v144
	s_cbranch_vccnz .LBB179_117
; %bb.116:
	v_lshlrev_b64 v[126:127], 3, v[132:133]
	v_add_co_u32 v126, vcc_lo, v124, v126
	v_add_co_ci_u32_e64 v127, null, v125, v127, vcc_lo
	global_load_dwordx2 v[126:127], v[126:127], off
	s_waitcnt vmcnt(0)
	v_mul_f64 v[126:127], s[10:11], v[126:127]
	v_cvt_f32_f64_e32 v126, v[126:127]
	s_branch .LBB179_118
.LBB179_117:
	v_mov_b32_e32 v126, 0
.LBB179_118:
	v_add_f64 v[127:128], v[54:55], v[118:119]
	v_add_f64 v[146:147], v[56:57], v[120:121]
	v_add_f64 v[171:172], v[50:51], v[114:115]
	v_add_f64 v[173:174], v[52:53], v[116:117]
	v_cvt_f32_f64_e32 v127, v[127:128]
	v_cvt_f32_f64_e32 v128, v[146:147]
	;; [unrolled: 1-line block ×4, first 2 shown]
	v_min3_f32 v127, v127, v128, v208
	v_min_f32_e32 v128, v129, v146
	v_min3_f32 v126, v126, v128, v127
	v_lshlrev_b64 v[128:129], 3, v[132:133]
	v_cvt_f64_f32_e32 v[126:127], v126
	v_add_co_u32 v128, vcc_lo, v122, v128
	v_add_co_ci_u32_e64 v129, null, v123, v129, vcc_lo
	global_store_dwordx2 v[128:129], v[126:127], off
	s_or_b32 exec_lo, exec_lo, s9
	s_and_b32 s12, s3, s8
	s_and_saveexec_b32 s9, s12
	s_cbranch_execz .LBB179_103
.LBB179_119:
	v_cmp_ne_u32_e32 vcc_lo, 1, v144
	s_cbranch_vccnz .LBB179_121
; %bb.120:
	v_lshlrev_b64 v[126:127], 3, v[134:135]
	v_add_co_u32 v126, vcc_lo, v124, v126
	v_add_co_ci_u32_e64 v127, null, v125, v127, vcc_lo
	global_load_dwordx2 v[126:127], v[126:127], off
	s_waitcnt vmcnt(0)
	v_mul_f64 v[126:127], s[10:11], v[126:127]
	v_cvt_f32_f64_e32 v126, v[126:127]
	s_branch .LBB179_122
.LBB179_121:
	v_mov_b32_e32 v126, 0
.LBB179_122:
	v_add_f64 v[127:128], v[46:47], v[118:119]
	v_add_f64 v[146:147], v[48:49], v[120:121]
	;; [unrolled: 1-line block ×4, first 2 shown]
	v_cvt_f32_f64_e32 v127, v[127:128]
	v_cvt_f32_f64_e32 v128, v[146:147]
	;; [unrolled: 1-line block ×4, first 2 shown]
	v_min3_f32 v127, v127, v128, v207
	v_min_f32_e32 v128, v129, v146
	v_min3_f32 v126, v126, v128, v127
	v_lshlrev_b64 v[128:129], 3, v[134:135]
	v_cvt_f64_f32_e32 v[126:127], v126
	v_add_co_u32 v128, vcc_lo, v122, v128
	v_add_co_ci_u32_e64 v129, null, v123, v129, vcc_lo
	global_store_dwordx2 v[128:129], v[126:127], off
	s_or_b32 exec_lo, exec_lo, s9
	s_and_b32 s12, s4, s8
	s_and_saveexec_b32 s9, s12
	s_cbranch_execz .LBB179_104
.LBB179_123:
	v_cmp_ne_u32_e32 vcc_lo, 1, v144
	s_cbranch_vccnz .LBB179_125
; %bb.124:
	v_lshlrev_b64 v[126:127], 3, v[136:137]
	v_add_co_u32 v126, vcc_lo, v124, v126
	v_add_co_ci_u32_e64 v127, null, v125, v127, vcc_lo
	global_load_dwordx2 v[126:127], v[126:127], off
	s_waitcnt vmcnt(0)
	v_mul_f64 v[126:127], s[10:11], v[126:127]
	v_cvt_f32_f64_e32 v126, v[126:127]
	s_branch .LBB179_126
.LBB179_125:
	v_mov_b32_e32 v126, 0
.LBB179_126:
	v_add_f64 v[127:128], v[38:39], v[118:119]
	v_add_f64 v[146:147], v[40:41], v[120:121]
	;; [unrolled: 1-line block ×4, first 2 shown]
	v_cvt_f32_f64_e32 v127, v[127:128]
	v_cvt_f32_f64_e32 v128, v[146:147]
	;; [unrolled: 1-line block ×4, first 2 shown]
	v_min3_f32 v127, v127, v128, v206
	v_min_f32_e32 v128, v129, v146
	v_min3_f32 v126, v126, v128, v127
	v_lshlrev_b64 v[128:129], 3, v[136:137]
	v_cvt_f64_f32_e32 v[126:127], v126
	v_add_co_u32 v128, vcc_lo, v122, v128
	v_add_co_ci_u32_e64 v129, null, v123, v129, vcc_lo
	global_store_dwordx2 v[128:129], v[126:127], off
	s_or_b32 exec_lo, exec_lo, s9
	s_and_b32 s12, s5, s8
	s_and_saveexec_b32 s9, s12
	s_cbranch_execz .LBB179_105
.LBB179_127:
	v_cmp_ne_u32_e32 vcc_lo, 1, v144
	s_cbranch_vccnz .LBB179_129
; %bb.128:
	v_lshlrev_b64 v[126:127], 3, v[138:139]
	v_add_co_u32 v126, vcc_lo, v124, v126
	v_add_co_ci_u32_e64 v127, null, v125, v127, vcc_lo
	global_load_dwordx2 v[126:127], v[126:127], off
	s_waitcnt vmcnt(0)
	v_mul_f64 v[126:127], s[10:11], v[126:127]
	v_cvt_f32_f64_e32 v126, v[126:127]
	s_branch .LBB179_130
.LBB179_129:
	v_mov_b32_e32 v126, 0
.LBB179_130:
	v_add_f64 v[127:128], v[30:31], v[118:119]
	v_add_f64 v[146:147], v[32:33], v[120:121]
	;; [unrolled: 1-line block ×4, first 2 shown]
	v_cvt_f32_f64_e32 v127, v[127:128]
	v_cvt_f32_f64_e32 v128, v[146:147]
	;; [unrolled: 1-line block ×4, first 2 shown]
	v_min3_f32 v127, v127, v128, v205
	v_min_f32_e32 v128, v129, v146
	v_min3_f32 v126, v126, v128, v127
	v_lshlrev_b64 v[128:129], 3, v[138:139]
	v_cvt_f64_f32_e32 v[126:127], v126
	v_add_co_u32 v128, vcc_lo, v122, v128
	v_add_co_ci_u32_e64 v129, null, v123, v129, vcc_lo
	global_store_dwordx2 v[128:129], v[126:127], off
	s_or_b32 exec_lo, exec_lo, s9
	s_and_b32 s12, s6, s8
	s_and_saveexec_b32 s9, s12
	s_cbranch_execz .LBB179_106
.LBB179_131:
	v_cmp_ne_u32_e32 vcc_lo, 1, v144
	s_cbranch_vccnz .LBB179_133
; %bb.132:
	v_lshlrev_b64 v[126:127], 3, v[140:141]
	v_add_co_u32 v126, vcc_lo, v124, v126
	v_add_co_ci_u32_e64 v127, null, v125, v127, vcc_lo
	global_load_dwordx2 v[126:127], v[126:127], off
	s_waitcnt vmcnt(0)
	v_mul_f64 v[126:127], s[10:11], v[126:127]
	v_cvt_f32_f64_e32 v126, v[126:127]
	s_branch .LBB179_134
.LBB179_133:
	v_mov_b32_e32 v126, 0
.LBB179_134:
	v_add_f64 v[127:128], v[22:23], v[118:119]
	v_add_f64 v[146:147], v[24:25], v[120:121]
	;; [unrolled: 1-line block ×4, first 2 shown]
	v_cvt_f32_f64_e32 v127, v[127:128]
	v_cvt_f32_f64_e32 v128, v[146:147]
	;; [unrolled: 1-line block ×4, first 2 shown]
	v_min3_f32 v127, v127, v128, v204
	v_min_f32_e32 v128, v129, v146
	v_min3_f32 v126, v126, v128, v127
	v_lshlrev_b64 v[128:129], 3, v[140:141]
	v_cvt_f64_f32_e32 v[126:127], v126
	v_add_co_u32 v128, vcc_lo, v122, v128
	v_add_co_ci_u32_e64 v129, null, v123, v129, vcc_lo
	global_store_dwordx2 v[128:129], v[126:127], off
	s_or_b32 exec_lo, exec_lo, s9
	s_and_b32 s9, s7, s8
	s_and_saveexec_b32 s8, s9
	s_cbranch_execz .LBB179_139
.LBB179_135:
	v_cmp_ne_u32_e32 vcc_lo, 1, v144
	s_cbranch_vccnz .LBB179_137
; %bb.136:
	v_lshlrev_b64 v[126:127], 3, v[142:143]
	v_add_co_u32 v124, vcc_lo, v124, v126
	v_add_co_ci_u32_e64 v125, null, v125, v127, vcc_lo
	global_load_dwordx2 v[124:125], v[124:125], off
	s_waitcnt vmcnt(0)
	v_mul_f64 v[124:125], s[10:11], v[124:125]
	v_cvt_f32_f64_e32 v124, v[124:125]
	s_branch .LBB179_138
.LBB179_137:
	v_mov_b32_e32 v124, 0
.LBB179_138:
	v_add_f64 v[118:119], v[6:7], v[118:119]
	v_add_f64 v[120:121], v[8:9], v[120:121]
	;; [unrolled: 1-line block ×4, first 2 shown]
	v_cvt_f32_f64_e32 v118, v[118:119]
	v_cvt_f32_f64_e32 v119, v[120:121]
	;; [unrolled: 1-line block ×4, first 2 shown]
	v_min3_f32 v116, v118, v119, v203
	v_min_f32_e32 v114, v114, v115
	v_min3_f32 v114, v124, v114, v116
	v_lshlrev_b64 v[116:117], 3, v[142:143]
	v_cvt_f64_f32_e32 v[114:115], v114
	v_add_co_u32 v116, vcc_lo, v122, v116
	v_add_co_ci_u32_e64 v117, null, v123, v117, vcc_lo
	global_store_dwordx2 v[116:117], v[114:115], off
.LBB179_139:
	s_or_b32 exec_lo, exec_lo, s8
	v_add_nc_u32_e32 v118, 64, v145
	v_mad_i64_i32 v[114:115], null, v118, s17, 0
	v_mad_i64_i32 v[116:117], null, v118, s14, 0
	v_cmp_gt_i32_e64 s8, s13, v118
	v_lshlrev_b64 v[114:115], 3, v[114:115]
	s_and_b32 s12, s0, s8
	v_lshlrev_b64 v[118:119], 3, v[116:117]
	v_add_co_u32 v116, vcc_lo, s22, v114
	v_add_co_ci_u32_e64 v117, null, s23, v115, vcc_lo
	v_add_co_u32 v114, vcc_lo, s18, v118
	v_add_co_ci_u32_e64 v115, null, s15, v119, vcc_lo
	s_and_saveexec_b32 s9, s12
	s_cbranch_execnz .LBB179_147
; %bb.140:
	s_or_b32 exec_lo, exec_lo, s9
	s_and_b32 s12, s1, s8
	s_and_saveexec_b32 s9, s12
	s_cbranch_execnz .LBB179_151
.LBB179_141:
	s_or_b32 exec_lo, exec_lo, s9
	s_and_b32 s12, s2, s8
	s_and_saveexec_b32 s9, s12
	s_cbranch_execnz .LBB179_155
.LBB179_142:
	s_or_b32 exec_lo, exec_lo, s9
	s_and_b32 s12, s3, s8
	s_and_saveexec_b32 s9, s12
	s_cbranch_execnz .LBB179_159
.LBB179_143:
	s_or_b32 exec_lo, exec_lo, s9
	s_and_b32 s12, s4, s8
	s_and_saveexec_b32 s9, s12
	s_cbranch_execnz .LBB179_163
.LBB179_144:
	s_or_b32 exec_lo, exec_lo, s9
	s_and_b32 s12, s5, s8
	s_and_saveexec_b32 s9, s12
	s_cbranch_execnz .LBB179_167
.LBB179_145:
	s_or_b32 exec_lo, exec_lo, s9
	s_and_b32 s12, s6, s8
	s_and_saveexec_b32 s9, s12
	s_cbranch_execnz .LBB179_171
.LBB179_146:
	s_or_b32 exec_lo, exec_lo, s9
	s_and_b32 s9, s7, s8
	s_and_saveexec_b32 s8, s9
	s_cbranch_execnz .LBB179_175
	s_branch .LBB179_179
.LBB179_147:
	v_cmp_ne_u32_e32 vcc_lo, 1, v144
	s_cbranch_vccnz .LBB179_149
; %bb.148:
	v_lshlrev_b64 v[118:119], 3, v[0:1]
	v_add_co_u32 v118, vcc_lo, v116, v118
	v_add_co_ci_u32_e64 v119, null, v117, v119, vcc_lo
	global_load_dwordx2 v[118:119], v[118:119], off
	s_waitcnt vmcnt(0)
	v_mul_f64 v[118:119], s[10:11], v[118:119]
	v_cvt_f32_f64_e32 v118, v[118:119]
	s_branch .LBB179_150
.LBB179_149:
	v_mov_b32_e32 v118, 0
.LBB179_150:
	v_add_f64 v[119:120], v[70:71], v[110:111]
	v_add_f64 v[121:122], v[72:73], v[112:113]
	;; [unrolled: 1-line block ×4, first 2 shown]
	v_cvt_f32_f64_e32 v119, v[119:120]
	v_cvt_f32_f64_e32 v120, v[121:122]
	;; [unrolled: 1-line block ×4, first 2 shown]
	v_min3_f32 v119, v119, v120, v202
	v_min_f32_e32 v120, v121, v122
	v_min3_f32 v118, v118, v120, v119
	v_lshlrev_b64 v[120:121], 3, v[0:1]
	v_cvt_f64_f32_e32 v[118:119], v118
	v_add_co_u32 v120, vcc_lo, v114, v120
	v_add_co_ci_u32_e64 v121, null, v115, v121, vcc_lo
	global_store_dwordx2 v[120:121], v[118:119], off
	s_or_b32 exec_lo, exec_lo, s9
	s_and_b32 s12, s1, s8
	s_and_saveexec_b32 s9, s12
	s_cbranch_execz .LBB179_141
.LBB179_151:
	v_cmp_ne_u32_e32 vcc_lo, 1, v144
	s_cbranch_vccnz .LBB179_153
; %bb.152:
	v_lshlrev_b64 v[118:119], 3, v[130:131]
	v_add_co_u32 v118, vcc_lo, v116, v118
	v_add_co_ci_u32_e64 v119, null, v117, v119, vcc_lo
	global_load_dwordx2 v[118:119], v[118:119], off
	s_waitcnt vmcnt(0)
	v_mul_f64 v[118:119], s[10:11], v[118:119]
	v_cvt_f32_f64_e32 v118, v[118:119]
	s_branch .LBB179_154
.LBB179_153:
	v_mov_b32_e32 v118, 0
.LBB179_154:
	v_add_f64 v[119:120], v[62:63], v[110:111]
	v_add_f64 v[121:122], v[64:65], v[112:113]
	;; [unrolled: 1-line block ×4, first 2 shown]
	v_cvt_f32_f64_e32 v119, v[119:120]
	v_cvt_f32_f64_e32 v120, v[121:122]
	;; [unrolled: 1-line block ×4, first 2 shown]
	v_min3_f32 v119, v119, v120, v201
	v_min_f32_e32 v120, v121, v122
	v_min3_f32 v118, v118, v120, v119
	v_lshlrev_b64 v[120:121], 3, v[130:131]
	v_cvt_f64_f32_e32 v[118:119], v118
	v_add_co_u32 v120, vcc_lo, v114, v120
	v_add_co_ci_u32_e64 v121, null, v115, v121, vcc_lo
	global_store_dwordx2 v[120:121], v[118:119], off
	s_or_b32 exec_lo, exec_lo, s9
	s_and_b32 s12, s2, s8
	s_and_saveexec_b32 s9, s12
	s_cbranch_execz .LBB179_142
.LBB179_155:
	v_cmp_ne_u32_e32 vcc_lo, 1, v144
	s_cbranch_vccnz .LBB179_157
; %bb.156:
	v_lshlrev_b64 v[118:119], 3, v[132:133]
	v_add_co_u32 v118, vcc_lo, v116, v118
	v_add_co_ci_u32_e64 v119, null, v117, v119, vcc_lo
	global_load_dwordx2 v[118:119], v[118:119], off
	s_waitcnt vmcnt(0)
	v_mul_f64 v[118:119], s[10:11], v[118:119]
	v_cvt_f32_f64_e32 v118, v[118:119]
	s_branch .LBB179_158
.LBB179_157:
	v_mov_b32_e32 v118, 0
.LBB179_158:
	v_add_f64 v[119:120], v[54:55], v[110:111]
	v_add_f64 v[121:122], v[56:57], v[112:113]
	;; [unrolled: 1-line block ×4, first 2 shown]
	v_cvt_f32_f64_e32 v119, v[119:120]
	v_cvt_f32_f64_e32 v120, v[121:122]
	;; [unrolled: 1-line block ×4, first 2 shown]
	v_min3_f32 v119, v119, v120, v200
	v_min_f32_e32 v120, v121, v122
	v_min3_f32 v118, v118, v120, v119
	v_lshlrev_b64 v[120:121], 3, v[132:133]
	v_cvt_f64_f32_e32 v[118:119], v118
	v_add_co_u32 v120, vcc_lo, v114, v120
	v_add_co_ci_u32_e64 v121, null, v115, v121, vcc_lo
	global_store_dwordx2 v[120:121], v[118:119], off
	s_or_b32 exec_lo, exec_lo, s9
	s_and_b32 s12, s3, s8
	s_and_saveexec_b32 s9, s12
	s_cbranch_execz .LBB179_143
.LBB179_159:
	v_cmp_ne_u32_e32 vcc_lo, 1, v144
	s_cbranch_vccnz .LBB179_161
; %bb.160:
	v_lshlrev_b64 v[118:119], 3, v[134:135]
	v_add_co_u32 v118, vcc_lo, v116, v118
	v_add_co_ci_u32_e64 v119, null, v117, v119, vcc_lo
	global_load_dwordx2 v[118:119], v[118:119], off
	s_waitcnt vmcnt(0)
	v_mul_f64 v[118:119], s[10:11], v[118:119]
	v_cvt_f32_f64_e32 v118, v[118:119]
	s_branch .LBB179_162
.LBB179_161:
	v_mov_b32_e32 v118, 0
.LBB179_162:
	v_add_f64 v[119:120], v[46:47], v[110:111]
	v_add_f64 v[121:122], v[48:49], v[112:113]
	;; [unrolled: 1-line block ×4, first 2 shown]
	v_cvt_f32_f64_e32 v119, v[119:120]
	v_cvt_f32_f64_e32 v120, v[121:122]
	;; [unrolled: 1-line block ×4, first 2 shown]
	v_min3_f32 v119, v119, v120, v199
	v_min_f32_e32 v120, v121, v122
	v_min3_f32 v118, v118, v120, v119
	v_lshlrev_b64 v[120:121], 3, v[134:135]
	v_cvt_f64_f32_e32 v[118:119], v118
	v_add_co_u32 v120, vcc_lo, v114, v120
	v_add_co_ci_u32_e64 v121, null, v115, v121, vcc_lo
	global_store_dwordx2 v[120:121], v[118:119], off
	s_or_b32 exec_lo, exec_lo, s9
	s_and_b32 s12, s4, s8
	s_and_saveexec_b32 s9, s12
	s_cbranch_execz .LBB179_144
.LBB179_163:
	v_cmp_ne_u32_e32 vcc_lo, 1, v144
	s_cbranch_vccnz .LBB179_165
; %bb.164:
	v_lshlrev_b64 v[118:119], 3, v[136:137]
	v_add_co_u32 v118, vcc_lo, v116, v118
	v_add_co_ci_u32_e64 v119, null, v117, v119, vcc_lo
	global_load_dwordx2 v[118:119], v[118:119], off
	s_waitcnt vmcnt(0)
	v_mul_f64 v[118:119], s[10:11], v[118:119]
	v_cvt_f32_f64_e32 v118, v[118:119]
	s_branch .LBB179_166
.LBB179_165:
	v_mov_b32_e32 v118, 0
.LBB179_166:
	v_add_f64 v[119:120], v[38:39], v[110:111]
	v_add_f64 v[121:122], v[40:41], v[112:113]
	;; [unrolled: 1-line block ×4, first 2 shown]
	v_cvt_f32_f64_e32 v119, v[119:120]
	v_cvt_f32_f64_e32 v120, v[121:122]
	;; [unrolled: 1-line block ×4, first 2 shown]
	v_min3_f32 v119, v119, v120, v198
	v_min_f32_e32 v120, v121, v122
	v_min3_f32 v118, v118, v120, v119
	v_lshlrev_b64 v[120:121], 3, v[136:137]
	v_cvt_f64_f32_e32 v[118:119], v118
	v_add_co_u32 v120, vcc_lo, v114, v120
	v_add_co_ci_u32_e64 v121, null, v115, v121, vcc_lo
	global_store_dwordx2 v[120:121], v[118:119], off
	s_or_b32 exec_lo, exec_lo, s9
	s_and_b32 s12, s5, s8
	s_and_saveexec_b32 s9, s12
	s_cbranch_execz .LBB179_145
.LBB179_167:
	v_cmp_ne_u32_e32 vcc_lo, 1, v144
	s_cbranch_vccnz .LBB179_169
; %bb.168:
	v_lshlrev_b64 v[118:119], 3, v[138:139]
	v_add_co_u32 v118, vcc_lo, v116, v118
	v_add_co_ci_u32_e64 v119, null, v117, v119, vcc_lo
	global_load_dwordx2 v[118:119], v[118:119], off
	s_waitcnt vmcnt(0)
	v_mul_f64 v[118:119], s[10:11], v[118:119]
	v_cvt_f32_f64_e32 v118, v[118:119]
	s_branch .LBB179_170
.LBB179_169:
	v_mov_b32_e32 v118, 0
.LBB179_170:
	v_add_f64 v[119:120], v[30:31], v[110:111]
	v_add_f64 v[121:122], v[32:33], v[112:113]
	v_add_f64 v[123:124], v[26:27], v[106:107]
	v_add_f64 v[125:126], v[28:29], v[108:109]
	v_cvt_f32_f64_e32 v119, v[119:120]
	v_cvt_f32_f64_e32 v120, v[121:122]
	;; [unrolled: 1-line block ×4, first 2 shown]
	v_min3_f32 v119, v119, v120, v197
	v_min_f32_e32 v120, v121, v122
	v_min3_f32 v118, v118, v120, v119
	v_lshlrev_b64 v[120:121], 3, v[138:139]
	v_cvt_f64_f32_e32 v[118:119], v118
	v_add_co_u32 v120, vcc_lo, v114, v120
	v_add_co_ci_u32_e64 v121, null, v115, v121, vcc_lo
	global_store_dwordx2 v[120:121], v[118:119], off
	s_or_b32 exec_lo, exec_lo, s9
	s_and_b32 s12, s6, s8
	s_and_saveexec_b32 s9, s12
	s_cbranch_execz .LBB179_146
.LBB179_171:
	v_cmp_ne_u32_e32 vcc_lo, 1, v144
	s_cbranch_vccnz .LBB179_173
; %bb.172:
	v_lshlrev_b64 v[118:119], 3, v[140:141]
	v_add_co_u32 v118, vcc_lo, v116, v118
	v_add_co_ci_u32_e64 v119, null, v117, v119, vcc_lo
	global_load_dwordx2 v[118:119], v[118:119], off
	s_waitcnt vmcnt(0)
	v_mul_f64 v[118:119], s[10:11], v[118:119]
	v_cvt_f32_f64_e32 v118, v[118:119]
	s_branch .LBB179_174
.LBB179_173:
	v_mov_b32_e32 v118, 0
.LBB179_174:
	v_add_f64 v[119:120], v[22:23], v[110:111]
	v_add_f64 v[121:122], v[24:25], v[112:113]
	;; [unrolled: 1-line block ×4, first 2 shown]
	v_cvt_f32_f64_e32 v119, v[119:120]
	v_cvt_f32_f64_e32 v120, v[121:122]
	;; [unrolled: 1-line block ×4, first 2 shown]
	v_min3_f32 v119, v119, v120, v196
	v_min_f32_e32 v120, v121, v122
	v_min3_f32 v118, v118, v120, v119
	v_lshlrev_b64 v[120:121], 3, v[140:141]
	v_cvt_f64_f32_e32 v[118:119], v118
	v_add_co_u32 v120, vcc_lo, v114, v120
	v_add_co_ci_u32_e64 v121, null, v115, v121, vcc_lo
	global_store_dwordx2 v[120:121], v[118:119], off
	s_or_b32 exec_lo, exec_lo, s9
	s_and_b32 s9, s7, s8
	s_and_saveexec_b32 s8, s9
	s_cbranch_execz .LBB179_179
.LBB179_175:
	v_cmp_ne_u32_e32 vcc_lo, 1, v144
	s_cbranch_vccnz .LBB179_177
; %bb.176:
	v_lshlrev_b64 v[118:119], 3, v[142:143]
	v_add_co_u32 v116, vcc_lo, v116, v118
	v_add_co_ci_u32_e64 v117, null, v117, v119, vcc_lo
	global_load_dwordx2 v[116:117], v[116:117], off
	s_waitcnt vmcnt(0)
	v_mul_f64 v[116:117], s[10:11], v[116:117]
	v_cvt_f32_f64_e32 v116, v[116:117]
	s_branch .LBB179_178
.LBB179_177:
	v_mov_b32_e32 v116, 0
.LBB179_178:
	v_add_f64 v[110:111], v[6:7], v[110:111]
	v_add_f64 v[112:113], v[8:9], v[112:113]
	v_add_f64 v[106:107], v[2:3], v[106:107]
	v_add_f64 v[108:109], v[4:5], v[108:109]
	v_cvt_f32_f64_e32 v110, v[110:111]
	v_cvt_f32_f64_e32 v111, v[112:113]
	v_cvt_f32_f64_e32 v106, v[106:107]
	v_cvt_f32_f64_e32 v107, v[108:109]
	v_min3_f32 v108, v110, v111, v195
	v_min_f32_e32 v106, v106, v107
	v_min3_f32 v106, v116, v106, v108
	v_lshlrev_b64 v[108:109], 3, v[142:143]
	v_cvt_f64_f32_e32 v[106:107], v106
	v_add_co_u32 v108, vcc_lo, v114, v108
	v_add_co_ci_u32_e64 v109, null, v115, v109, vcc_lo
	global_store_dwordx2 v[108:109], v[106:107], off
.LBB179_179:
	s_or_b32 exec_lo, exec_lo, s8
	v_add_nc_u32_e32 v110, 0x60, v145
	v_mad_i64_i32 v[106:107], null, v110, s17, 0
	v_mad_i64_i32 v[108:109], null, v110, s14, 0
	v_cmp_gt_i32_e64 s8, s13, v110
	v_lshlrev_b64 v[106:107], 3, v[106:107]
	s_and_b32 s12, s0, s8
	v_lshlrev_b64 v[110:111], 3, v[108:109]
	v_add_co_u32 v108, vcc_lo, s22, v106
	v_add_co_ci_u32_e64 v109, null, s23, v107, vcc_lo
	v_add_co_u32 v106, vcc_lo, s18, v110
	v_add_co_ci_u32_e64 v107, null, s15, v111, vcc_lo
	s_and_saveexec_b32 s9, s12
	s_cbranch_execnz .LBB179_187
; %bb.180:
	s_or_b32 exec_lo, exec_lo, s9
	s_and_b32 s12, s1, s8
	s_and_saveexec_b32 s9, s12
	s_cbranch_execnz .LBB179_191
.LBB179_181:
	s_or_b32 exec_lo, exec_lo, s9
	s_and_b32 s12, s2, s8
	s_and_saveexec_b32 s9, s12
	s_cbranch_execnz .LBB179_195
.LBB179_182:
	s_or_b32 exec_lo, exec_lo, s9
	s_and_b32 s12, s3, s8
	s_and_saveexec_b32 s9, s12
	s_cbranch_execnz .LBB179_199
.LBB179_183:
	s_or_b32 exec_lo, exec_lo, s9
	s_and_b32 s12, s4, s8
	s_and_saveexec_b32 s9, s12
	s_cbranch_execnz .LBB179_203
.LBB179_184:
	s_or_b32 exec_lo, exec_lo, s9
	s_and_b32 s12, s5, s8
	s_and_saveexec_b32 s9, s12
	s_cbranch_execnz .LBB179_207
.LBB179_185:
	s_or_b32 exec_lo, exec_lo, s9
	s_and_b32 s12, s6, s8
	s_and_saveexec_b32 s9, s12
	s_cbranch_execnz .LBB179_211
.LBB179_186:
	s_or_b32 exec_lo, exec_lo, s9
	s_and_b32 s9, s7, s8
	s_and_saveexec_b32 s8, s9
	s_cbranch_execnz .LBB179_215
	s_branch .LBB179_219
.LBB179_187:
	v_cmp_ne_u32_e32 vcc_lo, 1, v144
	s_cbranch_vccnz .LBB179_189
; %bb.188:
	v_lshlrev_b64 v[110:111], 3, v[0:1]
	v_add_co_u32 v110, vcc_lo, v108, v110
	v_add_co_ci_u32_e64 v111, null, v109, v111, vcc_lo
	global_load_dwordx2 v[110:111], v[110:111], off
	s_waitcnt vmcnt(0)
	v_mul_f64 v[110:111], s[10:11], v[110:111]
	v_cvt_f32_f64_e32 v110, v[110:111]
	s_branch .LBB179_190
.LBB179_189:
	v_mov_b32_e32 v110, 0
.LBB179_190:
	v_add_f64 v[111:112], v[70:71], v[102:103]
	v_add_f64 v[113:114], v[72:73], v[104:105]
	;; [unrolled: 1-line block ×4, first 2 shown]
	v_cvt_f32_f64_e32 v111, v[111:112]
	v_cvt_f32_f64_e32 v112, v[113:114]
	;; [unrolled: 1-line block ×4, first 2 shown]
	v_min3_f32 v111, v111, v112, v194
	v_min_f32_e32 v112, v113, v114
	v_min3_f32 v110, v110, v112, v111
	v_lshlrev_b64 v[112:113], 3, v[0:1]
	v_cvt_f64_f32_e32 v[110:111], v110
	v_add_co_u32 v112, vcc_lo, v106, v112
	v_add_co_ci_u32_e64 v113, null, v107, v113, vcc_lo
	global_store_dwordx2 v[112:113], v[110:111], off
	s_or_b32 exec_lo, exec_lo, s9
	s_and_b32 s12, s1, s8
	s_and_saveexec_b32 s9, s12
	s_cbranch_execz .LBB179_181
.LBB179_191:
	v_cmp_ne_u32_e32 vcc_lo, 1, v144
	s_cbranch_vccnz .LBB179_193
; %bb.192:
	v_lshlrev_b64 v[110:111], 3, v[130:131]
	v_add_co_u32 v110, vcc_lo, v108, v110
	v_add_co_ci_u32_e64 v111, null, v109, v111, vcc_lo
	global_load_dwordx2 v[110:111], v[110:111], off
	s_waitcnt vmcnt(0)
	v_mul_f64 v[110:111], s[10:11], v[110:111]
	v_cvt_f32_f64_e32 v110, v[110:111]
	s_branch .LBB179_194
.LBB179_193:
	v_mov_b32_e32 v110, 0
.LBB179_194:
	v_add_f64 v[111:112], v[62:63], v[102:103]
	v_add_f64 v[113:114], v[64:65], v[104:105]
	;; [unrolled: 1-line block ×4, first 2 shown]
	v_cvt_f32_f64_e32 v111, v[111:112]
	v_cvt_f32_f64_e32 v112, v[113:114]
	v_cvt_f32_f64_e32 v113, v[115:116]
	v_cvt_f32_f64_e32 v114, v[117:118]
	v_min3_f32 v111, v111, v112, v193
	v_min_f32_e32 v112, v113, v114
	v_min3_f32 v110, v110, v112, v111
	v_lshlrev_b64 v[112:113], 3, v[130:131]
	v_cvt_f64_f32_e32 v[110:111], v110
	v_add_co_u32 v112, vcc_lo, v106, v112
	v_add_co_ci_u32_e64 v113, null, v107, v113, vcc_lo
	global_store_dwordx2 v[112:113], v[110:111], off
	s_or_b32 exec_lo, exec_lo, s9
	s_and_b32 s12, s2, s8
	s_and_saveexec_b32 s9, s12
	s_cbranch_execz .LBB179_182
.LBB179_195:
	v_cmp_ne_u32_e32 vcc_lo, 1, v144
	s_cbranch_vccnz .LBB179_197
; %bb.196:
	v_lshlrev_b64 v[110:111], 3, v[132:133]
	v_add_co_u32 v110, vcc_lo, v108, v110
	v_add_co_ci_u32_e64 v111, null, v109, v111, vcc_lo
	global_load_dwordx2 v[110:111], v[110:111], off
	s_waitcnt vmcnt(0)
	v_mul_f64 v[110:111], s[10:11], v[110:111]
	v_cvt_f32_f64_e32 v110, v[110:111]
	s_branch .LBB179_198
.LBB179_197:
	v_mov_b32_e32 v110, 0
.LBB179_198:
	v_add_f64 v[111:112], v[54:55], v[102:103]
	v_add_f64 v[113:114], v[56:57], v[104:105]
	;; [unrolled: 1-line block ×4, first 2 shown]
	v_cvt_f32_f64_e32 v111, v[111:112]
	v_cvt_f32_f64_e32 v112, v[113:114]
	v_cvt_f32_f64_e32 v113, v[115:116]
	v_cvt_f32_f64_e32 v114, v[117:118]
	v_min3_f32 v111, v111, v112, v192
	v_min_f32_e32 v112, v113, v114
	v_min3_f32 v110, v110, v112, v111
	v_lshlrev_b64 v[112:113], 3, v[132:133]
	v_cvt_f64_f32_e32 v[110:111], v110
	v_add_co_u32 v112, vcc_lo, v106, v112
	v_add_co_ci_u32_e64 v113, null, v107, v113, vcc_lo
	global_store_dwordx2 v[112:113], v[110:111], off
	s_or_b32 exec_lo, exec_lo, s9
	s_and_b32 s12, s3, s8
	s_and_saveexec_b32 s9, s12
	s_cbranch_execz .LBB179_183
.LBB179_199:
	v_cmp_ne_u32_e32 vcc_lo, 1, v144
	s_cbranch_vccnz .LBB179_201
; %bb.200:
	v_lshlrev_b64 v[110:111], 3, v[134:135]
	v_add_co_u32 v110, vcc_lo, v108, v110
	v_add_co_ci_u32_e64 v111, null, v109, v111, vcc_lo
	global_load_dwordx2 v[110:111], v[110:111], off
	s_waitcnt vmcnt(0)
	v_mul_f64 v[110:111], s[10:11], v[110:111]
	v_cvt_f32_f64_e32 v110, v[110:111]
	s_branch .LBB179_202
.LBB179_201:
	v_mov_b32_e32 v110, 0
.LBB179_202:
	v_add_f64 v[111:112], v[46:47], v[102:103]
	v_add_f64 v[113:114], v[48:49], v[104:105]
	;; [unrolled: 1-line block ×4, first 2 shown]
	v_cvt_f32_f64_e32 v111, v[111:112]
	v_cvt_f32_f64_e32 v112, v[113:114]
	;; [unrolled: 1-line block ×4, first 2 shown]
	v_min3_f32 v111, v111, v112, v191
	v_min_f32_e32 v112, v113, v114
	v_min3_f32 v110, v110, v112, v111
	v_lshlrev_b64 v[112:113], 3, v[134:135]
	v_cvt_f64_f32_e32 v[110:111], v110
	v_add_co_u32 v112, vcc_lo, v106, v112
	v_add_co_ci_u32_e64 v113, null, v107, v113, vcc_lo
	global_store_dwordx2 v[112:113], v[110:111], off
	s_or_b32 exec_lo, exec_lo, s9
	s_and_b32 s12, s4, s8
	s_and_saveexec_b32 s9, s12
	s_cbranch_execz .LBB179_184
.LBB179_203:
	v_cmp_ne_u32_e32 vcc_lo, 1, v144
	s_cbranch_vccnz .LBB179_205
; %bb.204:
	v_lshlrev_b64 v[110:111], 3, v[136:137]
	v_add_co_u32 v110, vcc_lo, v108, v110
	v_add_co_ci_u32_e64 v111, null, v109, v111, vcc_lo
	global_load_dwordx2 v[110:111], v[110:111], off
	s_waitcnt vmcnt(0)
	v_mul_f64 v[110:111], s[10:11], v[110:111]
	v_cvt_f32_f64_e32 v110, v[110:111]
	s_branch .LBB179_206
.LBB179_205:
	v_mov_b32_e32 v110, 0
.LBB179_206:
	v_add_f64 v[111:112], v[38:39], v[102:103]
	v_add_f64 v[113:114], v[40:41], v[104:105]
	;; [unrolled: 1-line block ×4, first 2 shown]
	v_cvt_f32_f64_e32 v111, v[111:112]
	v_cvt_f32_f64_e32 v112, v[113:114]
	;; [unrolled: 1-line block ×4, first 2 shown]
	v_min3_f32 v111, v111, v112, v190
	v_min_f32_e32 v112, v113, v114
	v_min3_f32 v110, v110, v112, v111
	v_lshlrev_b64 v[112:113], 3, v[136:137]
	v_cvt_f64_f32_e32 v[110:111], v110
	v_add_co_u32 v112, vcc_lo, v106, v112
	v_add_co_ci_u32_e64 v113, null, v107, v113, vcc_lo
	global_store_dwordx2 v[112:113], v[110:111], off
	s_or_b32 exec_lo, exec_lo, s9
	s_and_b32 s12, s5, s8
	s_and_saveexec_b32 s9, s12
	s_cbranch_execz .LBB179_185
.LBB179_207:
	v_cmp_ne_u32_e32 vcc_lo, 1, v144
	s_cbranch_vccnz .LBB179_209
; %bb.208:
	v_lshlrev_b64 v[110:111], 3, v[138:139]
	v_add_co_u32 v110, vcc_lo, v108, v110
	v_add_co_ci_u32_e64 v111, null, v109, v111, vcc_lo
	global_load_dwordx2 v[110:111], v[110:111], off
	s_waitcnt vmcnt(0)
	v_mul_f64 v[110:111], s[10:11], v[110:111]
	v_cvt_f32_f64_e32 v110, v[110:111]
	s_branch .LBB179_210
.LBB179_209:
	v_mov_b32_e32 v110, 0
.LBB179_210:
	v_add_f64 v[111:112], v[30:31], v[102:103]
	v_add_f64 v[113:114], v[32:33], v[104:105]
	;; [unrolled: 1-line block ×4, first 2 shown]
	v_cvt_f32_f64_e32 v111, v[111:112]
	v_cvt_f32_f64_e32 v112, v[113:114]
	;; [unrolled: 1-line block ×4, first 2 shown]
	v_min3_f32 v111, v111, v112, v189
	v_min_f32_e32 v112, v113, v114
	v_min3_f32 v110, v110, v112, v111
	v_lshlrev_b64 v[112:113], 3, v[138:139]
	v_cvt_f64_f32_e32 v[110:111], v110
	v_add_co_u32 v112, vcc_lo, v106, v112
	v_add_co_ci_u32_e64 v113, null, v107, v113, vcc_lo
	global_store_dwordx2 v[112:113], v[110:111], off
	s_or_b32 exec_lo, exec_lo, s9
	s_and_b32 s12, s6, s8
	s_and_saveexec_b32 s9, s12
	s_cbranch_execz .LBB179_186
.LBB179_211:
	v_cmp_ne_u32_e32 vcc_lo, 1, v144
	s_cbranch_vccnz .LBB179_213
; %bb.212:
	v_lshlrev_b64 v[110:111], 3, v[140:141]
	v_add_co_u32 v110, vcc_lo, v108, v110
	v_add_co_ci_u32_e64 v111, null, v109, v111, vcc_lo
	global_load_dwordx2 v[110:111], v[110:111], off
	s_waitcnt vmcnt(0)
	v_mul_f64 v[110:111], s[10:11], v[110:111]
	v_cvt_f32_f64_e32 v110, v[110:111]
	s_branch .LBB179_214
.LBB179_213:
	v_mov_b32_e32 v110, 0
.LBB179_214:
	v_add_f64 v[111:112], v[22:23], v[102:103]
	v_add_f64 v[113:114], v[24:25], v[104:105]
	;; [unrolled: 1-line block ×4, first 2 shown]
	v_cvt_f32_f64_e32 v111, v[111:112]
	v_cvt_f32_f64_e32 v112, v[113:114]
	;; [unrolled: 1-line block ×4, first 2 shown]
	v_min3_f32 v111, v111, v112, v188
	v_min_f32_e32 v112, v113, v114
	v_min3_f32 v110, v110, v112, v111
	v_lshlrev_b64 v[112:113], 3, v[140:141]
	v_cvt_f64_f32_e32 v[110:111], v110
	v_add_co_u32 v112, vcc_lo, v106, v112
	v_add_co_ci_u32_e64 v113, null, v107, v113, vcc_lo
	global_store_dwordx2 v[112:113], v[110:111], off
	s_or_b32 exec_lo, exec_lo, s9
	s_and_b32 s9, s7, s8
	s_and_saveexec_b32 s8, s9
	s_cbranch_execz .LBB179_219
.LBB179_215:
	v_cmp_ne_u32_e32 vcc_lo, 1, v144
	s_cbranch_vccnz .LBB179_217
; %bb.216:
	v_lshlrev_b64 v[110:111], 3, v[142:143]
	v_add_co_u32 v108, vcc_lo, v108, v110
	v_add_co_ci_u32_e64 v109, null, v109, v111, vcc_lo
	global_load_dwordx2 v[108:109], v[108:109], off
	s_waitcnt vmcnt(0)
	v_mul_f64 v[108:109], s[10:11], v[108:109]
	v_cvt_f32_f64_e32 v108, v[108:109]
	s_branch .LBB179_218
.LBB179_217:
	v_mov_b32_e32 v108, 0
.LBB179_218:
	v_add_f64 v[102:103], v[6:7], v[102:103]
	v_add_f64 v[104:105], v[8:9], v[104:105]
	;; [unrolled: 1-line block ×4, first 2 shown]
	v_cvt_f32_f64_e32 v102, v[102:103]
	v_cvt_f32_f64_e32 v103, v[104:105]
	v_cvt_f32_f64_e32 v98, v[98:99]
	v_cvt_f32_f64_e32 v99, v[100:101]
	v_min3_f32 v100, v102, v103, v187
	v_min_f32_e32 v98, v98, v99
	v_min3_f32 v98, v108, v98, v100
	v_lshlrev_b64 v[100:101], 3, v[142:143]
	v_cvt_f64_f32_e32 v[98:99], v98
	v_add_co_u32 v100, vcc_lo, v106, v100
	v_add_co_ci_u32_e64 v101, null, v107, v101, vcc_lo
	global_store_dwordx2 v[100:101], v[98:99], off
.LBB179_219:
	s_or_b32 exec_lo, exec_lo, s8
	v_add_nc_u32_e32 v102, 0x80, v145
	v_mad_i64_i32 v[98:99], null, v102, s17, 0
	v_mad_i64_i32 v[100:101], null, v102, s14, 0
	v_cmp_gt_i32_e64 s8, s13, v102
	v_lshlrev_b64 v[98:99], 3, v[98:99]
	s_and_b32 s12, s0, s8
	v_lshlrev_b64 v[102:103], 3, v[100:101]
	v_add_co_u32 v100, vcc_lo, s22, v98
	v_add_co_ci_u32_e64 v101, null, s23, v99, vcc_lo
	v_add_co_u32 v98, vcc_lo, s18, v102
	v_add_co_ci_u32_e64 v99, null, s15, v103, vcc_lo
	s_and_saveexec_b32 s9, s12
	s_cbranch_execnz .LBB179_227
; %bb.220:
	s_or_b32 exec_lo, exec_lo, s9
	s_and_b32 s12, s1, s8
	s_and_saveexec_b32 s9, s12
	s_cbranch_execnz .LBB179_231
.LBB179_221:
	s_or_b32 exec_lo, exec_lo, s9
	s_and_b32 s12, s2, s8
	s_and_saveexec_b32 s9, s12
	s_cbranch_execnz .LBB179_235
.LBB179_222:
	s_or_b32 exec_lo, exec_lo, s9
	s_and_b32 s12, s3, s8
	s_and_saveexec_b32 s9, s12
	s_cbranch_execnz .LBB179_239
.LBB179_223:
	s_or_b32 exec_lo, exec_lo, s9
	s_and_b32 s12, s4, s8
	s_and_saveexec_b32 s9, s12
	s_cbranch_execnz .LBB179_243
.LBB179_224:
	s_or_b32 exec_lo, exec_lo, s9
	s_and_b32 s12, s5, s8
	s_and_saveexec_b32 s9, s12
	s_cbranch_execnz .LBB179_247
.LBB179_225:
	s_or_b32 exec_lo, exec_lo, s9
	s_and_b32 s12, s6, s8
	s_and_saveexec_b32 s9, s12
	s_cbranch_execnz .LBB179_251
.LBB179_226:
	s_or_b32 exec_lo, exec_lo, s9
	s_and_b32 s9, s7, s8
	s_and_saveexec_b32 s8, s9
	s_cbranch_execnz .LBB179_255
	s_branch .LBB179_259
.LBB179_227:
	v_cmp_ne_u32_e32 vcc_lo, 1, v144
	s_cbranch_vccnz .LBB179_229
; %bb.228:
	v_lshlrev_b64 v[102:103], 3, v[0:1]
	v_add_co_u32 v102, vcc_lo, v100, v102
	v_add_co_ci_u32_e64 v103, null, v101, v103, vcc_lo
	global_load_dwordx2 v[102:103], v[102:103], off
	s_waitcnt vmcnt(0)
	v_mul_f64 v[102:103], s[10:11], v[102:103]
	v_cvt_f32_f64_e32 v102, v[102:103]
	s_branch .LBB179_230
.LBB179_229:
	v_mov_b32_e32 v102, 0
.LBB179_230:
	v_add_f64 v[103:104], v[70:71], v[94:95]
	v_add_f64 v[105:106], v[72:73], v[96:97]
	;; [unrolled: 1-line block ×4, first 2 shown]
	v_cvt_f32_f64_e32 v103, v[103:104]
	v_cvt_f32_f64_e32 v104, v[105:106]
	;; [unrolled: 1-line block ×4, first 2 shown]
	v_min3_f32 v103, v103, v104, v186
	v_min_f32_e32 v104, v105, v106
	v_min3_f32 v102, v102, v104, v103
	v_lshlrev_b64 v[104:105], 3, v[0:1]
	v_cvt_f64_f32_e32 v[102:103], v102
	v_add_co_u32 v104, vcc_lo, v98, v104
	v_add_co_ci_u32_e64 v105, null, v99, v105, vcc_lo
	global_store_dwordx2 v[104:105], v[102:103], off
	s_or_b32 exec_lo, exec_lo, s9
	s_and_b32 s12, s1, s8
	s_and_saveexec_b32 s9, s12
	s_cbranch_execz .LBB179_221
.LBB179_231:
	v_cmp_ne_u32_e32 vcc_lo, 1, v144
	s_cbranch_vccnz .LBB179_233
; %bb.232:
	v_lshlrev_b64 v[102:103], 3, v[130:131]
	v_add_co_u32 v102, vcc_lo, v100, v102
	v_add_co_ci_u32_e64 v103, null, v101, v103, vcc_lo
	global_load_dwordx2 v[102:103], v[102:103], off
	s_waitcnt vmcnt(0)
	v_mul_f64 v[102:103], s[10:11], v[102:103]
	v_cvt_f32_f64_e32 v102, v[102:103]
	s_branch .LBB179_234
.LBB179_233:
	v_mov_b32_e32 v102, 0
.LBB179_234:
	v_add_f64 v[103:104], v[62:63], v[94:95]
	v_add_f64 v[105:106], v[64:65], v[96:97]
	;; [unrolled: 1-line block ×4, first 2 shown]
	v_cvt_f32_f64_e32 v103, v[103:104]
	v_cvt_f32_f64_e32 v104, v[105:106]
	;; [unrolled: 1-line block ×4, first 2 shown]
	v_min3_f32 v103, v103, v104, v185
	v_min_f32_e32 v104, v105, v106
	v_min3_f32 v102, v102, v104, v103
	v_lshlrev_b64 v[104:105], 3, v[130:131]
	v_cvt_f64_f32_e32 v[102:103], v102
	v_add_co_u32 v104, vcc_lo, v98, v104
	v_add_co_ci_u32_e64 v105, null, v99, v105, vcc_lo
	global_store_dwordx2 v[104:105], v[102:103], off
	s_or_b32 exec_lo, exec_lo, s9
	s_and_b32 s12, s2, s8
	s_and_saveexec_b32 s9, s12
	s_cbranch_execz .LBB179_222
.LBB179_235:
	v_cmp_ne_u32_e32 vcc_lo, 1, v144
	s_cbranch_vccnz .LBB179_237
; %bb.236:
	v_lshlrev_b64 v[102:103], 3, v[132:133]
	v_add_co_u32 v102, vcc_lo, v100, v102
	v_add_co_ci_u32_e64 v103, null, v101, v103, vcc_lo
	global_load_dwordx2 v[102:103], v[102:103], off
	s_waitcnt vmcnt(0)
	v_mul_f64 v[102:103], s[10:11], v[102:103]
	v_cvt_f32_f64_e32 v102, v[102:103]
	s_branch .LBB179_238
.LBB179_237:
	v_mov_b32_e32 v102, 0
.LBB179_238:
	v_add_f64 v[103:104], v[54:55], v[94:95]
	v_add_f64 v[105:106], v[56:57], v[96:97]
	;; [unrolled: 1-line block ×4, first 2 shown]
	v_cvt_f32_f64_e32 v103, v[103:104]
	v_cvt_f32_f64_e32 v104, v[105:106]
	;; [unrolled: 1-line block ×4, first 2 shown]
	v_min3_f32 v103, v103, v104, v184
	v_min_f32_e32 v104, v105, v106
	v_min3_f32 v102, v102, v104, v103
	v_lshlrev_b64 v[104:105], 3, v[132:133]
	v_cvt_f64_f32_e32 v[102:103], v102
	v_add_co_u32 v104, vcc_lo, v98, v104
	v_add_co_ci_u32_e64 v105, null, v99, v105, vcc_lo
	global_store_dwordx2 v[104:105], v[102:103], off
	s_or_b32 exec_lo, exec_lo, s9
	s_and_b32 s12, s3, s8
	s_and_saveexec_b32 s9, s12
	s_cbranch_execz .LBB179_223
.LBB179_239:
	v_cmp_ne_u32_e32 vcc_lo, 1, v144
	s_cbranch_vccnz .LBB179_241
; %bb.240:
	v_lshlrev_b64 v[102:103], 3, v[134:135]
	v_add_co_u32 v102, vcc_lo, v100, v102
	v_add_co_ci_u32_e64 v103, null, v101, v103, vcc_lo
	global_load_dwordx2 v[102:103], v[102:103], off
	s_waitcnt vmcnt(0)
	v_mul_f64 v[102:103], s[10:11], v[102:103]
	v_cvt_f32_f64_e32 v102, v[102:103]
	s_branch .LBB179_242
.LBB179_241:
	v_mov_b32_e32 v102, 0
.LBB179_242:
	v_add_f64 v[103:104], v[46:47], v[94:95]
	v_add_f64 v[105:106], v[48:49], v[96:97]
	v_add_f64 v[107:108], v[42:43], v[90:91]
	v_add_f64 v[109:110], v[44:45], v[92:93]
	v_cvt_f32_f64_e32 v103, v[103:104]
	v_cvt_f32_f64_e32 v104, v[105:106]
	;; [unrolled: 1-line block ×4, first 2 shown]
	v_min3_f32 v103, v103, v104, v183
	v_min_f32_e32 v104, v105, v106
	v_min3_f32 v102, v102, v104, v103
	v_lshlrev_b64 v[104:105], 3, v[134:135]
	v_cvt_f64_f32_e32 v[102:103], v102
	v_add_co_u32 v104, vcc_lo, v98, v104
	v_add_co_ci_u32_e64 v105, null, v99, v105, vcc_lo
	global_store_dwordx2 v[104:105], v[102:103], off
	s_or_b32 exec_lo, exec_lo, s9
	s_and_b32 s12, s4, s8
	s_and_saveexec_b32 s9, s12
	s_cbranch_execz .LBB179_224
.LBB179_243:
	v_cmp_ne_u32_e32 vcc_lo, 1, v144
	s_cbranch_vccnz .LBB179_245
; %bb.244:
	v_lshlrev_b64 v[102:103], 3, v[136:137]
	v_add_co_u32 v102, vcc_lo, v100, v102
	v_add_co_ci_u32_e64 v103, null, v101, v103, vcc_lo
	global_load_dwordx2 v[102:103], v[102:103], off
	s_waitcnt vmcnt(0)
	v_mul_f64 v[102:103], s[10:11], v[102:103]
	v_cvt_f32_f64_e32 v102, v[102:103]
	s_branch .LBB179_246
.LBB179_245:
	v_mov_b32_e32 v102, 0
.LBB179_246:
	v_add_f64 v[103:104], v[38:39], v[94:95]
	v_add_f64 v[105:106], v[40:41], v[96:97]
	;; [unrolled: 1-line block ×4, first 2 shown]
	v_cvt_f32_f64_e32 v103, v[103:104]
	v_cvt_f32_f64_e32 v104, v[105:106]
	;; [unrolled: 1-line block ×4, first 2 shown]
	v_min3_f32 v103, v103, v104, v182
	v_min_f32_e32 v104, v105, v106
	v_min3_f32 v102, v102, v104, v103
	v_lshlrev_b64 v[104:105], 3, v[136:137]
	v_cvt_f64_f32_e32 v[102:103], v102
	v_add_co_u32 v104, vcc_lo, v98, v104
	v_add_co_ci_u32_e64 v105, null, v99, v105, vcc_lo
	global_store_dwordx2 v[104:105], v[102:103], off
	s_or_b32 exec_lo, exec_lo, s9
	s_and_b32 s12, s5, s8
	s_and_saveexec_b32 s9, s12
	s_cbranch_execz .LBB179_225
.LBB179_247:
	v_cmp_ne_u32_e32 vcc_lo, 1, v144
	s_cbranch_vccnz .LBB179_249
; %bb.248:
	v_lshlrev_b64 v[102:103], 3, v[138:139]
	v_add_co_u32 v102, vcc_lo, v100, v102
	v_add_co_ci_u32_e64 v103, null, v101, v103, vcc_lo
	global_load_dwordx2 v[102:103], v[102:103], off
	s_waitcnt vmcnt(0)
	v_mul_f64 v[102:103], s[10:11], v[102:103]
	v_cvt_f32_f64_e32 v102, v[102:103]
	s_branch .LBB179_250
.LBB179_249:
	v_mov_b32_e32 v102, 0
.LBB179_250:
	v_add_f64 v[103:104], v[30:31], v[94:95]
	v_add_f64 v[105:106], v[32:33], v[96:97]
	;; [unrolled: 1-line block ×4, first 2 shown]
	v_cvt_f32_f64_e32 v103, v[103:104]
	v_cvt_f32_f64_e32 v104, v[105:106]
	;; [unrolled: 1-line block ×4, first 2 shown]
	v_min3_f32 v103, v103, v104, v181
	v_min_f32_e32 v104, v105, v106
	v_min3_f32 v102, v102, v104, v103
	v_lshlrev_b64 v[104:105], 3, v[138:139]
	v_cvt_f64_f32_e32 v[102:103], v102
	v_add_co_u32 v104, vcc_lo, v98, v104
	v_add_co_ci_u32_e64 v105, null, v99, v105, vcc_lo
	global_store_dwordx2 v[104:105], v[102:103], off
	s_or_b32 exec_lo, exec_lo, s9
	s_and_b32 s12, s6, s8
	s_and_saveexec_b32 s9, s12
	s_cbranch_execz .LBB179_226
.LBB179_251:
	v_cmp_ne_u32_e32 vcc_lo, 1, v144
	s_cbranch_vccnz .LBB179_253
; %bb.252:
	v_lshlrev_b64 v[102:103], 3, v[140:141]
	v_add_co_u32 v102, vcc_lo, v100, v102
	v_add_co_ci_u32_e64 v103, null, v101, v103, vcc_lo
	global_load_dwordx2 v[102:103], v[102:103], off
	s_waitcnt vmcnt(0)
	v_mul_f64 v[102:103], s[10:11], v[102:103]
	v_cvt_f32_f64_e32 v102, v[102:103]
	s_branch .LBB179_254
.LBB179_253:
	v_mov_b32_e32 v102, 0
.LBB179_254:
	v_add_f64 v[103:104], v[22:23], v[94:95]
	v_add_f64 v[105:106], v[24:25], v[96:97]
	v_add_f64 v[107:108], v[18:19], v[90:91]
	v_add_f64 v[109:110], v[20:21], v[92:93]
	v_cvt_f32_f64_e32 v103, v[103:104]
	v_cvt_f32_f64_e32 v104, v[105:106]
	;; [unrolled: 1-line block ×4, first 2 shown]
	v_min3_f32 v103, v103, v104, v180
	v_min_f32_e32 v104, v105, v106
	v_min3_f32 v102, v102, v104, v103
	v_lshlrev_b64 v[104:105], 3, v[140:141]
	v_cvt_f64_f32_e32 v[102:103], v102
	v_add_co_u32 v104, vcc_lo, v98, v104
	v_add_co_ci_u32_e64 v105, null, v99, v105, vcc_lo
	global_store_dwordx2 v[104:105], v[102:103], off
	s_or_b32 exec_lo, exec_lo, s9
	s_and_b32 s9, s7, s8
	s_and_saveexec_b32 s8, s9
	s_cbranch_execz .LBB179_259
.LBB179_255:
	v_cmp_ne_u32_e32 vcc_lo, 1, v144
	s_cbranch_vccnz .LBB179_257
; %bb.256:
	v_lshlrev_b64 v[102:103], 3, v[142:143]
	v_add_co_u32 v100, vcc_lo, v100, v102
	v_add_co_ci_u32_e64 v101, null, v101, v103, vcc_lo
	global_load_dwordx2 v[100:101], v[100:101], off
	s_waitcnt vmcnt(0)
	v_mul_f64 v[100:101], s[10:11], v[100:101]
	v_cvt_f32_f64_e32 v100, v[100:101]
	s_branch .LBB179_258
.LBB179_257:
	v_mov_b32_e32 v100, 0
.LBB179_258:
	v_add_f64 v[94:95], v[6:7], v[94:95]
	v_add_f64 v[96:97], v[8:9], v[96:97]
	;; [unrolled: 1-line block ×4, first 2 shown]
	v_cvt_f32_f64_e32 v94, v[94:95]
	v_cvt_f32_f64_e32 v95, v[96:97]
	;; [unrolled: 1-line block ×4, first 2 shown]
	v_min3_f32 v92, v94, v95, v179
	v_min_f32_e32 v90, v90, v91
	v_min3_f32 v90, v100, v90, v92
	v_lshlrev_b64 v[92:93], 3, v[142:143]
	v_cvt_f64_f32_e32 v[90:91], v90
	v_add_co_u32 v92, vcc_lo, v98, v92
	v_add_co_ci_u32_e64 v93, null, v99, v93, vcc_lo
	global_store_dwordx2 v[92:93], v[90:91], off
.LBB179_259:
	s_or_b32 exec_lo, exec_lo, s8
	v_add_nc_u32_e32 v94, 0xa0, v145
	v_mad_i64_i32 v[90:91], null, v94, s17, 0
	v_mad_i64_i32 v[92:93], null, v94, s14, 0
	v_cmp_gt_i32_e64 s8, s13, v94
	v_lshlrev_b64 v[90:91], 3, v[90:91]
	s_and_b32 s12, s0, s8
	v_lshlrev_b64 v[94:95], 3, v[92:93]
	v_add_co_u32 v92, vcc_lo, s22, v90
	v_add_co_ci_u32_e64 v93, null, s23, v91, vcc_lo
	v_add_co_u32 v90, vcc_lo, s18, v94
	v_add_co_ci_u32_e64 v91, null, s15, v95, vcc_lo
	s_and_saveexec_b32 s9, s12
	s_cbranch_execnz .LBB179_267
; %bb.260:
	s_or_b32 exec_lo, exec_lo, s9
	s_and_b32 s12, s1, s8
	s_and_saveexec_b32 s9, s12
	s_cbranch_execnz .LBB179_271
.LBB179_261:
	s_or_b32 exec_lo, exec_lo, s9
	s_and_b32 s12, s2, s8
	s_and_saveexec_b32 s9, s12
	s_cbranch_execnz .LBB179_275
.LBB179_262:
	s_or_b32 exec_lo, exec_lo, s9
	s_and_b32 s12, s3, s8
	s_and_saveexec_b32 s9, s12
	s_cbranch_execnz .LBB179_279
.LBB179_263:
	s_or_b32 exec_lo, exec_lo, s9
	s_and_b32 s12, s4, s8
	s_and_saveexec_b32 s9, s12
	s_cbranch_execnz .LBB179_283
.LBB179_264:
	s_or_b32 exec_lo, exec_lo, s9
	s_and_b32 s12, s5, s8
	s_and_saveexec_b32 s9, s12
	s_cbranch_execnz .LBB179_287
.LBB179_265:
	s_or_b32 exec_lo, exec_lo, s9
	s_and_b32 s12, s6, s8
	s_and_saveexec_b32 s9, s12
	s_cbranch_execnz .LBB179_291
.LBB179_266:
	s_or_b32 exec_lo, exec_lo, s9
	s_and_b32 s9, s7, s8
	s_and_saveexec_b32 s8, s9
	s_cbranch_execnz .LBB179_295
	s_branch .LBB179_299
.LBB179_267:
	v_cmp_ne_u32_e32 vcc_lo, 1, v144
	s_cbranch_vccnz .LBB179_269
; %bb.268:
	v_lshlrev_b64 v[94:95], 3, v[0:1]
	v_add_co_u32 v94, vcc_lo, v92, v94
	v_add_co_ci_u32_e64 v95, null, v93, v95, vcc_lo
	global_load_dwordx2 v[94:95], v[94:95], off
	s_waitcnt vmcnt(0)
	v_mul_f64 v[94:95], s[10:11], v[94:95]
	v_cvt_f32_f64_e32 v94, v[94:95]
	s_branch .LBB179_270
.LBB179_269:
	v_mov_b32_e32 v94, 0
.LBB179_270:
	v_add_f64 v[95:96], v[70:71], v[86:87]
	v_add_f64 v[97:98], v[72:73], v[88:89]
	;; [unrolled: 1-line block ×4, first 2 shown]
	v_cvt_f32_f64_e32 v95, v[95:96]
	v_cvt_f32_f64_e32 v96, v[97:98]
	;; [unrolled: 1-line block ×4, first 2 shown]
	v_min3_f32 v95, v95, v96, v178
	v_min_f32_e32 v96, v97, v98
	v_min3_f32 v94, v94, v96, v95
	v_lshlrev_b64 v[96:97], 3, v[0:1]
	v_cvt_f64_f32_e32 v[94:95], v94
	v_add_co_u32 v96, vcc_lo, v90, v96
	v_add_co_ci_u32_e64 v97, null, v91, v97, vcc_lo
	global_store_dwordx2 v[96:97], v[94:95], off
	s_or_b32 exec_lo, exec_lo, s9
	s_and_b32 s12, s1, s8
	s_and_saveexec_b32 s9, s12
	s_cbranch_execz .LBB179_261
.LBB179_271:
	v_cmp_ne_u32_e32 vcc_lo, 1, v144
	s_cbranch_vccnz .LBB179_273
; %bb.272:
	v_lshlrev_b64 v[94:95], 3, v[130:131]
	v_add_co_u32 v94, vcc_lo, v92, v94
	v_add_co_ci_u32_e64 v95, null, v93, v95, vcc_lo
	global_load_dwordx2 v[94:95], v[94:95], off
	s_waitcnt vmcnt(0)
	v_mul_f64 v[94:95], s[10:11], v[94:95]
	v_cvt_f32_f64_e32 v94, v[94:95]
	s_branch .LBB179_274
.LBB179_273:
	v_mov_b32_e32 v94, 0
.LBB179_274:
	v_add_f64 v[95:96], v[62:63], v[86:87]
	v_add_f64 v[97:98], v[64:65], v[88:89]
	;; [unrolled: 1-line block ×4, first 2 shown]
	v_cvt_f32_f64_e32 v95, v[95:96]
	v_cvt_f32_f64_e32 v96, v[97:98]
	;; [unrolled: 1-line block ×4, first 2 shown]
	v_min3_f32 v95, v95, v96, v177
	v_min_f32_e32 v96, v97, v98
	v_min3_f32 v94, v94, v96, v95
	v_lshlrev_b64 v[96:97], 3, v[130:131]
	v_cvt_f64_f32_e32 v[94:95], v94
	v_add_co_u32 v96, vcc_lo, v90, v96
	v_add_co_ci_u32_e64 v97, null, v91, v97, vcc_lo
	global_store_dwordx2 v[96:97], v[94:95], off
	s_or_b32 exec_lo, exec_lo, s9
	s_and_b32 s12, s2, s8
	s_and_saveexec_b32 s9, s12
	s_cbranch_execz .LBB179_262
.LBB179_275:
	v_cmp_ne_u32_e32 vcc_lo, 1, v144
	s_cbranch_vccnz .LBB179_277
; %bb.276:
	v_lshlrev_b64 v[94:95], 3, v[132:133]
	v_add_co_u32 v94, vcc_lo, v92, v94
	v_add_co_ci_u32_e64 v95, null, v93, v95, vcc_lo
	global_load_dwordx2 v[94:95], v[94:95], off
	s_waitcnt vmcnt(0)
	v_mul_f64 v[94:95], s[10:11], v[94:95]
	v_cvt_f32_f64_e32 v94, v[94:95]
	s_branch .LBB179_278
.LBB179_277:
	v_mov_b32_e32 v94, 0
.LBB179_278:
	v_add_f64 v[95:96], v[54:55], v[86:87]
	v_add_f64 v[97:98], v[56:57], v[88:89]
	;; [unrolled: 1-line block ×4, first 2 shown]
	v_cvt_f32_f64_e32 v95, v[95:96]
	v_cvt_f32_f64_e32 v96, v[97:98]
	;; [unrolled: 1-line block ×4, first 2 shown]
	v_min3_f32 v95, v95, v96, v170
	v_min_f32_e32 v96, v97, v98
	v_min3_f32 v94, v94, v96, v95
	v_lshlrev_b64 v[96:97], 3, v[132:133]
	v_cvt_f64_f32_e32 v[94:95], v94
	v_add_co_u32 v96, vcc_lo, v90, v96
	v_add_co_ci_u32_e64 v97, null, v91, v97, vcc_lo
	global_store_dwordx2 v[96:97], v[94:95], off
	s_or_b32 exec_lo, exec_lo, s9
	s_and_b32 s12, s3, s8
	s_and_saveexec_b32 s9, s12
	s_cbranch_execz .LBB179_263
.LBB179_279:
	v_cmp_ne_u32_e32 vcc_lo, 1, v144
	s_cbranch_vccnz .LBB179_281
; %bb.280:
	v_lshlrev_b64 v[94:95], 3, v[134:135]
	v_add_co_u32 v94, vcc_lo, v92, v94
	v_add_co_ci_u32_e64 v95, null, v93, v95, vcc_lo
	global_load_dwordx2 v[94:95], v[94:95], off
	s_waitcnt vmcnt(0)
	v_mul_f64 v[94:95], s[10:11], v[94:95]
	v_cvt_f32_f64_e32 v94, v[94:95]
	s_branch .LBB179_282
.LBB179_281:
	v_mov_b32_e32 v94, 0
.LBB179_282:
	v_add_f64 v[95:96], v[46:47], v[86:87]
	v_add_f64 v[97:98], v[48:49], v[88:89]
	;; [unrolled: 1-line block ×4, first 2 shown]
	v_cvt_f32_f64_e32 v95, v[95:96]
	v_cvt_f32_f64_e32 v96, v[97:98]
	;; [unrolled: 1-line block ×4, first 2 shown]
	v_min3_f32 v95, v95, v96, v169
	v_min_f32_e32 v96, v97, v98
	v_min3_f32 v94, v94, v96, v95
	v_lshlrev_b64 v[96:97], 3, v[134:135]
	v_cvt_f64_f32_e32 v[94:95], v94
	v_add_co_u32 v96, vcc_lo, v90, v96
	v_add_co_ci_u32_e64 v97, null, v91, v97, vcc_lo
	global_store_dwordx2 v[96:97], v[94:95], off
	s_or_b32 exec_lo, exec_lo, s9
	s_and_b32 s12, s4, s8
	s_and_saveexec_b32 s9, s12
	s_cbranch_execz .LBB179_264
.LBB179_283:
	v_cmp_ne_u32_e32 vcc_lo, 1, v144
	s_cbranch_vccnz .LBB179_285
; %bb.284:
	v_lshlrev_b64 v[94:95], 3, v[136:137]
	v_add_co_u32 v94, vcc_lo, v92, v94
	v_add_co_ci_u32_e64 v95, null, v93, v95, vcc_lo
	global_load_dwordx2 v[94:95], v[94:95], off
	s_waitcnt vmcnt(0)
	v_mul_f64 v[94:95], s[10:11], v[94:95]
	v_cvt_f32_f64_e32 v94, v[94:95]
	s_branch .LBB179_286
.LBB179_285:
	v_mov_b32_e32 v94, 0
.LBB179_286:
	v_add_f64 v[95:96], v[38:39], v[86:87]
	v_add_f64 v[97:98], v[40:41], v[88:89]
	;; [unrolled: 1-line block ×4, first 2 shown]
	v_cvt_f32_f64_e32 v95, v[95:96]
	v_cvt_f32_f64_e32 v96, v[97:98]
	;; [unrolled: 1-line block ×4, first 2 shown]
	v_min3_f32 v95, v95, v96, v168
	v_min_f32_e32 v96, v97, v98
	v_min3_f32 v94, v94, v96, v95
	v_lshlrev_b64 v[96:97], 3, v[136:137]
	v_cvt_f64_f32_e32 v[94:95], v94
	v_add_co_u32 v96, vcc_lo, v90, v96
	v_add_co_ci_u32_e64 v97, null, v91, v97, vcc_lo
	global_store_dwordx2 v[96:97], v[94:95], off
	s_or_b32 exec_lo, exec_lo, s9
	s_and_b32 s12, s5, s8
	s_and_saveexec_b32 s9, s12
	s_cbranch_execz .LBB179_265
.LBB179_287:
	v_cmp_ne_u32_e32 vcc_lo, 1, v144
	s_cbranch_vccnz .LBB179_289
; %bb.288:
	v_lshlrev_b64 v[94:95], 3, v[138:139]
	v_add_co_u32 v94, vcc_lo, v92, v94
	v_add_co_ci_u32_e64 v95, null, v93, v95, vcc_lo
	global_load_dwordx2 v[94:95], v[94:95], off
	s_waitcnt vmcnt(0)
	v_mul_f64 v[94:95], s[10:11], v[94:95]
	v_cvt_f32_f64_e32 v94, v[94:95]
	s_branch .LBB179_290
.LBB179_289:
	v_mov_b32_e32 v94, 0
.LBB179_290:
	v_add_f64 v[95:96], v[30:31], v[86:87]
	v_add_f64 v[97:98], v[32:33], v[88:89]
	;; [unrolled: 1-line block ×4, first 2 shown]
	v_cvt_f32_f64_e32 v95, v[95:96]
	v_cvt_f32_f64_e32 v96, v[97:98]
	;; [unrolled: 1-line block ×4, first 2 shown]
	v_min3_f32 v95, v95, v96, v167
	v_min_f32_e32 v96, v97, v98
	v_min3_f32 v94, v94, v96, v95
	v_lshlrev_b64 v[96:97], 3, v[138:139]
	v_cvt_f64_f32_e32 v[94:95], v94
	v_add_co_u32 v96, vcc_lo, v90, v96
	v_add_co_ci_u32_e64 v97, null, v91, v97, vcc_lo
	global_store_dwordx2 v[96:97], v[94:95], off
	s_or_b32 exec_lo, exec_lo, s9
	s_and_b32 s12, s6, s8
	s_and_saveexec_b32 s9, s12
	s_cbranch_execz .LBB179_266
.LBB179_291:
	v_cmp_ne_u32_e32 vcc_lo, 1, v144
	s_cbranch_vccnz .LBB179_293
; %bb.292:
	v_lshlrev_b64 v[94:95], 3, v[140:141]
	v_add_co_u32 v94, vcc_lo, v92, v94
	v_add_co_ci_u32_e64 v95, null, v93, v95, vcc_lo
	global_load_dwordx2 v[94:95], v[94:95], off
	s_waitcnt vmcnt(0)
	v_mul_f64 v[94:95], s[10:11], v[94:95]
	v_cvt_f32_f64_e32 v94, v[94:95]
	s_branch .LBB179_294
.LBB179_293:
	v_mov_b32_e32 v94, 0
.LBB179_294:
	v_add_f64 v[95:96], v[22:23], v[86:87]
	v_add_f64 v[97:98], v[24:25], v[88:89]
	;; [unrolled: 1-line block ×4, first 2 shown]
	v_cvt_f32_f64_e32 v95, v[95:96]
	v_cvt_f32_f64_e32 v96, v[97:98]
	;; [unrolled: 1-line block ×4, first 2 shown]
	v_min3_f32 v95, v95, v96, v166
	v_min_f32_e32 v96, v97, v98
	v_min3_f32 v94, v94, v96, v95
	v_lshlrev_b64 v[96:97], 3, v[140:141]
	v_cvt_f64_f32_e32 v[94:95], v94
	v_add_co_u32 v96, vcc_lo, v90, v96
	v_add_co_ci_u32_e64 v97, null, v91, v97, vcc_lo
	global_store_dwordx2 v[96:97], v[94:95], off
	s_or_b32 exec_lo, exec_lo, s9
	s_and_b32 s9, s7, s8
	s_and_saveexec_b32 s8, s9
	s_cbranch_execz .LBB179_299
.LBB179_295:
	v_cmp_ne_u32_e32 vcc_lo, 1, v144
	s_cbranch_vccnz .LBB179_297
; %bb.296:
	v_lshlrev_b64 v[94:95], 3, v[142:143]
	v_add_co_u32 v92, vcc_lo, v92, v94
	v_add_co_ci_u32_e64 v93, null, v93, v95, vcc_lo
	global_load_dwordx2 v[92:93], v[92:93], off
	s_waitcnt vmcnt(0)
	v_mul_f64 v[92:93], s[10:11], v[92:93]
	v_cvt_f32_f64_e32 v92, v[92:93]
	s_branch .LBB179_298
.LBB179_297:
	v_mov_b32_e32 v92, 0
.LBB179_298:
	v_add_f64 v[86:87], v[6:7], v[86:87]
	v_add_f64 v[88:89], v[8:9], v[88:89]
	;; [unrolled: 1-line block ×4, first 2 shown]
	v_cvt_f32_f64_e32 v86, v[86:87]
	v_cvt_f32_f64_e32 v87, v[88:89]
	;; [unrolled: 1-line block ×4, first 2 shown]
	v_min3_f32 v84, v86, v87, v165
	v_min_f32_e32 v82, v82, v83
	v_min3_f32 v82, v92, v82, v84
	v_lshlrev_b64 v[84:85], 3, v[142:143]
	v_cvt_f64_f32_e32 v[82:83], v82
	v_add_co_u32 v84, vcc_lo, v90, v84
	v_add_co_ci_u32_e64 v85, null, v91, v85, vcc_lo
	global_store_dwordx2 v[84:85], v[82:83], off
.LBB179_299:
	s_or_b32 exec_lo, exec_lo, s8
	v_add_nc_u32_e32 v86, 0xc0, v145
	v_mad_i64_i32 v[82:83], null, v86, s17, 0
	v_mad_i64_i32 v[84:85], null, v86, s14, 0
	v_cmp_gt_i32_e64 s8, s13, v86
	v_lshlrev_b64 v[82:83], 3, v[82:83]
	s_and_b32 s12, s0, s8
	v_lshlrev_b64 v[86:87], 3, v[84:85]
	v_add_co_u32 v84, vcc_lo, s22, v82
	v_add_co_ci_u32_e64 v85, null, s23, v83, vcc_lo
	v_add_co_u32 v82, vcc_lo, s18, v86
	v_add_co_ci_u32_e64 v83, null, s15, v87, vcc_lo
	s_and_saveexec_b32 s9, s12
	s_cbranch_execnz .LBB179_307
; %bb.300:
	s_or_b32 exec_lo, exec_lo, s9
	s_and_b32 s12, s1, s8
	s_and_saveexec_b32 s9, s12
	s_cbranch_execnz .LBB179_311
.LBB179_301:
	s_or_b32 exec_lo, exec_lo, s9
	s_and_b32 s12, s2, s8
	s_and_saveexec_b32 s9, s12
	s_cbranch_execnz .LBB179_315
.LBB179_302:
	s_or_b32 exec_lo, exec_lo, s9
	s_and_b32 s12, s3, s8
	s_and_saveexec_b32 s9, s12
	s_cbranch_execnz .LBB179_319
.LBB179_303:
	s_or_b32 exec_lo, exec_lo, s9
	s_and_b32 s12, s4, s8
	s_and_saveexec_b32 s9, s12
	s_cbranch_execnz .LBB179_323
.LBB179_304:
	s_or_b32 exec_lo, exec_lo, s9
	s_and_b32 s12, s5, s8
	s_and_saveexec_b32 s9, s12
	s_cbranch_execnz .LBB179_327
.LBB179_305:
	s_or_b32 exec_lo, exec_lo, s9
	s_and_b32 s12, s6, s8
	s_and_saveexec_b32 s9, s12
	s_cbranch_execnz .LBB179_331
.LBB179_306:
	s_or_b32 exec_lo, exec_lo, s9
	s_and_b32 s9, s7, s8
	s_and_saveexec_b32 s8, s9
	s_cbranch_execnz .LBB179_335
	s_branch .LBB179_339
.LBB179_307:
	v_cmp_ne_u32_e32 vcc_lo, 1, v144
	s_cbranch_vccnz .LBB179_309
; %bb.308:
	v_lshlrev_b64 v[86:87], 3, v[0:1]
	v_add_co_u32 v86, vcc_lo, v84, v86
	v_add_co_ci_u32_e64 v87, null, v85, v87, vcc_lo
	global_load_dwordx2 v[86:87], v[86:87], off
	s_waitcnt vmcnt(0)
	v_mul_f64 v[86:87], s[10:11], v[86:87]
	v_cvt_f32_f64_e32 v86, v[86:87]
	s_branch .LBB179_310
.LBB179_309:
	v_mov_b32_e32 v86, 0
.LBB179_310:
	v_add_f64 v[87:88], v[70:71], v[78:79]
	v_add_f64 v[89:90], v[72:73], v[80:81]
	;; [unrolled: 1-line block ×4, first 2 shown]
	v_cvt_f32_f64_e32 v87, v[87:88]
	v_cvt_f32_f64_e32 v88, v[89:90]
	;; [unrolled: 1-line block ×4, first 2 shown]
	v_min3_f32 v87, v87, v88, v164
	v_min_f32_e32 v88, v89, v90
	v_min3_f32 v86, v86, v88, v87
	v_lshlrev_b64 v[88:89], 3, v[0:1]
	v_cvt_f64_f32_e32 v[86:87], v86
	v_add_co_u32 v88, vcc_lo, v82, v88
	v_add_co_ci_u32_e64 v89, null, v83, v89, vcc_lo
	global_store_dwordx2 v[88:89], v[86:87], off
	s_or_b32 exec_lo, exec_lo, s9
	s_and_b32 s12, s1, s8
	s_and_saveexec_b32 s9, s12
	s_cbranch_execz .LBB179_301
.LBB179_311:
	v_cmp_ne_u32_e32 vcc_lo, 1, v144
	s_cbranch_vccnz .LBB179_313
; %bb.312:
	v_lshlrev_b64 v[86:87], 3, v[130:131]
	v_add_co_u32 v86, vcc_lo, v84, v86
	v_add_co_ci_u32_e64 v87, null, v85, v87, vcc_lo
	global_load_dwordx2 v[86:87], v[86:87], off
	s_waitcnt vmcnt(0)
	v_mul_f64 v[86:87], s[10:11], v[86:87]
	v_cvt_f32_f64_e32 v86, v[86:87]
	s_branch .LBB179_314
.LBB179_313:
	v_mov_b32_e32 v86, 0
.LBB179_314:
	v_add_f64 v[87:88], v[62:63], v[78:79]
	v_add_f64 v[89:90], v[64:65], v[80:81]
	;; [unrolled: 1-line block ×4, first 2 shown]
	v_cvt_f32_f64_e32 v87, v[87:88]
	v_cvt_f32_f64_e32 v88, v[89:90]
	;; [unrolled: 1-line block ×4, first 2 shown]
	v_min3_f32 v87, v87, v88, v163
	v_min_f32_e32 v88, v89, v90
	v_min3_f32 v86, v86, v88, v87
	v_lshlrev_b64 v[88:89], 3, v[130:131]
	v_cvt_f64_f32_e32 v[86:87], v86
	v_add_co_u32 v88, vcc_lo, v82, v88
	v_add_co_ci_u32_e64 v89, null, v83, v89, vcc_lo
	global_store_dwordx2 v[88:89], v[86:87], off
	s_or_b32 exec_lo, exec_lo, s9
	s_and_b32 s12, s2, s8
	s_and_saveexec_b32 s9, s12
	s_cbranch_execz .LBB179_302
.LBB179_315:
	v_cmp_ne_u32_e32 vcc_lo, 1, v144
	s_cbranch_vccnz .LBB179_317
; %bb.316:
	v_lshlrev_b64 v[86:87], 3, v[132:133]
	v_add_co_u32 v86, vcc_lo, v84, v86
	v_add_co_ci_u32_e64 v87, null, v85, v87, vcc_lo
	global_load_dwordx2 v[86:87], v[86:87], off
	s_waitcnt vmcnt(0)
	v_mul_f64 v[86:87], s[10:11], v[86:87]
	v_cvt_f32_f64_e32 v86, v[86:87]
	s_branch .LBB179_318
.LBB179_317:
	v_mov_b32_e32 v86, 0
.LBB179_318:
	v_add_f64 v[87:88], v[54:55], v[78:79]
	v_add_f64 v[89:90], v[56:57], v[80:81]
	;; [unrolled: 1-line block ×4, first 2 shown]
	v_cvt_f32_f64_e32 v87, v[87:88]
	v_cvt_f32_f64_e32 v88, v[89:90]
	v_cvt_f32_f64_e32 v89, v[91:92]
	v_cvt_f32_f64_e32 v90, v[93:94]
	v_min3_f32 v87, v87, v88, v162
	v_min_f32_e32 v88, v89, v90
	v_min3_f32 v86, v86, v88, v87
	v_lshlrev_b64 v[88:89], 3, v[132:133]
	v_cvt_f64_f32_e32 v[86:87], v86
	v_add_co_u32 v88, vcc_lo, v82, v88
	v_add_co_ci_u32_e64 v89, null, v83, v89, vcc_lo
	global_store_dwordx2 v[88:89], v[86:87], off
	s_or_b32 exec_lo, exec_lo, s9
	s_and_b32 s12, s3, s8
	s_and_saveexec_b32 s9, s12
	s_cbranch_execz .LBB179_303
.LBB179_319:
	v_cmp_ne_u32_e32 vcc_lo, 1, v144
	s_cbranch_vccnz .LBB179_321
; %bb.320:
	v_lshlrev_b64 v[86:87], 3, v[134:135]
	v_add_co_u32 v86, vcc_lo, v84, v86
	v_add_co_ci_u32_e64 v87, null, v85, v87, vcc_lo
	global_load_dwordx2 v[86:87], v[86:87], off
	s_waitcnt vmcnt(0)
	v_mul_f64 v[86:87], s[10:11], v[86:87]
	v_cvt_f32_f64_e32 v86, v[86:87]
	s_branch .LBB179_322
.LBB179_321:
	v_mov_b32_e32 v86, 0
.LBB179_322:
	v_add_f64 v[87:88], v[46:47], v[78:79]
	v_add_f64 v[89:90], v[48:49], v[80:81]
	;; [unrolled: 1-line block ×4, first 2 shown]
	v_cvt_f32_f64_e32 v87, v[87:88]
	v_cvt_f32_f64_e32 v88, v[89:90]
	;; [unrolled: 1-line block ×4, first 2 shown]
	v_min3_f32 v87, v87, v88, v161
	v_min_f32_e32 v88, v89, v90
	v_min3_f32 v86, v86, v88, v87
	v_lshlrev_b64 v[88:89], 3, v[134:135]
	v_cvt_f64_f32_e32 v[86:87], v86
	v_add_co_u32 v88, vcc_lo, v82, v88
	v_add_co_ci_u32_e64 v89, null, v83, v89, vcc_lo
	global_store_dwordx2 v[88:89], v[86:87], off
	s_or_b32 exec_lo, exec_lo, s9
	s_and_b32 s12, s4, s8
	s_and_saveexec_b32 s9, s12
	s_cbranch_execz .LBB179_304
.LBB179_323:
	v_cmp_ne_u32_e32 vcc_lo, 1, v144
	s_cbranch_vccnz .LBB179_325
; %bb.324:
	v_lshlrev_b64 v[86:87], 3, v[136:137]
	v_add_co_u32 v86, vcc_lo, v84, v86
	v_add_co_ci_u32_e64 v87, null, v85, v87, vcc_lo
	global_load_dwordx2 v[86:87], v[86:87], off
	s_waitcnt vmcnt(0)
	v_mul_f64 v[86:87], s[10:11], v[86:87]
	v_cvt_f32_f64_e32 v86, v[86:87]
	s_branch .LBB179_326
.LBB179_325:
	v_mov_b32_e32 v86, 0
.LBB179_326:
	v_add_f64 v[87:88], v[38:39], v[78:79]
	v_add_f64 v[89:90], v[40:41], v[80:81]
	;; [unrolled: 1-line block ×4, first 2 shown]
	v_cvt_f32_f64_e32 v87, v[87:88]
	v_cvt_f32_f64_e32 v88, v[89:90]
	v_cvt_f32_f64_e32 v89, v[91:92]
	v_cvt_f32_f64_e32 v90, v[93:94]
	v_min3_f32 v87, v87, v88, v160
	v_min_f32_e32 v88, v89, v90
	v_min3_f32 v86, v86, v88, v87
	v_lshlrev_b64 v[88:89], 3, v[136:137]
	v_cvt_f64_f32_e32 v[86:87], v86
	v_add_co_u32 v88, vcc_lo, v82, v88
	v_add_co_ci_u32_e64 v89, null, v83, v89, vcc_lo
	global_store_dwordx2 v[88:89], v[86:87], off
	s_or_b32 exec_lo, exec_lo, s9
	s_and_b32 s12, s5, s8
	s_and_saveexec_b32 s9, s12
	s_cbranch_execz .LBB179_305
.LBB179_327:
	v_cmp_ne_u32_e32 vcc_lo, 1, v144
	s_cbranch_vccnz .LBB179_329
; %bb.328:
	v_lshlrev_b64 v[86:87], 3, v[138:139]
	v_add_co_u32 v86, vcc_lo, v84, v86
	v_add_co_ci_u32_e64 v87, null, v85, v87, vcc_lo
	global_load_dwordx2 v[86:87], v[86:87], off
	s_waitcnt vmcnt(0)
	v_mul_f64 v[86:87], s[10:11], v[86:87]
	v_cvt_f32_f64_e32 v86, v[86:87]
	s_branch .LBB179_330
.LBB179_329:
	v_mov_b32_e32 v86, 0
.LBB179_330:
	v_add_f64 v[87:88], v[30:31], v[78:79]
	v_add_f64 v[89:90], v[32:33], v[80:81]
	;; [unrolled: 1-line block ×4, first 2 shown]
	v_cvt_f32_f64_e32 v87, v[87:88]
	v_cvt_f32_f64_e32 v88, v[89:90]
	;; [unrolled: 1-line block ×4, first 2 shown]
	v_min3_f32 v87, v87, v88, v159
	v_min_f32_e32 v88, v89, v90
	v_min3_f32 v86, v86, v88, v87
	v_lshlrev_b64 v[88:89], 3, v[138:139]
	v_cvt_f64_f32_e32 v[86:87], v86
	v_add_co_u32 v88, vcc_lo, v82, v88
	v_add_co_ci_u32_e64 v89, null, v83, v89, vcc_lo
	global_store_dwordx2 v[88:89], v[86:87], off
	s_or_b32 exec_lo, exec_lo, s9
	s_and_b32 s12, s6, s8
	s_and_saveexec_b32 s9, s12
	s_cbranch_execz .LBB179_306
.LBB179_331:
	v_cmp_ne_u32_e32 vcc_lo, 1, v144
	s_cbranch_vccnz .LBB179_333
; %bb.332:
	v_lshlrev_b64 v[86:87], 3, v[140:141]
	v_add_co_u32 v86, vcc_lo, v84, v86
	v_add_co_ci_u32_e64 v87, null, v85, v87, vcc_lo
	global_load_dwordx2 v[86:87], v[86:87], off
	s_waitcnt vmcnt(0)
	v_mul_f64 v[86:87], s[10:11], v[86:87]
	v_cvt_f32_f64_e32 v86, v[86:87]
	s_branch .LBB179_334
.LBB179_333:
	v_mov_b32_e32 v86, 0
.LBB179_334:
	v_add_f64 v[87:88], v[22:23], v[78:79]
	v_add_f64 v[89:90], v[24:25], v[80:81]
	;; [unrolled: 1-line block ×4, first 2 shown]
	v_cvt_f32_f64_e32 v87, v[87:88]
	v_cvt_f32_f64_e32 v88, v[89:90]
	;; [unrolled: 1-line block ×4, first 2 shown]
	v_min3_f32 v87, v87, v88, v158
	v_min_f32_e32 v88, v89, v90
	v_min3_f32 v86, v86, v88, v87
	v_lshlrev_b64 v[88:89], 3, v[140:141]
	v_cvt_f64_f32_e32 v[86:87], v86
	v_add_co_u32 v88, vcc_lo, v82, v88
	v_add_co_ci_u32_e64 v89, null, v83, v89, vcc_lo
	global_store_dwordx2 v[88:89], v[86:87], off
	s_or_b32 exec_lo, exec_lo, s9
	s_and_b32 s9, s7, s8
	s_and_saveexec_b32 s8, s9
	s_cbranch_execz .LBB179_339
.LBB179_335:
	v_cmp_ne_u32_e32 vcc_lo, 1, v144
	s_cbranch_vccnz .LBB179_337
; %bb.336:
	v_lshlrev_b64 v[86:87], 3, v[142:143]
	v_add_co_u32 v84, vcc_lo, v84, v86
	v_add_co_ci_u32_e64 v85, null, v85, v87, vcc_lo
	global_load_dwordx2 v[84:85], v[84:85], off
	s_waitcnt vmcnt(0)
	v_mul_f64 v[84:85], s[10:11], v[84:85]
	v_cvt_f32_f64_e32 v84, v[84:85]
	s_branch .LBB179_338
.LBB179_337:
	v_mov_b32_e32 v84, 0
.LBB179_338:
	v_add_f64 v[78:79], v[6:7], v[78:79]
	v_add_f64 v[80:81], v[8:9], v[80:81]
	;; [unrolled: 1-line block ×4, first 2 shown]
	v_cvt_f32_f64_e32 v78, v[78:79]
	v_cvt_f32_f64_e32 v79, v[80:81]
	;; [unrolled: 1-line block ×4, first 2 shown]
	v_min3_f32 v76, v78, v79, v157
	v_min_f32_e32 v74, v74, v75
	v_min3_f32 v74, v84, v74, v76
	v_lshlrev_b64 v[76:77], 3, v[142:143]
	v_cvt_f64_f32_e32 v[74:75], v74
	v_add_co_u32 v76, vcc_lo, v82, v76
	v_add_co_ci_u32_e64 v77, null, v83, v77, vcc_lo
	global_store_dwordx2 v[76:77], v[74:75], off
.LBB179_339:
	s_or_b32 exec_lo, exec_lo, s8
	v_add_nc_u32_e32 v78, 0xe0, v145
	v_mad_i64_i32 v[74:75], null, v78, s17, 0
	v_mad_i64_i32 v[76:77], null, v78, s14, 0
	v_cmp_gt_i32_e64 s8, s13, v78
	v_lshlrev_b64 v[74:75], 3, v[74:75]
	s_and_b32 s9, s0, s8
	v_lshlrev_b64 v[78:79], 3, v[76:77]
	v_add_co_u32 v76, vcc_lo, s22, v74
	v_add_co_ci_u32_e64 v77, null, s23, v75, vcc_lo
	v_add_co_u32 v74, vcc_lo, s18, v78
	v_add_co_ci_u32_e64 v75, null, s15, v79, vcc_lo
	s_and_saveexec_b32 s0, s9
	s_cbranch_execnz .LBB179_348
; %bb.340:
	s_or_b32 exec_lo, exec_lo, s0
	s_and_b32 s1, s1, s8
	s_and_saveexec_b32 s0, s1
	s_cbranch_execnz .LBB179_352
.LBB179_341:
	s_or_b32 exec_lo, exec_lo, s0
	s_and_b32 s1, s2, s8
	s_and_saveexec_b32 s0, s1
	s_cbranch_execnz .LBB179_356
.LBB179_342:
	s_or_b32 exec_lo, exec_lo, s0
	s_and_b32 s1, s3, s8
	s_and_saveexec_b32 s0, s1
	s_cbranch_execnz .LBB179_360
.LBB179_343:
	s_or_b32 exec_lo, exec_lo, s0
	s_and_b32 s1, s4, s8
	s_and_saveexec_b32 s0, s1
	s_cbranch_execnz .LBB179_364
.LBB179_344:
	s_or_b32 exec_lo, exec_lo, s0
	s_and_b32 s1, s5, s8
	s_and_saveexec_b32 s0, s1
	s_cbranch_execnz .LBB179_368
.LBB179_345:
	s_or_b32 exec_lo, exec_lo, s0
	s_and_b32 s1, s6, s8
	s_and_saveexec_b32 s0, s1
	s_cbranch_execnz .LBB179_372
.LBB179_346:
	s_or_b32 exec_lo, exec_lo, s0
	s_and_b32 s0, s7, s8
	s_and_saveexec_b32 s1, s0
	s_cbranch_execnz .LBB179_376
.LBB179_347:
	s_endpgm
.LBB179_348:
	v_cmp_ne_u32_e32 vcc_lo, 1, v144
	v_lshlrev_b64 v[0:1], 3, v[0:1]
	s_cbranch_vccnz .LBB179_350
; %bb.349:
	v_add_co_u32 v78, vcc_lo, v76, v0
	v_add_co_ci_u32_e64 v79, null, v77, v1, vcc_lo
	global_load_dwordx2 v[78:79], v[78:79], off
	s_waitcnt vmcnt(0)
	v_mul_f64 v[78:79], s[10:11], v[78:79]
	v_cvt_f32_f64_e32 v78, v[78:79]
	s_branch .LBB179_351
.LBB179_350:
	v_mov_b32_e32 v78, 0
.LBB179_351:
	v_add_f64 v[70:71], v[70:71], v[14:15]
	v_add_f64 v[72:73], v[72:73], v[16:17]
	;; [unrolled: 1-line block ×4, first 2 shown]
	v_add_co_u32 v0, vcc_lo, v74, v0
	v_add_co_ci_u32_e64 v1, null, v75, v1, vcc_lo
	v_cvt_f32_f64_e32 v70, v[70:71]
	v_cvt_f32_f64_e32 v71, v[72:73]
	;; [unrolled: 1-line block ×4, first 2 shown]
	v_min3_f32 v68, v70, v71, v156
	v_min_f32_e32 v66, v66, v67
	v_min3_f32 v66, v78, v66, v68
	v_cvt_f64_f32_e32 v[66:67], v66
	global_store_dwordx2 v[0:1], v[66:67], off
	s_or_b32 exec_lo, exec_lo, s0
	s_and_b32 s1, s1, s8
	s_and_saveexec_b32 s0, s1
	s_cbranch_execz .LBB179_341
.LBB179_352:
	v_cmp_ne_u32_e32 vcc_lo, 1, v144
	v_lshlrev_b64 v[0:1], 3, v[130:131]
	s_cbranch_vccnz .LBB179_354
; %bb.353:
	v_add_co_u32 v66, vcc_lo, v76, v0
	v_add_co_ci_u32_e64 v67, null, v77, v1, vcc_lo
	global_load_dwordx2 v[66:67], v[66:67], off
	s_waitcnt vmcnt(0)
	v_mul_f64 v[66:67], s[10:11], v[66:67]
	v_cvt_f32_f64_e32 v66, v[66:67]
	s_branch .LBB179_355
.LBB179_354:
	v_mov_b32_e32 v66, 0
.LBB179_355:
	v_add_f64 v[62:63], v[62:63], v[14:15]
	v_add_f64 v[64:65], v[64:65], v[16:17]
	;; [unrolled: 1-line block ×4, first 2 shown]
	v_add_co_u32 v0, vcc_lo, v74, v0
	v_add_co_ci_u32_e64 v1, null, v75, v1, vcc_lo
	v_cvt_f32_f64_e32 v62, v[62:63]
	v_cvt_f32_f64_e32 v63, v[64:65]
	;; [unrolled: 1-line block ×4, first 2 shown]
	v_min3_f32 v60, v62, v63, v155
	v_min_f32_e32 v58, v58, v59
	v_min3_f32 v58, v66, v58, v60
	v_cvt_f64_f32_e32 v[58:59], v58
	global_store_dwordx2 v[0:1], v[58:59], off
	s_or_b32 exec_lo, exec_lo, s0
	s_and_b32 s1, s2, s8
	s_and_saveexec_b32 s0, s1
	s_cbranch_execz .LBB179_342
.LBB179_356:
	v_cmp_ne_u32_e32 vcc_lo, 1, v144
	v_lshlrev_b64 v[0:1], 3, v[132:133]
	s_cbranch_vccnz .LBB179_358
; %bb.357:
	v_add_co_u32 v58, vcc_lo, v76, v0
	v_add_co_ci_u32_e64 v59, null, v77, v1, vcc_lo
	global_load_dwordx2 v[58:59], v[58:59], off
	s_waitcnt vmcnt(0)
	v_mul_f64 v[58:59], s[10:11], v[58:59]
	v_cvt_f32_f64_e32 v58, v[58:59]
	s_branch .LBB179_359
.LBB179_358:
	v_mov_b32_e32 v58, 0
.LBB179_359:
	v_add_f64 v[54:55], v[54:55], v[14:15]
	v_add_f64 v[56:57], v[56:57], v[16:17]
	;; [unrolled: 1-line block ×4, first 2 shown]
	v_add_co_u32 v0, vcc_lo, v74, v0
	v_add_co_ci_u32_e64 v1, null, v75, v1, vcc_lo
	v_cvt_f32_f64_e32 v54, v[54:55]
	v_cvt_f32_f64_e32 v55, v[56:57]
	;; [unrolled: 1-line block ×4, first 2 shown]
	v_min3_f32 v52, v54, v55, v154
	v_min_f32_e32 v50, v50, v51
	v_min3_f32 v50, v58, v50, v52
	v_cvt_f64_f32_e32 v[50:51], v50
	global_store_dwordx2 v[0:1], v[50:51], off
	s_or_b32 exec_lo, exec_lo, s0
	s_and_b32 s1, s3, s8
	s_and_saveexec_b32 s0, s1
	s_cbranch_execz .LBB179_343
.LBB179_360:
	v_cmp_ne_u32_e32 vcc_lo, 1, v144
	v_lshlrev_b64 v[0:1], 3, v[134:135]
	s_cbranch_vccnz .LBB179_362
; %bb.361:
	v_add_co_u32 v50, vcc_lo, v76, v0
	v_add_co_ci_u32_e64 v51, null, v77, v1, vcc_lo
	global_load_dwordx2 v[50:51], v[50:51], off
	s_waitcnt vmcnt(0)
	v_mul_f64 v[50:51], s[10:11], v[50:51]
	v_cvt_f32_f64_e32 v50, v[50:51]
	s_branch .LBB179_363
.LBB179_362:
	v_mov_b32_e32 v50, 0
.LBB179_363:
	v_add_f64 v[46:47], v[46:47], v[14:15]
	v_add_f64 v[48:49], v[48:49], v[16:17]
	;; [unrolled: 1-line block ×4, first 2 shown]
	v_add_co_u32 v0, vcc_lo, v74, v0
	v_add_co_ci_u32_e64 v1, null, v75, v1, vcc_lo
	v_cvt_f32_f64_e32 v46, v[46:47]
	v_cvt_f32_f64_e32 v47, v[48:49]
	;; [unrolled: 1-line block ×4, first 2 shown]
	v_min3_f32 v44, v46, v47, v153
	v_min_f32_e32 v42, v42, v43
	v_min3_f32 v42, v50, v42, v44
	v_cvt_f64_f32_e32 v[42:43], v42
	global_store_dwordx2 v[0:1], v[42:43], off
	s_or_b32 exec_lo, exec_lo, s0
	s_and_b32 s1, s4, s8
	s_and_saveexec_b32 s0, s1
	s_cbranch_execz .LBB179_344
.LBB179_364:
	v_cmp_ne_u32_e32 vcc_lo, 1, v144
	v_lshlrev_b64 v[0:1], 3, v[136:137]
	s_cbranch_vccnz .LBB179_366
; %bb.365:
	v_add_co_u32 v42, vcc_lo, v76, v0
	v_add_co_ci_u32_e64 v43, null, v77, v1, vcc_lo
	global_load_dwordx2 v[42:43], v[42:43], off
	s_waitcnt vmcnt(0)
	v_mul_f64 v[42:43], s[10:11], v[42:43]
	v_cvt_f32_f64_e32 v42, v[42:43]
	s_branch .LBB179_367
.LBB179_366:
	v_mov_b32_e32 v42, 0
.LBB179_367:
	v_add_f64 v[38:39], v[38:39], v[14:15]
	v_add_f64 v[40:41], v[40:41], v[16:17]
	;; [unrolled: 1-line block ×4, first 2 shown]
	v_add_co_u32 v0, vcc_lo, v74, v0
	v_add_co_ci_u32_e64 v1, null, v75, v1, vcc_lo
	v_cvt_f32_f64_e32 v38, v[38:39]
	v_cvt_f32_f64_e32 v39, v[40:41]
	;; [unrolled: 1-line block ×4, first 2 shown]
	v_min3_f32 v36, v38, v39, v152
	v_min_f32_e32 v34, v34, v35
	v_min3_f32 v34, v42, v34, v36
	v_cvt_f64_f32_e32 v[34:35], v34
	global_store_dwordx2 v[0:1], v[34:35], off
	s_or_b32 exec_lo, exec_lo, s0
	s_and_b32 s1, s5, s8
	s_and_saveexec_b32 s0, s1
	s_cbranch_execz .LBB179_345
.LBB179_368:
	v_cmp_ne_u32_e32 vcc_lo, 1, v144
	v_lshlrev_b64 v[0:1], 3, v[138:139]
	s_cbranch_vccnz .LBB179_370
; %bb.369:
	v_add_co_u32 v34, vcc_lo, v76, v0
	v_add_co_ci_u32_e64 v35, null, v77, v1, vcc_lo
	global_load_dwordx2 v[34:35], v[34:35], off
	s_waitcnt vmcnt(0)
	v_mul_f64 v[34:35], s[10:11], v[34:35]
	v_cvt_f32_f64_e32 v34, v[34:35]
	s_branch .LBB179_371
.LBB179_370:
	v_mov_b32_e32 v34, 0
.LBB179_371:
	v_add_f64 v[30:31], v[30:31], v[14:15]
	v_add_f64 v[32:33], v[32:33], v[16:17]
	;; [unrolled: 1-line block ×4, first 2 shown]
	v_add_co_u32 v0, vcc_lo, v74, v0
	v_add_co_ci_u32_e64 v1, null, v75, v1, vcc_lo
	v_cvt_f32_f64_e32 v30, v[30:31]
	v_cvt_f32_f64_e32 v31, v[32:33]
	;; [unrolled: 1-line block ×4, first 2 shown]
	v_min3_f32 v28, v30, v31, v151
	v_min_f32_e32 v26, v26, v27
	v_min3_f32 v26, v34, v26, v28
	v_cvt_f64_f32_e32 v[26:27], v26
	global_store_dwordx2 v[0:1], v[26:27], off
	s_or_b32 exec_lo, exec_lo, s0
	s_and_b32 s1, s6, s8
	s_and_saveexec_b32 s0, s1
	s_cbranch_execz .LBB179_346
.LBB179_372:
	v_cmp_ne_u32_e32 vcc_lo, 1, v144
	v_lshlrev_b64 v[0:1], 3, v[140:141]
	s_cbranch_vccnz .LBB179_374
; %bb.373:
	v_add_co_u32 v26, vcc_lo, v76, v0
	v_add_co_ci_u32_e64 v27, null, v77, v1, vcc_lo
	global_load_dwordx2 v[26:27], v[26:27], off
	s_waitcnt vmcnt(0)
	v_mul_f64 v[26:27], s[10:11], v[26:27]
	v_cvt_f32_f64_e32 v26, v[26:27]
	s_branch .LBB179_375
.LBB179_374:
	v_mov_b32_e32 v26, 0
.LBB179_375:
	v_add_f64 v[22:23], v[22:23], v[14:15]
	v_add_f64 v[24:25], v[24:25], v[16:17]
	;; [unrolled: 1-line block ×4, first 2 shown]
	v_add_co_u32 v0, vcc_lo, v74, v0
	v_add_co_ci_u32_e64 v1, null, v75, v1, vcc_lo
	v_cvt_f32_f64_e32 v22, v[22:23]
	v_cvt_f32_f64_e32 v23, v[24:25]
	;; [unrolled: 1-line block ×4, first 2 shown]
	v_min3_f32 v20, v22, v23, v150
	v_min_f32_e32 v18, v18, v19
	v_min3_f32 v18, v26, v18, v20
	v_cvt_f64_f32_e32 v[18:19], v18
	global_store_dwordx2 v[0:1], v[18:19], off
	s_or_b32 exec_lo, exec_lo, s0
	s_and_b32 s0, s7, s8
	s_and_saveexec_b32 s1, s0
	s_cbranch_execz .LBB179_347
.LBB179_376:
	v_cmp_ne_u32_e32 vcc_lo, 1, v144
	v_lshlrev_b64 v[0:1], 3, v[142:143]
	s_cbranch_vccnz .LBB179_378
; %bb.377:
	v_add_co_u32 v18, vcc_lo, v76, v0
	v_add_co_ci_u32_e64 v19, null, v77, v1, vcc_lo
	global_load_dwordx2 v[18:19], v[18:19], off
	s_waitcnt vmcnt(0)
	v_mul_f64 v[18:19], s[10:11], v[18:19]
	v_cvt_f32_f64_e32 v18, v[18:19]
	s_branch .LBB179_379
.LBB179_378:
	v_mov_b32_e32 v18, 0
.LBB179_379:
	v_add_f64 v[6:7], v[6:7], v[14:15]
	v_add_f64 v[8:9], v[8:9], v[16:17]
	;; [unrolled: 1-line block ×4, first 2 shown]
	v_add_co_u32 v0, vcc_lo, v74, v0
	v_add_co_ci_u32_e64 v1, null, v75, v1, vcc_lo
	v_cvt_f32_f64_e32 v6, v[6:7]
	v_cvt_f32_f64_e32 v7, v[8:9]
	v_cvt_f32_f64_e32 v2, v[2:3]
	v_cvt_f32_f64_e32 v3, v[4:5]
	v_min3_f32 v4, v6, v7, v149
	v_min_f32_e32 v2, v2, v3
	v_min3_f32 v2, v18, v2, v4
	v_cvt_f64_f32_e32 v[2:3], v2
	global_store_dwordx2 v[0:1], v[2:3], off
	s_endpgm
	.section	.rodata,"a",@progbits
	.p2align	6, 0x0
	.amdhsa_kernel _ZN12_GLOBAL__N_120geam_min_plus_kernelId15HIP_vector_typeIdLj2EEdLi8ELi32ELi64ELi256ELi4ELi4ELi64ELi64ELi4ELc84ELc84ELb0ELb1ELb1EdKddEEviiiT16_PT17_ilS6_ilS4_S6_ilPT18_ili26rocblas_geam_ex_operation_
		.amdhsa_group_segment_fixed_size 20480
		.amdhsa_private_segment_fixed_size 0
		.amdhsa_kernarg_size 136
		.amdhsa_user_sgpr_count 6
		.amdhsa_user_sgpr_private_segment_buffer 1
		.amdhsa_user_sgpr_dispatch_ptr 0
		.amdhsa_user_sgpr_queue_ptr 0
		.amdhsa_user_sgpr_kernarg_segment_ptr 1
		.amdhsa_user_sgpr_dispatch_id 0
		.amdhsa_user_sgpr_flat_scratch_init 0
		.amdhsa_user_sgpr_private_segment_size 0
		.amdhsa_wavefront_size32 1
		.amdhsa_uses_dynamic_stack 0
		.amdhsa_system_sgpr_private_segment_wavefront_offset 0
		.amdhsa_system_sgpr_workgroup_id_x 1
		.amdhsa_system_sgpr_workgroup_id_y 0
		.amdhsa_system_sgpr_workgroup_id_z 1
		.amdhsa_system_sgpr_workgroup_info 0
		.amdhsa_system_vgpr_workitem_id 1
		.amdhsa_next_free_vgpr 223
		.amdhsa_next_free_sgpr 32
		.amdhsa_reserve_vcc 1
		.amdhsa_reserve_flat_scratch 0
		.amdhsa_float_round_mode_32 0
		.amdhsa_float_round_mode_16_64 0
		.amdhsa_float_denorm_mode_32 3
		.amdhsa_float_denorm_mode_16_64 3
		.amdhsa_dx10_clamp 1
		.amdhsa_ieee_mode 1
		.amdhsa_fp16_overflow 0
		.amdhsa_workgroup_processor_mode 1
		.amdhsa_memory_ordered 1
		.amdhsa_forward_progress 1
		.amdhsa_shared_vgpr_count 0
		.amdhsa_exception_fp_ieee_invalid_op 0
		.amdhsa_exception_fp_denorm_src 0
		.amdhsa_exception_fp_ieee_div_zero 0
		.amdhsa_exception_fp_ieee_overflow 0
		.amdhsa_exception_fp_ieee_underflow 0
		.amdhsa_exception_fp_ieee_inexact 0
		.amdhsa_exception_int_div_zero 0
	.end_amdhsa_kernel
	.section	.text._ZN12_GLOBAL__N_120geam_min_plus_kernelId15HIP_vector_typeIdLj2EEdLi8ELi32ELi64ELi256ELi4ELi4ELi64ELi64ELi4ELc84ELc84ELb0ELb1ELb1EdKddEEviiiT16_PT17_ilS6_ilS4_S6_ilPT18_ili26rocblas_geam_ex_operation_,"axG",@progbits,_ZN12_GLOBAL__N_120geam_min_plus_kernelId15HIP_vector_typeIdLj2EEdLi8ELi32ELi64ELi256ELi4ELi4ELi64ELi64ELi4ELc84ELc84ELb0ELb1ELb1EdKddEEviiiT16_PT17_ilS6_ilS4_S6_ilPT18_ili26rocblas_geam_ex_operation_,comdat
.Lfunc_end179:
	.size	_ZN12_GLOBAL__N_120geam_min_plus_kernelId15HIP_vector_typeIdLj2EEdLi8ELi32ELi64ELi256ELi4ELi4ELi64ELi64ELi4ELc84ELc84ELb0ELb1ELb1EdKddEEviiiT16_PT17_ilS6_ilS4_S6_ilPT18_ili26rocblas_geam_ex_operation_, .Lfunc_end179-_ZN12_GLOBAL__N_120geam_min_plus_kernelId15HIP_vector_typeIdLj2EEdLi8ELi32ELi64ELi256ELi4ELi4ELi64ELi64ELi4ELc84ELc84ELb0ELb1ELb1EdKddEEviiiT16_PT17_ilS6_ilS4_S6_ilPT18_ili26rocblas_geam_ex_operation_
                                        ; -- End function
	.set _ZN12_GLOBAL__N_120geam_min_plus_kernelId15HIP_vector_typeIdLj2EEdLi8ELi32ELi64ELi256ELi4ELi4ELi64ELi64ELi4ELc84ELc84ELb0ELb1ELb1EdKddEEviiiT16_PT17_ilS6_ilS4_S6_ilPT18_ili26rocblas_geam_ex_operation_.num_vgpr, 223
	.set _ZN12_GLOBAL__N_120geam_min_plus_kernelId15HIP_vector_typeIdLj2EEdLi8ELi32ELi64ELi256ELi4ELi4ELi64ELi64ELi4ELc84ELc84ELb0ELb1ELb1EdKddEEviiiT16_PT17_ilS6_ilS4_S6_ilPT18_ili26rocblas_geam_ex_operation_.num_agpr, 0
	.set _ZN12_GLOBAL__N_120geam_min_plus_kernelId15HIP_vector_typeIdLj2EEdLi8ELi32ELi64ELi256ELi4ELi4ELi64ELi64ELi4ELc84ELc84ELb0ELb1ELb1EdKddEEviiiT16_PT17_ilS6_ilS4_S6_ilPT18_ili26rocblas_geam_ex_operation_.numbered_sgpr, 32
	.set _ZN12_GLOBAL__N_120geam_min_plus_kernelId15HIP_vector_typeIdLj2EEdLi8ELi32ELi64ELi256ELi4ELi4ELi64ELi64ELi4ELc84ELc84ELb0ELb1ELb1EdKddEEviiiT16_PT17_ilS6_ilS4_S6_ilPT18_ili26rocblas_geam_ex_operation_.num_named_barrier, 0
	.set _ZN12_GLOBAL__N_120geam_min_plus_kernelId15HIP_vector_typeIdLj2EEdLi8ELi32ELi64ELi256ELi4ELi4ELi64ELi64ELi4ELc84ELc84ELb0ELb1ELb1EdKddEEviiiT16_PT17_ilS6_ilS4_S6_ilPT18_ili26rocblas_geam_ex_operation_.private_seg_size, 0
	.set _ZN12_GLOBAL__N_120geam_min_plus_kernelId15HIP_vector_typeIdLj2EEdLi8ELi32ELi64ELi256ELi4ELi4ELi64ELi64ELi4ELc84ELc84ELb0ELb1ELb1EdKddEEviiiT16_PT17_ilS6_ilS4_S6_ilPT18_ili26rocblas_geam_ex_operation_.uses_vcc, 1
	.set _ZN12_GLOBAL__N_120geam_min_plus_kernelId15HIP_vector_typeIdLj2EEdLi8ELi32ELi64ELi256ELi4ELi4ELi64ELi64ELi4ELc84ELc84ELb0ELb1ELb1EdKddEEviiiT16_PT17_ilS6_ilS4_S6_ilPT18_ili26rocblas_geam_ex_operation_.uses_flat_scratch, 0
	.set _ZN12_GLOBAL__N_120geam_min_plus_kernelId15HIP_vector_typeIdLj2EEdLi8ELi32ELi64ELi256ELi4ELi4ELi64ELi64ELi4ELc84ELc84ELb0ELb1ELb1EdKddEEviiiT16_PT17_ilS6_ilS4_S6_ilPT18_ili26rocblas_geam_ex_operation_.has_dyn_sized_stack, 0
	.set _ZN12_GLOBAL__N_120geam_min_plus_kernelId15HIP_vector_typeIdLj2EEdLi8ELi32ELi64ELi256ELi4ELi4ELi64ELi64ELi4ELc84ELc84ELb0ELb1ELb1EdKddEEviiiT16_PT17_ilS6_ilS4_S6_ilPT18_ili26rocblas_geam_ex_operation_.has_recursion, 0
	.set _ZN12_GLOBAL__N_120geam_min_plus_kernelId15HIP_vector_typeIdLj2EEdLi8ELi32ELi64ELi256ELi4ELi4ELi64ELi64ELi4ELc84ELc84ELb0ELb1ELb1EdKddEEviiiT16_PT17_ilS6_ilS4_S6_ilPT18_ili26rocblas_geam_ex_operation_.has_indirect_call, 0
	.section	.AMDGPU.csdata,"",@progbits
; Kernel info:
; codeLenInByte = 29736
; TotalNumSgprs: 34
; NumVgprs: 223
; ScratchSize: 0
; MemoryBound: 1
; FloatMode: 240
; IeeeMode: 1
; LDSByteSize: 20480 bytes/workgroup (compile time only)
; SGPRBlocks: 0
; VGPRBlocks: 27
; NumSGPRsForWavesPerEU: 34
; NumVGPRsForWavesPerEU: 223
; Occupancy: 4
; WaveLimiterHint : 0
; COMPUTE_PGM_RSRC2:SCRATCH_EN: 0
; COMPUTE_PGM_RSRC2:USER_SGPR: 6
; COMPUTE_PGM_RSRC2:TRAP_HANDLER: 0
; COMPUTE_PGM_RSRC2:TGID_X_EN: 1
; COMPUTE_PGM_RSRC2:TGID_Y_EN: 0
; COMPUTE_PGM_RSRC2:TGID_Z_EN: 1
; COMPUTE_PGM_RSRC2:TIDIG_COMP_CNT: 1
	.section	.text._ZN12_GLOBAL__N_120geam_min_plus_kernelIdddLi4ELi64ELi128ELi128ELi4ELi64ELi4ELi4ELi64ELc78ELc78ELb0ELb0ELb0EPKdS1_dEEviiiT16_PT17_ilS5_ilS3_S5_ilPT18_ili26rocblas_geam_ex_operation_,"axG",@progbits,_ZN12_GLOBAL__N_120geam_min_plus_kernelIdddLi4ELi64ELi128ELi128ELi4ELi64ELi4ELi4ELi64ELc78ELc78ELb0ELb0ELb0EPKdS1_dEEviiiT16_PT17_ilS5_ilS3_S5_ilPT18_ili26rocblas_geam_ex_operation_,comdat
	.globl	_ZN12_GLOBAL__N_120geam_min_plus_kernelIdddLi4ELi64ELi128ELi128ELi4ELi64ELi4ELi4ELi64ELc78ELc78ELb0ELb0ELb0EPKdS1_dEEviiiT16_PT17_ilS5_ilS3_S5_ilPT18_ili26rocblas_geam_ex_operation_ ; -- Begin function _ZN12_GLOBAL__N_120geam_min_plus_kernelIdddLi4ELi64ELi128ELi128ELi4ELi64ELi4ELi4ELi64ELc78ELc78ELb0ELb0ELb0EPKdS1_dEEviiiT16_PT17_ilS5_ilS3_S5_ilPT18_ili26rocblas_geam_ex_operation_
	.p2align	8
	.type	_ZN12_GLOBAL__N_120geam_min_plus_kernelIdddLi4ELi64ELi128ELi128ELi4ELi64ELi4ELi4ELi64ELc78ELc78ELb0ELb0ELb0EPKdS1_dEEviiiT16_PT17_ilS5_ilS3_S5_ilPT18_ili26rocblas_geam_ex_operation_,@function
_ZN12_GLOBAL__N_120geam_min_plus_kernelIdddLi4ELi64ELi128ELi128ELi4ELi64ELi4ELi4ELi64ELc78ELc78ELb0ELb0ELb0EPKdS1_dEEviiiT16_PT17_ilS5_ilS3_S5_ilPT18_ili26rocblas_geam_ex_operation_: ; @_ZN12_GLOBAL__N_120geam_min_plus_kernelIdddLi4ELi64ELi128ELi128ELi4ELi64ELi4ELi4ELi64ELc78ELc78ELb0ELb0ELb0EPKdS1_dEEviiiT16_PT17_ilS5_ilS3_S5_ilPT18_ili26rocblas_geam_ex_operation_
; %bb.0:
	s_load_dwordx4 s[16:19], s[4:5], 0x10
	s_mov_b32 s20, s7
	s_mov_b32 s21, 0
	s_add_u32 s0, s0, s8
	s_addc_u32 s1, s1, 0
	s_lshl_b64 s[22:23], s[20:21], 3
	s_clause 0x1
	s_load_dwordx4 s[8:11], s[4:5], 0x28
	s_load_dwordx2 s[26:27], s[4:5], 0x50
	s_mov_b64 s[24:25], 0
	s_waitcnt lgkmcnt(0)
	s_add_u32 s12, s16, s22
	s_addc_u32 s13, s17, s23
	s_load_dwordx2 s[16:17], s[12:13], 0x0
	s_load_dwordx4 s[12:15], s[4:5], 0x40
	s_waitcnt lgkmcnt(0)
	v_cmp_eq_f64_e64 s7, s[16:17], 0
	v_cmp_neq_f64_e64 s21, s[16:17], 0
	s_add_u32 s14, s14, s22
	s_addc_u32 s15, s15, s23
	s_mov_b64 s[22:23], 0
	s_and_b32 vcc_lo, exec_lo, s7
	s_cbranch_vccnz .LBB180_2
; %bb.1:
	s_mul_i32 s7, s9, s20
	s_mul_hi_u32 s9, s8, s20
	s_mul_i32 s8, s8, s20
	s_add_i32 s9, s9, s7
	s_lshl_b64 s[8:9], s[8:9], 3
	s_add_u32 s24, s18, s8
	s_addc_u32 s25, s19, s9
.LBB180_2:
	s_load_dwordx2 s[14:15], s[14:15], 0x0
	v_cndmask_b32_e64 v2, 0, 1, s21
	s_andn2_b32 vcc_lo, exec_lo, s21
	v_cmp_ne_u32_e64 s7, 1, v2
	s_cbranch_vccnz .LBB180_4
; %bb.3:
	s_mul_i32 s8, s13, s20
	s_mul_hi_u32 s9, s12, s20
	s_add_i32 s9, s9, s8
	s_mul_i32 s8, s12, s20
	s_lshl_b64 s[8:9], s[8:9], 3
	s_add_u32 s22, s10, s8
	s_addc_u32 s23, s11, s9
.LBB180_4:
	s_waitcnt lgkmcnt(0)
	v_cmp_eq_f64_e64 s12, s[14:15], 0
	s_load_dwordx4 s[8:11], s[4:5], 0x60
	s_and_b32 vcc_lo, exec_lo, s12
	s_mov_b64 s[12:13], 0
	s_cbranch_vccnz .LBB180_6
; %bb.5:
	s_waitcnt lgkmcnt(0)
	s_mul_i32 s9, s9, s20
	s_mul_hi_u32 s12, s8, s20
	s_mul_i32 s8, s8, s20
	s_add_i32 s9, s12, s9
	s_lshl_b64 s[8:9], s[8:9], 3
	s_add_u32 s12, s26, s8
	s_addc_u32 s13, s27, s9
.LBB180_6:
	s_waitcnt lgkmcnt(0)
	s_clause 0x1
	s_load_dword s8, s[4:5], 0x0
	s_load_dword s19, s[4:5], 0x20
	v_lshl_add_u32 v8, v1, 2, v0
	v_mov_b32_e32 v16, 0
	v_mov_b32_e32 v4, 0
	;; [unrolled: 1-line block ×4, first 2 shown]
	v_and_b32_e32 v80, 63, v8
	v_lshrrev_b32_e32 v84, 6, v8
	v_mov_b32_e32 v5, 0
	buffer_store_dword v9, off, s[0:3], 0 offset:4
	buffer_store_dword v9, off, s[0:3], 0
	buffer_store_dword v9, off, s[0:3], 0 offset:12
	buffer_store_dword v9, off, s[0:3], 0 offset:8
	buffer_store_dword v9, off, s[0:3], 0 offset:20
	buffer_store_dword v9, off, s[0:3], 0 offset:16
	buffer_store_dword v9, off, s[0:3], 0 offset:28
	buffer_store_dword v9, off, s[0:3], 0 offset:24
	buffer_store_dword v9, off, s[0:3], 0 offset:36
	buffer_store_dword v9, off, s[0:3], 0 offset:32
	buffer_store_dword v9, off, s[0:3], 0 offset:44
	buffer_store_dword v9, off, s[0:3], 0 offset:40
	buffer_store_dword v9, off, s[0:3], 0 offset:52
	buffer_store_dword v9, off, s[0:3], 0 offset:48
	buffer_store_dword v9, off, s[0:3], 0 offset:60
	buffer_store_dword v9, off, s[0:3], 0 offset:56
	buffer_store_dword v9, off, s[0:3], 0 offset:68
	buffer_store_dword v9, off, s[0:3], 0 offset:64
	buffer_store_dword v9, off, s[0:3], 0 offset:76
	buffer_store_dword v9, off, s[0:3], 0 offset:72
	buffer_store_dword v9, off, s[0:3], 0 offset:84
	buffer_store_dword v9, off, s[0:3], 0 offset:80
	buffer_store_dword v9, off, s[0:3], 0 offset:92
	buffer_store_dword v9, off, s[0:3], 0 offset:88
	buffer_store_dword v9, off, s[0:3], 0 offset:100
	buffer_store_dword v9, off, s[0:3], 0 offset:96
	buffer_store_dword v9, off, s[0:3], 0 offset:108
	buffer_store_dword v9, off, s[0:3], 0 offset:104
	buffer_store_dword v9, off, s[0:3], 0 offset:116
	buffer_store_dword v9, off, s[0:3], 0 offset:112
	buffer_store_dword v9, off, s[0:3], 0 offset:124
	buffer_store_dword v9, off, s[0:3], 0 offset:120
	buffer_store_dword v9, off, s[0:3], 0 offset:132
	buffer_store_dword v9, off, s[0:3], 0 offset:128
	buffer_store_dword v9, off, s[0:3], 0 offset:140
	buffer_store_dword v9, off, s[0:3], 0 offset:136
	buffer_store_dword v9, off, s[0:3], 0 offset:148
	s_waitcnt lgkmcnt(0)
	s_add_i32 s8, s8, -1
	s_ashr_i32 s21, s19, 31
	s_ashr_i32 s9, s8, 31
	buffer_store_dword v9, off, s[0:3], 0 offset:144
	buffer_store_dword v9, off, s[0:3], 0 offset:156
	;; [unrolled: 1-line block ×4, first 2 shown]
	s_lshr_b32 s9, s9, 25
	buffer_store_dword v9, off, s[0:3], 0 offset:160
	buffer_store_dword v9, off, s[0:3], 0 offset:172
	s_add_i32 s8, s8, s9
	buffer_store_dword v9, off, s[0:3], 0 offset:168
	s_ashr_i32 s8, s8, 7
	buffer_store_dword v9, off, s[0:3], 0 offset:180
	s_add_i32 s9, s8, 1
	s_not_b32 s8, s8
	v_cvt_f32_u32_e32 v2, s9
	buffer_store_dword v9, off, s[0:3], 0 offset:176
	buffer_store_dword v9, off, s[0:3], 0 offset:188
	;; [unrolled: 1-line block ×4, first 2 shown]
	v_rcp_iflag_f32_e32 v2, v2
	buffer_store_dword v9, off, s[0:3], 0 offset:192
	buffer_store_dword v9, off, s[0:3], 0 offset:204
	;; [unrolled: 1-line block ×79, first 2 shown]
	v_mul_f32_e32 v2, 0x4f7ffffe, v2
	v_cvt_u32_f32_e32 v2, v2
	v_readfirstlane_b32 s18, v2
	v_mov_b32_e32 v2, 0
	v_mov_b32_e32 v3, 0
	s_mul_i32 s8, s8, s18
	s_mul_hi_u32 s8, s18, s8
	s_add_i32 s18, s18, s8
	s_mul_hi_u32 s8, s6, s18
	s_mul_i32 s18, s8, s9
	s_add_i32 s26, s8, 1
	s_sub_i32 s18, s6, s18
	s_sub_i32 s27, s18, s9
	s_cmp_ge_u32 s18, s9
	s_cselect_b32 s8, s26, s8
	s_cselect_b32 s18, s27, s18
	s_add_i32 s26, s8, 1
	s_cmp_ge_u32 s18, s9
	s_cselect_b32 s8, s26, s8
	s_and_b32 vcc_lo, exec_lo, s7
	s_mul_i32 s9, s8, s9
	s_sub_i32 s6, s6, s9
	s_lshl_b32 s6, s6, 7
	v_or_b32_e32 v6, s6, v80
	v_ashrrev_i32_e32 v7, 31, v6
	s_cbranch_vccnz .LBB180_8
; %bb.7:
	v_mad_i64_i32 v[2:3], null, s19, v84, 0
	v_lshlrev_b64 v[4:5], 3, v[6:7]
	v_lshlrev_b64 v[2:3], 3, v[2:3]
	v_add_co_u32 v2, vcc_lo, s24, v2
	v_add_co_ci_u32_e64 v3, null, s25, v3, vcc_lo
	v_add_co_u32 v2, vcc_lo, v2, v4
	v_add_co_ci_u32_e64 v3, null, v3, v5, vcc_lo
	s_clause 0x1
	global_load_dwordx2 v[4:5], v[2:3], off
	global_load_dwordx2 v[9:10], v[2:3], off offset:512
	s_waitcnt vmcnt(1)
	v_mul_f64 v[2:3], s[16:17], v[4:5]
	s_waitcnt vmcnt(0)
	v_mul_f64 v[4:5], s[16:17], v[9:10]
.LBB180_8:
	s_load_dword s26, s[4:5], 0x38
	v_lshrrev_b32_e32 v20, 2, v8
	s_lshl_b32 s8, s8, 7
	v_and_b32_e32 v85, 3, v0
	v_mov_b32_e32 v18, 0
	v_mov_b32_e32 v19, 0
	v_add_nc_u32_e32 v82, s8, v20
	s_and_b32 vcc_lo, exec_lo, s7
	v_lshlrev_b32_e32 v21, 3, v85
	v_add_nc_u32_e32 v81, 64, v82
	s_cbranch_vccnz .LBB180_10
; %bb.9:
	s_waitcnt lgkmcnt(0)
	v_mad_i64_i32 v[8:9], null, v82, s26, 0
	v_mad_i64_i32 v[10:11], null, v81, s26, 0
	v_add_co_u32 v12, s9, s22, v21
	v_add_co_ci_u32_e64 v13, null, s23, 0, s9
	v_lshlrev_b64 v[8:9], 3, v[8:9]
	v_lshlrev_b64 v[10:11], 3, v[10:11]
	v_add_co_u32 v8, vcc_lo, v12, v8
	v_add_co_ci_u32_e64 v9, null, v13, v9, vcc_lo
	v_add_co_u32 v10, vcc_lo, v12, v10
	v_add_co_ci_u32_e64 v11, null, v13, v11, vcc_lo
	s_clause 0x1
	global_load_dwordx2 v[8:9], v[8:9], off
	global_load_dwordx2 v[10:11], v[10:11], off
	s_waitcnt vmcnt(1)
	v_mul_f64 v[16:17], s[16:17], v[8:9]
	s_waitcnt vmcnt(0)
	v_mul_f64 v[18:19], s[16:17], v[10:11]
.LBB180_10:
	v_mov_b32_e32 v12, 0
	v_mov_b32_e32 v8, 0
	;; [unrolled: 1-line block ×6, first 2 shown]
	v_add_nc_u32_e32 v86, 4, v84
	s_and_b32 vcc_lo, exec_lo, s7
	s_cbranch_vccnz .LBB180_12
; %bb.11:
	v_mad_i64_i32 v[8:9], null, s19, v86, 0
	v_lshlrev_b64 v[10:11], 3, v[6:7]
	v_lshlrev_b64 v[8:9], 3, v[8:9]
	v_add_co_u32 v8, vcc_lo, s24, v8
	v_add_co_ci_u32_e64 v9, null, s25, v9, vcc_lo
	v_add_co_u32 v8, vcc_lo, v8, v10
	v_add_co_ci_u32_e64 v9, null, v9, v11, vcc_lo
	s_clause 0x1
	global_load_dwordx2 v[10:11], v[8:9], off
	global_load_dwordx2 v[14:15], v[8:9], off offset:512
	s_waitcnt vmcnt(1)
	v_mul_f64 v[8:9], s[16:17], v[10:11]
	s_waitcnt vmcnt(0)
	v_mul_f64 v[10:11], s[16:17], v[14:15]
.LBB180_12:
	v_mov_b32_e32 v14, 0
	v_mov_b32_e32 v15, 0
	s_and_b32 vcc_lo, exec_lo, s7
	s_cbranch_vccnz .LBB180_14
; %bb.13:
	s_waitcnt lgkmcnt(0)
	v_mad_i64_i32 v[12:13], null, v82, s26, 0
	v_mad_i64_i32 v[14:15], null, v81, s26, 0
	v_add_co_u32 v22, s9, s22, v21
	v_add_co_ci_u32_e64 v23, null, s23, 0, s9
	v_lshlrev_b64 v[12:13], 3, v[12:13]
	v_lshlrev_b64 v[14:15], 3, v[14:15]
	v_add_co_u32 v12, vcc_lo, v22, v12
	v_add_co_ci_u32_e64 v13, null, v23, v13, vcc_lo
	v_add_co_u32 v14, vcc_lo, v22, v14
	v_add_co_ci_u32_e64 v15, null, v23, v15, vcc_lo
	s_clause 0x1
	global_load_dwordx2 v[12:13], v[12:13], off offset:32
	global_load_dwordx2 v[14:15], v[14:15], off offset:32
	s_waitcnt vmcnt(1)
	v_mul_f64 v[12:13], s[16:17], v[12:13]
	s_waitcnt vmcnt(0)
	v_mul_f64 v[14:15], s[16:17], v[14:15]
.LBB180_14:
	v_cmp_neq_f64_e64 s9, s[14:15], 0
	v_lshlrev_b32_e32 v22, 5, v80
	v_lshl_or_b32 v83, v20, 5, v21
	v_lshlrev_b32_e32 v89, 5, v0
	v_lshl_or_b32 v90, v1, 5, 0x2000
	s_mov_b32 s18, 0
	v_lshl_add_u32 v87, v84, 3, v22
	v_add_nc_u32_e32 v88, 0x2000, v83
	s_addk_i32 s18, 0x100
	s_mov_b32 s27, 0
	ds_write2st64_b64 v83, v[16:17], v[18:19] offset0:16 offset1:20
	ds_write2st64_b64 v87, v[2:3], v[4:5] offset1:4
	s_waitcnt lgkmcnt(0)
	s_waitcnt_vscnt null, 0x0
	s_barrier
	buffer_gl0_inv
.LBB180_15:                             ; =>This Loop Header: Depth=1
                                        ;     Child Loop BB180_16 Depth 2
	s_lshl_b32 s28, s27, 3
	s_mov_b32 s29, 0
	v_add_nc_u32_e32 v16, s28, v89
	v_add_nc_u32_e32 v91, s28, v90
	s_mov_b32 s28, -1
	ds_read2_b64 v[2:5], v16 offset1:16
	ds_read2_b64 v[20:23], v16 offset0:32 offset1:48
	ds_read2_b64 v[24:27], v16 offset0:64 offset1:80
	;; [unrolled: 1-line block ×4, first 2 shown]
	v_add_nc_u32_e32 v76, 0x800, v16
	ds_read2_b64 v[36:39], v16 offset0:160 offset1:176
	ds_read2_b64 v[40:43], v16 offset0:192 offset1:208
	;; [unrolled: 1-line block ×3, first 2 shown]
	ds_read2_b64 v[48:51], v76 offset1:16
	ds_read2_b64 v[52:55], v76 offset0:32 offset1:48
	ds_read2_b64 v[56:59], v76 offset0:64 offset1:80
	;; [unrolled: 1-line block ×6, first 2 shown]
	s_waitcnt lgkmcnt(9)
	v_max_f64 v[36:37], v[36:37], v[36:37]
	v_max_f64 v[38:39], v[38:39], v[38:39]
	;; [unrolled: 1-line block ×4, first 2 shown]
	ds_read2_b64 v[2:5], v76 offset0:224 offset1:240
	v_max_f64 v[20:21], v[20:21], v[20:21]
	v_max_f64 v[22:23], v[22:23], v[22:23]
	;; [unrolled: 1-line block ×8, first 2 shown]
	s_waitcnt lgkmcnt(9)
	v_max_f64 v[40:41], v[40:41], v[40:41]
	v_max_f64 v[42:43], v[42:43], v[42:43]
	s_waitcnt lgkmcnt(8)
	v_max_f64 v[44:45], v[44:45], v[44:45]
	v_max_f64 v[46:47], v[46:47], v[46:47]
	;; [unrolled: 3-line block ×10, first 2 shown]
	ds_read2st64_b64 v[2:5], v91 offset1:4
.LBB180_16:                             ;   Parent Loop BB180_15 Depth=1
                                        ; =>  This Inner Loop Header: Depth=2
	v_mov_b32_e32 v219, s29
	s_waitcnt lgkmcnt(0)
	v_max_f64 v[155:156], v[2:3], v[2:3]
	v_mov_b32_e32 v2, v4
	v_mov_b32_e32 v3, v5
	s_and_b32 vcc_lo, exec_lo, s28
	s_clause 0x3e
	buffer_load_dword v91, v219, s[0:3], 0 offen
	buffer_load_dword v92, v219, s[0:3], 0 offen offset:4
	buffer_load_dword v93, v219, s[0:3], 0 offen offset:8
	;; [unrolled: 1-line block ×63, first 2 shown]
	s_mov_b32 s28, 0
	s_mov_b32 s29, s18
	v_min_f64 v[157:158], v[16:17], v[155:156]
	v_min_f64 v[159:160], v[18:19], v[155:156]
	v_min_f64 v[161:162], v[20:21], v[155:156]
	v_min_f64 v[163:164], v[22:23], v[155:156]
	v_min_f64 v[165:166], v[24:25], v[155:156]
	v_min_f64 v[167:168], v[26:27], v[155:156]
	v_min_f64 v[169:170], v[28:29], v[155:156]
	v_min_f64 v[171:172], v[30:31], v[155:156]
	v_min_f64 v[173:174], v[32:33], v[155:156]
	v_min_f64 v[175:176], v[34:35], v[155:156]
	v_min_f64 v[177:178], v[36:37], v[155:156]
	v_min_f64 v[179:180], v[38:39], v[155:156]
	v_min_f64 v[181:182], v[40:41], v[155:156]
	v_min_f64 v[183:184], v[42:43], v[155:156]
	v_min_f64 v[185:186], v[44:45], v[155:156]
	v_min_f64 v[187:188], v[46:47], v[155:156]
	v_min_f64 v[189:190], v[48:49], v[155:156]
	v_min_f64 v[191:192], v[50:51], v[155:156]
	v_min_f64 v[193:194], v[52:53], v[155:156]
	v_min_f64 v[195:196], v[54:55], v[155:156]
	v_min_f64 v[197:198], v[56:57], v[155:156]
	v_min_f64 v[199:200], v[58:59], v[155:156]
	v_min_f64 v[201:202], v[60:61], v[155:156]
	v_min_f64 v[203:204], v[62:63], v[155:156]
	v_min_f64 v[205:206], v[64:65], v[155:156]
	v_min_f64 v[207:208], v[66:67], v[155:156]
	v_min_f64 v[209:210], v[68:69], v[155:156]
	v_min_f64 v[211:212], v[70:71], v[155:156]
	v_min_f64 v[213:214], v[72:73], v[155:156]
	v_min_f64 v[215:216], v[74:75], v[155:156]
	v_min_f64 v[217:218], v[76:77], v[155:156]
	v_min_f64 v[155:156], v[78:79], v[155:156]
	s_waitcnt vmcnt(62)
	v_add_f64 v[91:92], v[157:158], v[91:92]
	s_waitcnt vmcnt(60)
	v_add_f64 v[93:94], v[159:160], v[93:94]
	;; [unrolled: 2-line block ×32, first 2 shown]
	buffer_store_dword v91, v219, s[0:3], 0 offen
	buffer_store_dword v92, v219, s[0:3], 0 offen offset:4
	buffer_store_dword v93, v219, s[0:3], 0 offen offset:8
	;; [unrolled: 1-line block ×63, first 2 shown]
	s_cbranch_vccnz .LBB180_16
; %bb.17:                               ;   in Loop: Header=BB180_15 Depth=1
	s_add_i32 s27, s27, 1
	s_cmp_eq_u32 s27, 4
	s_cbranch_scc0 .LBB180_15
; %bb.18:
	s_load_dword s27, s[4:5], 0x8
	v_lshlrev_b32_e32 v2, 3, v84
	v_lshl_add_u32 v91, v0, 5, 0x1000
	v_lshl_add_u32 v92, v1, 5, 0x3000
	;; [unrolled: 1-line block ×3, first 2 shown]
	ds_write2st64_b64 v2, v[8:9], v[10:11] offset0:8 offset1:12
	ds_write2st64_b64 v83, v[12:13], v[14:15] offset0:24 offset1:28
	s_waitcnt lgkmcnt(0)
	s_waitcnt_vscnt null, 0x0
	s_barrier
	buffer_gl0_inv
	s_cmp_lt_i32 s27, 9
	s_cbranch_scc1 .LBB180_37
; %bb.19:
	v_mad_i64_i32 v[3:4], null, v82, s26, 0
	v_lshlrev_b64 v[5:6], 3, v[6:7]
	v_mad_i64_i32 v[7:8], null, v81, s26, 0
	v_or_b32_e32 v93, 0x1000, v2
	v_add_nc_u32_e32 v94, 0x3000, v83
	v_mov_b32_e32 v75, 0
	v_add_co_u32 v95, vcc_lo, s24, v5
	v_lshlrev_b64 v[70:71], 3, v[3:4]
	v_lshlrev_b64 v[72:73], 3, v[7:8]
	v_add_co_ci_u32_e64 v96, null, s25, v6, vcc_lo
	s_add_i32 s24, s27, -8
	s_mov_b32 s25, 8
	s_mov_b32 s26, 0
.LBB180_20:                             ; =>This Loop Header: Depth=1
                                        ;     Child Loop BB180_25 Depth 2
                                        ;       Child Loop BB180_26 Depth 3
                                        ;     Child Loop BB180_33 Depth 2
                                        ;       Child Loop BB180_34 Depth 3
	v_mov_b32_e32 v6, 0
	v_mov_b32_e32 v8, 0
	;; [unrolled: 1-line block ×6, first 2 shown]
	s_and_b32 vcc_lo, exec_lo, s7
	s_cbranch_vccnz .LBB180_22
; %bb.21:                               ;   in Loop: Header=BB180_20 Depth=1
	v_add_nc_u32_e32 v4, s25, v84
	v_mad_u64_u32 v[2:3], null, v4, s19, 0
	v_mad_u64_u32 v[3:4], null, v4, s21, v[3:4]
	v_lshlrev_b64 v[2:3], 3, v[2:3]
	v_add_co_u32 v2, vcc_lo, v95, v2
	v_add_co_ci_u32_e64 v3, null, v96, v3, vcc_lo
	s_clause 0x1
	global_load_dwordx2 v[4:5], v[2:3], off
	global_load_dwordx2 v[2:3], v[2:3], off offset:512
	s_waitcnt vmcnt(1)
	v_mul_f64 v[8:9], s[16:17], v[4:5]
	s_waitcnt vmcnt(0)
	v_mul_f64 v[10:11], s[16:17], v[2:3]
.LBB180_22:                             ;   in Loop: Header=BB180_20 Depth=1
	v_mov_b32_e32 v12, 0
	v_mov_b32_e32 v13, 0
	s_and_b32 vcc_lo, exec_lo, s7
	s_cbranch_vccnz .LBB180_24
; %bb.23:                               ;   in Loop: Header=BB180_20 Depth=1
	v_or_b32_e32 v74, s25, v85
	v_lshlrev_b64 v[2:3], 3, v[74:75]
	v_add_co_u32 v4, vcc_lo, s22, v2
	v_add_co_ci_u32_e64 v5, null, s23, v3, vcc_lo
	v_add_co_u32 v2, vcc_lo, v4, v70
	v_add_co_ci_u32_e64 v3, null, v5, v71, vcc_lo
	;; [unrolled: 2-line block ×3, first 2 shown]
	s_clause 0x1
	global_load_dwordx2 v[2:3], v[2:3], off
	global_load_dwordx2 v[4:5], v[4:5], off
	s_waitcnt vmcnt(1)
	v_mul_f64 v[6:7], s[16:17], v[2:3]
	s_waitcnt vmcnt(0)
	v_mul_f64 v[12:13], s[16:17], v[4:5]
.LBB180_24:                             ;   in Loop: Header=BB180_20 Depth=1
	s_mov_b32 s27, 0
.LBB180_25:                             ;   Parent Loop BB180_20 Depth=1
                                        ; =>  This Loop Header: Depth=2
                                        ;       Child Loop BB180_26 Depth 3
	s_lshl_b32 s28, s27, 3
	s_mov_b32 s29, 0
	v_add_nc_u32_e32 v14, s28, v91
	v_add_nc_u32_e32 v74, s28, v92
	s_mov_b32 s28, -1
	ds_read2_b64 v[2:5], v14 offset1:16
	ds_read2_b64 v[18:21], v14 offset0:32 offset1:48
	ds_read2_b64 v[22:25], v14 offset0:64 offset1:80
	v_add_nc_u32_e32 v15, 0x800, v14
	ds_read2_b64 v[26:29], v14 offset0:96 offset1:112
	ds_read2_b64 v[30:33], v14 offset0:128 offset1:144
	;; [unrolled: 1-line block ×5, first 2 shown]
	ds_read2_b64 v[46:49], v15 offset1:16
	ds_read2_b64 v[50:53], v15 offset0:32 offset1:48
	ds_read2_b64 v[54:57], v15 offset0:64 offset1:80
	ds_read2_b64 v[58:61], v15 offset0:96 offset1:112
	ds_read2_b64 v[62:65], v15 offset0:128 offset1:144
	ds_read2_b64 v[66:69], v15 offset0:160 offset1:176
	ds_read2_b64 v[76:79], v15 offset0:192 offset1:208
	ds_read2_b64 v[80:83], v15 offset0:224 offset1:240
	s_waitcnt lgkmcnt(11)
	v_max_f64 v[30:31], v[30:31], v[30:31]
	v_max_f64 v[32:33], v[32:33], v[32:33]
	s_waitcnt lgkmcnt(10)
	v_max_f64 v[34:35], v[34:35], v[34:35]
	v_max_f64 v[36:37], v[36:37], v[36:37]
	;; [unrolled: 3-line block ×3, first 2 shown]
	v_max_f64 v[14:15], v[2:3], v[2:3]
	v_max_f64 v[16:17], v[4:5], v[4:5]
	;; [unrolled: 1-line block ×8, first 2 shown]
	s_waitcnt lgkmcnt(8)
	v_max_f64 v[42:43], v[42:43], v[42:43]
	v_max_f64 v[44:45], v[44:45], v[44:45]
	s_waitcnt lgkmcnt(7)
	v_max_f64 v[46:47], v[46:47], v[46:47]
	v_max_f64 v[48:49], v[48:49], v[48:49]
	;; [unrolled: 3-line block ×9, first 2 shown]
	ds_read2st64_b64 v[2:5], v74 offset1:4
.LBB180_26:                             ;   Parent Loop BB180_20 Depth=1
                                        ;     Parent Loop BB180_25 Depth=2
                                        ; =>    This Inner Loop Header: Depth=3
	v_mov_b32_e32 v74, s29
	s_waitcnt lgkmcnt(0)
	v_max_f64 v[161:162], v[2:3], v[2:3]
	v_mov_b32_e32 v2, v4
	v_mov_b32_e32 v3, v5
	s_and_b32 vcc_lo, exec_lo, s28
	s_clause 0x3e
	buffer_load_dword v97, v74, s[0:3], 0 offen
	buffer_load_dword v98, v74, s[0:3], 0 offen offset:4
	buffer_load_dword v99, v74, s[0:3], 0 offen offset:8
	;; [unrolled: 1-line block ×63, first 2 shown]
	s_mov_b32 s28, 0
	s_mov_b32 s29, s18
	v_min_f64 v[163:164], v[14:15], v[161:162]
	v_min_f64 v[165:166], v[16:17], v[161:162]
	;; [unrolled: 1-line block ×32, first 2 shown]
	s_waitcnt vmcnt(62)
	v_add_f64 v[97:98], v[163:164], v[97:98]
	s_waitcnt vmcnt(60)
	v_add_f64 v[99:100], v[165:166], v[99:100]
	;; [unrolled: 2-line block ×32, first 2 shown]
	buffer_store_dword v97, v74, s[0:3], 0 offen
	buffer_store_dword v98, v74, s[0:3], 0 offen offset:4
	buffer_store_dword v99, v74, s[0:3], 0 offen offset:8
	;; [unrolled: 1-line block ×63, first 2 shown]
	s_cbranch_vccnz .LBB180_26
; %bb.27:                               ;   in Loop: Header=BB180_25 Depth=2
	s_add_i32 s27, s27, 1
	s_cmp_eq_u32 s27, 4
	s_cbranch_scc0 .LBB180_25
; %bb.28:                               ;   in Loop: Header=BB180_20 Depth=1
	v_mov_b32_e32 v78, 0
	v_mov_b32_e32 v76, 0
	;; [unrolled: 1-line block ×6, first 2 shown]
	s_and_b32 vcc_lo, exec_lo, s7
	ds_write2st64_b64 v87, v[8:9], v[10:11] offset1:4
	ds_write2st64_b64 v88, v[6:7], v[12:13] offset1:4
	s_waitcnt lgkmcnt(0)
	s_waitcnt_vscnt null, 0x0
	s_barrier
	buffer_gl0_inv
	s_cbranch_vccnz .LBB180_30
; %bb.29:                               ;   in Loop: Header=BB180_20 Depth=1
	v_add_nc_u32_e32 v4, s25, v86
	v_mad_u64_u32 v[2:3], null, v4, s19, 0
	v_mad_u64_u32 v[3:4], null, v4, s21, v[3:4]
	v_lshlrev_b64 v[2:3], 3, v[2:3]
	v_add_co_u32 v2, vcc_lo, v95, v2
	v_add_co_ci_u32_e64 v3, null, v96, v3, vcc_lo
	s_clause 0x1
	global_load_dwordx2 v[4:5], v[2:3], off
	global_load_dwordx2 v[2:3], v[2:3], off offset:512
	s_waitcnt vmcnt(1)
	v_mul_f64 v[76:77], s[16:17], v[4:5]
	s_waitcnt vmcnt(0)
	v_mul_f64 v[80:81], s[16:17], v[2:3]
.LBB180_30:                             ;   in Loop: Header=BB180_20 Depth=1
	v_mov_b32_e32 v82, 0
	v_mov_b32_e32 v83, 0
	s_and_b32 vcc_lo, exec_lo, s7
	s_cbranch_vccnz .LBB180_32
; %bb.31:                               ;   in Loop: Header=BB180_20 Depth=1
	v_or_b32_e32 v74, s25, v85
	v_lshlrev_b64 v[2:3], 3, v[74:75]
	v_add_co_u32 v4, vcc_lo, s22, v2
	v_add_co_ci_u32_e64 v5, null, s23, v3, vcc_lo
	v_add_co_u32 v2, vcc_lo, v4, v70
	v_add_co_ci_u32_e64 v3, null, v5, v71, vcc_lo
	;; [unrolled: 2-line block ×3, first 2 shown]
	s_clause 0x1
	global_load_dwordx2 v[2:3], v[2:3], off offset:32
	global_load_dwordx2 v[4:5], v[4:5], off offset:32
	s_waitcnt vmcnt(1)
	v_mul_f64 v[78:79], s[16:17], v[2:3]
	s_waitcnt vmcnt(0)
	v_mul_f64 v[82:83], s[16:17], v[4:5]
.LBB180_32:                             ;   in Loop: Header=BB180_20 Depth=1
	s_mov_b32 s27, 0
.LBB180_33:                             ;   Parent Loop BB180_20 Depth=1
                                        ; =>  This Loop Header: Depth=2
                                        ;       Child Loop BB180_34 Depth 3
	s_lshl_b32 s28, s27, 3
	s_mov_b32 s29, 0
	v_add_nc_u32_e32 v30, s28, v89
	v_add_nc_u32_e32 v66, s28, v90
	s_mov_b32 s28, -1
	ds_read2_b64 v[2:5], v30 offset1:16
	ds_read2_b64 v[6:9], v30 offset0:32 offset1:48
	ds_read2_b64 v[10:13], v30 offset0:64 offset1:80
	;; [unrolled: 1-line block ×3, first 2 shown]
	v_add_nc_u32_e32 v62, 0x800, v30
	ds_read2_b64 v[18:21], v30 offset0:128 offset1:144
	ds_read2_b64 v[22:25], v30 offset0:160 offset1:176
	;; [unrolled: 1-line block ×4, first 2 shown]
	ds_read2_b64 v[34:37], v62 offset1:16
	ds_read2_b64 v[38:41], v62 offset0:32 offset1:48
	ds_read2_b64 v[42:45], v62 offset0:64 offset1:80
	;; [unrolled: 1-line block ×7, first 2 shown]
	ds_read2st64_b64 v[66:69], v66 offset1:4
.LBB180_34:                             ;   Parent Loop BB180_20 Depth=1
                                        ;     Parent Loop BB180_33 Depth=2
                                        ; =>    This Inner Loop Header: Depth=3
	v_mov_b32_e32 v74, s29
	s_waitcnt lgkmcnt(16)
	v_max_f64 v[161:162], v[2:3], v[2:3]
	s_waitcnt lgkmcnt(0)
	v_max_f64 v[163:164], v[66:67], v[66:67]
	v_max_f64 v[165:166], v[4:5], v[4:5]
	;; [unrolled: 1-line block ×3, first 2 shown]
	s_clause 0x3e
	buffer_load_dword v97, v74, s[0:3], 0 offen
	buffer_load_dword v98, v74, s[0:3], 0 offen offset:4
	buffer_load_dword v99, v74, s[0:3], 0 offen offset:8
	;; [unrolled: 1-line block ×63, first 2 shown]
	v_max_f64 v[169:170], v[8:9], v[8:9]
	v_max_f64 v[171:172], v[10:11], v[10:11]
	;; [unrolled: 1-line block ×29, first 2 shown]
	v_min_f64 v[161:162], v[161:162], v[163:164]
	v_min_f64 v[165:166], v[165:166], v[163:164]
	;; [unrolled: 1-line block ×32, first 2 shown]
	v_mov_b32_e32 v66, v68
	v_mov_b32_e32 v67, v69
	s_and_b32 vcc_lo, exec_lo, s28
	s_mov_b32 s28, 0
	s_mov_b32 s29, s18
	s_waitcnt vmcnt(62)
	v_add_f64 v[97:98], v[161:162], v[97:98]
	s_waitcnt vmcnt(60)
	v_add_f64 v[99:100], v[165:166], v[99:100]
	;; [unrolled: 2-line block ×32, first 2 shown]
	buffer_store_dword v97, v74, s[0:3], 0 offen
	buffer_store_dword v98, v74, s[0:3], 0 offen offset:4
	buffer_store_dword v99, v74, s[0:3], 0 offen offset:8
	;; [unrolled: 1-line block ×63, first 2 shown]
	s_cbranch_vccnz .LBB180_34
; %bb.35:                               ;   in Loop: Header=BB180_33 Depth=2
	s_add_i32 s27, s27, 1
	s_cmp_eq_u32 s27, 4
	s_cbranch_scc0 .LBB180_33
; %bb.36:                               ;   in Loop: Header=BB180_20 Depth=1
	s_add_i32 s26, s26, 8
	s_add_i32 s25, s25, 8
	s_cmp_ge_i32 s26, s24
	ds_write2st64_b64 v93, v[76:77], v[80:81] offset1:4
	ds_write2st64_b64 v94, v[78:79], v[82:83] offset1:4
	s_waitcnt lgkmcnt(0)
	s_waitcnt_vscnt null, 0x0
	s_barrier
	buffer_gl0_inv
	s_cbranch_scc0 .LBB180_20
.LBB180_37:
	s_mov_b32 s7, 0
.LBB180_38:                             ; =>This Loop Header: Depth=1
                                        ;     Child Loop BB180_39 Depth 2
	s_lshl_b32 s16, s7, 3
	s_mov_b32 s17, 0
	v_add_nc_u32_e32 v6, s16, v91
	v_add_nc_u32_e32 v70, s16, v92
	s_mov_b32 s16, -1
	ds_read2_b64 v[2:5], v6 offset1:16
	ds_read2_b64 v[10:13], v6 offset0:32 offset1:48
	ds_read2_b64 v[14:17], v6 offset0:64 offset1:80
	v_add_nc_u32_e32 v7, 0x800, v6
	ds_read2_b64 v[18:21], v6 offset0:96 offset1:112
	ds_read2_b64 v[22:25], v6 offset0:128 offset1:144
	;; [unrolled: 1-line block ×5, first 2 shown]
	ds_read2_b64 v[38:41], v7 offset1:16
	ds_read2_b64 v[42:45], v7 offset0:32 offset1:48
	ds_read2_b64 v[46:49], v7 offset0:64 offset1:80
	;; [unrolled: 1-line block ×7, first 2 shown]
	s_waitcnt lgkmcnt(11)
	v_max_f64 v[22:23], v[22:23], v[22:23]
	v_max_f64 v[24:25], v[24:25], v[24:25]
	s_waitcnt lgkmcnt(10)
	v_max_f64 v[26:27], v[26:27], v[26:27]
	v_max_f64 v[28:29], v[28:29], v[28:29]
	;; [unrolled: 3-line block ×3, first 2 shown]
	v_max_f64 v[6:7], v[2:3], v[2:3]
	v_max_f64 v[8:9], v[4:5], v[4:5]
	;; [unrolled: 1-line block ×8, first 2 shown]
	s_waitcnt lgkmcnt(8)
	v_max_f64 v[34:35], v[34:35], v[34:35]
	v_max_f64 v[36:37], v[36:37], v[36:37]
	s_waitcnt lgkmcnt(7)
	v_max_f64 v[38:39], v[38:39], v[38:39]
	v_max_f64 v[40:41], v[40:41], v[40:41]
	s_waitcnt lgkmcnt(6)
	v_max_f64 v[42:43], v[42:43], v[42:43]
	v_max_f64 v[44:45], v[44:45], v[44:45]
	s_waitcnt lgkmcnt(5)
	v_max_f64 v[46:47], v[46:47], v[46:47]
	v_max_f64 v[48:49], v[48:49], v[48:49]
	s_waitcnt lgkmcnt(4)
	v_max_f64 v[50:51], v[50:51], v[50:51]
	v_max_f64 v[52:53], v[52:53], v[52:53]
	s_waitcnt lgkmcnt(3)
	v_max_f64 v[54:55], v[54:55], v[54:55]
	v_max_f64 v[56:57], v[56:57], v[56:57]
	s_waitcnt lgkmcnt(2)
	v_max_f64 v[58:59], v[58:59], v[58:59]
	v_max_f64 v[60:61], v[60:61], v[60:61]
	s_waitcnt lgkmcnt(1)
	v_max_f64 v[62:63], v[62:63], v[62:63]
	v_max_f64 v[64:65], v[64:65], v[64:65]
	s_waitcnt lgkmcnt(0)
	v_max_f64 v[66:67], v[66:67], v[66:67]
	v_max_f64 v[68:69], v[68:69], v[68:69]
	ds_read2st64_b64 v[2:5], v70 offset1:4
.LBB180_39:                             ;   Parent Loop BB180_38 Depth=1
                                        ; =>  This Inner Loop Header: Depth=2
	v_mov_b32_e32 v90, s17
	s_waitcnt lgkmcnt(0)
	v_max_f64 v[137:138], v[2:3], v[2:3]
	v_mov_b32_e32 v2, v4
	v_mov_b32_e32 v3, v5
	s_and_b32 vcc_lo, exec_lo, s16
	s_clause 0x3e
	buffer_load_dword v70, v90, s[0:3], 0 offen
	buffer_load_dword v71, v90, s[0:3], 0 offen offset:4
	buffer_load_dword v72, v90, s[0:3], 0 offen offset:8
	;; [unrolled: 1-line block ×63, first 2 shown]
	s_mov_b32 s16, 0
	s_mov_b32 s17, s18
	v_min_f64 v[139:140], v[6:7], v[137:138]
	v_min_f64 v[141:142], v[8:9], v[137:138]
	;; [unrolled: 1-line block ×32, first 2 shown]
	s_waitcnt vmcnt(62)
	v_add_f64 v[70:71], v[139:140], v[70:71]
	s_waitcnt vmcnt(60)
	v_add_f64 v[72:73], v[141:142], v[72:73]
	;; [unrolled: 2-line block ×32, first 2 shown]
	buffer_store_dword v70, v90, s[0:3], 0 offen
	buffer_store_dword v71, v90, s[0:3], 0 offen offset:4
	buffer_store_dword v72, v90, s[0:3], 0 offen offset:8
	;; [unrolled: 1-line block ×63, first 2 shown]
	s_cbranch_vccnz .LBB180_39
; %bb.40:                               ;   in Loop: Header=BB180_38 Depth=1
	s_add_i32 s7, s7, 1
	s_cmp_eq_u32 s7, 4
	s_cbranch_scc0 .LBB180_38
; %bb.41:
	s_clause 0x1
	buffer_load_dword v2, off, s[0:3], 0
	buffer_load_dword v3, off, s[0:3], 0 offset:4
	s_load_dword s7, s[4:5], 0x58
	v_add_nc_u32_e32 v71, s8, v1
	v_add_nc_u32_e32 v12, s6, v0
	v_cndmask_b32_e64 v0, 0, 1, s9
	v_mov_b32_e32 v8, 0
	v_mov_b32_e32 v9, 0
	v_ashrrev_i32_e32 v13, 31, v12
	v_cmp_ne_u32_e64 s6, 1, v0
	v_lshlrev_b64 v[0:1], 3, v[12:13]
	s_waitcnt lgkmcnt(0)
	v_mad_i64_i32 v[4:5], null, v71, s7, 0
	v_lshlrev_b64 v[6:7], 3, v[4:5]
	v_mov_b32_e32 v4, 0
	v_mov_b32_e32 v5, 0
	v_add_co_u32 v72, vcc_lo, s12, v6
	v_add_co_ci_u32_e64 v73, null, s13, v7, vcc_lo
	s_andn2_b32 vcc_lo, exec_lo, s9
	s_cbranch_vccnz .LBB180_43
; %bb.42:
	v_add_co_u32 v6, vcc_lo, v72, v0
	v_add_co_ci_u32_e64 v7, null, v73, v1, vcc_lo
	global_load_dwordx2 v[6:7], v[6:7], off
	s_waitcnt vmcnt(0)
	v_mul_f64 v[8:9], s[14:15], v[6:7]
.LBB180_43:
	s_clause 0x1
	buffer_load_dword v6, off, s[0:3], 0 offset:8
	buffer_load_dword v7, off, s[0:3], 0 offset:12
	s_clause 0x1
	s_load_dwordx2 s[8:9], s[4:5], 0x78
	s_load_dword s4, s[4:5], 0x70
	s_waitcnt vmcnt(2)
	v_add_f64 v[8:9], v[2:3], v[8:9]
	s_waitcnt lgkmcnt(0)
	s_mul_i32 s5, s9, s20
	v_mad_i64_i32 v[10:11], null, v71, s4, 0
	s_mul_hi_u32 s9, s8, s20
	s_mul_i32 s8, s8, s20
	s_add_i32 s9, s9, s5
	s_lshl_b64 s[8:9], s[8:9], 3
	v_lshlrev_b64 v[2:3], 3, v[10:11]
	v_add_nc_u32_e32 v10, 4, v12
	s_add_u32 s5, s10, s8
	s_addc_u32 s8, s11, s9
	v_ashrrev_i32_e32 v11, 31, v10
	v_add_co_u32 v74, vcc_lo, s5, v2
	v_add_co_ci_u32_e64 v75, null, s8, v3, vcc_lo
	v_lshlrev_b64 v[2:3], 3, v[10:11]
	v_add_co_u32 v13, vcc_lo, v74, v0
	v_add_co_ci_u32_e64 v14, null, v75, v1, vcc_lo
	s_and_b32 vcc_lo, exec_lo, s6
	global_store_dwordx2 v[13:14], v[8:9], off
	s_cbranch_vccnz .LBB180_45
; %bb.44:
	v_add_co_u32 v4, vcc_lo, v72, v2
	v_add_co_ci_u32_e64 v5, null, v73, v3, vcc_lo
	global_load_dwordx2 v[4:5], v[4:5], off
	s_waitcnt vmcnt(0)
	v_mul_f64 v[4:5], s[14:15], v[4:5]
.LBB180_45:
	s_clause 0x1
	buffer_load_dword v10, off, s[0:3], 0 offset:16
	buffer_load_dword v11, off, s[0:3], 0 offset:20
	s_waitcnt vmcnt(2)
	v_add_f64 v[13:14], v[6:7], v[4:5]
	v_add_nc_u32_e32 v4, 8, v12
	v_add_co_u32 v15, vcc_lo, v74, v2
	v_mov_b32_e32 v8, 0
	v_mov_b32_e32 v6, 0
	v_ashrrev_i32_e32 v5, 31, v4
	v_add_co_ci_u32_e64 v16, null, v75, v3, vcc_lo
	v_mov_b32_e32 v9, 0
	v_mov_b32_e32 v7, 0
	v_lshlrev_b64 v[4:5], 3, v[4:5]
	s_and_b32 vcc_lo, exec_lo, s6
	global_store_dwordx2 v[15:16], v[13:14], off
	s_cbranch_vccnz .LBB180_47
; %bb.46:
	v_add_co_u32 v6, vcc_lo, v72, v4
	v_add_co_ci_u32_e64 v7, null, v73, v5, vcc_lo
	global_load_dwordx2 v[6:7], v[6:7], off
	s_waitcnt vmcnt(0)
	v_mul_f64 v[6:7], s[14:15], v[6:7]
.LBB180_47:
	s_clause 0x1
	buffer_load_dword v13, off, s[0:3], 0 offset:24
	buffer_load_dword v14, off, s[0:3], 0 offset:28
	s_waitcnt vmcnt(2)
	v_add_f64 v[10:11], v[10:11], v[6:7]
	v_add_nc_u32_e32 v6, 12, v12
	v_add_co_u32 v15, vcc_lo, v74, v4
	v_add_co_ci_u32_e64 v16, null, v75, v5, vcc_lo
	v_ashrrev_i32_e32 v7, 31, v6
	s_and_b32 vcc_lo, exec_lo, s6
	v_lshlrev_b64 v[6:7], 3, v[6:7]
	global_store_dwordx2 v[15:16], v[10:11], off
	s_cbranch_vccnz .LBB180_49
; %bb.48:
	v_add_co_u32 v8, vcc_lo, v72, v6
	v_add_co_ci_u32_e64 v9, null, v73, v7, vcc_lo
	global_load_dwordx2 v[8:9], v[8:9], off
	s_waitcnt vmcnt(0)
	v_mul_f64 v[8:9], s[14:15], v[8:9]
.LBB180_49:
	s_clause 0x1
	buffer_load_dword v10, off, s[0:3], 0 offset:32
	buffer_load_dword v11, off, s[0:3], 0 offset:36
	s_waitcnt vmcnt(2)
	v_add_f64 v[17:18], v[13:14], v[8:9]
	v_add_nc_u32_e32 v8, 16, v12
	v_add_co_u32 v19, vcc_lo, v74, v6
	v_mov_b32_e32 v13, 0
	v_mov_b32_e32 v15, 0
	v_ashrrev_i32_e32 v9, 31, v8
	v_add_co_ci_u32_e64 v20, null, v75, v7, vcc_lo
	v_mov_b32_e32 v14, 0
	v_mov_b32_e32 v16, 0
	v_lshlrev_b64 v[8:9], 3, v[8:9]
	s_and_b32 vcc_lo, exec_lo, s6
	global_store_dwordx2 v[19:20], v[17:18], off
	s_cbranch_vccnz .LBB180_51
; %bb.50:
	v_add_co_u32 v15, vcc_lo, v72, v8
	v_add_co_ci_u32_e64 v16, null, v73, v9, vcc_lo
	global_load_dwordx2 v[15:16], v[15:16], off
	s_waitcnt vmcnt(0)
	v_mul_f64 v[15:16], s[14:15], v[15:16]
.LBB180_51:
	s_clause 0x1
	buffer_load_dword v17, off, s[0:3], 0 offset:40
	buffer_load_dword v18, off, s[0:3], 0 offset:44
	s_waitcnt vmcnt(2)
	v_add_f64 v[15:16], v[10:11], v[15:16]
	v_add_nc_u32_e32 v10, 20, v12
	v_add_co_u32 v19, vcc_lo, v74, v8
	v_add_co_ci_u32_e64 v20, null, v75, v9, vcc_lo
	v_ashrrev_i32_e32 v11, 31, v10
	s_and_b32 vcc_lo, exec_lo, s6
	v_lshlrev_b64 v[10:11], 3, v[10:11]
	global_store_dwordx2 v[19:20], v[15:16], off
	s_cbranch_vccnz .LBB180_53
; %bb.52:
	v_add_co_u32 v13, vcc_lo, v72, v10
	v_add_co_ci_u32_e64 v14, null, v73, v11, vcc_lo
	global_load_dwordx2 v[13:14], v[13:14], off
	s_waitcnt vmcnt(0)
	v_mul_f64 v[13:14], s[14:15], v[13:14]
.LBB180_53:
	s_clause 0x1
	buffer_load_dword v15, off, s[0:3], 0 offset:48
	buffer_load_dword v16, off, s[0:3], 0 offset:52
	s_waitcnt vmcnt(2)
	v_add_f64 v[21:22], v[17:18], v[13:14]
	v_add_nc_u32_e32 v13, 24, v12
	v_add_co_u32 v23, vcc_lo, v74, v10
	v_mov_b32_e32 v17, 0
	v_mov_b32_e32 v19, 0
	v_ashrrev_i32_e32 v14, 31, v13
	v_add_co_ci_u32_e64 v24, null, v75, v11, vcc_lo
	v_mov_b32_e32 v18, 0
	v_mov_b32_e32 v20, 0
	v_lshlrev_b64 v[13:14], 3, v[13:14]
	s_and_b32 vcc_lo, exec_lo, s6
	global_store_dwordx2 v[23:24], v[21:22], off
	s_cbranch_vccnz .LBB180_55
; %bb.54:
	v_add_co_u32 v19, vcc_lo, v72, v13
	v_add_co_ci_u32_e64 v20, null, v73, v14, vcc_lo
	global_load_dwordx2 v[19:20], v[19:20], off
	s_waitcnt vmcnt(0)
	v_mul_f64 v[19:20], s[14:15], v[19:20]
.LBB180_55:
	s_clause 0x1
	buffer_load_dword v21, off, s[0:3], 0 offset:56
	buffer_load_dword v22, off, s[0:3], 0 offset:60
	s_waitcnt vmcnt(2)
	v_add_f64 v[19:20], v[15:16], v[19:20]
	v_add_nc_u32_e32 v15, 28, v12
	v_add_co_u32 v23, vcc_lo, v74, v13
	v_add_co_ci_u32_e64 v24, null, v75, v14, vcc_lo
	v_ashrrev_i32_e32 v16, 31, v15
	s_and_b32 vcc_lo, exec_lo, s6
	v_lshlrev_b64 v[15:16], 3, v[15:16]
	global_store_dwordx2 v[23:24], v[19:20], off
	s_cbranch_vccnz .LBB180_57
; %bb.56:
	v_add_co_u32 v17, vcc_lo, v72, v15
	v_add_co_ci_u32_e64 v18, null, v73, v16, vcc_lo
	global_load_dwordx2 v[17:18], v[17:18], off
	s_waitcnt vmcnt(0)
	v_mul_f64 v[17:18], s[14:15], v[17:18]
.LBB180_57:
	s_clause 0x1
	buffer_load_dword v19, off, s[0:3], 0 offset:64
	buffer_load_dword v20, off, s[0:3], 0 offset:68
	s_waitcnt vmcnt(2)
	v_add_f64 v[25:26], v[21:22], v[17:18]
	v_add_nc_u32_e32 v17, 32, v12
	v_add_co_u32 v27, vcc_lo, v74, v15
	v_mov_b32_e32 v21, 0
	v_mov_b32_e32 v23, 0
	v_ashrrev_i32_e32 v18, 31, v17
	v_add_co_ci_u32_e64 v28, null, v75, v16, vcc_lo
	v_mov_b32_e32 v22, 0
	v_mov_b32_e32 v24, 0
	v_lshlrev_b64 v[17:18], 3, v[17:18]
	s_and_b32 vcc_lo, exec_lo, s6
	global_store_dwordx2 v[27:28], v[25:26], off
	s_cbranch_vccnz .LBB180_59
; %bb.58:
	v_add_co_u32 v23, vcc_lo, v72, v17
	v_add_co_ci_u32_e64 v24, null, v73, v18, vcc_lo
	global_load_dwordx2 v[23:24], v[23:24], off
	s_waitcnt vmcnt(0)
	v_mul_f64 v[23:24], s[14:15], v[23:24]
.LBB180_59:
	s_clause 0x1
	buffer_load_dword v25, off, s[0:3], 0 offset:72
	buffer_load_dword v26, off, s[0:3], 0 offset:76
	s_waitcnt vmcnt(2)
	v_add_f64 v[23:24], v[19:20], v[23:24]
	v_add_nc_u32_e32 v19, 36, v12
	v_add_co_u32 v27, vcc_lo, v74, v17
	v_add_co_ci_u32_e64 v28, null, v75, v18, vcc_lo
	v_ashrrev_i32_e32 v20, 31, v19
	s_and_b32 vcc_lo, exec_lo, s6
	v_lshlrev_b64 v[19:20], 3, v[19:20]
	global_store_dwordx2 v[27:28], v[23:24], off
	s_cbranch_vccnz .LBB180_61
; %bb.60:
	v_add_co_u32 v21, vcc_lo, v72, v19
	v_add_co_ci_u32_e64 v22, null, v73, v20, vcc_lo
	global_load_dwordx2 v[21:22], v[21:22], off
	s_waitcnt vmcnt(0)
	v_mul_f64 v[21:22], s[14:15], v[21:22]
.LBB180_61:
	s_clause 0x1
	buffer_load_dword v23, off, s[0:3], 0 offset:80
	buffer_load_dword v24, off, s[0:3], 0 offset:84
	s_waitcnt vmcnt(2)
	v_add_f64 v[29:30], v[25:26], v[21:22]
	v_add_nc_u32_e32 v21, 40, v12
	v_add_co_u32 v31, vcc_lo, v74, v19
	v_mov_b32_e32 v25, 0
	v_mov_b32_e32 v27, 0
	v_ashrrev_i32_e32 v22, 31, v21
	v_add_co_ci_u32_e64 v32, null, v75, v20, vcc_lo
	v_mov_b32_e32 v26, 0
	v_mov_b32_e32 v28, 0
	v_lshlrev_b64 v[21:22], 3, v[21:22]
	s_and_b32 vcc_lo, exec_lo, s6
	global_store_dwordx2 v[31:32], v[29:30], off
	s_cbranch_vccnz .LBB180_63
; %bb.62:
	v_add_co_u32 v27, vcc_lo, v72, v21
	v_add_co_ci_u32_e64 v28, null, v73, v22, vcc_lo
	global_load_dwordx2 v[27:28], v[27:28], off
	s_waitcnt vmcnt(0)
	v_mul_f64 v[27:28], s[14:15], v[27:28]
.LBB180_63:
	s_clause 0x1
	buffer_load_dword v29, off, s[0:3], 0 offset:88
	buffer_load_dword v30, off, s[0:3], 0 offset:92
	s_waitcnt vmcnt(2)
	v_add_f64 v[27:28], v[23:24], v[27:28]
	v_add_nc_u32_e32 v23, 44, v12
	v_add_co_u32 v31, vcc_lo, v74, v21
	v_add_co_ci_u32_e64 v32, null, v75, v22, vcc_lo
	v_ashrrev_i32_e32 v24, 31, v23
	s_and_b32 vcc_lo, exec_lo, s6
	v_lshlrev_b64 v[23:24], 3, v[23:24]
	global_store_dwordx2 v[31:32], v[27:28], off
	s_cbranch_vccnz .LBB180_65
; %bb.64:
	v_add_co_u32 v25, vcc_lo, v72, v23
	v_add_co_ci_u32_e64 v26, null, v73, v24, vcc_lo
	global_load_dwordx2 v[25:26], v[25:26], off
	s_waitcnt vmcnt(0)
	v_mul_f64 v[25:26], s[14:15], v[25:26]
.LBB180_65:
	s_clause 0x1
	buffer_load_dword v27, off, s[0:3], 0 offset:96
	buffer_load_dword v28, off, s[0:3], 0 offset:100
	s_waitcnt vmcnt(2)
	v_add_f64 v[33:34], v[29:30], v[25:26]
	v_add_nc_u32_e32 v25, 48, v12
	v_add_co_u32 v35, vcc_lo, v74, v23
	v_mov_b32_e32 v29, 0
	v_mov_b32_e32 v31, 0
	v_ashrrev_i32_e32 v26, 31, v25
	v_add_co_ci_u32_e64 v36, null, v75, v24, vcc_lo
	v_mov_b32_e32 v30, 0
	v_mov_b32_e32 v32, 0
	v_lshlrev_b64 v[25:26], 3, v[25:26]
	s_and_b32 vcc_lo, exec_lo, s6
	global_store_dwordx2 v[35:36], v[33:34], off
	s_cbranch_vccnz .LBB180_67
; %bb.66:
	v_add_co_u32 v31, vcc_lo, v72, v25
	v_add_co_ci_u32_e64 v32, null, v73, v26, vcc_lo
	global_load_dwordx2 v[31:32], v[31:32], off
	s_waitcnt vmcnt(0)
	v_mul_f64 v[31:32], s[14:15], v[31:32]
.LBB180_67:
	s_clause 0x1
	buffer_load_dword v33, off, s[0:3], 0 offset:104
	buffer_load_dword v34, off, s[0:3], 0 offset:108
	s_waitcnt vmcnt(2)
	v_add_f64 v[31:32], v[27:28], v[31:32]
	v_add_nc_u32_e32 v27, 52, v12
	v_add_co_u32 v35, vcc_lo, v74, v25
	v_add_co_ci_u32_e64 v36, null, v75, v26, vcc_lo
	v_ashrrev_i32_e32 v28, 31, v27
	s_and_b32 vcc_lo, exec_lo, s6
	v_lshlrev_b64 v[27:28], 3, v[27:28]
	global_store_dwordx2 v[35:36], v[31:32], off
	s_cbranch_vccnz .LBB180_69
; %bb.68:
	v_add_co_u32 v29, vcc_lo, v72, v27
	v_add_co_ci_u32_e64 v30, null, v73, v28, vcc_lo
	global_load_dwordx2 v[29:30], v[29:30], off
	s_waitcnt vmcnt(0)
	v_mul_f64 v[29:30], s[14:15], v[29:30]
.LBB180_69:
	s_clause 0x1
	buffer_load_dword v31, off, s[0:3], 0 offset:112
	buffer_load_dword v32, off, s[0:3], 0 offset:116
	s_waitcnt vmcnt(2)
	v_add_f64 v[37:38], v[33:34], v[29:30]
	v_add_nc_u32_e32 v29, 56, v12
	v_add_co_u32 v39, vcc_lo, v74, v27
	v_mov_b32_e32 v33, 0
	v_mov_b32_e32 v35, 0
	v_ashrrev_i32_e32 v30, 31, v29
	v_add_co_ci_u32_e64 v40, null, v75, v28, vcc_lo
	v_mov_b32_e32 v34, 0
	v_mov_b32_e32 v36, 0
	v_lshlrev_b64 v[29:30], 3, v[29:30]
	s_and_b32 vcc_lo, exec_lo, s6
	global_store_dwordx2 v[39:40], v[37:38], off
	s_cbranch_vccnz .LBB180_71
; %bb.70:
	v_add_co_u32 v35, vcc_lo, v72, v29
	v_add_co_ci_u32_e64 v36, null, v73, v30, vcc_lo
	global_load_dwordx2 v[35:36], v[35:36], off
	s_waitcnt vmcnt(0)
	v_mul_f64 v[35:36], s[14:15], v[35:36]
.LBB180_71:
	s_clause 0x1
	buffer_load_dword v37, off, s[0:3], 0 offset:120
	buffer_load_dword v38, off, s[0:3], 0 offset:124
	s_waitcnt vmcnt(2)
	v_add_f64 v[35:36], v[31:32], v[35:36]
	v_add_nc_u32_e32 v31, 60, v12
	v_add_co_u32 v39, vcc_lo, v74, v29
	v_add_co_ci_u32_e64 v40, null, v75, v30, vcc_lo
	v_ashrrev_i32_e32 v32, 31, v31
	s_and_b32 vcc_lo, exec_lo, s6
	v_lshlrev_b64 v[31:32], 3, v[31:32]
	global_store_dwordx2 v[39:40], v[35:36], off
	s_cbranch_vccnz .LBB180_73
; %bb.72:
	v_add_co_u32 v33, vcc_lo, v72, v31
	v_add_co_ci_u32_e64 v34, null, v73, v32, vcc_lo
	global_load_dwordx2 v[33:34], v[33:34], off
	s_waitcnt vmcnt(0)
	v_mul_f64 v[33:34], s[14:15], v[33:34]
.LBB180_73:
	s_clause 0x1
	buffer_load_dword v35, off, s[0:3], 0 offset:128
	buffer_load_dword v36, off, s[0:3], 0 offset:132
	s_waitcnt vmcnt(2)
	v_add_f64 v[41:42], v[37:38], v[33:34]
	v_add_nc_u32_e32 v33, 64, v12
	v_add_co_u32 v43, vcc_lo, v74, v31
	v_mov_b32_e32 v37, 0
	v_mov_b32_e32 v39, 0
	v_ashrrev_i32_e32 v34, 31, v33
	v_add_co_ci_u32_e64 v44, null, v75, v32, vcc_lo
	v_mov_b32_e32 v38, 0
	v_mov_b32_e32 v40, 0
	v_lshlrev_b64 v[33:34], 3, v[33:34]
	s_and_b32 vcc_lo, exec_lo, s6
	global_store_dwordx2 v[43:44], v[41:42], off
	s_cbranch_vccnz .LBB180_75
; %bb.74:
	v_add_co_u32 v39, vcc_lo, v72, v33
	v_add_co_ci_u32_e64 v40, null, v73, v34, vcc_lo
	global_load_dwordx2 v[39:40], v[39:40], off
	s_waitcnt vmcnt(0)
	v_mul_f64 v[39:40], s[14:15], v[39:40]
.LBB180_75:
	s_clause 0x1
	buffer_load_dword v41, off, s[0:3], 0 offset:136
	buffer_load_dword v42, off, s[0:3], 0 offset:140
	s_waitcnt vmcnt(2)
	v_add_f64 v[39:40], v[35:36], v[39:40]
	v_add_nc_u32_e32 v35, 0x44, v12
	v_add_co_u32 v43, vcc_lo, v74, v33
	v_add_co_ci_u32_e64 v44, null, v75, v34, vcc_lo
	v_ashrrev_i32_e32 v36, 31, v35
	s_and_b32 vcc_lo, exec_lo, s6
	v_lshlrev_b64 v[35:36], 3, v[35:36]
	global_store_dwordx2 v[43:44], v[39:40], off
	s_cbranch_vccnz .LBB180_77
; %bb.76:
	v_add_co_u32 v37, vcc_lo, v72, v35
	v_add_co_ci_u32_e64 v38, null, v73, v36, vcc_lo
	global_load_dwordx2 v[37:38], v[37:38], off
	s_waitcnt vmcnt(0)
	v_mul_f64 v[37:38], s[14:15], v[37:38]
.LBB180_77:
	s_clause 0x1
	buffer_load_dword v39, off, s[0:3], 0 offset:144
	buffer_load_dword v40, off, s[0:3], 0 offset:148
	s_waitcnt vmcnt(2)
	v_add_f64 v[45:46], v[41:42], v[37:38]
	v_add_nc_u32_e32 v37, 0x48, v12
	v_add_co_u32 v47, vcc_lo, v74, v35
	v_mov_b32_e32 v41, 0
	v_mov_b32_e32 v43, 0
	v_ashrrev_i32_e32 v38, 31, v37
	v_add_co_ci_u32_e64 v48, null, v75, v36, vcc_lo
	v_mov_b32_e32 v42, 0
	v_mov_b32_e32 v44, 0
	v_lshlrev_b64 v[37:38], 3, v[37:38]
	s_and_b32 vcc_lo, exec_lo, s6
	global_store_dwordx2 v[47:48], v[45:46], off
	s_cbranch_vccnz .LBB180_79
; %bb.78:
	v_add_co_u32 v43, vcc_lo, v72, v37
	v_add_co_ci_u32_e64 v44, null, v73, v38, vcc_lo
	global_load_dwordx2 v[43:44], v[43:44], off
	s_waitcnt vmcnt(0)
	v_mul_f64 v[43:44], s[14:15], v[43:44]
.LBB180_79:
	s_clause 0x1
	buffer_load_dword v45, off, s[0:3], 0 offset:152
	buffer_load_dword v46, off, s[0:3], 0 offset:156
	s_waitcnt vmcnt(2)
	v_add_f64 v[43:44], v[39:40], v[43:44]
	v_add_nc_u32_e32 v39, 0x4c, v12
	v_add_co_u32 v47, vcc_lo, v74, v37
	v_add_co_ci_u32_e64 v48, null, v75, v38, vcc_lo
	v_ashrrev_i32_e32 v40, 31, v39
	s_and_b32 vcc_lo, exec_lo, s6
	v_lshlrev_b64 v[39:40], 3, v[39:40]
	global_store_dwordx2 v[47:48], v[43:44], off
	s_cbranch_vccnz .LBB180_81
; %bb.80:
	v_add_co_u32 v41, vcc_lo, v72, v39
	v_add_co_ci_u32_e64 v42, null, v73, v40, vcc_lo
	global_load_dwordx2 v[41:42], v[41:42], off
	s_waitcnt vmcnt(0)
	v_mul_f64 v[41:42], s[14:15], v[41:42]
.LBB180_81:
	s_clause 0x1
	buffer_load_dword v43, off, s[0:3], 0 offset:160
	buffer_load_dword v44, off, s[0:3], 0 offset:164
	s_waitcnt vmcnt(2)
	v_add_f64 v[49:50], v[45:46], v[41:42]
	v_add_nc_u32_e32 v41, 0x50, v12
	v_add_co_u32 v51, vcc_lo, v74, v39
	v_mov_b32_e32 v45, 0
	v_mov_b32_e32 v47, 0
	v_ashrrev_i32_e32 v42, 31, v41
	v_add_co_ci_u32_e64 v52, null, v75, v40, vcc_lo
	v_mov_b32_e32 v46, 0
	v_mov_b32_e32 v48, 0
	v_lshlrev_b64 v[41:42], 3, v[41:42]
	s_and_b32 vcc_lo, exec_lo, s6
	global_store_dwordx2 v[51:52], v[49:50], off
	s_cbranch_vccnz .LBB180_83
; %bb.82:
	v_add_co_u32 v47, vcc_lo, v72, v41
	v_add_co_ci_u32_e64 v48, null, v73, v42, vcc_lo
	global_load_dwordx2 v[47:48], v[47:48], off
	s_waitcnt vmcnt(0)
	v_mul_f64 v[47:48], s[14:15], v[47:48]
.LBB180_83:
	s_clause 0x1
	buffer_load_dword v49, off, s[0:3], 0 offset:168
	buffer_load_dword v50, off, s[0:3], 0 offset:172
	s_waitcnt vmcnt(2)
	v_add_f64 v[47:48], v[43:44], v[47:48]
	v_add_nc_u32_e32 v43, 0x54, v12
	v_add_co_u32 v51, vcc_lo, v74, v41
	v_add_co_ci_u32_e64 v52, null, v75, v42, vcc_lo
	v_ashrrev_i32_e32 v44, 31, v43
	s_and_b32 vcc_lo, exec_lo, s6
	v_lshlrev_b64 v[43:44], 3, v[43:44]
	global_store_dwordx2 v[51:52], v[47:48], off
	s_cbranch_vccnz .LBB180_85
; %bb.84:
	v_add_co_u32 v45, vcc_lo, v72, v43
	v_add_co_ci_u32_e64 v46, null, v73, v44, vcc_lo
	global_load_dwordx2 v[45:46], v[45:46], off
	s_waitcnt vmcnt(0)
	v_mul_f64 v[45:46], s[14:15], v[45:46]
.LBB180_85:
	s_clause 0x1
	buffer_load_dword v47, off, s[0:3], 0 offset:176
	buffer_load_dword v48, off, s[0:3], 0 offset:180
	s_waitcnt vmcnt(2)
	v_add_f64 v[53:54], v[49:50], v[45:46]
	v_add_nc_u32_e32 v45, 0x58, v12
	v_add_co_u32 v55, vcc_lo, v74, v43
	v_mov_b32_e32 v49, 0
	v_mov_b32_e32 v51, 0
	v_ashrrev_i32_e32 v46, 31, v45
	v_add_co_ci_u32_e64 v56, null, v75, v44, vcc_lo
	v_mov_b32_e32 v50, 0
	v_mov_b32_e32 v52, 0
	v_lshlrev_b64 v[45:46], 3, v[45:46]
	s_and_b32 vcc_lo, exec_lo, s6
	global_store_dwordx2 v[55:56], v[53:54], off
	s_cbranch_vccnz .LBB180_87
; %bb.86:
	v_add_co_u32 v51, vcc_lo, v72, v45
	v_add_co_ci_u32_e64 v52, null, v73, v46, vcc_lo
	global_load_dwordx2 v[51:52], v[51:52], off
	s_waitcnt vmcnt(0)
	v_mul_f64 v[51:52], s[14:15], v[51:52]
.LBB180_87:
	s_clause 0x1
	buffer_load_dword v53, off, s[0:3], 0 offset:184
	buffer_load_dword v54, off, s[0:3], 0 offset:188
	s_waitcnt vmcnt(2)
	v_add_f64 v[51:52], v[47:48], v[51:52]
	v_add_nc_u32_e32 v47, 0x5c, v12
	v_add_co_u32 v55, vcc_lo, v74, v45
	v_add_co_ci_u32_e64 v56, null, v75, v46, vcc_lo
	v_ashrrev_i32_e32 v48, 31, v47
	s_and_b32 vcc_lo, exec_lo, s6
	v_lshlrev_b64 v[47:48], 3, v[47:48]
	global_store_dwordx2 v[55:56], v[51:52], off
	s_cbranch_vccnz .LBB180_89
; %bb.88:
	v_add_co_u32 v49, vcc_lo, v72, v47
	v_add_co_ci_u32_e64 v50, null, v73, v48, vcc_lo
	global_load_dwordx2 v[49:50], v[49:50], off
	s_waitcnt vmcnt(0)
	v_mul_f64 v[49:50], s[14:15], v[49:50]
.LBB180_89:
	s_clause 0x1
	buffer_load_dword v51, off, s[0:3], 0 offset:192
	buffer_load_dword v52, off, s[0:3], 0 offset:196
	s_waitcnt vmcnt(2)
	v_add_f64 v[57:58], v[53:54], v[49:50]
	v_add_nc_u32_e32 v49, 0x60, v12
	v_add_co_u32 v59, vcc_lo, v74, v47
	v_mov_b32_e32 v53, 0
	v_mov_b32_e32 v55, 0
	v_ashrrev_i32_e32 v50, 31, v49
	v_add_co_ci_u32_e64 v60, null, v75, v48, vcc_lo
	v_mov_b32_e32 v54, 0
	v_mov_b32_e32 v56, 0
	v_lshlrev_b64 v[49:50], 3, v[49:50]
	s_and_b32 vcc_lo, exec_lo, s6
	global_store_dwordx2 v[59:60], v[57:58], off
	s_cbranch_vccnz .LBB180_91
; %bb.90:
	v_add_co_u32 v55, vcc_lo, v72, v49
	v_add_co_ci_u32_e64 v56, null, v73, v50, vcc_lo
	global_load_dwordx2 v[55:56], v[55:56], off
	s_waitcnt vmcnt(0)
	v_mul_f64 v[55:56], s[14:15], v[55:56]
.LBB180_91:
	s_clause 0x1
	buffer_load_dword v57, off, s[0:3], 0 offset:200
	buffer_load_dword v58, off, s[0:3], 0 offset:204
	s_waitcnt vmcnt(2)
	v_add_f64 v[55:56], v[51:52], v[55:56]
	v_add_nc_u32_e32 v51, 0x64, v12
	v_add_co_u32 v59, vcc_lo, v74, v49
	v_add_co_ci_u32_e64 v60, null, v75, v50, vcc_lo
	v_ashrrev_i32_e32 v52, 31, v51
	s_and_b32 vcc_lo, exec_lo, s6
	v_lshlrev_b64 v[51:52], 3, v[51:52]
	global_store_dwordx2 v[59:60], v[55:56], off
	s_cbranch_vccnz .LBB180_93
; %bb.92:
	v_add_co_u32 v53, vcc_lo, v72, v51
	v_add_co_ci_u32_e64 v54, null, v73, v52, vcc_lo
	global_load_dwordx2 v[53:54], v[53:54], off
	s_waitcnt vmcnt(0)
	v_mul_f64 v[53:54], s[14:15], v[53:54]
.LBB180_93:
	s_clause 0x1
	buffer_load_dword v55, off, s[0:3], 0 offset:208
	buffer_load_dword v56, off, s[0:3], 0 offset:212
	s_waitcnt vmcnt(2)
	v_add_f64 v[61:62], v[57:58], v[53:54]
	v_add_nc_u32_e32 v53, 0x68, v12
	v_add_co_u32 v63, vcc_lo, v74, v51
	v_mov_b32_e32 v57, 0
	v_mov_b32_e32 v59, 0
	v_ashrrev_i32_e32 v54, 31, v53
	v_add_co_ci_u32_e64 v64, null, v75, v52, vcc_lo
	v_mov_b32_e32 v58, 0
	v_mov_b32_e32 v60, 0
	v_lshlrev_b64 v[53:54], 3, v[53:54]
	s_and_b32 vcc_lo, exec_lo, s6
	global_store_dwordx2 v[63:64], v[61:62], off
	s_cbranch_vccnz .LBB180_95
; %bb.94:
	v_add_co_u32 v59, vcc_lo, v72, v53
	v_add_co_ci_u32_e64 v60, null, v73, v54, vcc_lo
	global_load_dwordx2 v[59:60], v[59:60], off
	s_waitcnt vmcnt(0)
	v_mul_f64 v[59:60], s[14:15], v[59:60]
.LBB180_95:
	s_clause 0x1
	buffer_load_dword v61, off, s[0:3], 0 offset:216
	buffer_load_dword v62, off, s[0:3], 0 offset:220
	s_waitcnt vmcnt(2)
	v_add_f64 v[59:60], v[55:56], v[59:60]
	v_add_nc_u32_e32 v55, 0x6c, v12
	v_add_co_u32 v63, vcc_lo, v74, v53
	v_add_co_ci_u32_e64 v64, null, v75, v54, vcc_lo
	v_ashrrev_i32_e32 v56, 31, v55
	s_and_b32 vcc_lo, exec_lo, s6
	v_lshlrev_b64 v[55:56], 3, v[55:56]
	global_store_dwordx2 v[63:64], v[59:60], off
	s_cbranch_vccnz .LBB180_97
; %bb.96:
	v_add_co_u32 v57, vcc_lo, v72, v55
	v_add_co_ci_u32_e64 v58, null, v73, v56, vcc_lo
	global_load_dwordx2 v[57:58], v[57:58], off
	s_waitcnt vmcnt(0)
	v_mul_f64 v[57:58], s[14:15], v[57:58]
.LBB180_97:
	s_clause 0x1
	buffer_load_dword v59, off, s[0:3], 0 offset:224
	buffer_load_dword v60, off, s[0:3], 0 offset:228
	s_waitcnt vmcnt(2)
	v_add_f64 v[65:66], v[61:62], v[57:58]
	v_add_nc_u32_e32 v57, 0x70, v12
	v_add_co_u32 v67, vcc_lo, v74, v55
	v_mov_b32_e32 v61, 0
	v_mov_b32_e32 v63, 0
	v_ashrrev_i32_e32 v58, 31, v57
	v_add_co_ci_u32_e64 v68, null, v75, v56, vcc_lo
	v_mov_b32_e32 v62, 0
	v_mov_b32_e32 v64, 0
	v_lshlrev_b64 v[57:58], 3, v[57:58]
	s_and_b32 vcc_lo, exec_lo, s6
	global_store_dwordx2 v[67:68], v[65:66], off
	s_cbranch_vccnz .LBB180_99
; %bb.98:
	v_add_co_u32 v63, vcc_lo, v72, v57
	v_add_co_ci_u32_e64 v64, null, v73, v58, vcc_lo
	global_load_dwordx2 v[63:64], v[63:64], off
	s_waitcnt vmcnt(0)
	v_mul_f64 v[63:64], s[14:15], v[63:64]
.LBB180_99:
	s_clause 0x1
	buffer_load_dword v65, off, s[0:3], 0 offset:232
	buffer_load_dword v66, off, s[0:3], 0 offset:236
	s_waitcnt vmcnt(2)
	v_add_f64 v[63:64], v[59:60], v[63:64]
	v_add_nc_u32_e32 v59, 0x74, v12
	v_add_co_u32 v67, vcc_lo, v74, v57
	v_add_co_ci_u32_e64 v68, null, v75, v58, vcc_lo
	v_ashrrev_i32_e32 v60, 31, v59
	s_and_b32 vcc_lo, exec_lo, s6
	v_lshlrev_b64 v[59:60], 3, v[59:60]
	global_store_dwordx2 v[67:68], v[63:64], off
	s_cbranch_vccnz .LBB180_101
; %bb.100:
	v_add_co_u32 v61, vcc_lo, v72, v59
	v_add_co_ci_u32_e64 v62, null, v73, v60, vcc_lo
	global_load_dwordx2 v[61:62], v[61:62], off
	s_waitcnt vmcnt(0)
	v_mul_f64 v[61:62], s[14:15], v[61:62]
.LBB180_101:
	s_clause 0x1
	buffer_load_dword v63, off, s[0:3], 0 offset:240
	buffer_load_dword v64, off, s[0:3], 0 offset:244
	s_waitcnt vmcnt(2)
	v_add_f64 v[69:70], v[65:66], v[61:62]
	v_add_nc_u32_e32 v61, 0x78, v12
	v_add_co_u32 v76, vcc_lo, v74, v59
	v_mov_b32_e32 v65, 0
	v_mov_b32_e32 v67, 0
	v_ashrrev_i32_e32 v62, 31, v61
	v_add_co_ci_u32_e64 v77, null, v75, v60, vcc_lo
	v_mov_b32_e32 v66, 0
	v_mov_b32_e32 v68, 0
	v_lshlrev_b64 v[61:62], 3, v[61:62]
	s_and_b32 vcc_lo, exec_lo, s6
	global_store_dwordx2 v[76:77], v[69:70], off
	s_cbranch_vccnz .LBB180_103
; %bb.102:
	v_add_co_u32 v67, vcc_lo, v72, v61
	v_add_co_ci_u32_e64 v68, null, v73, v62, vcc_lo
	global_load_dwordx2 v[67:68], v[67:68], off
	s_waitcnt vmcnt(0)
	v_mul_f64 v[67:68], s[14:15], v[67:68]
.LBB180_103:
	s_clause 0x1
	buffer_load_dword v69, off, s[0:3], 0 offset:248
	buffer_load_dword v70, off, s[0:3], 0 offset:252
	s_waitcnt vmcnt(2)
	v_add_f64 v[67:68], v[63:64], v[67:68]
	v_add_nc_u32_e32 v63, 0x7c, v12
	v_add_co_u32 v76, vcc_lo, v74, v61
	v_add_co_ci_u32_e64 v77, null, v75, v62, vcc_lo
	v_ashrrev_i32_e32 v64, 31, v63
	s_and_b32 vcc_lo, exec_lo, s6
	v_lshlrev_b64 v[63:64], 3, v[63:64]
	global_store_dwordx2 v[76:77], v[67:68], off
	s_cbranch_vccnz .LBB180_105
; %bb.104:
	v_add_co_u32 v65, vcc_lo, v72, v63
	v_add_co_ci_u32_e64 v66, null, v73, v64, vcc_lo
	global_load_dwordx2 v[65:66], v[65:66], off
	s_waitcnt vmcnt(0)
	v_mul_f64 v[65:66], s[14:15], v[65:66]
.LBB180_105:
	s_clause 0x1
	buffer_load_dword v67, off, s[0:3], 0 offset:256
	buffer_load_dword v68, off, s[0:3], 0 offset:260
	v_add_nc_u32_e32 v76, 64, v71
	s_waitcnt vmcnt(2)
	v_add_f64 v[69:70], v[69:70], v[65:66]
	v_add_co_u32 v74, vcc_lo, v74, v63
	v_add_co_ci_u32_e64 v75, null, v75, v64, vcc_lo
	v_mad_i64_i32 v[65:66], null, v76, s7, 0
	v_mov_b32_e32 v71, 0
	v_mov_b32_e32 v72, 0
	v_lshlrev_b64 v[77:78], 3, v[65:66]
	v_mov_b32_e32 v65, 0
	v_mov_b32_e32 v66, 0
	v_add_co_u32 v12, vcc_lo, s12, v77
	v_add_co_ci_u32_e64 v73, null, s13, v78, vcc_lo
	s_and_b32 vcc_lo, exec_lo, s6
	global_store_dwordx2 v[74:75], v[69:70], off
	s_cbranch_vccnz .LBB180_107
; %bb.106:
	v_add_co_u32 v69, vcc_lo, v12, v0
	v_add_co_ci_u32_e64 v70, null, v73, v1, vcc_lo
	global_load_dwordx2 v[69:70], v[69:70], off
	s_waitcnt vmcnt(0)
	v_mul_f64 v[71:72], s[14:15], v[69:70]
.LBB180_107:
	s_clause 0x1
	buffer_load_dword v69, off, s[0:3], 0 offset:264
	buffer_load_dword v70, off, s[0:3], 0 offset:268
	v_mad_i64_i32 v[74:75], null, v76, s4, 0
	s_waitcnt vmcnt(2)
	v_add_f64 v[67:68], v[67:68], v[71:72]
	v_lshlrev_b64 v[71:72], 3, v[74:75]
	v_add_co_u32 v71, vcc_lo, s5, v71
	v_add_co_ci_u32_e64 v72, null, s8, v72, vcc_lo
	v_add_co_u32 v0, vcc_lo, v71, v0
	v_add_co_ci_u32_e64 v1, null, v72, v1, vcc_lo
	s_and_b32 vcc_lo, exec_lo, s6
	global_store_dwordx2 v[0:1], v[67:68], off
	s_cbranch_vccnz .LBB180_109
; %bb.108:
	v_add_co_u32 v0, vcc_lo, v12, v2
	v_add_co_ci_u32_e64 v1, null, v73, v3, vcc_lo
	global_load_dwordx2 v[0:1], v[0:1], off
	s_waitcnt vmcnt(0)
	v_mul_f64 v[65:66], s[14:15], v[0:1]
.LBB180_109:
	s_clause 0x1
	buffer_load_dword v67, off, s[0:3], 0 offset:272
	buffer_load_dword v68, off, s[0:3], 0 offset:276
	s_waitcnt vmcnt(2)
	v_add_f64 v[65:66], v[69:70], v[65:66]
	v_add_co_u32 v69, vcc_lo, v71, v2
	v_add_co_ci_u32_e64 v70, null, v72, v3, vcc_lo
	v_mov_b32_e32 v0, 0
	v_mov_b32_e32 v2, 0
	;; [unrolled: 1-line block ×4, first 2 shown]
	s_and_b32 vcc_lo, exec_lo, s6
	global_store_dwordx2 v[69:70], v[65:66], off
	s_cbranch_vccnz .LBB180_111
; %bb.110:
	v_add_co_u32 v2, vcc_lo, v12, v4
	v_add_co_ci_u32_e64 v3, null, v73, v5, vcc_lo
	global_load_dwordx2 v[2:3], v[2:3], off
	s_waitcnt vmcnt(0)
	v_mul_f64 v[2:3], s[14:15], v[2:3]
.LBB180_111:
	s_clause 0x1
	buffer_load_dword v65, off, s[0:3], 0 offset:280
	buffer_load_dword v66, off, s[0:3], 0 offset:284
	s_waitcnt vmcnt(2)
	v_add_f64 v[2:3], v[67:68], v[2:3]
	v_add_co_u32 v4, vcc_lo, v71, v4
	v_add_co_ci_u32_e64 v5, null, v72, v5, vcc_lo
	s_and_b32 vcc_lo, exec_lo, s6
	global_store_dwordx2 v[4:5], v[2:3], off
	s_cbranch_vccnz .LBB180_113
; %bb.112:
	v_add_co_u32 v0, vcc_lo, v12, v6
	v_add_co_ci_u32_e64 v1, null, v73, v7, vcc_lo
	global_load_dwordx2 v[0:1], v[0:1], off
	s_waitcnt vmcnt(0)
	v_mul_f64 v[0:1], s[14:15], v[0:1]
.LBB180_113:
	s_clause 0x1
	buffer_load_dword v2, off, s[0:3], 0 offset:288
	buffer_load_dword v3, off, s[0:3], 0 offset:292
	s_waitcnt vmcnt(2)
	v_add_f64 v[4:5], v[65:66], v[0:1]
	v_add_co_u32 v65, vcc_lo, v71, v6
	v_add_co_ci_u32_e64 v66, null, v72, v7, vcc_lo
	v_mov_b32_e32 v0, 0
	v_mov_b32_e32 v6, 0
	;; [unrolled: 1-line block ×4, first 2 shown]
	s_and_b32 vcc_lo, exec_lo, s6
	global_store_dwordx2 v[65:66], v[4:5], off
	s_cbranch_vccnz .LBB180_115
; %bb.114:
	v_add_co_u32 v4, vcc_lo, v12, v8
	v_add_co_ci_u32_e64 v5, null, v73, v9, vcc_lo
	global_load_dwordx2 v[4:5], v[4:5], off
	s_waitcnt vmcnt(0)
	v_mul_f64 v[6:7], s[14:15], v[4:5]
.LBB180_115:
	s_clause 0x1
	buffer_load_dword v4, off, s[0:3], 0 offset:296
	buffer_load_dword v5, off, s[0:3], 0 offset:300
	s_waitcnt vmcnt(2)
	v_add_f64 v[2:3], v[2:3], v[6:7]
	v_add_co_u32 v6, vcc_lo, v71, v8
	v_add_co_ci_u32_e64 v7, null, v72, v9, vcc_lo
	s_and_b32 vcc_lo, exec_lo, s6
	global_store_dwordx2 v[6:7], v[2:3], off
	s_cbranch_vccnz .LBB180_117
; %bb.116:
	v_add_co_u32 v0, vcc_lo, v12, v10
	v_add_co_ci_u32_e64 v1, null, v73, v11, vcc_lo
	global_load_dwordx2 v[0:1], v[0:1], off
	s_waitcnt vmcnt(0)
	v_mul_f64 v[0:1], s[14:15], v[0:1]
.LBB180_117:
	s_clause 0x1
	buffer_load_dword v2, off, s[0:3], 0 offset:304
	buffer_load_dword v3, off, s[0:3], 0 offset:308
	s_waitcnt vmcnt(2)
	v_add_f64 v[4:5], v[4:5], v[0:1]
	v_add_co_u32 v8, vcc_lo, v71, v10
	v_mov_b32_e32 v0, 0
	v_mov_b32_e32 v6, 0
	v_add_co_ci_u32_e64 v9, null, v72, v11, vcc_lo
	v_mov_b32_e32 v1, 0
	v_mov_b32_e32 v7, 0
	s_and_b32 vcc_lo, exec_lo, s6
	global_store_dwordx2 v[8:9], v[4:5], off
	s_cbranch_vccnz .LBB180_119
; %bb.118:
	v_add_co_u32 v4, vcc_lo, v12, v13
	v_add_co_ci_u32_e64 v5, null, v73, v14, vcc_lo
	global_load_dwordx2 v[4:5], v[4:5], off
	s_waitcnt vmcnt(0)
	v_mul_f64 v[6:7], s[14:15], v[4:5]
.LBB180_119:
	s_clause 0x1
	buffer_load_dword v4, off, s[0:3], 0 offset:312
	buffer_load_dword v5, off, s[0:3], 0 offset:316
	s_waitcnt vmcnt(2)
	v_add_f64 v[2:3], v[2:3], v[6:7]
	v_add_co_u32 v6, vcc_lo, v71, v13
	v_add_co_ci_u32_e64 v7, null, v72, v14, vcc_lo
	s_and_b32 vcc_lo, exec_lo, s6
	global_store_dwordx2 v[6:7], v[2:3], off
	s_cbranch_vccnz .LBB180_121
; %bb.120:
	v_add_co_u32 v0, vcc_lo, v12, v15
	v_add_co_ci_u32_e64 v1, null, v73, v16, vcc_lo
	global_load_dwordx2 v[0:1], v[0:1], off
	s_waitcnt vmcnt(0)
	v_mul_f64 v[0:1], s[14:15], v[0:1]
.LBB180_121:
	s_clause 0x1
	buffer_load_dword v2, off, s[0:3], 0 offset:320
	buffer_load_dword v3, off, s[0:3], 0 offset:324
	s_waitcnt vmcnt(2)
	v_add_f64 v[4:5], v[4:5], v[0:1]
	v_add_co_u32 v8, vcc_lo, v71, v15
	v_mov_b32_e32 v0, 0
	v_mov_b32_e32 v6, 0
	v_add_co_ci_u32_e64 v9, null, v72, v16, vcc_lo
	v_mov_b32_e32 v1, 0
	v_mov_b32_e32 v7, 0
	;; [unrolled: 38-line block ×13, first 2 shown]
	s_and_b32 vcc_lo, exec_lo, s6
	global_store_dwordx2 v[8:9], v[4:5], off
	s_cbranch_vccnz .LBB180_167
; %bb.166:
	v_add_co_u32 v4, vcc_lo, v12, v61
	v_add_co_ci_u32_e64 v5, null, v73, v62, vcc_lo
	global_load_dwordx2 v[4:5], v[4:5], off
	s_waitcnt vmcnt(0)
	v_mul_f64 v[6:7], s[14:15], v[4:5]
.LBB180_167:
	s_clause 0x1
	buffer_load_dword v4, off, s[0:3], 0 offset:504
	buffer_load_dword v5, off, s[0:3], 0 offset:508
	s_waitcnt vmcnt(2)
	v_add_f64 v[2:3], v[2:3], v[6:7]
	v_add_co_u32 v6, vcc_lo, v71, v61
	v_add_co_ci_u32_e64 v7, null, v72, v62, vcc_lo
	s_and_b32 vcc_lo, exec_lo, s6
	global_store_dwordx2 v[6:7], v[2:3], off
	s_cbranch_vccnz .LBB180_169
; %bb.168:
	v_add_co_u32 v0, vcc_lo, v12, v63
	v_add_co_ci_u32_e64 v1, null, v73, v64, vcc_lo
	global_load_dwordx2 v[0:1], v[0:1], off
	s_waitcnt vmcnt(0)
	v_mul_f64 v[0:1], s[14:15], v[0:1]
.LBB180_169:
	s_waitcnt vmcnt(0)
	v_add_f64 v[0:1], v[4:5], v[0:1]
	v_add_co_u32 v2, vcc_lo, v71, v63
	v_add_co_ci_u32_e64 v3, null, v72, v64, vcc_lo
	global_store_dwordx2 v[2:3], v[0:1], off
	s_endpgm
	.section	.rodata,"a",@progbits
	.p2align	6, 0x0
	.amdhsa_kernel _ZN12_GLOBAL__N_120geam_min_plus_kernelIdddLi4ELi64ELi128ELi128ELi4ELi64ELi4ELi4ELi64ELc78ELc78ELb0ELb0ELb0EPKdS1_dEEviiiT16_PT17_ilS5_ilS3_S5_ilPT18_ili26rocblas_geam_ex_operation_
		.amdhsa_group_segment_fixed_size 16384
		.amdhsa_private_segment_fixed_size 528
		.amdhsa_kernarg_size 136
		.amdhsa_user_sgpr_count 6
		.amdhsa_user_sgpr_private_segment_buffer 1
		.amdhsa_user_sgpr_dispatch_ptr 0
		.amdhsa_user_sgpr_queue_ptr 0
		.amdhsa_user_sgpr_kernarg_segment_ptr 1
		.amdhsa_user_sgpr_dispatch_id 0
		.amdhsa_user_sgpr_flat_scratch_init 0
		.amdhsa_user_sgpr_private_segment_size 0
		.amdhsa_wavefront_size32 1
		.amdhsa_uses_dynamic_stack 0
		.amdhsa_system_sgpr_private_segment_wavefront_offset 1
		.amdhsa_system_sgpr_workgroup_id_x 1
		.amdhsa_system_sgpr_workgroup_id_y 0
		.amdhsa_system_sgpr_workgroup_id_z 1
		.amdhsa_system_sgpr_workgroup_info 0
		.amdhsa_system_vgpr_workitem_id 1
		.amdhsa_next_free_vgpr 227
		.amdhsa_next_free_sgpr 30
		.amdhsa_reserve_vcc 1
		.amdhsa_reserve_flat_scratch 0
		.amdhsa_float_round_mode_32 0
		.amdhsa_float_round_mode_16_64 0
		.amdhsa_float_denorm_mode_32 3
		.amdhsa_float_denorm_mode_16_64 3
		.amdhsa_dx10_clamp 1
		.amdhsa_ieee_mode 1
		.amdhsa_fp16_overflow 0
		.amdhsa_workgroup_processor_mode 1
		.amdhsa_memory_ordered 1
		.amdhsa_forward_progress 1
		.amdhsa_shared_vgpr_count 0
		.amdhsa_exception_fp_ieee_invalid_op 0
		.amdhsa_exception_fp_denorm_src 0
		.amdhsa_exception_fp_ieee_div_zero 0
		.amdhsa_exception_fp_ieee_overflow 0
		.amdhsa_exception_fp_ieee_underflow 0
		.amdhsa_exception_fp_ieee_inexact 0
		.amdhsa_exception_int_div_zero 0
	.end_amdhsa_kernel
	.section	.text._ZN12_GLOBAL__N_120geam_min_plus_kernelIdddLi4ELi64ELi128ELi128ELi4ELi64ELi4ELi4ELi64ELc78ELc78ELb0ELb0ELb0EPKdS1_dEEviiiT16_PT17_ilS5_ilS3_S5_ilPT18_ili26rocblas_geam_ex_operation_,"axG",@progbits,_ZN12_GLOBAL__N_120geam_min_plus_kernelIdddLi4ELi64ELi128ELi128ELi4ELi64ELi4ELi4ELi64ELc78ELc78ELb0ELb0ELb0EPKdS1_dEEviiiT16_PT17_ilS5_ilS3_S5_ilPT18_ili26rocblas_geam_ex_operation_,comdat
.Lfunc_end180:
	.size	_ZN12_GLOBAL__N_120geam_min_plus_kernelIdddLi4ELi64ELi128ELi128ELi4ELi64ELi4ELi4ELi64ELc78ELc78ELb0ELb0ELb0EPKdS1_dEEviiiT16_PT17_ilS5_ilS3_S5_ilPT18_ili26rocblas_geam_ex_operation_, .Lfunc_end180-_ZN12_GLOBAL__N_120geam_min_plus_kernelIdddLi4ELi64ELi128ELi128ELi4ELi64ELi4ELi4ELi64ELc78ELc78ELb0ELb0ELb0EPKdS1_dEEviiiT16_PT17_ilS5_ilS3_S5_ilPT18_ili26rocblas_geam_ex_operation_
                                        ; -- End function
	.set _ZN12_GLOBAL__N_120geam_min_plus_kernelIdddLi4ELi64ELi128ELi128ELi4ELi64ELi4ELi4ELi64ELc78ELc78ELb0ELb0ELb0EPKdS1_dEEviiiT16_PT17_ilS5_ilS3_S5_ilPT18_ili26rocblas_geam_ex_operation_.num_vgpr, 227
	.set _ZN12_GLOBAL__N_120geam_min_plus_kernelIdddLi4ELi64ELi128ELi128ELi4ELi64ELi4ELi4ELi64ELc78ELc78ELb0ELb0ELb0EPKdS1_dEEviiiT16_PT17_ilS5_ilS3_S5_ilPT18_ili26rocblas_geam_ex_operation_.num_agpr, 0
	.set _ZN12_GLOBAL__N_120geam_min_plus_kernelIdddLi4ELi64ELi128ELi128ELi4ELi64ELi4ELi4ELi64ELc78ELc78ELb0ELb0ELb0EPKdS1_dEEviiiT16_PT17_ilS5_ilS3_S5_ilPT18_ili26rocblas_geam_ex_operation_.numbered_sgpr, 30
	.set _ZN12_GLOBAL__N_120geam_min_plus_kernelIdddLi4ELi64ELi128ELi128ELi4ELi64ELi4ELi4ELi64ELc78ELc78ELb0ELb0ELb0EPKdS1_dEEviiiT16_PT17_ilS5_ilS3_S5_ilPT18_ili26rocblas_geam_ex_operation_.num_named_barrier, 0
	.set _ZN12_GLOBAL__N_120geam_min_plus_kernelIdddLi4ELi64ELi128ELi128ELi4ELi64ELi4ELi4ELi64ELc78ELc78ELb0ELb0ELb0EPKdS1_dEEviiiT16_PT17_ilS5_ilS3_S5_ilPT18_ili26rocblas_geam_ex_operation_.private_seg_size, 528
	.set _ZN12_GLOBAL__N_120geam_min_plus_kernelIdddLi4ELi64ELi128ELi128ELi4ELi64ELi4ELi4ELi64ELc78ELc78ELb0ELb0ELb0EPKdS1_dEEviiiT16_PT17_ilS5_ilS3_S5_ilPT18_ili26rocblas_geam_ex_operation_.uses_vcc, 1
	.set _ZN12_GLOBAL__N_120geam_min_plus_kernelIdddLi4ELi64ELi128ELi128ELi4ELi64ELi4ELi4ELi64ELc78ELc78ELb0ELb0ELb0EPKdS1_dEEviiiT16_PT17_ilS5_ilS3_S5_ilPT18_ili26rocblas_geam_ex_operation_.uses_flat_scratch, 0
	.set _ZN12_GLOBAL__N_120geam_min_plus_kernelIdddLi4ELi64ELi128ELi128ELi4ELi64ELi4ELi4ELi64ELc78ELc78ELb0ELb0ELb0EPKdS1_dEEviiiT16_PT17_ilS5_ilS3_S5_ilPT18_ili26rocblas_geam_ex_operation_.has_dyn_sized_stack, 0
	.set _ZN12_GLOBAL__N_120geam_min_plus_kernelIdddLi4ELi64ELi128ELi128ELi4ELi64ELi4ELi4ELi64ELc78ELc78ELb0ELb0ELb0EPKdS1_dEEviiiT16_PT17_ilS5_ilS3_S5_ilPT18_ili26rocblas_geam_ex_operation_.has_recursion, 0
	.set _ZN12_GLOBAL__N_120geam_min_plus_kernelIdddLi4ELi64ELi128ELi128ELi4ELi64ELi4ELi4ELi64ELc78ELc78ELb0ELb0ELb0EPKdS1_dEEviiiT16_PT17_ilS5_ilS3_S5_ilPT18_ili26rocblas_geam_ex_operation_.has_indirect_call, 0
	.section	.AMDGPU.csdata,"",@progbits
; Kernel info:
; codeLenInByte = 19328
; TotalNumSgprs: 32
; NumVgprs: 227
; ScratchSize: 528
; MemoryBound: 1
; FloatMode: 240
; IeeeMode: 1
; LDSByteSize: 16384 bytes/workgroup (compile time only)
; SGPRBlocks: 0
; VGPRBlocks: 28
; NumSGPRsForWavesPerEU: 32
; NumVGPRsForWavesPerEU: 227
; Occupancy: 4
; WaveLimiterHint : 1
; COMPUTE_PGM_RSRC2:SCRATCH_EN: 1
; COMPUTE_PGM_RSRC2:USER_SGPR: 6
; COMPUTE_PGM_RSRC2:TRAP_HANDLER: 0
; COMPUTE_PGM_RSRC2:TGID_X_EN: 1
; COMPUTE_PGM_RSRC2:TGID_Y_EN: 0
; COMPUTE_PGM_RSRC2:TGID_Z_EN: 1
; COMPUTE_PGM_RSRC2:TIDIG_COMP_CNT: 1
	.section	.text._ZN12_GLOBAL__N_120geam_min_plus_kernelIdddLi4ELi64ELi128ELi128ELi4ELi64ELi4ELi4ELi64ELc78ELc78ELb1ELb0ELb0EdKddEEviiiT16_PT17_ilS4_ilS2_S4_ilPT18_ili26rocblas_geam_ex_operation_,"axG",@progbits,_ZN12_GLOBAL__N_120geam_min_plus_kernelIdddLi4ELi64ELi128ELi128ELi4ELi64ELi4ELi4ELi64ELc78ELc78ELb1ELb0ELb0EdKddEEviiiT16_PT17_ilS4_ilS2_S4_ilPT18_ili26rocblas_geam_ex_operation_,comdat
	.globl	_ZN12_GLOBAL__N_120geam_min_plus_kernelIdddLi4ELi64ELi128ELi128ELi4ELi64ELi4ELi4ELi64ELc78ELc78ELb1ELb0ELb0EdKddEEviiiT16_PT17_ilS4_ilS2_S4_ilPT18_ili26rocblas_geam_ex_operation_ ; -- Begin function _ZN12_GLOBAL__N_120geam_min_plus_kernelIdddLi4ELi64ELi128ELi128ELi4ELi64ELi4ELi4ELi64ELc78ELc78ELb1ELb0ELb0EdKddEEviiiT16_PT17_ilS4_ilS2_S4_ilPT18_ili26rocblas_geam_ex_operation_
	.p2align	8
	.type	_ZN12_GLOBAL__N_120geam_min_plus_kernelIdddLi4ELi64ELi128ELi128ELi4ELi64ELi4ELi4ELi64ELc78ELc78ELb1ELb0ELb0EdKddEEviiiT16_PT17_ilS4_ilS2_S4_ilPT18_ili26rocblas_geam_ex_operation_,@function
_ZN12_GLOBAL__N_120geam_min_plus_kernelIdddLi4ELi64ELi128ELi128ELi4ELi64ELi4ELi4ELi64ELc78ELc78ELb1ELb0ELb0EdKddEEviiiT16_PT17_ilS4_ilS2_S4_ilPT18_ili26rocblas_geam_ex_operation_: ; @_ZN12_GLOBAL__N_120geam_min_plus_kernelIdddLi4ELi64ELi128ELi128ELi4ELi64ELi4ELi4ELi64ELc78ELc78ELb1ELb0ELb0EdKddEEviiiT16_PT17_ilS4_ilS2_S4_ilPT18_ili26rocblas_geam_ex_operation_
; %bb.0:
	s_add_u32 s0, s0, s8
	s_clause 0x1
	s_load_dwordx4 s[8:11], s[4:5], 0x10
	s_load_dwordx4 s[12:15], s[4:5], 0x28
	s_addc_u32 s1, s1, 0
	s_mov_b64 s[20:21], 0
	s_waitcnt lgkmcnt(0)
	v_cmp_eq_f64_e64 s16, s[8:9], 0
	s_and_b32 vcc_lo, exec_lo, s16
	s_cbranch_vccnz .LBB181_2
; %bb.1:
	s_mul_i32 s8, s13, s7
	s_mul_hi_u32 s9, s12, s7
	s_add_i32 s9, s9, s8
	s_mul_i32 s8, s12, s7
	s_lshl_b64 s[8:9], s[8:9], 3
	s_add_u32 s20, s10, s8
	s_addc_u32 s21, s11, s9
.LBB181_2:
	s_clause 0x1
	s_load_dwordx4 s[8:11], s[4:5], 0x40
	s_load_dwordx2 s[22:23], s[4:5], 0x50
	s_andn2_b32 vcc_lo, exec_lo, s16
	s_mov_b32 s12, -1
	s_cbranch_vccz .LBB181_154
; %bb.3:
	s_mov_b64 s[16:17], 0
	s_andn2_b32 vcc_lo, exec_lo, s12
	s_mov_b64 s[18:19], 0
	s_cbranch_vccz .LBB181_155
.LBB181_4:
	s_waitcnt lgkmcnt(0)
	v_cmp_eq_f64_e64 s8, s[10:11], 0
	s_load_dwordx4 s[12:15], s[4:5], 0x60
	s_and_b32 vcc_lo, exec_lo, s8
	s_cbranch_vccnz .LBB181_6
.LBB181_5:
	s_waitcnt lgkmcnt(0)
	s_mul_i32 s8, s13, s7
	s_mul_hi_u32 s9, s12, s7
	s_add_i32 s9, s9, s8
	s_mul_i32 s8, s12, s7
	s_lshl_b64 s[8:9], s[8:9], 3
	s_add_u32 s16, s22, s8
	s_addc_u32 s17, s23, s9
.LBB181_6:
	s_load_dword s8, s[4:5], 0x0
	s_waitcnt lgkmcnt(0)
	s_clause 0x1
	s_load_dword s13, s[4:5], 0x20
	s_load_dword s12, s[4:5], 0x38
	v_and_b32_e32 v88, 3, v0
	v_lshl_add_u32 v3, v1, 2, v0
	v_lshlrev_b32_e32 v91, 5, v0
	v_lshl_or_b32 v92, v1, 5, 0x2000
	v_lshlrev_b32_e32 v22, 3, v88
	v_lshrrev_b32_e32 v89, 6, v3
	v_and_b32_e32 v84, 63, v3
	v_lshrrev_b32_e32 v23, 2, v3
	v_add_nc_u32_e32 v90, 4, v89
	v_lshl_or_b32 v85, v23, 5, v22
	s_add_i32 s8, s8, -1
	s_waitcnt lgkmcnt(0)
	v_mad_i64_i32 v[4:5], null, s13, v90, 0
	s_ashr_i32 s9, s8, 31
	v_add_nc_u32_e32 v94, 0x2000, v85
	s_lshr_b32 s9, s9, 25
	s_add_i32 s8, s8, s9
	s_ashr_i32 s22, s8, 7
	s_mov_b32 s8, 0
	s_add_i32 s9, s22, 1
	s_not_b32 s22, s22
	v_cvt_f32_u32_e32 v2, s9
	s_addk_i32 s8, 0x100
	v_lshlrev_b64 v[4:5], 3, v[4:5]
	v_rcp_iflag_f32_e32 v2, v2
	v_mul_f32_e32 v2, 0x4f7ffffe, v2
	v_cvt_u32_f32_e32 v2, v2
	v_readfirstlane_b32 s23, v2
	v_mad_i64_i32 v[2:3], null, s13, v89, 0
	s_mul_i32 s22, s22, s23
	s_mul_hi_u32 s22, s23, s22
	s_add_i32 s23, s23, s22
	v_add_co_u32 v10, s22, s18, v22
	s_mul_hi_u32 s23, s6, s23
	v_add_co_ci_u32_e64 v11, null, s19, 0, s22
	s_mul_i32 s24, s23, s9
	s_ashr_i32 s22, s13, 31
	s_sub_i32 s24, s6, s24
	s_add_i32 s25, s23, 1
	s_sub_i32 s26, s24, s9
	s_cmp_ge_u32 s24, s9
	v_lshlrev_b64 v[2:3], 3, v[2:3]
	s_cselect_b32 s23, s25, s23
	s_cselect_b32 s24, s26, s24
	s_add_i32 s25, s23, 1
	s_cmp_ge_u32 s24, s9
	s_cselect_b32 s23, s25, s23
	v_add_co_u32 v12, vcc_lo, s20, v2
	s_mul_i32 s24, s23, s9
	s_lshl_b32 s9, s23, 7
	s_sub_i32 s6, s6, s24
	v_add_nc_u32_e32 v7, s9, v23
	s_lshl_b32 s6, s6, 7
	v_add_co_ci_u32_e64 v13, null, s21, v3, vcc_lo
	v_or_b32_e32 v6, s6, v84
	v_mad_i64_i32 v[8:9], null, v7, s12, 0
	v_add_nc_u32_e32 v7, 64, v7
	s_mov_b32 s23, 0
	v_mad_i64_i32 v[2:3], null, v7, s12, 0
	v_ashrrev_i32_e32 v7, 31, v6
	v_lshlrev_b64 v[70:71], 3, v[8:9]
	v_add_co_u32 v8, vcc_lo, s20, v4
	v_add_co_ci_u32_e64 v9, null, s21, v5, vcc_lo
	v_lshlrev_b64 v[6:7], 3, v[6:7]
	v_lshlrev_b64 v[72:73], 3, v[2:3]
	v_add_co_u32 v2, vcc_lo, v10, v70
	v_add_co_ci_u32_e64 v3, null, v11, v71, vcc_lo
	v_add_co_u32 v4, vcc_lo, v12, v6
	v_add_co_ci_u32_e64 v5, null, v13, v7, vcc_lo
	;; [unrolled: 2-line block ×4, first 2 shown]
	s_clause 0x1
	global_load_dwordx2 v[16:17], v[4:5], off
	global_load_dwordx2 v[4:5], v[4:5], off offset:512
	s_clause 0x1
	global_load_dwordx2 v[18:19], v[2:3], off
	global_load_dwordx2 v[20:21], v[12:13], off
	s_clause 0x1
	global_load_dwordx2 v[8:9], v[10:11], off
	global_load_dwordx2 v[10:11], v[10:11], off offset:512
	s_clause 0x1
	global_load_dwordx2 v[12:13], v[12:13], off offset:32
	global_load_dwordx2 v[14:15], v[2:3], off offset:32
	v_cmp_neq_f64_e64 s12, s[10:11], 0
	v_lshlrev_b32_e32 v3, 5, v84
	v_mov_b32_e32 v2, 0
	buffer_store_dword v2, off, s[0:3], 0 offset:4
	buffer_store_dword v2, off, s[0:3], 0
	buffer_store_dword v2, off, s[0:3], 0 offset:12
	buffer_store_dword v2, off, s[0:3], 0 offset:8
	;; [unrolled: 1-line block ×120, first 2 shown]
	v_lshl_add_u32 v93, v89, 3, v3
	buffer_store_dword v2, off, s[0:3], 0 offset:492
	buffer_store_dword v2, off, s[0:3], 0 offset:488
	;; [unrolled: 1-line block ×6, first 2 shown]
	s_waitcnt vmcnt(6)
	ds_write2st64_b64 v93, v[16:17], v[4:5] offset1:4
	s_waitcnt vmcnt(4)
	ds_write2st64_b64 v85, v[18:19], v[20:21] offset0:16 offset1:20
	s_waitcnt vmcnt(0) lgkmcnt(0)
	s_waitcnt_vscnt null, 0x0
	s_barrier
	buffer_gl0_inv
.LBB181_7:                              ; =>This Loop Header: Depth=1
                                        ;     Child Loop BB181_8 Depth 2
	s_lshl_b32 s24, s23, 3
	s_mov_b32 s25, 0
	v_add_nc_u32_e32 v16, s24, v91
	v_add_nc_u32_e32 v86, s24, v92
	s_mov_b32 s24, -1
	ds_read2_b64 v[2:5], v16 offset1:16
	ds_read2_b64 v[20:23], v16 offset0:32 offset1:48
	ds_read2_b64 v[24:27], v16 offset0:64 offset1:80
	;; [unrolled: 1-line block ×4, first 2 shown]
	v_add_nc_u32_e32 v68, 0x800, v16
	ds_read2_b64 v[36:39], v16 offset0:160 offset1:176
	ds_read2_b64 v[40:43], v16 offset0:192 offset1:208
	;; [unrolled: 1-line block ×3, first 2 shown]
	ds_read2_b64 v[48:51], v68 offset1:16
	ds_read2_b64 v[52:55], v68 offset0:32 offset1:48
	ds_read2_b64 v[56:59], v68 offset0:64 offset1:80
	;; [unrolled: 1-line block ×6, first 2 shown]
	s_waitcnt lgkmcnt(9)
	v_max_f64 v[36:37], v[36:37], v[36:37]
	v_max_f64 v[38:39], v[38:39], v[38:39]
	;; [unrolled: 1-line block ×4, first 2 shown]
	ds_read2_b64 v[2:5], v68 offset0:224 offset1:240
	v_max_f64 v[20:21], v[20:21], v[20:21]
	v_max_f64 v[22:23], v[22:23], v[22:23]
	;; [unrolled: 1-line block ×8, first 2 shown]
	s_waitcnt lgkmcnt(9)
	v_max_f64 v[40:41], v[40:41], v[40:41]
	v_max_f64 v[42:43], v[42:43], v[42:43]
	s_waitcnt lgkmcnt(8)
	v_max_f64 v[44:45], v[44:45], v[44:45]
	v_max_f64 v[46:47], v[46:47], v[46:47]
	;; [unrolled: 3-line block ×10, first 2 shown]
	ds_read2st64_b64 v[2:5], v86 offset1:4
.LBB181_8:                              ;   Parent Loop BB181_7 Depth=1
                                        ; =>  This Inner Loop Header: Depth=2
	v_mov_b32_e32 v221, s25
	s_waitcnt lgkmcnt(0)
	v_max_f64 v[157:158], v[2:3], v[2:3]
	v_mov_b32_e32 v2, v4
	v_mov_b32_e32 v3, v5
	s_and_b32 vcc_lo, exec_lo, s24
	s_clause 0x3e
	buffer_load_dword v86, v221, s[0:3], 0 offen
	buffer_load_dword v87, v221, s[0:3], 0 offen offset:4
	buffer_load_dword v95, v221, s[0:3], 0 offen offset:8
	;; [unrolled: 1-line block ×63, first 2 shown]
	s_mov_b32 s24, 0
	s_mov_b32 s25, s8
	v_min_f64 v[159:160], v[16:17], v[157:158]
	v_min_f64 v[161:162], v[18:19], v[157:158]
	;; [unrolled: 1-line block ×32, first 2 shown]
	s_waitcnt vmcnt(62)
	v_add_f64 v[86:87], v[159:160], v[86:87]
	s_waitcnt vmcnt(60)
	v_add_f64 v[95:96], v[161:162], v[95:96]
	;; [unrolled: 2-line block ×32, first 2 shown]
	buffer_store_dword v86, v221, s[0:3], 0 offen
	buffer_store_dword v87, v221, s[0:3], 0 offen offset:4
	buffer_store_dword v95, v221, s[0:3], 0 offen offset:8
	;; [unrolled: 1-line block ×63, first 2 shown]
	s_cbranch_vccnz .LBB181_8
; %bb.9:                                ;   in Loop: Header=BB181_7 Depth=1
	s_add_i32 s23, s23, 1
	s_cmp_eq_u32 s23, 4
	s_cbranch_scc0 .LBB181_7
; %bb.10:
	s_load_dword s23, s[4:5], 0x8
	v_lshlrev_b32_e32 v2, 3, v89
	v_lshl_add_u32 v95, v0, 5, 0x1000
	v_lshl_add_u32 v96, v1, 5, 0x3000
	;; [unrolled: 1-line block ×3, first 2 shown]
	ds_write2st64_b64 v2, v[8:9], v[10:11] offset0:8 offset1:12
	ds_write2st64_b64 v85, v[14:15], v[12:13] offset0:24 offset1:28
	s_waitcnt lgkmcnt(0)
	s_waitcnt_vscnt null, 0x0
	s_barrier
	buffer_gl0_inv
	s_cmp_lt_i32 s23, 9
	s_cbranch_scc1 .LBB181_21
; %bb.11:
	v_add_co_u32 v99, vcc_lo, s20, v6
	v_or_b32_e32 v97, 0x1000, v2
	v_add_nc_u32_e32 v98, 0x3000, v85
	v_add_co_ci_u32_e64 v100, null, s21, v7, vcc_lo
	v_mov_b32_e32 v75, 0
	s_add_i32 s20, s23, -8
	s_mov_b32 s21, 8
	s_mov_b32 s23, 0
.LBB181_12:                             ; =>This Loop Header: Depth=1
                                        ;     Child Loop BB181_13 Depth 2
                                        ;       Child Loop BB181_14 Depth 3
                                        ;     Child Loop BB181_17 Depth 2
                                        ;       Child Loop BB181_18 Depth 3
	v_add_nc_u32_e32 v4, s21, v89
	v_or_b32_e32 v74, s21, v88
	s_mov_b32 s24, 0
	v_mad_u64_u32 v[2:3], null, v4, s13, 0
	v_mad_u64_u32 v[3:4], null, v4, s22, v[3:4]
	v_lshlrev_b64 v[4:5], 3, v[74:75]
	v_add_co_u32 v4, vcc_lo, s18, v4
	v_lshlrev_b64 v[2:3], 3, v[2:3]
	v_add_co_ci_u32_e64 v5, null, s19, v5, vcc_lo
	v_add_co_u32 v6, vcc_lo, v4, v70
	v_add_co_ci_u32_e64 v7, null, v5, v71, vcc_lo
	v_add_co_u32 v2, vcc_lo, v99, v2
	;; [unrolled: 2-line block ×3, first 2 shown]
	v_add_co_ci_u32_e64 v9, null, v5, v73, vcc_lo
	s_clause 0x1
	global_load_dwordx2 v[12:13], v[2:3], off
	global_load_dwordx2 v[14:15], v[2:3], off offset:512
	s_clause 0x1
	global_load_dwordx2 v[10:11], v[6:7], off
	global_load_dwordx2 v[16:17], v[8:9], off
.LBB181_13:                             ;   Parent Loop BB181_12 Depth=1
                                        ; =>  This Loop Header: Depth=2
                                        ;       Child Loop BB181_14 Depth 3
	s_lshl_b32 s25, s24, 3
	s_mov_b32 s26, 0
	v_add_nc_u32_e32 v18, s25, v95
	v_add_nc_u32_e32 v74, s25, v96
	s_mov_b32 s25, -1
	ds_read2_b64 v[2:5], v18 offset1:16
	ds_read2_b64 v[22:25], v18 offset0:32 offset1:48
	ds_read2_b64 v[26:29], v18 offset0:64 offset1:80
	v_add_nc_u32_e32 v19, 0x800, v18
	ds_read2_b64 v[30:33], v18 offset0:96 offset1:112
	ds_read2_b64 v[34:37], v18 offset0:128 offset1:144
	;; [unrolled: 1-line block ×5, first 2 shown]
	ds_read2_b64 v[50:53], v19 offset1:16
	ds_read2_b64 v[54:57], v19 offset0:32 offset1:48
	ds_read2_b64 v[58:61], v19 offset0:64 offset1:80
	;; [unrolled: 1-line block ×7, first 2 shown]
	s_waitcnt lgkmcnt(11)
	v_max_f64 v[34:35], v[34:35], v[34:35]
	v_max_f64 v[36:37], v[36:37], v[36:37]
	s_waitcnt lgkmcnt(10)
	v_max_f64 v[38:39], v[38:39], v[38:39]
	v_max_f64 v[40:41], v[40:41], v[40:41]
	s_waitcnt lgkmcnt(9)
	v_max_f64 v[42:43], v[42:43], v[42:43]
	v_max_f64 v[44:45], v[44:45], v[44:45]
	v_max_f64 v[18:19], v[2:3], v[2:3]
	v_max_f64 v[20:21], v[4:5], v[4:5]
	;; [unrolled: 1-line block ×8, first 2 shown]
	s_waitcnt lgkmcnt(8)
	v_max_f64 v[46:47], v[46:47], v[46:47]
	v_max_f64 v[48:49], v[48:49], v[48:49]
	s_waitcnt lgkmcnt(7)
	v_max_f64 v[50:51], v[50:51], v[50:51]
	v_max_f64 v[52:53], v[52:53], v[52:53]
	;; [unrolled: 3-line block ×9, first 2 shown]
	ds_read2st64_b64 v[2:5], v74 offset1:4
.LBB181_14:                             ;   Parent Loop BB181_12 Depth=1
                                        ;     Parent Loop BB181_13 Depth=2
                                        ; =>    This Inner Loop Header: Depth=3
	v_mov_b32_e32 v74, s26
	s_waitcnt lgkmcnt(0)
	v_max_f64 v[165:166], v[2:3], v[2:3]
	v_mov_b32_e32 v2, v4
	v_mov_b32_e32 v3, v5
	s_and_b32 vcc_lo, exec_lo, s25
	s_clause 0x3e
	buffer_load_dword v101, v74, s[0:3], 0 offen
	buffer_load_dword v102, v74, s[0:3], 0 offen offset:4
	buffer_load_dword v103, v74, s[0:3], 0 offen offset:8
	;; [unrolled: 1-line block ×63, first 2 shown]
	s_mov_b32 s25, 0
	s_mov_b32 s26, s8
	v_min_f64 v[167:168], v[18:19], v[165:166]
	v_min_f64 v[169:170], v[20:21], v[165:166]
	;; [unrolled: 1-line block ×32, first 2 shown]
	s_waitcnt vmcnt(62)
	v_add_f64 v[101:102], v[167:168], v[101:102]
	s_waitcnt vmcnt(60)
	v_add_f64 v[103:104], v[169:170], v[103:104]
	;; [unrolled: 2-line block ×32, first 2 shown]
	buffer_store_dword v101, v74, s[0:3], 0 offen
	buffer_store_dword v102, v74, s[0:3], 0 offen offset:4
	buffer_store_dword v103, v74, s[0:3], 0 offen offset:8
	;; [unrolled: 1-line block ×63, first 2 shown]
	s_cbranch_vccnz .LBB181_14
; %bb.15:                               ;   in Loop: Header=BB181_13 Depth=2
	s_add_i32 s24, s24, 1
	s_cmp_eq_u32 s24, 4
	s_cbranch_scc0 .LBB181_13
; %bb.16:                               ;   in Loop: Header=BB181_12 Depth=1
	v_add_nc_u32_e32 v4, s21, v90
	ds_write2st64_b64 v93, v[12:13], v[14:15] offset1:4
	ds_write2st64_b64 v94, v[10:11], v[16:17] offset1:4
	s_waitcnt lgkmcnt(0)
	s_waitcnt_vscnt null, 0x0
	s_barrier
	v_mad_u64_u32 v[2:3], null, v4, s13, 0
	buffer_gl0_inv
	s_mov_b32 s24, 0
	v_mad_u64_u32 v[3:4], null, v4, s22, v[3:4]
	v_lshlrev_b64 v[2:3], 3, v[2:3]
	v_add_co_u32 v2, vcc_lo, v99, v2
	v_add_co_ci_u32_e64 v3, null, v100, v3, vcc_lo
	s_clause 0x1
	global_load_dwordx2 v[76:77], v[2:3], off
	global_load_dwordx2 v[78:79], v[2:3], off offset:512
	s_clause 0x1
	global_load_dwordx2 v[80:81], v[6:7], off offset:32
	global_load_dwordx2 v[82:83], v[8:9], off offset:32
.LBB181_17:                             ;   Parent Loop BB181_12 Depth=1
                                        ; =>  This Loop Header: Depth=2
                                        ;       Child Loop BB181_18 Depth 3
	s_lshl_b32 s25, s24, 3
	s_mov_b32 s26, 0
	v_add_nc_u32_e32 v30, s25, v91
	v_add_nc_u32_e32 v66, s25, v92
	s_mov_b32 s25, -1
	ds_read2_b64 v[2:5], v30 offset1:16
	ds_read2_b64 v[6:9], v30 offset0:32 offset1:48
	ds_read2_b64 v[10:13], v30 offset0:64 offset1:80
	;; [unrolled: 1-line block ×3, first 2 shown]
	v_add_nc_u32_e32 v62, 0x800, v30
	ds_read2_b64 v[18:21], v30 offset0:128 offset1:144
	ds_read2_b64 v[22:25], v30 offset0:160 offset1:176
	;; [unrolled: 1-line block ×4, first 2 shown]
	ds_read2_b64 v[34:37], v62 offset1:16
	ds_read2_b64 v[38:41], v62 offset0:32 offset1:48
	ds_read2_b64 v[42:45], v62 offset0:64 offset1:80
	ds_read2_b64 v[46:49], v62 offset0:96 offset1:112
	ds_read2_b64 v[50:53], v62 offset0:128 offset1:144
	ds_read2_b64 v[54:57], v62 offset0:160 offset1:176
	ds_read2_b64 v[58:61], v62 offset0:192 offset1:208
	ds_read2_b64 v[62:65], v62 offset0:224 offset1:240
	ds_read2st64_b64 v[66:69], v66 offset1:4
.LBB181_18:                             ;   Parent Loop BB181_12 Depth=1
                                        ;     Parent Loop BB181_17 Depth=2
                                        ; =>    This Inner Loop Header: Depth=3
	v_mov_b32_e32 v74, s26
	s_waitcnt lgkmcnt(16)
	v_max_f64 v[161:162], v[2:3], v[2:3]
	s_waitcnt lgkmcnt(0)
	v_max_f64 v[163:164], v[66:67], v[66:67]
	v_max_f64 v[165:166], v[4:5], v[4:5]
	;; [unrolled: 1-line block ×3, first 2 shown]
	s_clause 0x3e
	buffer_load_dword v84, v74, s[0:3], 0 offen
	buffer_load_dword v85, v74, s[0:3], 0 offen offset:4
	buffer_load_dword v86, v74, s[0:3], 0 offen offset:8
	;; [unrolled: 1-line block ×63, first 2 shown]
	v_max_f64 v[169:170], v[8:9], v[8:9]
	v_max_f64 v[171:172], v[10:11], v[10:11]
	;; [unrolled: 1-line block ×29, first 2 shown]
	v_min_f64 v[161:162], v[161:162], v[163:164]
	v_min_f64 v[165:166], v[165:166], v[163:164]
	;; [unrolled: 1-line block ×32, first 2 shown]
	v_mov_b32_e32 v66, v68
	v_mov_b32_e32 v67, v69
	s_and_b32 vcc_lo, exec_lo, s25
	s_mov_b32 s25, 0
	s_mov_b32 s26, s8
	s_waitcnt vmcnt(62)
	v_add_f64 v[84:85], v[161:162], v[84:85]
	s_waitcnt vmcnt(60)
	v_add_f64 v[86:87], v[165:166], v[86:87]
	;; [unrolled: 2-line block ×32, first 2 shown]
	buffer_store_dword v84, v74, s[0:3], 0 offen
	buffer_store_dword v85, v74, s[0:3], 0 offen offset:4
	buffer_store_dword v86, v74, s[0:3], 0 offen offset:8
	;; [unrolled: 1-line block ×63, first 2 shown]
	s_cbranch_vccnz .LBB181_18
; %bb.19:                               ;   in Loop: Header=BB181_17 Depth=2
	s_add_i32 s24, s24, 1
	s_cmp_eq_u32 s24, 4
	s_cbranch_scc0 .LBB181_17
; %bb.20:                               ;   in Loop: Header=BB181_12 Depth=1
	s_add_i32 s23, s23, 8
	s_add_i32 s21, s21, 8
	s_cmp_ge_i32 s23, s20
	ds_write2st64_b64 v97, v[76:77], v[78:79] offset1:4
	ds_write2st64_b64 v98, v[80:81], v[82:83] offset1:4
	s_waitcnt lgkmcnt(0)
	s_waitcnt_vscnt null, 0x0
	s_barrier
	buffer_gl0_inv
	s_cbranch_scc0 .LBB181_12
.LBB181_21:
	s_mov_b32 s13, 0
.LBB181_22:                             ; =>This Loop Header: Depth=1
                                        ;     Child Loop BB181_23 Depth 2
	s_lshl_b32 s18, s13, 3
	s_mov_b32 s19, 0
	v_add_nc_u32_e32 v6, s18, v95
	v_add_nc_u32_e32 v70, s18, v96
	s_mov_b32 s18, -1
	ds_read2_b64 v[2:5], v6 offset1:16
	ds_read2_b64 v[10:13], v6 offset0:32 offset1:48
	ds_read2_b64 v[14:17], v6 offset0:64 offset1:80
	v_add_nc_u32_e32 v7, 0x800, v6
	ds_read2_b64 v[18:21], v6 offset0:96 offset1:112
	ds_read2_b64 v[22:25], v6 offset0:128 offset1:144
	;; [unrolled: 1-line block ×5, first 2 shown]
	ds_read2_b64 v[38:41], v7 offset1:16
	ds_read2_b64 v[42:45], v7 offset0:32 offset1:48
	ds_read2_b64 v[46:49], v7 offset0:64 offset1:80
	;; [unrolled: 1-line block ×7, first 2 shown]
	s_waitcnt lgkmcnt(11)
	v_max_f64 v[22:23], v[22:23], v[22:23]
	v_max_f64 v[24:25], v[24:25], v[24:25]
	s_waitcnt lgkmcnt(10)
	v_max_f64 v[26:27], v[26:27], v[26:27]
	v_max_f64 v[28:29], v[28:29], v[28:29]
	;; [unrolled: 3-line block ×3, first 2 shown]
	v_max_f64 v[6:7], v[2:3], v[2:3]
	v_max_f64 v[8:9], v[4:5], v[4:5]
	;; [unrolled: 1-line block ×8, first 2 shown]
	s_waitcnt lgkmcnt(8)
	v_max_f64 v[34:35], v[34:35], v[34:35]
	v_max_f64 v[36:37], v[36:37], v[36:37]
	s_waitcnt lgkmcnt(7)
	v_max_f64 v[38:39], v[38:39], v[38:39]
	v_max_f64 v[40:41], v[40:41], v[40:41]
	;; [unrolled: 3-line block ×9, first 2 shown]
	ds_read2st64_b64 v[2:5], v70 offset1:4
.LBB181_23:                             ;   Parent Loop BB181_22 Depth=1
                                        ; =>  This Inner Loop Header: Depth=2
	v_mov_b32_e32 v94, s19
	s_waitcnt lgkmcnt(0)
	v_max_f64 v[137:138], v[2:3], v[2:3]
	v_mov_b32_e32 v2, v4
	v_mov_b32_e32 v3, v5
	s_and_b32 vcc_lo, exec_lo, s18
	s_clause 0x3e
	buffer_load_dword v70, v94, s[0:3], 0 offen
	buffer_load_dword v71, v94, s[0:3], 0 offen offset:4
	buffer_load_dword v72, v94, s[0:3], 0 offen offset:8
	;; [unrolled: 1-line block ×63, first 2 shown]
	s_mov_b32 s18, 0
	s_mov_b32 s19, s8
	v_min_f64 v[139:140], v[6:7], v[137:138]
	v_min_f64 v[141:142], v[8:9], v[137:138]
	;; [unrolled: 1-line block ×32, first 2 shown]
	s_waitcnt vmcnt(62)
	v_add_f64 v[70:71], v[139:140], v[70:71]
	s_waitcnt vmcnt(60)
	v_add_f64 v[72:73], v[141:142], v[72:73]
	;; [unrolled: 2-line block ×32, first 2 shown]
	buffer_store_dword v70, v94, s[0:3], 0 offen
	buffer_store_dword v71, v94, s[0:3], 0 offen offset:4
	buffer_store_dword v72, v94, s[0:3], 0 offen offset:8
	;; [unrolled: 1-line block ×63, first 2 shown]
	s_cbranch_vccnz .LBB181_23
; %bb.24:                               ;   in Loop: Header=BB181_22 Depth=1
	s_add_i32 s13, s13, 1
	s_cmp_eq_u32 s13, 4
	s_cbranch_scc0 .LBB181_22
; %bb.25:
	s_clause 0x1
	buffer_load_dword v2, off, s[0:3], 0
	buffer_load_dword v3, off, s[0:3], 0 offset:4
	s_load_dword s8, s[4:5], 0x58
	v_add_nc_u32_e32 v71, s9, v1
	v_add_nc_u32_e32 v12, s6, v0
	v_cndmask_b32_e64 v0, 0, 1, s12
	v_mov_b32_e32 v8, 0
	v_mov_b32_e32 v9, 0
	v_ashrrev_i32_e32 v13, 31, v12
	v_cmp_ne_u32_e64 s6, 1, v0
	v_lshlrev_b64 v[0:1], 3, v[12:13]
	s_waitcnt lgkmcnt(0)
	v_mad_i64_i32 v[4:5], null, v71, s8, 0
	v_lshlrev_b64 v[6:7], 3, v[4:5]
	v_mov_b32_e32 v4, 0
	v_mov_b32_e32 v5, 0
	v_add_co_u32 v72, vcc_lo, s16, v6
	v_add_co_ci_u32_e64 v73, null, s17, v7, vcc_lo
	s_andn2_b32 vcc_lo, exec_lo, s12
	s_cbranch_vccnz .LBB181_27
; %bb.26:
	v_add_co_u32 v6, vcc_lo, v72, v0
	v_add_co_ci_u32_e64 v7, null, v73, v1, vcc_lo
	global_load_dwordx2 v[6:7], v[6:7], off
	s_waitcnt vmcnt(0)
	v_mul_f64 v[8:9], s[10:11], v[6:7]
.LBB181_27:
	s_clause 0x1
	buffer_load_dword v6, off, s[0:3], 0 offset:8
	buffer_load_dword v7, off, s[0:3], 0 offset:12
	s_clause 0x1
	s_load_dwordx2 s[12:13], s[4:5], 0x78
	s_load_dword s4, s[4:5], 0x70
	s_waitcnt vmcnt(2)
	v_add_f64 v[8:9], v[2:3], v[8:9]
	s_waitcnt lgkmcnt(0)
	s_mul_i32 s5, s13, s7
	v_mad_i64_i32 v[10:11], null, v71, s4, 0
	s_mul_hi_u32 s9, s12, s7
	s_mul_i32 s12, s12, s7
	s_add_i32 s13, s9, s5
	s_lshl_b64 s[12:13], s[12:13], 3
	v_lshlrev_b64 v[2:3], 3, v[10:11]
	v_add_nc_u32_e32 v10, 4, v12
	s_add_u32 s5, s14, s12
	s_addc_u32 s7, s15, s13
	v_ashrrev_i32_e32 v11, 31, v10
	v_add_co_u32 v74, vcc_lo, s5, v2
	v_add_co_ci_u32_e64 v75, null, s7, v3, vcc_lo
	v_lshlrev_b64 v[2:3], 3, v[10:11]
	v_add_co_u32 v13, vcc_lo, v74, v0
	v_add_co_ci_u32_e64 v14, null, v75, v1, vcc_lo
	s_and_b32 vcc_lo, exec_lo, s6
	global_store_dwordx2 v[13:14], v[8:9], off
	s_cbranch_vccnz .LBB181_29
; %bb.28:
	v_add_co_u32 v4, vcc_lo, v72, v2
	v_add_co_ci_u32_e64 v5, null, v73, v3, vcc_lo
	global_load_dwordx2 v[4:5], v[4:5], off
	s_waitcnt vmcnt(0)
	v_mul_f64 v[4:5], s[10:11], v[4:5]
.LBB181_29:
	s_clause 0x1
	buffer_load_dword v10, off, s[0:3], 0 offset:16
	buffer_load_dword v11, off, s[0:3], 0 offset:20
	s_waitcnt vmcnt(2)
	v_add_f64 v[13:14], v[6:7], v[4:5]
	v_add_nc_u32_e32 v4, 8, v12
	v_add_co_u32 v15, vcc_lo, v74, v2
	v_mov_b32_e32 v8, 0
	v_mov_b32_e32 v6, 0
	v_ashrrev_i32_e32 v5, 31, v4
	v_add_co_ci_u32_e64 v16, null, v75, v3, vcc_lo
	v_mov_b32_e32 v9, 0
	v_mov_b32_e32 v7, 0
	v_lshlrev_b64 v[4:5], 3, v[4:5]
	s_and_b32 vcc_lo, exec_lo, s6
	global_store_dwordx2 v[15:16], v[13:14], off
	s_cbranch_vccnz .LBB181_31
; %bb.30:
	v_add_co_u32 v6, vcc_lo, v72, v4
	v_add_co_ci_u32_e64 v7, null, v73, v5, vcc_lo
	global_load_dwordx2 v[6:7], v[6:7], off
	s_waitcnt vmcnt(0)
	v_mul_f64 v[6:7], s[10:11], v[6:7]
.LBB181_31:
	s_clause 0x1
	buffer_load_dword v13, off, s[0:3], 0 offset:24
	buffer_load_dword v14, off, s[0:3], 0 offset:28
	s_waitcnt vmcnt(2)
	v_add_f64 v[10:11], v[10:11], v[6:7]
	v_add_nc_u32_e32 v6, 12, v12
	v_add_co_u32 v15, vcc_lo, v74, v4
	v_add_co_ci_u32_e64 v16, null, v75, v5, vcc_lo
	v_ashrrev_i32_e32 v7, 31, v6
	s_and_b32 vcc_lo, exec_lo, s6
	v_lshlrev_b64 v[6:7], 3, v[6:7]
	global_store_dwordx2 v[15:16], v[10:11], off
	s_cbranch_vccnz .LBB181_33
; %bb.32:
	v_add_co_u32 v8, vcc_lo, v72, v6
	v_add_co_ci_u32_e64 v9, null, v73, v7, vcc_lo
	global_load_dwordx2 v[8:9], v[8:9], off
	s_waitcnt vmcnt(0)
	v_mul_f64 v[8:9], s[10:11], v[8:9]
.LBB181_33:
	s_clause 0x1
	buffer_load_dword v10, off, s[0:3], 0 offset:32
	buffer_load_dword v11, off, s[0:3], 0 offset:36
	s_waitcnt vmcnt(2)
	v_add_f64 v[17:18], v[13:14], v[8:9]
	v_add_nc_u32_e32 v8, 16, v12
	v_add_co_u32 v19, vcc_lo, v74, v6
	v_mov_b32_e32 v13, 0
	v_mov_b32_e32 v15, 0
	v_ashrrev_i32_e32 v9, 31, v8
	v_add_co_ci_u32_e64 v20, null, v75, v7, vcc_lo
	v_mov_b32_e32 v14, 0
	v_mov_b32_e32 v16, 0
	v_lshlrev_b64 v[8:9], 3, v[8:9]
	s_and_b32 vcc_lo, exec_lo, s6
	global_store_dwordx2 v[19:20], v[17:18], off
	s_cbranch_vccnz .LBB181_35
; %bb.34:
	v_add_co_u32 v15, vcc_lo, v72, v8
	v_add_co_ci_u32_e64 v16, null, v73, v9, vcc_lo
	global_load_dwordx2 v[15:16], v[15:16], off
	s_waitcnt vmcnt(0)
	v_mul_f64 v[15:16], s[10:11], v[15:16]
.LBB181_35:
	s_clause 0x1
	buffer_load_dword v17, off, s[0:3], 0 offset:40
	buffer_load_dword v18, off, s[0:3], 0 offset:44
	s_waitcnt vmcnt(2)
	v_add_f64 v[15:16], v[10:11], v[15:16]
	v_add_nc_u32_e32 v10, 20, v12
	v_add_co_u32 v19, vcc_lo, v74, v8
	v_add_co_ci_u32_e64 v20, null, v75, v9, vcc_lo
	v_ashrrev_i32_e32 v11, 31, v10
	s_and_b32 vcc_lo, exec_lo, s6
	v_lshlrev_b64 v[10:11], 3, v[10:11]
	;; [unrolled: 44-line block ×15, first 2 shown]
	global_store_dwordx2 v[76:77], v[67:68], off
	s_cbranch_vccnz .LBB181_89
; %bb.88:
	v_add_co_u32 v65, vcc_lo, v72, v63
	v_add_co_ci_u32_e64 v66, null, v73, v64, vcc_lo
	global_load_dwordx2 v[65:66], v[65:66], off
	s_waitcnt vmcnt(0)
	v_mul_f64 v[65:66], s[10:11], v[65:66]
.LBB181_89:
	s_clause 0x1
	buffer_load_dword v67, off, s[0:3], 0 offset:256
	buffer_load_dword v68, off, s[0:3], 0 offset:260
	v_add_nc_u32_e32 v76, 64, v71
	s_waitcnt vmcnt(2)
	v_add_f64 v[69:70], v[69:70], v[65:66]
	v_add_co_u32 v74, vcc_lo, v74, v63
	v_add_co_ci_u32_e64 v75, null, v75, v64, vcc_lo
	v_mad_i64_i32 v[65:66], null, v76, s8, 0
	v_mov_b32_e32 v71, 0
	v_mov_b32_e32 v72, 0
	v_lshlrev_b64 v[77:78], 3, v[65:66]
	v_mov_b32_e32 v65, 0
	v_mov_b32_e32 v66, 0
	v_add_co_u32 v12, vcc_lo, s16, v77
	v_add_co_ci_u32_e64 v73, null, s17, v78, vcc_lo
	s_and_b32 vcc_lo, exec_lo, s6
	global_store_dwordx2 v[74:75], v[69:70], off
	s_cbranch_vccnz .LBB181_91
; %bb.90:
	v_add_co_u32 v69, vcc_lo, v12, v0
	v_add_co_ci_u32_e64 v70, null, v73, v1, vcc_lo
	global_load_dwordx2 v[69:70], v[69:70], off
	s_waitcnt vmcnt(0)
	v_mul_f64 v[71:72], s[10:11], v[69:70]
.LBB181_91:
	s_clause 0x1
	buffer_load_dword v69, off, s[0:3], 0 offset:264
	buffer_load_dword v70, off, s[0:3], 0 offset:268
	v_mad_i64_i32 v[74:75], null, v76, s4, 0
	s_waitcnt vmcnt(2)
	v_add_f64 v[67:68], v[67:68], v[71:72]
	v_lshlrev_b64 v[71:72], 3, v[74:75]
	v_add_co_u32 v71, vcc_lo, s5, v71
	v_add_co_ci_u32_e64 v72, null, s7, v72, vcc_lo
	v_add_co_u32 v0, vcc_lo, v71, v0
	v_add_co_ci_u32_e64 v1, null, v72, v1, vcc_lo
	s_and_b32 vcc_lo, exec_lo, s6
	global_store_dwordx2 v[0:1], v[67:68], off
	s_cbranch_vccnz .LBB181_93
; %bb.92:
	v_add_co_u32 v0, vcc_lo, v12, v2
	v_add_co_ci_u32_e64 v1, null, v73, v3, vcc_lo
	global_load_dwordx2 v[0:1], v[0:1], off
	s_waitcnt vmcnt(0)
	v_mul_f64 v[65:66], s[10:11], v[0:1]
.LBB181_93:
	s_clause 0x1
	buffer_load_dword v67, off, s[0:3], 0 offset:272
	buffer_load_dword v68, off, s[0:3], 0 offset:276
	s_waitcnt vmcnt(2)
	v_add_f64 v[65:66], v[69:70], v[65:66]
	v_add_co_u32 v69, vcc_lo, v71, v2
	v_add_co_ci_u32_e64 v70, null, v72, v3, vcc_lo
	v_mov_b32_e32 v0, 0
	v_mov_b32_e32 v2, 0
	;; [unrolled: 1-line block ×4, first 2 shown]
	s_and_b32 vcc_lo, exec_lo, s6
	global_store_dwordx2 v[69:70], v[65:66], off
	s_cbranch_vccnz .LBB181_95
; %bb.94:
	v_add_co_u32 v2, vcc_lo, v12, v4
	v_add_co_ci_u32_e64 v3, null, v73, v5, vcc_lo
	global_load_dwordx2 v[2:3], v[2:3], off
	s_waitcnt vmcnt(0)
	v_mul_f64 v[2:3], s[10:11], v[2:3]
.LBB181_95:
	s_clause 0x1
	buffer_load_dword v65, off, s[0:3], 0 offset:280
	buffer_load_dword v66, off, s[0:3], 0 offset:284
	s_waitcnt vmcnt(2)
	v_add_f64 v[2:3], v[67:68], v[2:3]
	v_add_co_u32 v4, vcc_lo, v71, v4
	v_add_co_ci_u32_e64 v5, null, v72, v5, vcc_lo
	s_and_b32 vcc_lo, exec_lo, s6
	global_store_dwordx2 v[4:5], v[2:3], off
	s_cbranch_vccnz .LBB181_97
; %bb.96:
	v_add_co_u32 v0, vcc_lo, v12, v6
	v_add_co_ci_u32_e64 v1, null, v73, v7, vcc_lo
	global_load_dwordx2 v[0:1], v[0:1], off
	s_waitcnt vmcnt(0)
	v_mul_f64 v[0:1], s[10:11], v[0:1]
.LBB181_97:
	s_clause 0x1
	buffer_load_dword v2, off, s[0:3], 0 offset:288
	buffer_load_dword v3, off, s[0:3], 0 offset:292
	s_waitcnt vmcnt(2)
	v_add_f64 v[4:5], v[65:66], v[0:1]
	v_add_co_u32 v65, vcc_lo, v71, v6
	v_add_co_ci_u32_e64 v66, null, v72, v7, vcc_lo
	v_mov_b32_e32 v0, 0
	v_mov_b32_e32 v6, 0
	;; [unrolled: 1-line block ×4, first 2 shown]
	s_and_b32 vcc_lo, exec_lo, s6
	global_store_dwordx2 v[65:66], v[4:5], off
	s_cbranch_vccnz .LBB181_99
; %bb.98:
	v_add_co_u32 v4, vcc_lo, v12, v8
	v_add_co_ci_u32_e64 v5, null, v73, v9, vcc_lo
	global_load_dwordx2 v[4:5], v[4:5], off
	s_waitcnt vmcnt(0)
	v_mul_f64 v[6:7], s[10:11], v[4:5]
.LBB181_99:
	s_clause 0x1
	buffer_load_dword v4, off, s[0:3], 0 offset:296
	buffer_load_dword v5, off, s[0:3], 0 offset:300
	s_waitcnt vmcnt(2)
	v_add_f64 v[2:3], v[2:3], v[6:7]
	v_add_co_u32 v6, vcc_lo, v71, v8
	v_add_co_ci_u32_e64 v7, null, v72, v9, vcc_lo
	s_and_b32 vcc_lo, exec_lo, s6
	global_store_dwordx2 v[6:7], v[2:3], off
	s_cbranch_vccnz .LBB181_101
; %bb.100:
	v_add_co_u32 v0, vcc_lo, v12, v10
	v_add_co_ci_u32_e64 v1, null, v73, v11, vcc_lo
	global_load_dwordx2 v[0:1], v[0:1], off
	s_waitcnt vmcnt(0)
	v_mul_f64 v[0:1], s[10:11], v[0:1]
.LBB181_101:
	s_clause 0x1
	buffer_load_dword v2, off, s[0:3], 0 offset:304
	buffer_load_dword v3, off, s[0:3], 0 offset:308
	s_waitcnt vmcnt(2)
	v_add_f64 v[4:5], v[4:5], v[0:1]
	v_add_co_u32 v8, vcc_lo, v71, v10
	v_mov_b32_e32 v0, 0
	v_mov_b32_e32 v6, 0
	v_add_co_ci_u32_e64 v9, null, v72, v11, vcc_lo
	v_mov_b32_e32 v1, 0
	v_mov_b32_e32 v7, 0
	s_and_b32 vcc_lo, exec_lo, s6
	global_store_dwordx2 v[8:9], v[4:5], off
	s_cbranch_vccnz .LBB181_103
; %bb.102:
	v_add_co_u32 v4, vcc_lo, v12, v13
	v_add_co_ci_u32_e64 v5, null, v73, v14, vcc_lo
	global_load_dwordx2 v[4:5], v[4:5], off
	s_waitcnt vmcnt(0)
	v_mul_f64 v[6:7], s[10:11], v[4:5]
.LBB181_103:
	s_clause 0x1
	buffer_load_dword v4, off, s[0:3], 0 offset:312
	buffer_load_dword v5, off, s[0:3], 0 offset:316
	s_waitcnt vmcnt(2)
	v_add_f64 v[2:3], v[2:3], v[6:7]
	v_add_co_u32 v6, vcc_lo, v71, v13
	v_add_co_ci_u32_e64 v7, null, v72, v14, vcc_lo
	s_and_b32 vcc_lo, exec_lo, s6
	global_store_dwordx2 v[6:7], v[2:3], off
	s_cbranch_vccnz .LBB181_105
; %bb.104:
	v_add_co_u32 v0, vcc_lo, v12, v15
	v_add_co_ci_u32_e64 v1, null, v73, v16, vcc_lo
	global_load_dwordx2 v[0:1], v[0:1], off
	s_waitcnt vmcnt(0)
	v_mul_f64 v[0:1], s[10:11], v[0:1]
.LBB181_105:
	s_clause 0x1
	buffer_load_dword v2, off, s[0:3], 0 offset:320
	buffer_load_dword v3, off, s[0:3], 0 offset:324
	s_waitcnt vmcnt(2)
	v_add_f64 v[4:5], v[4:5], v[0:1]
	v_add_co_u32 v8, vcc_lo, v71, v15
	v_mov_b32_e32 v0, 0
	v_mov_b32_e32 v6, 0
	v_add_co_ci_u32_e64 v9, null, v72, v16, vcc_lo
	v_mov_b32_e32 v1, 0
	v_mov_b32_e32 v7, 0
	;; [unrolled: 38-line block ×13, first 2 shown]
	s_and_b32 vcc_lo, exec_lo, s6
	global_store_dwordx2 v[8:9], v[4:5], off
	s_cbranch_vccnz .LBB181_151
; %bb.150:
	v_add_co_u32 v4, vcc_lo, v12, v61
	v_add_co_ci_u32_e64 v5, null, v73, v62, vcc_lo
	global_load_dwordx2 v[4:5], v[4:5], off
	s_waitcnt vmcnt(0)
	v_mul_f64 v[6:7], s[10:11], v[4:5]
.LBB181_151:
	s_clause 0x1
	buffer_load_dword v4, off, s[0:3], 0 offset:504
	buffer_load_dword v5, off, s[0:3], 0 offset:508
	s_waitcnt vmcnt(2)
	v_add_f64 v[2:3], v[2:3], v[6:7]
	v_add_co_u32 v6, vcc_lo, v71, v61
	v_add_co_ci_u32_e64 v7, null, v72, v62, vcc_lo
	s_and_b32 vcc_lo, exec_lo, s6
	global_store_dwordx2 v[6:7], v[2:3], off
	s_cbranch_vccnz .LBB181_153
; %bb.152:
	v_add_co_u32 v0, vcc_lo, v12, v63
	v_add_co_ci_u32_e64 v1, null, v73, v64, vcc_lo
	global_load_dwordx2 v[0:1], v[0:1], off
	s_waitcnt vmcnt(0)
	v_mul_f64 v[0:1], s[10:11], v[0:1]
.LBB181_153:
	s_waitcnt vmcnt(0)
	v_add_f64 v[0:1], v[4:5], v[0:1]
	v_add_co_u32 v2, vcc_lo, v71, v63
	v_add_co_ci_u32_e64 v3, null, v72, v64, vcc_lo
	global_store_dwordx2 v[2:3], v[0:1], off
	s_endpgm
.LBB181_154:
	s_mov_b64 s[16:17], 0
	s_mov_b64 s[18:19], 0
	s_cbranch_execnz .LBB181_4
.LBB181_155:
	s_waitcnt lgkmcnt(0)
	s_mul_i32 s9, s9, s7
	s_mul_hi_u32 s12, s8, s7
	s_mul_i32 s8, s8, s7
	s_add_i32 s9, s12, s9
	s_lshl_b64 s[8:9], s[8:9], 3
	s_add_u32 s18, s14, s8
	s_addc_u32 s19, s15, s9
	v_cmp_eq_f64_e64 s8, s[10:11], 0
	s_load_dwordx4 s[12:15], s[4:5], 0x60
	s_and_b32 vcc_lo, exec_lo, s8
	s_cbranch_vccz .LBB181_5
	s_branch .LBB181_6
	.section	.rodata,"a",@progbits
	.p2align	6, 0x0
	.amdhsa_kernel _ZN12_GLOBAL__N_120geam_min_plus_kernelIdddLi4ELi64ELi128ELi128ELi4ELi64ELi4ELi4ELi64ELc78ELc78ELb1ELb0ELb0EdKddEEviiiT16_PT17_ilS4_ilS2_S4_ilPT18_ili26rocblas_geam_ex_operation_
		.amdhsa_group_segment_fixed_size 16384
		.amdhsa_private_segment_fixed_size 528
		.amdhsa_kernarg_size 136
		.amdhsa_user_sgpr_count 6
		.amdhsa_user_sgpr_private_segment_buffer 1
		.amdhsa_user_sgpr_dispatch_ptr 0
		.amdhsa_user_sgpr_queue_ptr 0
		.amdhsa_user_sgpr_kernarg_segment_ptr 1
		.amdhsa_user_sgpr_dispatch_id 0
		.amdhsa_user_sgpr_flat_scratch_init 0
		.amdhsa_user_sgpr_private_segment_size 0
		.amdhsa_wavefront_size32 1
		.amdhsa_uses_dynamic_stack 0
		.amdhsa_system_sgpr_private_segment_wavefront_offset 1
		.amdhsa_system_sgpr_workgroup_id_x 1
		.amdhsa_system_sgpr_workgroup_id_y 0
		.amdhsa_system_sgpr_workgroup_id_z 1
		.amdhsa_system_sgpr_workgroup_info 0
		.amdhsa_system_vgpr_workitem_id 1
		.amdhsa_next_free_vgpr 229
		.amdhsa_next_free_sgpr 27
		.amdhsa_reserve_vcc 1
		.amdhsa_reserve_flat_scratch 0
		.amdhsa_float_round_mode_32 0
		.amdhsa_float_round_mode_16_64 0
		.amdhsa_float_denorm_mode_32 3
		.amdhsa_float_denorm_mode_16_64 3
		.amdhsa_dx10_clamp 1
		.amdhsa_ieee_mode 1
		.amdhsa_fp16_overflow 0
		.amdhsa_workgroup_processor_mode 1
		.amdhsa_memory_ordered 1
		.amdhsa_forward_progress 1
		.amdhsa_shared_vgpr_count 0
		.amdhsa_exception_fp_ieee_invalid_op 0
		.amdhsa_exception_fp_denorm_src 0
		.amdhsa_exception_fp_ieee_div_zero 0
		.amdhsa_exception_fp_ieee_overflow 0
		.amdhsa_exception_fp_ieee_underflow 0
		.amdhsa_exception_fp_ieee_inexact 0
		.amdhsa_exception_int_div_zero 0
	.end_amdhsa_kernel
	.section	.text._ZN12_GLOBAL__N_120geam_min_plus_kernelIdddLi4ELi64ELi128ELi128ELi4ELi64ELi4ELi4ELi64ELc78ELc78ELb1ELb0ELb0EdKddEEviiiT16_PT17_ilS4_ilS2_S4_ilPT18_ili26rocblas_geam_ex_operation_,"axG",@progbits,_ZN12_GLOBAL__N_120geam_min_plus_kernelIdddLi4ELi64ELi128ELi128ELi4ELi64ELi4ELi4ELi64ELc78ELc78ELb1ELb0ELb0EdKddEEviiiT16_PT17_ilS4_ilS2_S4_ilPT18_ili26rocblas_geam_ex_operation_,comdat
.Lfunc_end181:
	.size	_ZN12_GLOBAL__N_120geam_min_plus_kernelIdddLi4ELi64ELi128ELi128ELi4ELi64ELi4ELi4ELi64ELc78ELc78ELb1ELb0ELb0EdKddEEviiiT16_PT17_ilS4_ilS2_S4_ilPT18_ili26rocblas_geam_ex_operation_, .Lfunc_end181-_ZN12_GLOBAL__N_120geam_min_plus_kernelIdddLi4ELi64ELi128ELi128ELi4ELi64ELi4ELi4ELi64ELc78ELc78ELb1ELb0ELb0EdKddEEviiiT16_PT17_ilS4_ilS2_S4_ilPT18_ili26rocblas_geam_ex_operation_
                                        ; -- End function
	.set _ZN12_GLOBAL__N_120geam_min_plus_kernelIdddLi4ELi64ELi128ELi128ELi4ELi64ELi4ELi4ELi64ELc78ELc78ELb1ELb0ELb0EdKddEEviiiT16_PT17_ilS4_ilS2_S4_ilPT18_ili26rocblas_geam_ex_operation_.num_vgpr, 229
	.set _ZN12_GLOBAL__N_120geam_min_plus_kernelIdddLi4ELi64ELi128ELi128ELi4ELi64ELi4ELi4ELi64ELc78ELc78ELb1ELb0ELb0EdKddEEviiiT16_PT17_ilS4_ilS2_S4_ilPT18_ili26rocblas_geam_ex_operation_.num_agpr, 0
	.set _ZN12_GLOBAL__N_120geam_min_plus_kernelIdddLi4ELi64ELi128ELi128ELi4ELi64ELi4ELi4ELi64ELc78ELc78ELb1ELb0ELb0EdKddEEviiiT16_PT17_ilS4_ilS2_S4_ilPT18_ili26rocblas_geam_ex_operation_.numbered_sgpr, 27
	.set _ZN12_GLOBAL__N_120geam_min_plus_kernelIdddLi4ELi64ELi128ELi128ELi4ELi64ELi4ELi4ELi64ELc78ELc78ELb1ELb0ELb0EdKddEEviiiT16_PT17_ilS4_ilS2_S4_ilPT18_ili26rocblas_geam_ex_operation_.num_named_barrier, 0
	.set _ZN12_GLOBAL__N_120geam_min_plus_kernelIdddLi4ELi64ELi128ELi128ELi4ELi64ELi4ELi4ELi64ELc78ELc78ELb1ELb0ELb0EdKddEEviiiT16_PT17_ilS4_ilS2_S4_ilPT18_ili26rocblas_geam_ex_operation_.private_seg_size, 528
	.set _ZN12_GLOBAL__N_120geam_min_plus_kernelIdddLi4ELi64ELi128ELi128ELi4ELi64ELi4ELi4ELi64ELc78ELc78ELb1ELb0ELb0EdKddEEviiiT16_PT17_ilS4_ilS2_S4_ilPT18_ili26rocblas_geam_ex_operation_.uses_vcc, 1
	.set _ZN12_GLOBAL__N_120geam_min_plus_kernelIdddLi4ELi64ELi128ELi128ELi4ELi64ELi4ELi4ELi64ELc78ELc78ELb1ELb0ELb0EdKddEEviiiT16_PT17_ilS4_ilS2_S4_ilPT18_ili26rocblas_geam_ex_operation_.uses_flat_scratch, 0
	.set _ZN12_GLOBAL__N_120geam_min_plus_kernelIdddLi4ELi64ELi128ELi128ELi4ELi64ELi4ELi4ELi64ELc78ELc78ELb1ELb0ELb0EdKddEEviiiT16_PT17_ilS4_ilS2_S4_ilPT18_ili26rocblas_geam_ex_operation_.has_dyn_sized_stack, 0
	.set _ZN12_GLOBAL__N_120geam_min_plus_kernelIdddLi4ELi64ELi128ELi128ELi4ELi64ELi4ELi4ELi64ELc78ELc78ELb1ELb0ELb0EdKddEEviiiT16_PT17_ilS4_ilS2_S4_ilPT18_ili26rocblas_geam_ex_operation_.has_recursion, 0
	.set _ZN12_GLOBAL__N_120geam_min_plus_kernelIdddLi4ELi64ELi128ELi128ELi4ELi64ELi4ELi4ELi64ELc78ELc78ELb1ELb0ELb0EdKddEEviiiT16_PT17_ilS4_ilS2_S4_ilPT18_ili26rocblas_geam_ex_operation_.has_indirect_call, 0
	.section	.AMDGPU.csdata,"",@progbits
; Kernel info:
; codeLenInByte = 18744
; TotalNumSgprs: 29
; NumVgprs: 229
; ScratchSize: 528
; MemoryBound: 1
; FloatMode: 240
; IeeeMode: 1
; LDSByteSize: 16384 bytes/workgroup (compile time only)
; SGPRBlocks: 0
; VGPRBlocks: 28
; NumSGPRsForWavesPerEU: 29
; NumVGPRsForWavesPerEU: 229
; Occupancy: 4
; WaveLimiterHint : 1
; COMPUTE_PGM_RSRC2:SCRATCH_EN: 1
; COMPUTE_PGM_RSRC2:USER_SGPR: 6
; COMPUTE_PGM_RSRC2:TRAP_HANDLER: 0
; COMPUTE_PGM_RSRC2:TGID_X_EN: 1
; COMPUTE_PGM_RSRC2:TGID_Y_EN: 0
; COMPUTE_PGM_RSRC2:TGID_Z_EN: 1
; COMPUTE_PGM_RSRC2:TIDIG_COMP_CNT: 1
	.section	.text._ZN12_GLOBAL__N_120geam_min_plus_kernelIdddLi4ELi64ELi128ELi128ELi4ELi64ELi4ELi4ELi64ELc78ELc78ELb0ELb0ELb0EdKddEEviiiT16_PT17_ilS4_ilS2_S4_ilPT18_ili26rocblas_geam_ex_operation_,"axG",@progbits,_ZN12_GLOBAL__N_120geam_min_plus_kernelIdddLi4ELi64ELi128ELi128ELi4ELi64ELi4ELi4ELi64ELc78ELc78ELb0ELb0ELb0EdKddEEviiiT16_PT17_ilS4_ilS2_S4_ilPT18_ili26rocblas_geam_ex_operation_,comdat
	.globl	_ZN12_GLOBAL__N_120geam_min_plus_kernelIdddLi4ELi64ELi128ELi128ELi4ELi64ELi4ELi4ELi64ELc78ELc78ELb0ELb0ELb0EdKddEEviiiT16_PT17_ilS4_ilS2_S4_ilPT18_ili26rocblas_geam_ex_operation_ ; -- Begin function _ZN12_GLOBAL__N_120geam_min_plus_kernelIdddLi4ELi64ELi128ELi128ELi4ELi64ELi4ELi4ELi64ELc78ELc78ELb0ELb0ELb0EdKddEEviiiT16_PT17_ilS4_ilS2_S4_ilPT18_ili26rocblas_geam_ex_operation_
	.p2align	8
	.type	_ZN12_GLOBAL__N_120geam_min_plus_kernelIdddLi4ELi64ELi128ELi128ELi4ELi64ELi4ELi4ELi64ELc78ELc78ELb0ELb0ELb0EdKddEEviiiT16_PT17_ilS4_ilS2_S4_ilPT18_ili26rocblas_geam_ex_operation_,@function
_ZN12_GLOBAL__N_120geam_min_plus_kernelIdddLi4ELi64ELi128ELi128ELi4ELi64ELi4ELi4ELi64ELc78ELc78ELb0ELb0ELb0EdKddEEviiiT16_PT17_ilS4_ilS2_S4_ilPT18_ili26rocblas_geam_ex_operation_: ; @_ZN12_GLOBAL__N_120geam_min_plus_kernelIdddLi4ELi64ELi128ELi128ELi4ELi64ELi4ELi4ELi64ELc78ELc78ELb0ELb0ELb0EdKddEEviiiT16_PT17_ilS4_ilS2_S4_ilPT18_ili26rocblas_geam_ex_operation_
; %bb.0:
	s_clause 0x1
	s_load_dwordx4 s[16:19], s[4:5], 0x10
	s_load_dwordx4 s[12:15], s[4:5], 0x28
	s_add_u32 s0, s0, s8
	s_addc_u32 s1, s1, 0
	s_mov_b64 s[22:23], 0
	s_waitcnt lgkmcnt(0)
	v_cmp_eq_f64_e64 s20, s[16:17], 0
	s_and_b32 vcc_lo, exec_lo, s20
	s_cbranch_vccnz .LBB182_2
; %bb.1:
	s_mul_i32 s8, s13, s7
	s_mul_hi_u32 s9, s12, s7
	s_add_i32 s9, s9, s8
	s_mul_i32 s8, s12, s7
	s_lshl_b64 s[8:9], s[8:9], 3
	s_add_u32 s22, s18, s8
	s_addc_u32 s23, s19, s9
.LBB182_2:
	s_clause 0x1
	s_load_dwordx4 s[8:11], s[4:5], 0x40
	s_load_dwordx2 s[24:25], s[4:5], 0x50
	s_andn2_b32 vcc_lo, exec_lo, s20
	s_mov_b32 s12, -1
	s_cbranch_vccnz .LBB182_4
; %bb.3:
	s_mov_b32 s12, 0
.LBB182_4:
	s_mov_b64 s[18:19], 0
	s_andn2_b32 vcc_lo, exec_lo, s12
	s_mov_b64 s[20:21], 0
	s_cbranch_vccnz .LBB182_6
; %bb.5:
	s_waitcnt lgkmcnt(0)
	s_mul_i32 s9, s9, s7
	s_mul_hi_u32 s12, s8, s7
	s_mul_i32 s8, s8, s7
	s_add_i32 s9, s12, s9
	s_lshl_b64 s[8:9], s[8:9], 3
	s_add_u32 s20, s14, s8
	s_addc_u32 s21, s15, s9
.LBB182_6:
	s_waitcnt lgkmcnt(0)
	v_cmp_eq_f64_e64 s8, s[10:11], 0
	v_cmp_neq_f64_e64 s9, s[16:17], 0
	s_load_dwordx4 s[12:15], s[4:5], 0x60
	s_and_b32 vcc_lo, exec_lo, s8
	s_cbranch_vccnz .LBB182_8
; %bb.7:
	s_waitcnt lgkmcnt(0)
	s_mul_i32 s8, s13, s7
	s_mul_hi_u32 s13, s12, s7
	s_mul_i32 s12, s12, s7
	s_add_i32 s13, s13, s8
	s_lshl_b64 s[12:13], s[12:13], 3
	s_add_u32 s18, s24, s12
	s_addc_u32 s19, s25, s13
.LBB182_8:
	s_clause 0x1
	s_load_dword s8, s[4:5], 0x0
	s_load_dword s24, s[4:5], 0x20
	v_lshl_add_u32 v8, v1, 2, v0
	v_mov_b32_e32 v16, 0
	v_mov_b32_e32 v4, 0
	;; [unrolled: 1-line block ×4, first 2 shown]
	v_and_b32_e32 v80, 63, v8
	v_lshrrev_b32_e32 v84, 6, v8
	v_mov_b32_e32 v5, 0
	buffer_store_dword v9, off, s[0:3], 0 offset:4
	buffer_store_dword v9, off, s[0:3], 0
	buffer_store_dword v9, off, s[0:3], 0 offset:12
	buffer_store_dword v9, off, s[0:3], 0 offset:8
	buffer_store_dword v9, off, s[0:3], 0 offset:20
	buffer_store_dword v9, off, s[0:3], 0 offset:16
	buffer_store_dword v9, off, s[0:3], 0 offset:28
	buffer_store_dword v9, off, s[0:3], 0 offset:24
	buffer_store_dword v9, off, s[0:3], 0 offset:36
	buffer_store_dword v9, off, s[0:3], 0 offset:32
	buffer_store_dword v9, off, s[0:3], 0 offset:44
	buffer_store_dword v9, off, s[0:3], 0 offset:40
	buffer_store_dword v9, off, s[0:3], 0 offset:52
	buffer_store_dword v9, off, s[0:3], 0 offset:48
	buffer_store_dword v9, off, s[0:3], 0 offset:60
	buffer_store_dword v9, off, s[0:3], 0 offset:56
	buffer_store_dword v9, off, s[0:3], 0 offset:68
	buffer_store_dword v9, off, s[0:3], 0 offset:64
	buffer_store_dword v9, off, s[0:3], 0 offset:76
	buffer_store_dword v9, off, s[0:3], 0 offset:72
	buffer_store_dword v9, off, s[0:3], 0 offset:84
	buffer_store_dword v9, off, s[0:3], 0 offset:80
	buffer_store_dword v9, off, s[0:3], 0 offset:92
	buffer_store_dword v9, off, s[0:3], 0 offset:88
	buffer_store_dword v9, off, s[0:3], 0 offset:100
	buffer_store_dword v9, off, s[0:3], 0 offset:96
	buffer_store_dword v9, off, s[0:3], 0 offset:108
	buffer_store_dword v9, off, s[0:3], 0 offset:104
	buffer_store_dword v9, off, s[0:3], 0 offset:116
	buffer_store_dword v9, off, s[0:3], 0 offset:112
	buffer_store_dword v9, off, s[0:3], 0 offset:124
	buffer_store_dword v9, off, s[0:3], 0 offset:120
	buffer_store_dword v9, off, s[0:3], 0 offset:132
	buffer_store_dword v9, off, s[0:3], 0 offset:128
	buffer_store_dword v9, off, s[0:3], 0 offset:140
	buffer_store_dword v9, off, s[0:3], 0 offset:136
	buffer_store_dword v9, off, s[0:3], 0 offset:148
	s_waitcnt lgkmcnt(0)
	s_add_i32 s8, s8, -1
	s_ashr_i32 s25, s24, 31
	s_ashr_i32 s12, s8, 31
	buffer_store_dword v9, off, s[0:3], 0 offset:144
	buffer_store_dword v9, off, s[0:3], 0 offset:156
	;; [unrolled: 1-line block ×4, first 2 shown]
	s_lshr_b32 s12, s12, 25
	buffer_store_dword v9, off, s[0:3], 0 offset:160
	buffer_store_dword v9, off, s[0:3], 0 offset:172
	s_add_i32 s8, s8, s12
	buffer_store_dword v9, off, s[0:3], 0 offset:168
	s_ashr_i32 s8, s8, 7
	buffer_store_dword v9, off, s[0:3], 0 offset:180
	s_add_i32 s13, s8, 1
	s_not_b32 s8, s8
	v_cvt_f32_u32_e32 v2, s13
	buffer_store_dword v9, off, s[0:3], 0 offset:176
	buffer_store_dword v9, off, s[0:3], 0 offset:188
	;; [unrolled: 1-line block ×4, first 2 shown]
	v_rcp_iflag_f32_e32 v2, v2
	buffer_store_dword v9, off, s[0:3], 0 offset:192
	buffer_store_dword v9, off, s[0:3], 0 offset:204
	;; [unrolled: 1-line block ×79, first 2 shown]
	v_mul_f32_e32 v2, 0x4f7ffffe, v2
	v_cvt_u32_f32_e32 v2, v2
	v_readfirstlane_b32 s12, v2
	v_cndmask_b32_e64 v2, 0, 1, s9
	s_mul_i32 s8, s8, s12
	s_mul_hi_u32 s8, s12, s8
	s_add_i32 s12, s12, s8
	s_mul_hi_u32 s8, s6, s12
	s_mul_i32 s12, s8, s13
	s_add_i32 s26, s8, 1
	s_sub_i32 s12, s6, s12
	s_sub_i32 s27, s12, s13
	s_cmp_ge_u32 s12, s13
	s_cselect_b32 s8, s26, s8
	s_cselect_b32 s12, s27, s12
	s_add_i32 s26, s8, 1
	s_cmp_ge_u32 s12, s13
	s_cselect_b32 s12, s26, s8
	s_andn2_b32 vcc_lo, exec_lo, s9
	s_mul_i32 s8, s12, s13
	s_sub_i32 s6, s6, s8
	s_lshl_b32 s8, s6, 7
	v_cmp_ne_u32_e64 s6, 1, v2
	v_or_b32_e32 v6, s8, v80
	v_mov_b32_e32 v2, 0
	v_mov_b32_e32 v3, 0
	v_ashrrev_i32_e32 v7, 31, v6
	s_cbranch_vccnz .LBB182_10
; %bb.9:
	v_mad_i64_i32 v[2:3], null, s24, v84, 0
	v_lshlrev_b64 v[4:5], 3, v[6:7]
	v_lshlrev_b64 v[2:3], 3, v[2:3]
	v_add_co_u32 v2, vcc_lo, s22, v2
	v_add_co_ci_u32_e64 v3, null, s23, v3, vcc_lo
	v_add_co_u32 v2, vcc_lo, v2, v4
	v_add_co_ci_u32_e64 v3, null, v3, v5, vcc_lo
	s_clause 0x1
	global_load_dwordx2 v[4:5], v[2:3], off
	global_load_dwordx2 v[9:10], v[2:3], off offset:512
	s_waitcnt vmcnt(1)
	v_mul_f64 v[2:3], s[16:17], v[4:5]
	s_waitcnt vmcnt(0)
	v_mul_f64 v[4:5], s[16:17], v[9:10]
.LBB182_10:
	s_load_dword s26, s[4:5], 0x38
	v_lshrrev_b32_e32 v20, 2, v8
	s_lshl_b32 s9, s12, 7
	v_and_b32_e32 v85, 3, v0
	v_mov_b32_e32 v18, 0
	v_mov_b32_e32 v19, 0
	v_add_nc_u32_e32 v82, s9, v20
	s_and_b32 vcc_lo, exec_lo, s6
	v_lshlrev_b32_e32 v21, 3, v85
	v_add_nc_u32_e32 v81, 64, v82
	s_cbranch_vccnz .LBB182_12
; %bb.11:
	s_waitcnt lgkmcnt(0)
	v_mad_i64_i32 v[8:9], null, v82, s26, 0
	v_mad_i64_i32 v[10:11], null, v81, s26, 0
	v_add_co_u32 v12, s12, s20, v21
	v_add_co_ci_u32_e64 v13, null, s21, 0, s12
	v_lshlrev_b64 v[8:9], 3, v[8:9]
	v_lshlrev_b64 v[10:11], 3, v[10:11]
	v_add_co_u32 v8, vcc_lo, v12, v8
	v_add_co_ci_u32_e64 v9, null, v13, v9, vcc_lo
	v_add_co_u32 v10, vcc_lo, v12, v10
	v_add_co_ci_u32_e64 v11, null, v13, v11, vcc_lo
	s_clause 0x1
	global_load_dwordx2 v[8:9], v[8:9], off
	global_load_dwordx2 v[10:11], v[10:11], off
	s_waitcnt vmcnt(1)
	v_mul_f64 v[16:17], s[16:17], v[8:9]
	s_waitcnt vmcnt(0)
	v_mul_f64 v[18:19], s[16:17], v[10:11]
.LBB182_12:
	v_mov_b32_e32 v12, 0
	v_mov_b32_e32 v8, 0
	;; [unrolled: 1-line block ×6, first 2 shown]
	v_add_nc_u32_e32 v86, 4, v84
	s_and_b32 vcc_lo, exec_lo, s6
	s_cbranch_vccnz .LBB182_14
; %bb.13:
	v_mad_i64_i32 v[8:9], null, s24, v86, 0
	v_lshlrev_b64 v[10:11], 3, v[6:7]
	v_lshlrev_b64 v[8:9], 3, v[8:9]
	v_add_co_u32 v8, vcc_lo, s22, v8
	v_add_co_ci_u32_e64 v9, null, s23, v9, vcc_lo
	v_add_co_u32 v8, vcc_lo, v8, v10
	v_add_co_ci_u32_e64 v9, null, v9, v11, vcc_lo
	s_clause 0x1
	global_load_dwordx2 v[10:11], v[8:9], off
	global_load_dwordx2 v[14:15], v[8:9], off offset:512
	s_waitcnt vmcnt(1)
	v_mul_f64 v[8:9], s[16:17], v[10:11]
	s_waitcnt vmcnt(0)
	v_mul_f64 v[10:11], s[16:17], v[14:15]
.LBB182_14:
	v_mov_b32_e32 v14, 0
	v_mov_b32_e32 v15, 0
	s_and_b32 vcc_lo, exec_lo, s6
	s_cbranch_vccnz .LBB182_16
; %bb.15:
	s_waitcnt lgkmcnt(0)
	v_mad_i64_i32 v[12:13], null, v82, s26, 0
	v_mad_i64_i32 v[14:15], null, v81, s26, 0
	v_add_co_u32 v22, s12, s20, v21
	v_add_co_ci_u32_e64 v23, null, s21, 0, s12
	v_lshlrev_b64 v[12:13], 3, v[12:13]
	v_lshlrev_b64 v[14:15], 3, v[14:15]
	v_add_co_u32 v12, vcc_lo, v22, v12
	v_add_co_ci_u32_e64 v13, null, v23, v13, vcc_lo
	v_add_co_u32 v14, vcc_lo, v22, v14
	v_add_co_ci_u32_e64 v15, null, v23, v15, vcc_lo
	s_clause 0x1
	global_load_dwordx2 v[12:13], v[12:13], off offset:32
	global_load_dwordx2 v[14:15], v[14:15], off offset:32
	s_waitcnt vmcnt(1)
	v_mul_f64 v[12:13], s[16:17], v[12:13]
	s_waitcnt vmcnt(0)
	v_mul_f64 v[14:15], s[16:17], v[14:15]
.LBB182_16:
	v_cmp_neq_f64_e64 s12, s[10:11], 0
	v_lshlrev_b32_e32 v22, 5, v80
	v_lshl_or_b32 v83, v20, 5, v21
	v_lshlrev_b32_e32 v89, 5, v0
	v_lshl_or_b32 v90, v1, 5, 0x2000
	s_mov_b32 s13, 0
	v_lshl_add_u32 v87, v84, 3, v22
	v_add_nc_u32_e32 v88, 0x2000, v83
	s_addk_i32 s13, 0x100
	s_mov_b32 s27, 0
	ds_write2st64_b64 v83, v[16:17], v[18:19] offset0:16 offset1:20
	ds_write2st64_b64 v87, v[2:3], v[4:5] offset1:4
	s_waitcnt lgkmcnt(0)
	s_waitcnt_vscnt null, 0x0
	s_barrier
	buffer_gl0_inv
.LBB182_17:                             ; =>This Loop Header: Depth=1
                                        ;     Child Loop BB182_18 Depth 2
	s_lshl_b32 s28, s27, 3
	s_mov_b32 s29, 0
	v_add_nc_u32_e32 v16, s28, v89
	v_add_nc_u32_e32 v91, s28, v90
	s_mov_b32 s28, -1
	ds_read2_b64 v[2:5], v16 offset1:16
	ds_read2_b64 v[20:23], v16 offset0:32 offset1:48
	ds_read2_b64 v[24:27], v16 offset0:64 offset1:80
	;; [unrolled: 1-line block ×4, first 2 shown]
	v_add_nc_u32_e32 v76, 0x800, v16
	ds_read2_b64 v[36:39], v16 offset0:160 offset1:176
	ds_read2_b64 v[40:43], v16 offset0:192 offset1:208
	;; [unrolled: 1-line block ×3, first 2 shown]
	ds_read2_b64 v[48:51], v76 offset1:16
	ds_read2_b64 v[52:55], v76 offset0:32 offset1:48
	ds_read2_b64 v[56:59], v76 offset0:64 offset1:80
	ds_read2_b64 v[60:63], v76 offset0:96 offset1:112
	ds_read2_b64 v[64:67], v76 offset0:128 offset1:144
	ds_read2_b64 v[68:71], v76 offset0:160 offset1:176
	ds_read2_b64 v[72:75], v76 offset0:192 offset1:208
	s_waitcnt lgkmcnt(9)
	v_max_f64 v[36:37], v[36:37], v[36:37]
	v_max_f64 v[38:39], v[38:39], v[38:39]
	;; [unrolled: 1-line block ×4, first 2 shown]
	ds_read2_b64 v[2:5], v76 offset0:224 offset1:240
	v_max_f64 v[20:21], v[20:21], v[20:21]
	v_max_f64 v[22:23], v[22:23], v[22:23]
	;; [unrolled: 1-line block ×8, first 2 shown]
	s_waitcnt lgkmcnt(9)
	v_max_f64 v[40:41], v[40:41], v[40:41]
	v_max_f64 v[42:43], v[42:43], v[42:43]
	s_waitcnt lgkmcnt(8)
	v_max_f64 v[44:45], v[44:45], v[44:45]
	v_max_f64 v[46:47], v[46:47], v[46:47]
	;; [unrolled: 3-line block ×10, first 2 shown]
	ds_read2st64_b64 v[2:5], v91 offset1:4
.LBB182_18:                             ;   Parent Loop BB182_17 Depth=1
                                        ; =>  This Inner Loop Header: Depth=2
	v_mov_b32_e32 v219, s29
	s_waitcnt lgkmcnt(0)
	v_max_f64 v[155:156], v[2:3], v[2:3]
	v_mov_b32_e32 v2, v4
	v_mov_b32_e32 v3, v5
	s_and_b32 vcc_lo, exec_lo, s28
	s_clause 0x3e
	buffer_load_dword v91, v219, s[0:3], 0 offen
	buffer_load_dword v92, v219, s[0:3], 0 offen offset:4
	buffer_load_dword v93, v219, s[0:3], 0 offen offset:8
	;; [unrolled: 1-line block ×63, first 2 shown]
	s_mov_b32 s28, 0
	s_mov_b32 s29, s13
	v_min_f64 v[157:158], v[16:17], v[155:156]
	v_min_f64 v[159:160], v[18:19], v[155:156]
	;; [unrolled: 1-line block ×32, first 2 shown]
	s_waitcnt vmcnt(62)
	v_add_f64 v[91:92], v[157:158], v[91:92]
	s_waitcnt vmcnt(60)
	v_add_f64 v[93:94], v[159:160], v[93:94]
	;; [unrolled: 2-line block ×32, first 2 shown]
	buffer_store_dword v91, v219, s[0:3], 0 offen
	buffer_store_dword v92, v219, s[0:3], 0 offen offset:4
	buffer_store_dword v93, v219, s[0:3], 0 offen offset:8
	;; [unrolled: 1-line block ×63, first 2 shown]
	s_cbranch_vccnz .LBB182_18
; %bb.19:                               ;   in Loop: Header=BB182_17 Depth=1
	s_add_i32 s27, s27, 1
	s_cmp_eq_u32 s27, 4
	s_cbranch_scc0 .LBB182_17
; %bb.20:
	s_load_dword s27, s[4:5], 0x8
	v_lshlrev_b32_e32 v2, 3, v84
	v_lshl_add_u32 v91, v0, 5, 0x1000
	v_lshl_add_u32 v92, v1, 5, 0x3000
	;; [unrolled: 1-line block ×3, first 2 shown]
	ds_write2st64_b64 v2, v[8:9], v[10:11] offset0:8 offset1:12
	ds_write2st64_b64 v83, v[12:13], v[14:15] offset0:24 offset1:28
	s_waitcnt lgkmcnt(0)
	s_waitcnt_vscnt null, 0x0
	s_barrier
	buffer_gl0_inv
	s_cmp_lt_i32 s27, 9
	s_cbranch_scc1 .LBB182_39
; %bb.21:
	v_mad_i64_i32 v[3:4], null, v82, s26, 0
	v_lshlrev_b64 v[5:6], 3, v[6:7]
	v_mad_i64_i32 v[7:8], null, v81, s26, 0
	v_or_b32_e32 v93, 0x1000, v2
	v_add_nc_u32_e32 v94, 0x3000, v83
	v_mov_b32_e32 v75, 0
	v_add_co_u32 v95, vcc_lo, s22, v5
	v_lshlrev_b64 v[70:71], 3, v[3:4]
	v_lshlrev_b64 v[72:73], 3, v[7:8]
	v_add_co_ci_u32_e64 v96, null, s23, v6, vcc_lo
	s_add_i32 s22, s27, -8
	s_mov_b32 s23, 8
	s_mov_b32 s26, 0
.LBB182_22:                             ; =>This Loop Header: Depth=1
                                        ;     Child Loop BB182_27 Depth 2
                                        ;       Child Loop BB182_28 Depth 3
                                        ;     Child Loop BB182_35 Depth 2
                                        ;       Child Loop BB182_36 Depth 3
	v_mov_b32_e32 v6, 0
	v_mov_b32_e32 v8, 0
	;; [unrolled: 1-line block ×6, first 2 shown]
	s_and_b32 vcc_lo, exec_lo, s6
	s_cbranch_vccnz .LBB182_24
; %bb.23:                               ;   in Loop: Header=BB182_22 Depth=1
	v_add_nc_u32_e32 v4, s23, v84
	v_mad_u64_u32 v[2:3], null, v4, s24, 0
	v_mad_u64_u32 v[3:4], null, v4, s25, v[3:4]
	v_lshlrev_b64 v[2:3], 3, v[2:3]
	v_add_co_u32 v2, vcc_lo, v95, v2
	v_add_co_ci_u32_e64 v3, null, v96, v3, vcc_lo
	s_clause 0x1
	global_load_dwordx2 v[4:5], v[2:3], off
	global_load_dwordx2 v[2:3], v[2:3], off offset:512
	s_waitcnt vmcnt(1)
	v_mul_f64 v[8:9], s[16:17], v[4:5]
	s_waitcnt vmcnt(0)
	v_mul_f64 v[10:11], s[16:17], v[2:3]
.LBB182_24:                             ;   in Loop: Header=BB182_22 Depth=1
	v_mov_b32_e32 v12, 0
	v_mov_b32_e32 v13, 0
	s_and_b32 vcc_lo, exec_lo, s6
	s_cbranch_vccnz .LBB182_26
; %bb.25:                               ;   in Loop: Header=BB182_22 Depth=1
	v_or_b32_e32 v74, s23, v85
	v_lshlrev_b64 v[2:3], 3, v[74:75]
	v_add_co_u32 v4, vcc_lo, s20, v2
	v_add_co_ci_u32_e64 v5, null, s21, v3, vcc_lo
	v_add_co_u32 v2, vcc_lo, v4, v70
	v_add_co_ci_u32_e64 v3, null, v5, v71, vcc_lo
	;; [unrolled: 2-line block ×3, first 2 shown]
	s_clause 0x1
	global_load_dwordx2 v[2:3], v[2:3], off
	global_load_dwordx2 v[4:5], v[4:5], off
	s_waitcnt vmcnt(1)
	v_mul_f64 v[6:7], s[16:17], v[2:3]
	s_waitcnt vmcnt(0)
	v_mul_f64 v[12:13], s[16:17], v[4:5]
.LBB182_26:                             ;   in Loop: Header=BB182_22 Depth=1
	s_mov_b32 s27, 0
.LBB182_27:                             ;   Parent Loop BB182_22 Depth=1
                                        ; =>  This Loop Header: Depth=2
                                        ;       Child Loop BB182_28 Depth 3
	s_lshl_b32 s28, s27, 3
	s_mov_b32 s29, 0
	v_add_nc_u32_e32 v14, s28, v91
	v_add_nc_u32_e32 v74, s28, v92
	s_mov_b32 s28, -1
	ds_read2_b64 v[2:5], v14 offset1:16
	ds_read2_b64 v[18:21], v14 offset0:32 offset1:48
	ds_read2_b64 v[22:25], v14 offset0:64 offset1:80
	v_add_nc_u32_e32 v15, 0x800, v14
	ds_read2_b64 v[26:29], v14 offset0:96 offset1:112
	ds_read2_b64 v[30:33], v14 offset0:128 offset1:144
	;; [unrolled: 1-line block ×5, first 2 shown]
	ds_read2_b64 v[46:49], v15 offset1:16
	ds_read2_b64 v[50:53], v15 offset0:32 offset1:48
	ds_read2_b64 v[54:57], v15 offset0:64 offset1:80
	;; [unrolled: 1-line block ×7, first 2 shown]
	s_waitcnt lgkmcnt(11)
	v_max_f64 v[30:31], v[30:31], v[30:31]
	v_max_f64 v[32:33], v[32:33], v[32:33]
	s_waitcnt lgkmcnt(10)
	v_max_f64 v[34:35], v[34:35], v[34:35]
	v_max_f64 v[36:37], v[36:37], v[36:37]
	;; [unrolled: 3-line block ×3, first 2 shown]
	v_max_f64 v[14:15], v[2:3], v[2:3]
	v_max_f64 v[16:17], v[4:5], v[4:5]
	v_max_f64 v[18:19], v[18:19], v[18:19]
	v_max_f64 v[20:21], v[20:21], v[20:21]
	v_max_f64 v[22:23], v[22:23], v[22:23]
	v_max_f64 v[24:25], v[24:25], v[24:25]
	v_max_f64 v[26:27], v[26:27], v[26:27]
	v_max_f64 v[28:29], v[28:29], v[28:29]
	s_waitcnt lgkmcnt(8)
	v_max_f64 v[42:43], v[42:43], v[42:43]
	v_max_f64 v[44:45], v[44:45], v[44:45]
	s_waitcnt lgkmcnt(7)
	v_max_f64 v[46:47], v[46:47], v[46:47]
	v_max_f64 v[48:49], v[48:49], v[48:49]
	;; [unrolled: 3-line block ×9, first 2 shown]
	ds_read2st64_b64 v[2:5], v74 offset1:4
.LBB182_28:                             ;   Parent Loop BB182_22 Depth=1
                                        ;     Parent Loop BB182_27 Depth=2
                                        ; =>    This Inner Loop Header: Depth=3
	v_mov_b32_e32 v74, s29
	s_waitcnt lgkmcnt(0)
	v_max_f64 v[161:162], v[2:3], v[2:3]
	v_mov_b32_e32 v2, v4
	v_mov_b32_e32 v3, v5
	s_and_b32 vcc_lo, exec_lo, s28
	s_clause 0x3e
	buffer_load_dword v97, v74, s[0:3], 0 offen
	buffer_load_dword v98, v74, s[0:3], 0 offen offset:4
	buffer_load_dword v99, v74, s[0:3], 0 offen offset:8
	;; [unrolled: 1-line block ×63, first 2 shown]
	s_mov_b32 s28, 0
	s_mov_b32 s29, s13
	v_min_f64 v[163:164], v[14:15], v[161:162]
	v_min_f64 v[165:166], v[16:17], v[161:162]
	;; [unrolled: 1-line block ×32, first 2 shown]
	s_waitcnt vmcnt(62)
	v_add_f64 v[97:98], v[163:164], v[97:98]
	s_waitcnt vmcnt(60)
	v_add_f64 v[99:100], v[165:166], v[99:100]
	;; [unrolled: 2-line block ×32, first 2 shown]
	buffer_store_dword v97, v74, s[0:3], 0 offen
	buffer_store_dword v98, v74, s[0:3], 0 offen offset:4
	buffer_store_dword v99, v74, s[0:3], 0 offen offset:8
	;; [unrolled: 1-line block ×63, first 2 shown]
	s_cbranch_vccnz .LBB182_28
; %bb.29:                               ;   in Loop: Header=BB182_27 Depth=2
	s_add_i32 s27, s27, 1
	s_cmp_eq_u32 s27, 4
	s_cbranch_scc0 .LBB182_27
; %bb.30:                               ;   in Loop: Header=BB182_22 Depth=1
	v_mov_b32_e32 v78, 0
	v_mov_b32_e32 v76, 0
	;; [unrolled: 1-line block ×6, first 2 shown]
	s_and_b32 vcc_lo, exec_lo, s6
	ds_write2st64_b64 v87, v[8:9], v[10:11] offset1:4
	ds_write2st64_b64 v88, v[6:7], v[12:13] offset1:4
	s_waitcnt lgkmcnt(0)
	s_waitcnt_vscnt null, 0x0
	s_barrier
	buffer_gl0_inv
	s_cbranch_vccnz .LBB182_32
; %bb.31:                               ;   in Loop: Header=BB182_22 Depth=1
	v_add_nc_u32_e32 v4, s23, v86
	v_mad_u64_u32 v[2:3], null, v4, s24, 0
	v_mad_u64_u32 v[3:4], null, v4, s25, v[3:4]
	v_lshlrev_b64 v[2:3], 3, v[2:3]
	v_add_co_u32 v2, vcc_lo, v95, v2
	v_add_co_ci_u32_e64 v3, null, v96, v3, vcc_lo
	s_clause 0x1
	global_load_dwordx2 v[4:5], v[2:3], off
	global_load_dwordx2 v[2:3], v[2:3], off offset:512
	s_waitcnt vmcnt(1)
	v_mul_f64 v[76:77], s[16:17], v[4:5]
	s_waitcnt vmcnt(0)
	v_mul_f64 v[80:81], s[16:17], v[2:3]
.LBB182_32:                             ;   in Loop: Header=BB182_22 Depth=1
	v_mov_b32_e32 v82, 0
	v_mov_b32_e32 v83, 0
	s_and_b32 vcc_lo, exec_lo, s6
	s_cbranch_vccnz .LBB182_34
; %bb.33:                               ;   in Loop: Header=BB182_22 Depth=1
	v_or_b32_e32 v74, s23, v85
	v_lshlrev_b64 v[2:3], 3, v[74:75]
	v_add_co_u32 v4, vcc_lo, s20, v2
	v_add_co_ci_u32_e64 v5, null, s21, v3, vcc_lo
	v_add_co_u32 v2, vcc_lo, v4, v70
	v_add_co_ci_u32_e64 v3, null, v5, v71, vcc_lo
	v_add_co_u32 v4, vcc_lo, v4, v72
	v_add_co_ci_u32_e64 v5, null, v5, v73, vcc_lo
	s_clause 0x1
	global_load_dwordx2 v[2:3], v[2:3], off offset:32
	global_load_dwordx2 v[4:5], v[4:5], off offset:32
	s_waitcnt vmcnt(1)
	v_mul_f64 v[78:79], s[16:17], v[2:3]
	s_waitcnt vmcnt(0)
	v_mul_f64 v[82:83], s[16:17], v[4:5]
.LBB182_34:                             ;   in Loop: Header=BB182_22 Depth=1
	s_mov_b32 s27, 0
.LBB182_35:                             ;   Parent Loop BB182_22 Depth=1
                                        ; =>  This Loop Header: Depth=2
                                        ;       Child Loop BB182_36 Depth 3
	s_lshl_b32 s28, s27, 3
	s_mov_b32 s29, 0
	v_add_nc_u32_e32 v30, s28, v89
	v_add_nc_u32_e32 v66, s28, v90
	s_mov_b32 s28, -1
	ds_read2_b64 v[2:5], v30 offset1:16
	ds_read2_b64 v[6:9], v30 offset0:32 offset1:48
	ds_read2_b64 v[10:13], v30 offset0:64 offset1:80
	ds_read2_b64 v[14:17], v30 offset0:96 offset1:112
	v_add_nc_u32_e32 v62, 0x800, v30
	ds_read2_b64 v[18:21], v30 offset0:128 offset1:144
	ds_read2_b64 v[22:25], v30 offset0:160 offset1:176
	;; [unrolled: 1-line block ×4, first 2 shown]
	ds_read2_b64 v[34:37], v62 offset1:16
	ds_read2_b64 v[38:41], v62 offset0:32 offset1:48
	ds_read2_b64 v[42:45], v62 offset0:64 offset1:80
	;; [unrolled: 1-line block ×7, first 2 shown]
	ds_read2st64_b64 v[66:69], v66 offset1:4
.LBB182_36:                             ;   Parent Loop BB182_22 Depth=1
                                        ;     Parent Loop BB182_35 Depth=2
                                        ; =>    This Inner Loop Header: Depth=3
	v_mov_b32_e32 v74, s29
	s_waitcnt lgkmcnt(16)
	v_max_f64 v[161:162], v[2:3], v[2:3]
	s_waitcnt lgkmcnt(0)
	v_max_f64 v[163:164], v[66:67], v[66:67]
	v_max_f64 v[165:166], v[4:5], v[4:5]
	;; [unrolled: 1-line block ×3, first 2 shown]
	s_clause 0x3e
	buffer_load_dword v97, v74, s[0:3], 0 offen
	buffer_load_dword v98, v74, s[0:3], 0 offen offset:4
	buffer_load_dword v99, v74, s[0:3], 0 offen offset:8
	;; [unrolled: 1-line block ×63, first 2 shown]
	v_max_f64 v[169:170], v[8:9], v[8:9]
	v_max_f64 v[171:172], v[10:11], v[10:11]
	;; [unrolled: 1-line block ×29, first 2 shown]
	v_min_f64 v[161:162], v[161:162], v[163:164]
	v_min_f64 v[165:166], v[165:166], v[163:164]
	;; [unrolled: 1-line block ×32, first 2 shown]
	v_mov_b32_e32 v66, v68
	v_mov_b32_e32 v67, v69
	s_and_b32 vcc_lo, exec_lo, s28
	s_mov_b32 s28, 0
	s_mov_b32 s29, s13
	s_waitcnt vmcnt(62)
	v_add_f64 v[97:98], v[161:162], v[97:98]
	s_waitcnt vmcnt(60)
	v_add_f64 v[99:100], v[165:166], v[99:100]
	;; [unrolled: 2-line block ×32, first 2 shown]
	buffer_store_dword v97, v74, s[0:3], 0 offen
	buffer_store_dword v98, v74, s[0:3], 0 offen offset:4
	buffer_store_dword v99, v74, s[0:3], 0 offen offset:8
	buffer_store_dword v100, v74, s[0:3], 0 offen offset:12
	buffer_store_dword v101, v74, s[0:3], 0 offen offset:16
	buffer_store_dword v102, v74, s[0:3], 0 offen offset:20
	buffer_store_dword v103, v74, s[0:3], 0 offen offset:24
	buffer_store_dword v104, v74, s[0:3], 0 offen offset:28
	buffer_store_dword v105, v74, s[0:3], 0 offen offset:32
	buffer_store_dword v106, v74, s[0:3], 0 offen offset:36
	buffer_store_dword v107, v74, s[0:3], 0 offen offset:40
	buffer_store_dword v108, v74, s[0:3], 0 offen offset:44
	buffer_store_dword v109, v74, s[0:3], 0 offen offset:48
	buffer_store_dword v110, v74, s[0:3], 0 offen offset:52
	buffer_store_dword v111, v74, s[0:3], 0 offen offset:56
	buffer_store_dword v112, v74, s[0:3], 0 offen offset:60
	buffer_store_dword v114, v74, s[0:3], 0 offen offset:68
	buffer_store_dword v113, v74, s[0:3], 0 offen offset:64
	buffer_store_dword v116, v74, s[0:3], 0 offen offset:76
	buffer_store_dword v115, v74, s[0:3], 0 offen offset:72
	buffer_store_dword v118, v74, s[0:3], 0 offen offset:84
	buffer_store_dword v117, v74, s[0:3], 0 offen offset:80
	buffer_store_dword v120, v74, s[0:3], 0 offen offset:92
	buffer_store_dword v119, v74, s[0:3], 0 offen offset:88
	buffer_store_dword v122, v74, s[0:3], 0 offen offset:100
	buffer_store_dword v121, v74, s[0:3], 0 offen offset:96
	buffer_store_dword v124, v74, s[0:3], 0 offen offset:108
	buffer_store_dword v123, v74, s[0:3], 0 offen offset:104
	buffer_store_dword v126, v74, s[0:3], 0 offen offset:116
	buffer_store_dword v125, v74, s[0:3], 0 offen offset:112
	buffer_store_dword v128, v74, s[0:3], 0 offen offset:124
	buffer_store_dword v127, v74, s[0:3], 0 offen offset:120
	buffer_store_dword v130, v74, s[0:3], 0 offen offset:132
	buffer_store_dword v129, v74, s[0:3], 0 offen offset:128
	buffer_store_dword v132, v74, s[0:3], 0 offen offset:140
	buffer_store_dword v131, v74, s[0:3], 0 offen offset:136
	buffer_store_dword v134, v74, s[0:3], 0 offen offset:148
	buffer_store_dword v133, v74, s[0:3], 0 offen offset:144
	buffer_store_dword v136, v74, s[0:3], 0 offen offset:156
	buffer_store_dword v135, v74, s[0:3], 0 offen offset:152
	buffer_store_dword v138, v74, s[0:3], 0 offen offset:164
	buffer_store_dword v137, v74, s[0:3], 0 offen offset:160
	buffer_store_dword v140, v74, s[0:3], 0 offen offset:172
	buffer_store_dword v139, v74, s[0:3], 0 offen offset:168
	buffer_store_dword v142, v74, s[0:3], 0 offen offset:180
	buffer_store_dword v141, v74, s[0:3], 0 offen offset:176
	buffer_store_dword v144, v74, s[0:3], 0 offen offset:188
	buffer_store_dword v143, v74, s[0:3], 0 offen offset:184
	buffer_store_dword v146, v74, s[0:3], 0 offen offset:196
	buffer_store_dword v145, v74, s[0:3], 0 offen offset:192
	buffer_store_dword v148, v74, s[0:3], 0 offen offset:204
	buffer_store_dword v147, v74, s[0:3], 0 offen offset:200
	buffer_store_dword v150, v74, s[0:3], 0 offen offset:212
	buffer_store_dword v149, v74, s[0:3], 0 offen offset:208
	buffer_store_dword v152, v74, s[0:3], 0 offen offset:220
	buffer_store_dword v151, v74, s[0:3], 0 offen offset:216
	buffer_store_dword v154, v74, s[0:3], 0 offen offset:228
	buffer_store_dword v153, v74, s[0:3], 0 offen offset:224
	buffer_store_dword v156, v74, s[0:3], 0 offen offset:236
	buffer_store_dword v155, v74, s[0:3], 0 offen offset:232
	buffer_store_dword v158, v74, s[0:3], 0 offen offset:244
	buffer_store_dword v157, v74, s[0:3], 0 offen offset:240
	buffer_store_dword v160, v74, s[0:3], 0 offen offset:252
	buffer_store_dword v159, v74, s[0:3], 0 offen offset:248
	s_cbranch_vccnz .LBB182_36
; %bb.37:                               ;   in Loop: Header=BB182_35 Depth=2
	s_add_i32 s27, s27, 1
	s_cmp_eq_u32 s27, 4
	s_cbranch_scc0 .LBB182_35
; %bb.38:                               ;   in Loop: Header=BB182_22 Depth=1
	s_add_i32 s26, s26, 8
	s_add_i32 s23, s23, 8
	s_cmp_ge_i32 s26, s22
	ds_write2st64_b64 v93, v[76:77], v[80:81] offset1:4
	ds_write2st64_b64 v94, v[78:79], v[82:83] offset1:4
	s_waitcnt lgkmcnt(0)
	s_waitcnt_vscnt null, 0x0
	s_barrier
	buffer_gl0_inv
	s_cbranch_scc0 .LBB182_22
.LBB182_39:
	s_mov_b32 s6, 0
.LBB182_40:                             ; =>This Loop Header: Depth=1
                                        ;     Child Loop BB182_41 Depth 2
	s_lshl_b32 s16, s6, 3
	s_mov_b32 s17, 0
	v_add_nc_u32_e32 v6, s16, v91
	v_add_nc_u32_e32 v70, s16, v92
	s_mov_b32 s16, -1
	ds_read2_b64 v[2:5], v6 offset1:16
	ds_read2_b64 v[10:13], v6 offset0:32 offset1:48
	ds_read2_b64 v[14:17], v6 offset0:64 offset1:80
	v_add_nc_u32_e32 v7, 0x800, v6
	ds_read2_b64 v[18:21], v6 offset0:96 offset1:112
	ds_read2_b64 v[22:25], v6 offset0:128 offset1:144
	ds_read2_b64 v[26:29], v6 offset0:160 offset1:176
	ds_read2_b64 v[30:33], v6 offset0:192 offset1:208
	ds_read2_b64 v[34:37], v6 offset0:224 offset1:240
	ds_read2_b64 v[38:41], v7 offset1:16
	ds_read2_b64 v[42:45], v7 offset0:32 offset1:48
	ds_read2_b64 v[46:49], v7 offset0:64 offset1:80
	;; [unrolled: 1-line block ×7, first 2 shown]
	s_waitcnt lgkmcnt(11)
	v_max_f64 v[22:23], v[22:23], v[22:23]
	v_max_f64 v[24:25], v[24:25], v[24:25]
	s_waitcnt lgkmcnt(10)
	v_max_f64 v[26:27], v[26:27], v[26:27]
	v_max_f64 v[28:29], v[28:29], v[28:29]
	;; [unrolled: 3-line block ×3, first 2 shown]
	v_max_f64 v[6:7], v[2:3], v[2:3]
	v_max_f64 v[8:9], v[4:5], v[4:5]
	;; [unrolled: 1-line block ×8, first 2 shown]
	s_waitcnt lgkmcnt(8)
	v_max_f64 v[34:35], v[34:35], v[34:35]
	v_max_f64 v[36:37], v[36:37], v[36:37]
	s_waitcnt lgkmcnt(7)
	v_max_f64 v[38:39], v[38:39], v[38:39]
	v_max_f64 v[40:41], v[40:41], v[40:41]
	;; [unrolled: 3-line block ×9, first 2 shown]
	ds_read2st64_b64 v[2:5], v70 offset1:4
.LBB182_41:                             ;   Parent Loop BB182_40 Depth=1
                                        ; =>  This Inner Loop Header: Depth=2
	v_mov_b32_e32 v90, s17
	s_waitcnt lgkmcnt(0)
	v_max_f64 v[137:138], v[2:3], v[2:3]
	v_mov_b32_e32 v2, v4
	v_mov_b32_e32 v3, v5
	s_and_b32 vcc_lo, exec_lo, s16
	s_clause 0x3e
	buffer_load_dword v70, v90, s[0:3], 0 offen
	buffer_load_dword v71, v90, s[0:3], 0 offen offset:4
	buffer_load_dword v72, v90, s[0:3], 0 offen offset:8
	;; [unrolled: 1-line block ×63, first 2 shown]
	s_mov_b32 s16, 0
	s_mov_b32 s17, s13
	v_min_f64 v[139:140], v[6:7], v[137:138]
	v_min_f64 v[141:142], v[8:9], v[137:138]
	;; [unrolled: 1-line block ×32, first 2 shown]
	s_waitcnt vmcnt(62)
	v_add_f64 v[70:71], v[139:140], v[70:71]
	s_waitcnt vmcnt(60)
	v_add_f64 v[72:73], v[141:142], v[72:73]
	;; [unrolled: 2-line block ×32, first 2 shown]
	buffer_store_dword v70, v90, s[0:3], 0 offen
	buffer_store_dword v71, v90, s[0:3], 0 offen offset:4
	buffer_store_dword v72, v90, s[0:3], 0 offen offset:8
	;; [unrolled: 1-line block ×63, first 2 shown]
	s_cbranch_vccnz .LBB182_41
; %bb.42:                               ;   in Loop: Header=BB182_40 Depth=1
	s_add_i32 s6, s6, 1
	s_cmp_eq_u32 s6, 4
	s_cbranch_scc0 .LBB182_40
; %bb.43:
	s_clause 0x1
	buffer_load_dword v2, off, s[0:3], 0
	buffer_load_dword v3, off, s[0:3], 0 offset:4
	s_load_dword s13, s[4:5], 0x58
	v_add_nc_u32_e32 v71, s9, v1
	v_add_nc_u32_e32 v12, s8, v0
	v_cndmask_b32_e64 v0, 0, 1, s12
	v_mov_b32_e32 v8, 0
	v_mov_b32_e32 v9, 0
	v_ashrrev_i32_e32 v13, 31, v12
	v_cmp_ne_u32_e64 s6, 1, v0
	v_lshlrev_b64 v[0:1], 3, v[12:13]
	s_waitcnt lgkmcnt(0)
	v_mad_i64_i32 v[4:5], null, v71, s13, 0
	v_lshlrev_b64 v[6:7], 3, v[4:5]
	v_mov_b32_e32 v4, 0
	v_mov_b32_e32 v5, 0
	v_add_co_u32 v72, vcc_lo, s18, v6
	v_add_co_ci_u32_e64 v73, null, s19, v7, vcc_lo
	s_andn2_b32 vcc_lo, exec_lo, s12
	s_cbranch_vccnz .LBB182_45
; %bb.44:
	v_add_co_u32 v6, vcc_lo, v72, v0
	v_add_co_ci_u32_e64 v7, null, v73, v1, vcc_lo
	global_load_dwordx2 v[6:7], v[6:7], off
	s_waitcnt vmcnt(0)
	v_mul_f64 v[8:9], s[10:11], v[6:7]
.LBB182_45:
	s_clause 0x1
	buffer_load_dword v6, off, s[0:3], 0 offset:8
	buffer_load_dword v7, off, s[0:3], 0 offset:12
	s_clause 0x1
	s_load_dwordx2 s[8:9], s[4:5], 0x78
	s_load_dword s4, s[4:5], 0x70
	s_waitcnt vmcnt(2)
	v_add_f64 v[8:9], v[2:3], v[8:9]
	s_waitcnt lgkmcnt(0)
	s_mul_i32 s5, s9, s7
	v_mad_i64_i32 v[10:11], null, v71, s4, 0
	s_mul_hi_u32 s9, s8, s7
	s_mul_i32 s8, s8, s7
	s_add_i32 s9, s9, s5
	s_lshl_b64 s[8:9], s[8:9], 3
	v_lshlrev_b64 v[2:3], 3, v[10:11]
	v_add_nc_u32_e32 v10, 4, v12
	s_add_u32 s5, s14, s8
	s_addc_u32 s7, s15, s9
	v_ashrrev_i32_e32 v11, 31, v10
	v_add_co_u32 v74, vcc_lo, s5, v2
	v_add_co_ci_u32_e64 v75, null, s7, v3, vcc_lo
	v_lshlrev_b64 v[2:3], 3, v[10:11]
	v_add_co_u32 v13, vcc_lo, v74, v0
	v_add_co_ci_u32_e64 v14, null, v75, v1, vcc_lo
	s_and_b32 vcc_lo, exec_lo, s6
	global_store_dwordx2 v[13:14], v[8:9], off
	s_cbranch_vccnz .LBB182_47
; %bb.46:
	v_add_co_u32 v4, vcc_lo, v72, v2
	v_add_co_ci_u32_e64 v5, null, v73, v3, vcc_lo
	global_load_dwordx2 v[4:5], v[4:5], off
	s_waitcnt vmcnt(0)
	v_mul_f64 v[4:5], s[10:11], v[4:5]
.LBB182_47:
	s_clause 0x1
	buffer_load_dword v10, off, s[0:3], 0 offset:16
	buffer_load_dword v11, off, s[0:3], 0 offset:20
	s_waitcnt vmcnt(2)
	v_add_f64 v[13:14], v[6:7], v[4:5]
	v_add_nc_u32_e32 v4, 8, v12
	v_add_co_u32 v15, vcc_lo, v74, v2
	v_mov_b32_e32 v8, 0
	v_mov_b32_e32 v6, 0
	v_ashrrev_i32_e32 v5, 31, v4
	v_add_co_ci_u32_e64 v16, null, v75, v3, vcc_lo
	v_mov_b32_e32 v9, 0
	v_mov_b32_e32 v7, 0
	v_lshlrev_b64 v[4:5], 3, v[4:5]
	s_and_b32 vcc_lo, exec_lo, s6
	global_store_dwordx2 v[15:16], v[13:14], off
	s_cbranch_vccnz .LBB182_49
; %bb.48:
	v_add_co_u32 v6, vcc_lo, v72, v4
	v_add_co_ci_u32_e64 v7, null, v73, v5, vcc_lo
	global_load_dwordx2 v[6:7], v[6:7], off
	s_waitcnt vmcnt(0)
	v_mul_f64 v[6:7], s[10:11], v[6:7]
.LBB182_49:
	s_clause 0x1
	buffer_load_dword v13, off, s[0:3], 0 offset:24
	buffer_load_dword v14, off, s[0:3], 0 offset:28
	s_waitcnt vmcnt(2)
	v_add_f64 v[10:11], v[10:11], v[6:7]
	v_add_nc_u32_e32 v6, 12, v12
	v_add_co_u32 v15, vcc_lo, v74, v4
	v_add_co_ci_u32_e64 v16, null, v75, v5, vcc_lo
	v_ashrrev_i32_e32 v7, 31, v6
	s_and_b32 vcc_lo, exec_lo, s6
	v_lshlrev_b64 v[6:7], 3, v[6:7]
	global_store_dwordx2 v[15:16], v[10:11], off
	s_cbranch_vccnz .LBB182_51
; %bb.50:
	v_add_co_u32 v8, vcc_lo, v72, v6
	v_add_co_ci_u32_e64 v9, null, v73, v7, vcc_lo
	global_load_dwordx2 v[8:9], v[8:9], off
	s_waitcnt vmcnt(0)
	v_mul_f64 v[8:9], s[10:11], v[8:9]
.LBB182_51:
	s_clause 0x1
	buffer_load_dword v10, off, s[0:3], 0 offset:32
	buffer_load_dword v11, off, s[0:3], 0 offset:36
	s_waitcnt vmcnt(2)
	v_add_f64 v[17:18], v[13:14], v[8:9]
	v_add_nc_u32_e32 v8, 16, v12
	v_add_co_u32 v19, vcc_lo, v74, v6
	v_mov_b32_e32 v13, 0
	v_mov_b32_e32 v15, 0
	v_ashrrev_i32_e32 v9, 31, v8
	v_add_co_ci_u32_e64 v20, null, v75, v7, vcc_lo
	v_mov_b32_e32 v14, 0
	v_mov_b32_e32 v16, 0
	v_lshlrev_b64 v[8:9], 3, v[8:9]
	s_and_b32 vcc_lo, exec_lo, s6
	global_store_dwordx2 v[19:20], v[17:18], off
	s_cbranch_vccnz .LBB182_53
; %bb.52:
	v_add_co_u32 v15, vcc_lo, v72, v8
	v_add_co_ci_u32_e64 v16, null, v73, v9, vcc_lo
	global_load_dwordx2 v[15:16], v[15:16], off
	s_waitcnt vmcnt(0)
	v_mul_f64 v[15:16], s[10:11], v[15:16]
.LBB182_53:
	s_clause 0x1
	buffer_load_dword v17, off, s[0:3], 0 offset:40
	buffer_load_dword v18, off, s[0:3], 0 offset:44
	s_waitcnt vmcnt(2)
	v_add_f64 v[15:16], v[10:11], v[15:16]
	v_add_nc_u32_e32 v10, 20, v12
	v_add_co_u32 v19, vcc_lo, v74, v8
	v_add_co_ci_u32_e64 v20, null, v75, v9, vcc_lo
	v_ashrrev_i32_e32 v11, 31, v10
	s_and_b32 vcc_lo, exec_lo, s6
	v_lshlrev_b64 v[10:11], 3, v[10:11]
	;; [unrolled: 44-line block ×15, first 2 shown]
	global_store_dwordx2 v[76:77], v[67:68], off
	s_cbranch_vccnz .LBB182_107
; %bb.106:
	v_add_co_u32 v65, vcc_lo, v72, v63
	v_add_co_ci_u32_e64 v66, null, v73, v64, vcc_lo
	global_load_dwordx2 v[65:66], v[65:66], off
	s_waitcnt vmcnt(0)
	v_mul_f64 v[65:66], s[10:11], v[65:66]
.LBB182_107:
	s_clause 0x1
	buffer_load_dword v67, off, s[0:3], 0 offset:256
	buffer_load_dword v68, off, s[0:3], 0 offset:260
	v_add_nc_u32_e32 v76, 64, v71
	s_waitcnt vmcnt(2)
	v_add_f64 v[69:70], v[69:70], v[65:66]
	v_add_co_u32 v74, vcc_lo, v74, v63
	v_add_co_ci_u32_e64 v75, null, v75, v64, vcc_lo
	v_mad_i64_i32 v[65:66], null, v76, s13, 0
	v_mov_b32_e32 v71, 0
	v_mov_b32_e32 v72, 0
	v_lshlrev_b64 v[77:78], 3, v[65:66]
	v_mov_b32_e32 v65, 0
	v_mov_b32_e32 v66, 0
	v_add_co_u32 v12, vcc_lo, s18, v77
	v_add_co_ci_u32_e64 v73, null, s19, v78, vcc_lo
	s_and_b32 vcc_lo, exec_lo, s6
	global_store_dwordx2 v[74:75], v[69:70], off
	s_cbranch_vccnz .LBB182_109
; %bb.108:
	v_add_co_u32 v69, vcc_lo, v12, v0
	v_add_co_ci_u32_e64 v70, null, v73, v1, vcc_lo
	global_load_dwordx2 v[69:70], v[69:70], off
	s_waitcnt vmcnt(0)
	v_mul_f64 v[71:72], s[10:11], v[69:70]
.LBB182_109:
	s_clause 0x1
	buffer_load_dword v69, off, s[0:3], 0 offset:264
	buffer_load_dword v70, off, s[0:3], 0 offset:268
	v_mad_i64_i32 v[74:75], null, v76, s4, 0
	s_waitcnt vmcnt(2)
	v_add_f64 v[67:68], v[67:68], v[71:72]
	v_lshlrev_b64 v[71:72], 3, v[74:75]
	v_add_co_u32 v71, vcc_lo, s5, v71
	v_add_co_ci_u32_e64 v72, null, s7, v72, vcc_lo
	v_add_co_u32 v0, vcc_lo, v71, v0
	v_add_co_ci_u32_e64 v1, null, v72, v1, vcc_lo
	s_and_b32 vcc_lo, exec_lo, s6
	global_store_dwordx2 v[0:1], v[67:68], off
	s_cbranch_vccnz .LBB182_111
; %bb.110:
	v_add_co_u32 v0, vcc_lo, v12, v2
	v_add_co_ci_u32_e64 v1, null, v73, v3, vcc_lo
	global_load_dwordx2 v[0:1], v[0:1], off
	s_waitcnt vmcnt(0)
	v_mul_f64 v[65:66], s[10:11], v[0:1]
.LBB182_111:
	s_clause 0x1
	buffer_load_dword v67, off, s[0:3], 0 offset:272
	buffer_load_dword v68, off, s[0:3], 0 offset:276
	s_waitcnt vmcnt(2)
	v_add_f64 v[65:66], v[69:70], v[65:66]
	v_add_co_u32 v69, vcc_lo, v71, v2
	v_add_co_ci_u32_e64 v70, null, v72, v3, vcc_lo
	v_mov_b32_e32 v0, 0
	v_mov_b32_e32 v2, 0
	;; [unrolled: 1-line block ×4, first 2 shown]
	s_and_b32 vcc_lo, exec_lo, s6
	global_store_dwordx2 v[69:70], v[65:66], off
	s_cbranch_vccnz .LBB182_113
; %bb.112:
	v_add_co_u32 v2, vcc_lo, v12, v4
	v_add_co_ci_u32_e64 v3, null, v73, v5, vcc_lo
	global_load_dwordx2 v[2:3], v[2:3], off
	s_waitcnt vmcnt(0)
	v_mul_f64 v[2:3], s[10:11], v[2:3]
.LBB182_113:
	s_clause 0x1
	buffer_load_dword v65, off, s[0:3], 0 offset:280
	buffer_load_dword v66, off, s[0:3], 0 offset:284
	s_waitcnt vmcnt(2)
	v_add_f64 v[2:3], v[67:68], v[2:3]
	v_add_co_u32 v4, vcc_lo, v71, v4
	v_add_co_ci_u32_e64 v5, null, v72, v5, vcc_lo
	s_and_b32 vcc_lo, exec_lo, s6
	global_store_dwordx2 v[4:5], v[2:3], off
	s_cbranch_vccnz .LBB182_115
; %bb.114:
	v_add_co_u32 v0, vcc_lo, v12, v6
	v_add_co_ci_u32_e64 v1, null, v73, v7, vcc_lo
	global_load_dwordx2 v[0:1], v[0:1], off
	s_waitcnt vmcnt(0)
	v_mul_f64 v[0:1], s[10:11], v[0:1]
.LBB182_115:
	s_clause 0x1
	buffer_load_dword v2, off, s[0:3], 0 offset:288
	buffer_load_dword v3, off, s[0:3], 0 offset:292
	s_waitcnt vmcnt(2)
	v_add_f64 v[4:5], v[65:66], v[0:1]
	v_add_co_u32 v65, vcc_lo, v71, v6
	v_add_co_ci_u32_e64 v66, null, v72, v7, vcc_lo
	v_mov_b32_e32 v0, 0
	v_mov_b32_e32 v6, 0
	;; [unrolled: 1-line block ×4, first 2 shown]
	s_and_b32 vcc_lo, exec_lo, s6
	global_store_dwordx2 v[65:66], v[4:5], off
	s_cbranch_vccnz .LBB182_117
; %bb.116:
	v_add_co_u32 v4, vcc_lo, v12, v8
	v_add_co_ci_u32_e64 v5, null, v73, v9, vcc_lo
	global_load_dwordx2 v[4:5], v[4:5], off
	s_waitcnt vmcnt(0)
	v_mul_f64 v[6:7], s[10:11], v[4:5]
.LBB182_117:
	s_clause 0x1
	buffer_load_dword v4, off, s[0:3], 0 offset:296
	buffer_load_dword v5, off, s[0:3], 0 offset:300
	s_waitcnt vmcnt(2)
	v_add_f64 v[2:3], v[2:3], v[6:7]
	v_add_co_u32 v6, vcc_lo, v71, v8
	v_add_co_ci_u32_e64 v7, null, v72, v9, vcc_lo
	s_and_b32 vcc_lo, exec_lo, s6
	global_store_dwordx2 v[6:7], v[2:3], off
	s_cbranch_vccnz .LBB182_119
; %bb.118:
	v_add_co_u32 v0, vcc_lo, v12, v10
	v_add_co_ci_u32_e64 v1, null, v73, v11, vcc_lo
	global_load_dwordx2 v[0:1], v[0:1], off
	s_waitcnt vmcnt(0)
	v_mul_f64 v[0:1], s[10:11], v[0:1]
.LBB182_119:
	s_clause 0x1
	buffer_load_dword v2, off, s[0:3], 0 offset:304
	buffer_load_dword v3, off, s[0:3], 0 offset:308
	s_waitcnt vmcnt(2)
	v_add_f64 v[4:5], v[4:5], v[0:1]
	v_add_co_u32 v8, vcc_lo, v71, v10
	v_mov_b32_e32 v0, 0
	v_mov_b32_e32 v6, 0
	v_add_co_ci_u32_e64 v9, null, v72, v11, vcc_lo
	v_mov_b32_e32 v1, 0
	v_mov_b32_e32 v7, 0
	s_and_b32 vcc_lo, exec_lo, s6
	global_store_dwordx2 v[8:9], v[4:5], off
	s_cbranch_vccnz .LBB182_121
; %bb.120:
	v_add_co_u32 v4, vcc_lo, v12, v13
	v_add_co_ci_u32_e64 v5, null, v73, v14, vcc_lo
	global_load_dwordx2 v[4:5], v[4:5], off
	s_waitcnt vmcnt(0)
	v_mul_f64 v[6:7], s[10:11], v[4:5]
.LBB182_121:
	s_clause 0x1
	buffer_load_dword v4, off, s[0:3], 0 offset:312
	buffer_load_dword v5, off, s[0:3], 0 offset:316
	s_waitcnt vmcnt(2)
	v_add_f64 v[2:3], v[2:3], v[6:7]
	v_add_co_u32 v6, vcc_lo, v71, v13
	v_add_co_ci_u32_e64 v7, null, v72, v14, vcc_lo
	s_and_b32 vcc_lo, exec_lo, s6
	global_store_dwordx2 v[6:7], v[2:3], off
	s_cbranch_vccnz .LBB182_123
; %bb.122:
	v_add_co_u32 v0, vcc_lo, v12, v15
	v_add_co_ci_u32_e64 v1, null, v73, v16, vcc_lo
	global_load_dwordx2 v[0:1], v[0:1], off
	s_waitcnt vmcnt(0)
	v_mul_f64 v[0:1], s[10:11], v[0:1]
.LBB182_123:
	s_clause 0x1
	buffer_load_dword v2, off, s[0:3], 0 offset:320
	buffer_load_dword v3, off, s[0:3], 0 offset:324
	s_waitcnt vmcnt(2)
	v_add_f64 v[4:5], v[4:5], v[0:1]
	v_add_co_u32 v8, vcc_lo, v71, v15
	v_mov_b32_e32 v0, 0
	v_mov_b32_e32 v6, 0
	v_add_co_ci_u32_e64 v9, null, v72, v16, vcc_lo
	v_mov_b32_e32 v1, 0
	v_mov_b32_e32 v7, 0
	;; [unrolled: 38-line block ×13, first 2 shown]
	s_and_b32 vcc_lo, exec_lo, s6
	global_store_dwordx2 v[8:9], v[4:5], off
	s_cbranch_vccnz .LBB182_169
; %bb.168:
	v_add_co_u32 v4, vcc_lo, v12, v61
	v_add_co_ci_u32_e64 v5, null, v73, v62, vcc_lo
	global_load_dwordx2 v[4:5], v[4:5], off
	s_waitcnt vmcnt(0)
	v_mul_f64 v[6:7], s[10:11], v[4:5]
.LBB182_169:
	s_clause 0x1
	buffer_load_dword v4, off, s[0:3], 0 offset:504
	buffer_load_dword v5, off, s[0:3], 0 offset:508
	s_waitcnt vmcnt(2)
	v_add_f64 v[2:3], v[2:3], v[6:7]
	v_add_co_u32 v6, vcc_lo, v71, v61
	v_add_co_ci_u32_e64 v7, null, v72, v62, vcc_lo
	s_and_b32 vcc_lo, exec_lo, s6
	global_store_dwordx2 v[6:7], v[2:3], off
	s_cbranch_vccnz .LBB182_171
; %bb.170:
	v_add_co_u32 v0, vcc_lo, v12, v63
	v_add_co_ci_u32_e64 v1, null, v73, v64, vcc_lo
	global_load_dwordx2 v[0:1], v[0:1], off
	s_waitcnt vmcnt(0)
	v_mul_f64 v[0:1], s[10:11], v[0:1]
.LBB182_171:
	s_waitcnt vmcnt(0)
	v_add_f64 v[0:1], v[4:5], v[0:1]
	v_add_co_u32 v2, vcc_lo, v71, v63
	v_add_co_ci_u32_e64 v3, null, v72, v64, vcc_lo
	global_store_dwordx2 v[2:3], v[0:1], off
	s_endpgm
	.section	.rodata,"a",@progbits
	.p2align	6, 0x0
	.amdhsa_kernel _ZN12_GLOBAL__N_120geam_min_plus_kernelIdddLi4ELi64ELi128ELi128ELi4ELi64ELi4ELi4ELi64ELc78ELc78ELb0ELb0ELb0EdKddEEviiiT16_PT17_ilS4_ilS2_S4_ilPT18_ili26rocblas_geam_ex_operation_
		.amdhsa_group_segment_fixed_size 16384
		.amdhsa_private_segment_fixed_size 528
		.amdhsa_kernarg_size 136
		.amdhsa_user_sgpr_count 6
		.amdhsa_user_sgpr_private_segment_buffer 1
		.amdhsa_user_sgpr_dispatch_ptr 0
		.amdhsa_user_sgpr_queue_ptr 0
		.amdhsa_user_sgpr_kernarg_segment_ptr 1
		.amdhsa_user_sgpr_dispatch_id 0
		.amdhsa_user_sgpr_flat_scratch_init 0
		.amdhsa_user_sgpr_private_segment_size 0
		.amdhsa_wavefront_size32 1
		.amdhsa_uses_dynamic_stack 0
		.amdhsa_system_sgpr_private_segment_wavefront_offset 1
		.amdhsa_system_sgpr_workgroup_id_x 1
		.amdhsa_system_sgpr_workgroup_id_y 0
		.amdhsa_system_sgpr_workgroup_id_z 1
		.amdhsa_system_sgpr_workgroup_info 0
		.amdhsa_system_vgpr_workitem_id 1
		.amdhsa_next_free_vgpr 227
		.amdhsa_next_free_sgpr 30
		.amdhsa_reserve_vcc 1
		.amdhsa_reserve_flat_scratch 0
		.amdhsa_float_round_mode_32 0
		.amdhsa_float_round_mode_16_64 0
		.amdhsa_float_denorm_mode_32 3
		.amdhsa_float_denorm_mode_16_64 3
		.amdhsa_dx10_clamp 1
		.amdhsa_ieee_mode 1
		.amdhsa_fp16_overflow 0
		.amdhsa_workgroup_processor_mode 1
		.amdhsa_memory_ordered 1
		.amdhsa_forward_progress 1
		.amdhsa_shared_vgpr_count 0
		.amdhsa_exception_fp_ieee_invalid_op 0
		.amdhsa_exception_fp_denorm_src 0
		.amdhsa_exception_fp_ieee_div_zero 0
		.amdhsa_exception_fp_ieee_overflow 0
		.amdhsa_exception_fp_ieee_underflow 0
		.amdhsa_exception_fp_ieee_inexact 0
		.amdhsa_exception_int_div_zero 0
	.end_amdhsa_kernel
	.section	.text._ZN12_GLOBAL__N_120geam_min_plus_kernelIdddLi4ELi64ELi128ELi128ELi4ELi64ELi4ELi4ELi64ELc78ELc78ELb0ELb0ELb0EdKddEEviiiT16_PT17_ilS4_ilS2_S4_ilPT18_ili26rocblas_geam_ex_operation_,"axG",@progbits,_ZN12_GLOBAL__N_120geam_min_plus_kernelIdddLi4ELi64ELi128ELi128ELi4ELi64ELi4ELi4ELi64ELc78ELc78ELb0ELb0ELb0EdKddEEviiiT16_PT17_ilS4_ilS2_S4_ilPT18_ili26rocblas_geam_ex_operation_,comdat
.Lfunc_end182:
	.size	_ZN12_GLOBAL__N_120geam_min_plus_kernelIdddLi4ELi64ELi128ELi128ELi4ELi64ELi4ELi4ELi64ELc78ELc78ELb0ELb0ELb0EdKddEEviiiT16_PT17_ilS4_ilS2_S4_ilPT18_ili26rocblas_geam_ex_operation_, .Lfunc_end182-_ZN12_GLOBAL__N_120geam_min_plus_kernelIdddLi4ELi64ELi128ELi128ELi4ELi64ELi4ELi4ELi64ELc78ELc78ELb0ELb0ELb0EdKddEEviiiT16_PT17_ilS4_ilS2_S4_ilPT18_ili26rocblas_geam_ex_operation_
                                        ; -- End function
	.set _ZN12_GLOBAL__N_120geam_min_plus_kernelIdddLi4ELi64ELi128ELi128ELi4ELi64ELi4ELi4ELi64ELc78ELc78ELb0ELb0ELb0EdKddEEviiiT16_PT17_ilS4_ilS2_S4_ilPT18_ili26rocblas_geam_ex_operation_.num_vgpr, 227
	.set _ZN12_GLOBAL__N_120geam_min_plus_kernelIdddLi4ELi64ELi128ELi128ELi4ELi64ELi4ELi4ELi64ELc78ELc78ELb0ELb0ELb0EdKddEEviiiT16_PT17_ilS4_ilS2_S4_ilPT18_ili26rocblas_geam_ex_operation_.num_agpr, 0
	.set _ZN12_GLOBAL__N_120geam_min_plus_kernelIdddLi4ELi64ELi128ELi128ELi4ELi64ELi4ELi4ELi64ELc78ELc78ELb0ELb0ELb0EdKddEEviiiT16_PT17_ilS4_ilS2_S4_ilPT18_ili26rocblas_geam_ex_operation_.numbered_sgpr, 30
	.set _ZN12_GLOBAL__N_120geam_min_plus_kernelIdddLi4ELi64ELi128ELi128ELi4ELi64ELi4ELi4ELi64ELc78ELc78ELb0ELb0ELb0EdKddEEviiiT16_PT17_ilS4_ilS2_S4_ilPT18_ili26rocblas_geam_ex_operation_.num_named_barrier, 0
	.set _ZN12_GLOBAL__N_120geam_min_plus_kernelIdddLi4ELi64ELi128ELi128ELi4ELi64ELi4ELi4ELi64ELc78ELc78ELb0ELb0ELb0EdKddEEviiiT16_PT17_ilS4_ilS2_S4_ilPT18_ili26rocblas_geam_ex_operation_.private_seg_size, 528
	.set _ZN12_GLOBAL__N_120geam_min_plus_kernelIdddLi4ELi64ELi128ELi128ELi4ELi64ELi4ELi4ELi64ELc78ELc78ELb0ELb0ELb0EdKddEEviiiT16_PT17_ilS4_ilS2_S4_ilPT18_ili26rocblas_geam_ex_operation_.uses_vcc, 1
	.set _ZN12_GLOBAL__N_120geam_min_plus_kernelIdddLi4ELi64ELi128ELi128ELi4ELi64ELi4ELi4ELi64ELc78ELc78ELb0ELb0ELb0EdKddEEviiiT16_PT17_ilS4_ilS2_S4_ilPT18_ili26rocblas_geam_ex_operation_.uses_flat_scratch, 0
	.set _ZN12_GLOBAL__N_120geam_min_plus_kernelIdddLi4ELi64ELi128ELi128ELi4ELi64ELi4ELi4ELi64ELc78ELc78ELb0ELb0ELb0EdKddEEviiiT16_PT17_ilS4_ilS2_S4_ilPT18_ili26rocblas_geam_ex_operation_.has_dyn_sized_stack, 0
	.set _ZN12_GLOBAL__N_120geam_min_plus_kernelIdddLi4ELi64ELi128ELi128ELi4ELi64ELi4ELi4ELi64ELc78ELc78ELb0ELb0ELb0EdKddEEviiiT16_PT17_ilS4_ilS2_S4_ilPT18_ili26rocblas_geam_ex_operation_.has_recursion, 0
	.set _ZN12_GLOBAL__N_120geam_min_plus_kernelIdddLi4ELi64ELi128ELi128ELi4ELi64ELi4ELi4ELi64ELc78ELc78ELb0ELb0ELb0EdKddEEviiiT16_PT17_ilS4_ilS2_S4_ilPT18_ili26rocblas_geam_ex_operation_.has_indirect_call, 0
	.section	.AMDGPU.csdata,"",@progbits
; Kernel info:
; codeLenInByte = 19300
; TotalNumSgprs: 32
; NumVgprs: 227
; ScratchSize: 528
; MemoryBound: 1
; FloatMode: 240
; IeeeMode: 1
; LDSByteSize: 16384 bytes/workgroup (compile time only)
; SGPRBlocks: 0
; VGPRBlocks: 28
; NumSGPRsForWavesPerEU: 32
; NumVGPRsForWavesPerEU: 227
; Occupancy: 4
; WaveLimiterHint : 1
; COMPUTE_PGM_RSRC2:SCRATCH_EN: 1
; COMPUTE_PGM_RSRC2:USER_SGPR: 6
; COMPUTE_PGM_RSRC2:TRAP_HANDLER: 0
; COMPUTE_PGM_RSRC2:TGID_X_EN: 1
; COMPUTE_PGM_RSRC2:TGID_Y_EN: 0
; COMPUTE_PGM_RSRC2:TGID_Z_EN: 1
; COMPUTE_PGM_RSRC2:TIDIG_COMP_CNT: 1
	.section	.text._ZN12_GLOBAL__N_120geam_min_plus_kernelIdddLi4ELi64ELi128ELi128ELi4ELi64ELi4ELi4ELi64ELc78ELc78ELb0ELb1ELb0EPKdS1_dEEviiiT16_PT17_ilS5_ilS3_S5_ilPT18_ili26rocblas_geam_ex_operation_,"axG",@progbits,_ZN12_GLOBAL__N_120geam_min_plus_kernelIdddLi4ELi64ELi128ELi128ELi4ELi64ELi4ELi4ELi64ELc78ELc78ELb0ELb1ELb0EPKdS1_dEEviiiT16_PT17_ilS5_ilS3_S5_ilPT18_ili26rocblas_geam_ex_operation_,comdat
	.globl	_ZN12_GLOBAL__N_120geam_min_plus_kernelIdddLi4ELi64ELi128ELi128ELi4ELi64ELi4ELi4ELi64ELc78ELc78ELb0ELb1ELb0EPKdS1_dEEviiiT16_PT17_ilS5_ilS3_S5_ilPT18_ili26rocblas_geam_ex_operation_ ; -- Begin function _ZN12_GLOBAL__N_120geam_min_plus_kernelIdddLi4ELi64ELi128ELi128ELi4ELi64ELi4ELi4ELi64ELc78ELc78ELb0ELb1ELb0EPKdS1_dEEviiiT16_PT17_ilS5_ilS3_S5_ilPT18_ili26rocblas_geam_ex_operation_
	.p2align	8
	.type	_ZN12_GLOBAL__N_120geam_min_plus_kernelIdddLi4ELi64ELi128ELi128ELi4ELi64ELi4ELi4ELi64ELc78ELc78ELb0ELb1ELb0EPKdS1_dEEviiiT16_PT17_ilS5_ilS3_S5_ilPT18_ili26rocblas_geam_ex_operation_,@function
_ZN12_GLOBAL__N_120geam_min_plus_kernelIdddLi4ELi64ELi128ELi128ELi4ELi64ELi4ELi4ELi64ELc78ELc78ELb0ELb1ELb0EPKdS1_dEEviiiT16_PT17_ilS5_ilS3_S5_ilPT18_ili26rocblas_geam_ex_operation_: ; @_ZN12_GLOBAL__N_120geam_min_plus_kernelIdddLi4ELi64ELi128ELi128ELi4ELi64ELi4ELi4ELi64ELc78ELc78ELb0ELb1ELb0EPKdS1_dEEviiiT16_PT17_ilS5_ilS3_S5_ilPT18_ili26rocblas_geam_ex_operation_
; %bb.0:
	s_load_dwordx4 s[16:19], s[4:5], 0x10
	s_mov_b32 s20, s7
	s_mov_b32 s21, 0
	s_add_u32 s0, s0, s8
	s_addc_u32 s1, s1, 0
	s_lshl_b64 s[22:23], s[20:21], 3
	s_clause 0x1
	s_load_dwordx4 s[8:11], s[4:5], 0x28
	s_load_dwordx2 s[26:27], s[4:5], 0x50
	s_mov_b64 s[24:25], 0
	s_waitcnt lgkmcnt(0)
	s_add_u32 s12, s16, s22
	s_addc_u32 s13, s17, s23
	s_load_dwordx2 s[16:17], s[12:13], 0x0
	s_load_dwordx4 s[12:15], s[4:5], 0x40
	s_waitcnt lgkmcnt(0)
	v_cmp_eq_f64_e64 s21, s[16:17], 0
	v_cmp_neq_f64_e64 s7, s[16:17], 0
	s_add_u32 s14, s14, s22
	s_addc_u32 s15, s15, s23
	s_mov_b64 s[22:23], 0
	s_and_b32 vcc_lo, exec_lo, s21
	s_cbranch_vccnz .LBB183_2
; %bb.1:
	s_mul_i32 s9, s9, s20
	s_mul_hi_u32 s21, s8, s20
	s_mul_i32 s8, s8, s20
	s_add_i32 s9, s21, s9
	s_lshl_b64 s[8:9], s[8:9], 3
	s_add_u32 s24, s18, s8
	s_addc_u32 s25, s19, s9
.LBB183_2:
	s_load_dwordx2 s[38:39], s[14:15], 0x0
	s_andn2_b32 vcc_lo, exec_lo, s7
	s_cbranch_vccnz .LBB183_4
; %bb.3:
	s_mul_i32 s7, s13, s20
	s_mul_hi_u32 s8, s12, s20
	s_add_i32 s9, s8, s7
	s_mul_i32 s8, s12, s20
	s_lshl_b64 s[8:9], s[8:9], 3
	s_add_u32 s22, s10, s8
	s_addc_u32 s23, s11, s9
.LBB183_4:
	s_waitcnt lgkmcnt(0)
	v_cmp_eq_f64_e64 s7, s[38:39], 0
	v_cmp_neq_f64_e64 s46, s[38:39], 0
	s_load_dwordx4 s[12:15], s[4:5], 0x60
	s_mov_b64 s[44:45], 0
	s_and_b32 vcc_lo, exec_lo, s7
	s_cbranch_vccnz .LBB183_6
; %bb.5:
	s_waitcnt lgkmcnt(0)
	s_mul_i32 s7, s13, s20
	s_mul_hi_u32 s8, s12, s20
	s_add_i32 s9, s8, s7
	s_mul_i32 s8, s12, s20
	s_lshl_b64 s[8:9], s[8:9], 3
	s_add_u32 s44, s26, s8
	s_addc_u32 s45, s27, s9
.LBB183_6:
	s_load_dwordx4 s[40:43], s[4:5], 0x0
	s_waitcnt lgkmcnt(0)
	s_load_dword s13, s[4:5], 0x20
	v_lshl_add_u32 v8, v1, 2, v0
	v_cmp_eq_f64_e64 s19, s[16:17], 0
	v_mov_b32_e32 v11, 0
	buffer_store_dword v11, off, s[0:3], 0 offset:4
	buffer_store_dword v11, off, s[0:3], 0
	buffer_store_dword v11, off, s[0:3], 0 offset:12
	buffer_store_dword v11, off, s[0:3], 0 offset:8
	buffer_store_dword v11, off, s[0:3], 0 offset:20
	buffer_store_dword v11, off, s[0:3], 0 offset:16
	buffer_store_dword v11, off, s[0:3], 0 offset:28
	buffer_store_dword v11, off, s[0:3], 0 offset:24
	buffer_store_dword v11, off, s[0:3], 0 offset:36
	buffer_store_dword v11, off, s[0:3], 0 offset:32
	buffer_store_dword v11, off, s[0:3], 0 offset:44
	buffer_store_dword v11, off, s[0:3], 0 offset:40
	buffer_store_dword v11, off, s[0:3], 0 offset:52
	buffer_store_dword v11, off, s[0:3], 0 offset:48
	v_lshrrev_b32_e32 v84, 6, v8
	v_and_b32_e32 v20, 63, v8
	buffer_store_dword v11, off, s[0:3], 0 offset:60
	buffer_store_dword v11, off, s[0:3], 0 offset:56
	;; [unrolled: 1-line block ×19, first 2 shown]
	s_add_i32 s7, s40, -1
	v_cmp_le_i32_e32 vcc_lo, s42, v84
	s_ashr_i32 s8, s7, 31
	buffer_store_dword v11, off, s[0:3], 0 offset:128
	buffer_store_dword v11, off, s[0:3], 0 offset:140
	buffer_store_dword v11, off, s[0:3], 0 offset:136
	buffer_store_dword v11, off, s[0:3], 0 offset:148
	s_lshr_b32 s8, s8, 25
	buffer_store_dword v11, off, s[0:3], 0 offset:144
	buffer_store_dword v11, off, s[0:3], 0 offset:156
	;; [unrolled: 1-line block ×4, first 2 shown]
	s_add_i32 s7, s7, s8
	buffer_store_dword v11, off, s[0:3], 0 offset:160
	buffer_store_dword v11, off, s[0:3], 0 offset:172
	s_ashr_i32 s7, s7, 7
	buffer_store_dword v11, off, s[0:3], 0 offset:168
	s_add_i32 s9, s7, 1
	s_not_b32 s7, s7
	v_cvt_f32_u32_e32 v2, s9
	buffer_store_dword v11, off, s[0:3], 0 offset:180
	buffer_store_dword v11, off, s[0:3], 0 offset:176
	;; [unrolled: 1-line block ×4, first 2 shown]
	v_rcp_iflag_f32_e32 v2, v2
	buffer_store_dword v11, off, s[0:3], 0 offset:196
	buffer_store_dword v11, off, s[0:3], 0 offset:192
	;; [unrolled: 1-line block ×71, first 2 shown]
	v_mul_f32_e32 v2, 0x4f7ffffe, v2
	buffer_store_dword v11, off, s[0:3], 0 offset:472
	buffer_store_dword v11, off, s[0:3], 0 offset:484
	;; [unrolled: 1-line block ×9, first 2 shown]
	v_cvt_u32_f32_e32 v2, v2
	v_readfirstlane_b32 s8, v2
	s_mul_i32 s7, s7, s8
	s_mul_hi_u32 s7, s8, s7
	s_add_i32 s8, s8, s7
	s_mul_hi_u32 s7, s6, s8
	s_mul_i32 s8, s7, s9
	s_add_i32 s10, s7, 1
	s_sub_i32 s8, s6, s8
	s_sub_i32 s11, s8, s9
	s_cmp_ge_u32 s8, s9
	s_cselect_b32 s7, s10, s7
	s_cselect_b32 s8, s11, s8
	s_add_i32 s10, s7, 1
	s_cmp_ge_u32 s8, s9
	s_cselect_b32 s8, s10, s7
	s_add_i32 s18, s42, -1
	s_mul_i32 s7, s8, s9
	v_min_i32_e32 v2, s18, v84
	s_sub_i32 s6, s6, s7
	s_lshl_b32 s11, s6, 7
	s_waitcnt lgkmcnt(0)
	v_mad_i64_i32 v[2:3], null, s13, v2, 0
	v_or_b32_e32 v6, s11, v20
	v_cmp_le_i32_e64 s6, s40, v6
	v_lshlrev_b64 v[4:5], 3, v[2:3]
	v_mov_b32_e32 v2, 0
	v_mov_b32_e32 v3, 0
	v_ashrrev_i32_e32 v7, 31, v6
	v_add_co_u32 v9, s7, s24, v4
	v_add_co_ci_u32_e64 v10, null, s25, v5, s7
	v_mov_b32_e32 v4, 0
	v_mov_b32_e32 v5, 0
	s_or_b32 s7, s6, vcc_lo
	s_nor_b32 s7, s19, s7
	s_and_saveexec_b32 s9, s7
	s_cbranch_execz .LBB183_8
; %bb.7:
	v_lshlrev_b64 v[4:5], 3, v[6:7]
	v_add_co_u32 v4, s7, v9, v4
	v_add_co_ci_u32_e64 v5, null, v10, v5, s7
	global_load_dwordx2 v[4:5], v[4:5], off
	s_waitcnt vmcnt(0)
	v_mul_f64 v[4:5], s[16:17], v[4:5]
.LBB183_8:
	s_or_b32 exec_lo, exec_lo, s9
	v_or_b32_e32 v11, 64, v6
	v_cmp_le_i32_e64 s7, s40, v11
	s_or_b32 s9, s7, vcc_lo
	s_nor_b32 s10, s19, s9
	s_and_saveexec_b32 s9, s10
	s_cbranch_execz .LBB183_10
; %bb.9:
	v_lshlrev_b64 v[2:3], 3, v[6:7]
	v_add_co_u32 v2, vcc_lo, v9, v2
	v_add_co_ci_u32_e64 v3, null, v10, v3, vcc_lo
	global_load_dwordx2 v[2:3], v[2:3], off offset:512
	s_waitcnt vmcnt(0)
	v_mul_f64 v[2:3], s[16:17], v[2:3]
.LBB183_10:
	s_or_b32 exec_lo, exec_lo, s9
	v_and_b32_e32 v85, 3, v0
	s_load_dword s21, s[4:5], 0x38
	v_lshrrev_b32_e32 v21, 2, v8
	s_lshl_b32 s12, s8, 7
	v_mov_b32_e32 v16, 0
	v_min_i32_e32 v9, s18, v85
	v_cmp_le_i32_e32 vcc_lo, s42, v85
	v_add_nc_u32_e32 v80, s12, v21
	v_mov_b32_e32 v18, 0
	v_mov_b32_e32 v17, 0
	v_ashrrev_i32_e32 v10, 31, v9
	v_mov_b32_e32 v19, 0
	v_cmp_le_i32_e64 s8, s41, v80
	v_lshlrev_b64 v[8:9], 3, v[9:10]
	v_add_co_u32 v8, s9, s22, v8
	v_add_co_ci_u32_e64 v9, null, s23, v9, s9
	s_or_b32 s9, vcc_lo, s8
	s_nor_b32 s9, s19, s9
	s_and_saveexec_b32 s10, s9
	s_cbranch_execz .LBB183_12
; %bb.11:
	s_waitcnt lgkmcnt(0)
	v_mad_i64_i32 v[10:11], null, v80, s21, 0
	v_lshlrev_b64 v[10:11], 3, v[10:11]
	v_add_co_u32 v10, s9, v8, v10
	v_add_co_ci_u32_e64 v11, null, v9, v11, s9
	global_load_dwordx2 v[10:11], v[10:11], off
	s_waitcnt vmcnt(0)
	v_mul_f64 v[18:19], s[16:17], v[10:11]
.LBB183_12:
	s_or_b32 exec_lo, exec_lo, s10
	v_add_nc_u32_e32 v81, 64, v80
	v_cmp_le_i32_e64 s9, s41, v81
	s_or_b32 s10, vcc_lo, s9
	s_nor_b32 s26, s19, s10
	s_and_saveexec_b32 s10, s26
	s_cbranch_execz .LBB183_14
; %bb.13:
	s_waitcnt lgkmcnt(0)
	v_mad_i64_i32 v[10:11], null, v81, s21, 0
	v_lshlrev_b64 v[10:11], 3, v[10:11]
	v_add_co_u32 v8, vcc_lo, v8, v10
	v_add_co_ci_u32_e64 v9, null, v9, v11, vcc_lo
	global_load_dwordx2 v[8:9], v[8:9], off
	s_waitcnt vmcnt(0)
	v_mul_f64 v[16:17], s[16:17], v[8:9]
.LBB183_14:
	s_or_b32 exec_lo, exec_lo, s10
	v_add_nc_u32_e32 v14, 4, v84
	v_mov_b32_e32 v10, 0
	v_mov_b32_e32 v11, 0
	v_min_i32_e32 v8, s18, v14
	v_cmp_le_i32_e32 vcc_lo, s42, v14
	v_mad_i64_i32 v[8:9], null, s13, v8, 0
	v_lshlrev_b64 v[12:13], 3, v[8:9]
	v_mov_b32_e32 v8, 0
	v_mov_b32_e32 v9, 0
	v_add_co_u32 v12, s10, s24, v12
	v_add_co_ci_u32_e64 v13, null, s25, v13, s10
	s_or_b32 s10, s6, vcc_lo
	s_nor_b32 s10, s19, s10
	s_and_saveexec_b32 s26, s10
	s_cbranch_execz .LBB183_16
; %bb.15:
	v_lshlrev_b64 v[10:11], 3, v[6:7]
	v_add_co_u32 v10, s10, v12, v10
	v_add_co_ci_u32_e64 v11, null, v13, v11, s10
	global_load_dwordx2 v[10:11], v[10:11], off
	s_waitcnt vmcnt(0)
	v_mul_f64 v[10:11], s[16:17], v[10:11]
.LBB183_16:
	s_or_b32 exec_lo, exec_lo, s26
	s_or_b32 s10, s7, vcc_lo
	s_nor_b32 s26, s19, s10
	s_and_saveexec_b32 s10, s26
	s_cbranch_execz .LBB183_18
; %bb.17:
	v_lshlrev_b64 v[8:9], 3, v[6:7]
	v_add_co_u32 v8, vcc_lo, v12, v8
	v_add_co_ci_u32_e64 v9, null, v13, v9, vcc_lo
	global_load_dwordx2 v[8:9], v[8:9], off offset:512
	s_waitcnt vmcnt(0)
	v_mul_f64 v[8:9], s[16:17], v[8:9]
.LBB183_18:
	s_or_b32 exec_lo, exec_lo, s10
	v_or_b32_e32 v24, 4, v85
	v_mov_b32_e32 v14, 0
	v_mov_b32_e32 v15, 0
	v_min_i32_e32 v12, s18, v24
	v_cmp_le_i32_e32 vcc_lo, s42, v24
	v_ashrrev_i32_e32 v13, 31, v12
	v_lshlrev_b64 v[22:23], 3, v[12:13]
	v_mov_b32_e32 v12, 0
	v_mov_b32_e32 v13, 0
	v_add_co_u32 v22, s10, s22, v22
	v_add_co_ci_u32_e64 v23, null, s23, v23, s10
	s_or_b32 s10, vcc_lo, s8
	s_nor_b32 s10, s19, s10
	s_and_saveexec_b32 s26, s10
	s_cbranch_execz .LBB183_20
; %bb.19:
	s_waitcnt lgkmcnt(0)
	v_mad_i64_i32 v[14:15], null, v80, s21, 0
	v_lshlrev_b64 v[14:15], 3, v[14:15]
	v_add_co_u32 v14, s10, v22, v14
	v_add_co_ci_u32_e64 v15, null, v23, v15, s10
	global_load_dwordx2 v[14:15], v[14:15], off
	s_waitcnt vmcnt(0)
	v_mul_f64 v[14:15], s[16:17], v[14:15]
.LBB183_20:
	s_or_b32 exec_lo, exec_lo, s26
	s_or_b32 s10, vcc_lo, s9
	s_nor_b32 s26, s19, s10
	s_and_saveexec_b32 s10, s26
	s_cbranch_execz .LBB183_22
; %bb.21:
	s_waitcnt lgkmcnt(0)
	v_mad_i64_i32 v[12:13], null, v81, s21, 0
	v_lshlrev_b64 v[12:13], 3, v[12:13]
	v_add_co_u32 v12, vcc_lo, v22, v12
	v_add_co_ci_u32_e64 v13, null, v23, v13, vcc_lo
	global_load_dwordx2 v[12:13], v[12:13], off
	s_waitcnt vmcnt(0)
	v_mul_f64 v[12:13], s[16:17], v[12:13]
.LBB183_22:
	s_or_b32 exec_lo, exec_lo, s10
	v_lshlrev_b32_e32 v22, 3, v85
	v_lshlrev_b32_e32 v20, 5, v20
	;; [unrolled: 1-line block ×3, first 2 shown]
	v_lshl_or_b32 v89, v1, 5, 0x2000
	s_mov_b32 s10, 0
	v_lshl_or_b32 v82, v21, 5, v22
	v_lshl_add_u32 v86, v84, 3, v20
	s_addk_i32 s10, 0x100
	s_mov_b32 s26, 0
	v_add_nc_u32_e32 v88, 0x2000, v82
	ds_write2st64_b64 v86, v[4:5], v[2:3] offset1:4
	ds_write2st64_b64 v82, v[18:19], v[16:17] offset0:16 offset1:20
	s_waitcnt lgkmcnt(0)
	s_waitcnt_vscnt null, 0x0
	s_barrier
	buffer_gl0_inv
.LBB183_23:                             ; =>This Loop Header: Depth=1
                                        ;     Child Loop BB183_24 Depth 2
	s_lshl_b32 s27, s26, 3
	s_mov_b32 s28, 0
	v_add_nc_u32_e32 v16, s27, v87
	v_add_nc_u32_e32 v83, s27, v89
	s_mov_b32 s27, -1
	ds_read2_b64 v[2:5], v16 offset1:16
	ds_read2_b64 v[20:23], v16 offset0:32 offset1:48
	ds_read2_b64 v[24:27], v16 offset0:64 offset1:80
	ds_read2_b64 v[28:31], v16 offset0:96 offset1:112
	ds_read2_b64 v[32:35], v16 offset0:128 offset1:144
	v_add_nc_u32_e32 v76, 0x800, v16
	ds_read2_b64 v[36:39], v16 offset0:160 offset1:176
	ds_read2_b64 v[40:43], v16 offset0:192 offset1:208
	;; [unrolled: 1-line block ×3, first 2 shown]
	ds_read2_b64 v[48:51], v76 offset1:16
	ds_read2_b64 v[52:55], v76 offset0:32 offset1:48
	ds_read2_b64 v[56:59], v76 offset0:64 offset1:80
	;; [unrolled: 1-line block ×6, first 2 shown]
	s_waitcnt lgkmcnt(9)
	v_max_f64 v[36:37], v[36:37], v[36:37]
	v_max_f64 v[38:39], v[38:39], v[38:39]
	;; [unrolled: 1-line block ×4, first 2 shown]
	ds_read2_b64 v[2:5], v76 offset0:224 offset1:240
	v_max_f64 v[20:21], v[20:21], v[20:21]
	v_max_f64 v[22:23], v[22:23], v[22:23]
	;; [unrolled: 1-line block ×8, first 2 shown]
	s_waitcnt lgkmcnt(9)
	v_max_f64 v[40:41], v[40:41], v[40:41]
	v_max_f64 v[42:43], v[42:43], v[42:43]
	s_waitcnt lgkmcnt(8)
	v_max_f64 v[44:45], v[44:45], v[44:45]
	v_max_f64 v[46:47], v[46:47], v[46:47]
	s_waitcnt lgkmcnt(7)
	v_max_f64 v[48:49], v[48:49], v[48:49]
	v_max_f64 v[50:51], v[50:51], v[50:51]
	s_waitcnt lgkmcnt(6)
	v_max_f64 v[52:53], v[52:53], v[52:53]
	v_max_f64 v[54:55], v[54:55], v[54:55]
	s_waitcnt lgkmcnt(5)
	v_max_f64 v[56:57], v[56:57], v[56:57]
	v_max_f64 v[58:59], v[58:59], v[58:59]
	s_waitcnt lgkmcnt(4)
	v_max_f64 v[60:61], v[60:61], v[60:61]
	v_max_f64 v[62:63], v[62:63], v[62:63]
	s_waitcnt lgkmcnt(3)
	v_max_f64 v[64:65], v[64:65], v[64:65]
	v_max_f64 v[66:67], v[66:67], v[66:67]
	s_waitcnt lgkmcnt(2)
	v_max_f64 v[68:69], v[68:69], v[68:69]
	v_max_f64 v[70:71], v[70:71], v[70:71]
	s_waitcnt lgkmcnt(1)
	v_max_f64 v[72:73], v[72:73], v[72:73]
	v_max_f64 v[74:75], v[74:75], v[74:75]
	s_waitcnt lgkmcnt(0)
	v_max_f64 v[76:77], v[2:3], v[2:3]
	v_max_f64 v[78:79], v[4:5], v[4:5]
	ds_read2st64_b64 v[2:5], v83 offset1:4
.LBB183_24:                             ;   Parent Loop BB183_23 Depth=1
                                        ; =>  This Inner Loop Header: Depth=2
	v_mov_b32_e32 v83, s28
	s_waitcnt lgkmcnt(0)
	v_max_f64 v[2:3], v[2:3], v[2:3]
	s_and_b32 vcc_lo, exec_lo, s27
	s_mov_b32 s27, 0
	s_mov_b32 s28, s10
	s_clause 0xf
	buffer_load_dword v92, v83, s[0:3], 0 offen
	buffer_load_dword v93, v83, s[0:3], 0 offen offset:4
	buffer_load_dword v94, v83, s[0:3], 0 offen offset:8
	buffer_load_dword v95, v83, s[0:3], 0 offen offset:12
	buffer_load_dword v96, v83, s[0:3], 0 offen offset:16
	buffer_load_dword v97, v83, s[0:3], 0 offen offset:20
	buffer_load_dword v98, v83, s[0:3], 0 offen offset:24
	buffer_load_dword v99, v83, s[0:3], 0 offen offset:28
	buffer_load_dword v100, v83, s[0:3], 0 offen offset:32
	buffer_load_dword v101, v83, s[0:3], 0 offen offset:36
	buffer_load_dword v102, v83, s[0:3], 0 offen offset:40
	buffer_load_dword v103, v83, s[0:3], 0 offen offset:44
	buffer_load_dword v104, v83, s[0:3], 0 offen offset:48
	buffer_load_dword v105, v83, s[0:3], 0 offen offset:52
	buffer_load_dword v106, v83, s[0:3], 0 offen offset:56
	buffer_load_dword v107, v83, s[0:3], 0 offen offset:60
	v_min_f64 v[90:91], v[16:17], v[2:3]
	s_waitcnt vmcnt(14)
	v_add_f64 v[90:91], v[90:91], v[92:93]
	buffer_store_dword v90, v83, s[0:3], 0 offen
	buffer_store_dword v91, v83, s[0:3], 0 offen offset:4
	v_min_f64 v[90:91], v[18:19], v[2:3]
	s_waitcnt vmcnt(12)
	v_add_f64 v[90:91], v[90:91], v[94:95]
	buffer_store_dword v90, v83, s[0:3], 0 offen offset:8
	buffer_store_dword v91, v83, s[0:3], 0 offen offset:12
	v_min_f64 v[90:91], v[20:21], v[2:3]
	s_waitcnt vmcnt(10)
	v_add_f64 v[90:91], v[90:91], v[96:97]
	buffer_store_dword v90, v83, s[0:3], 0 offen offset:16
	;; [unrolled: 5-line block ×7, first 2 shown]
	buffer_store_dword v91, v83, s[0:3], 0 offen offset:60
	s_clause 0x1
	buffer_load_dword v93, v83, s[0:3], 0 offen offset:68
	buffer_load_dword v92, v83, s[0:3], 0 offen offset:64
	v_min_f64 v[90:91], v[32:33], v[2:3]
	s_waitcnt vmcnt(0)
	v_add_f64 v[90:91], v[90:91], v[92:93]
	buffer_store_dword v91, v83, s[0:3], 0 offen offset:68
	buffer_store_dword v90, v83, s[0:3], 0 offen offset:64
	s_clause 0x1
	buffer_load_dword v92, v83, s[0:3], 0 offen offset:72
	buffer_load_dword v93, v83, s[0:3], 0 offen offset:76
	v_min_f64 v[90:91], v[34:35], v[2:3]
	s_waitcnt vmcnt(0)
	v_add_f64 v[90:91], v[90:91], v[92:93]
	buffer_store_dword v91, v83, s[0:3], 0 offen offset:76
	;; [unrolled: 8-line block ×22, first 2 shown]
	buffer_store_dword v90, v83, s[0:3], 0 offen offset:232
	s_clause 0x1
	buffer_load_dword v92, v83, s[0:3], 0 offen offset:240
	buffer_load_dword v93, v83, s[0:3], 0 offen offset:244
	v_min_f64 v[90:91], v[76:77], v[2:3]
	v_min_f64 v[2:3], v[78:79], v[2:3]
	s_waitcnt vmcnt(0)
	v_add_f64 v[90:91], v[90:91], v[92:93]
	buffer_store_dword v91, v83, s[0:3], 0 offen offset:244
	buffer_store_dword v90, v83, s[0:3], 0 offen offset:240
	s_clause 0x1
	buffer_load_dword v90, v83, s[0:3], 0 offen offset:248
	buffer_load_dword v91, v83, s[0:3], 0 offen offset:252
	s_waitcnt vmcnt(0)
	v_add_f64 v[2:3], v[2:3], v[90:91]
	buffer_store_dword v3, v83, s[0:3], 0 offen offset:252
	buffer_store_dword v2, v83, s[0:3], 0 offen offset:248
	v_mov_b32_e32 v2, v4
	v_mov_b32_e32 v3, v5
	s_cbranch_vccnz .LBB183_24
; %bb.25:                               ;   in Loop: Header=BB183_23 Depth=1
	s_add_i32 s26, s26, 1
	s_cmp_eq_u32 s26, 4
	s_cbranch_scc0 .LBB183_23
; %bb.26:
	v_lshl_add_u32 v90, v0, 5, 0x1000
	v_lshl_add_u32 v91, v1, 5, 0x3000
	s_cmp_lt_i32 s42, 9
	ds_write2st64_b64 v86, v[10:11], v[8:9] offset0:8 offset1:12
	ds_write2st64_b64 v82, v[14:15], v[12:13] offset0:24 offset1:28
	s_waitcnt lgkmcnt(0)
	s_waitcnt_vscnt null, 0x0
	s_barrier
	buffer_gl0_inv
	s_cbranch_scc1 .LBB183_53
; %bb.27:
	v_mad_i64_i32 v[2:3], null, v80, s21, 0
	v_mad_i64_i32 v[4:5], null, v81, s21, 0
	v_lshlrev_b64 v[70:71], 3, v[6:7]
	v_add_nc_u32_e32 v92, 0x1000, v86
	v_add_nc_u32_e32 v93, 0x3000, v82
	s_add_i32 s21, s42, -8
	v_lshlrev_b64 v[72:73], 3, v[2:3]
	s_or_b32 s26, s8, s19
	v_lshlrev_b64 v[74:75], 3, v[4:5]
	s_or_b32 s9, s9, s19
	s_mov_b32 s27, 8
	s_mov_b32 s28, 0
.LBB183_28:                             ; =>This Loop Header: Depth=1
                                        ;     Child Loop BB183_37 Depth 2
                                        ;       Child Loop BB183_38 Depth 3
                                        ;     Child Loop BB183_49 Depth 2
                                        ;       Child Loop BB183_50 Depth 3
	v_add_nc_u32_e32 v4, s27, v84
	v_mov_b32_e32 v6, 0
	v_mov_b32_e32 v8, 0
	;; [unrolled: 1-line block ×4, first 2 shown]
	v_min_i32_e32 v2, s18, v4
	v_cmp_le_i32_e32 vcc_lo, s42, v4
	v_mad_i64_i32 v[2:3], null, v2, s13, 0
	v_lshlrev_b64 v[2:3], 3, v[2:3]
	v_add_co_u32 v2, s8, s24, v2
	v_add_co_ci_u32_e64 v3, null, s25, v3, s8
	s_or_b32 s8, s6, vcc_lo
	s_nor_b32 s8, s19, s8
	s_and_saveexec_b32 s29, s8
	s_cbranch_execz .LBB183_30
; %bb.29:                               ;   in Loop: Header=BB183_28 Depth=1
	v_add_co_u32 v4, s8, v2, v70
	v_add_co_ci_u32_e64 v5, null, v3, v71, s8
	global_load_dwordx2 v[4:5], v[4:5], off
	s_waitcnt vmcnt(0)
	v_mul_f64 v[8:9], s[16:17], v[4:5]
.LBB183_30:                             ;   in Loop: Header=BB183_28 Depth=1
	s_or_b32 exec_lo, exec_lo, s29
	s_or_b32 s8, s7, vcc_lo
	s_nor_b32 s29, s19, s8
	s_and_saveexec_b32 s8, s29
	s_cbranch_execz .LBB183_32
; %bb.31:                               ;   in Loop: Header=BB183_28 Depth=1
	v_add_co_u32 v2, vcc_lo, v2, v70
	v_add_co_ci_u32_e64 v3, null, v3, v71, vcc_lo
	global_load_dwordx2 v[2:3], v[2:3], off offset:512
	s_waitcnt vmcnt(0)
	v_mul_f64 v[6:7], s[16:17], v[2:3]
.LBB183_32:                             ;   in Loop: Header=BB183_28 Depth=1
	s_or_b32 exec_lo, exec_lo, s8
	v_or_b32_e32 v94, s27, v85
	v_mov_b32_e32 v10, 0
	v_mov_b32_e32 v12, 0
	;; [unrolled: 1-line block ×4, first 2 shown]
	v_min_i32_e32 v2, s18, v94
	v_cmp_le_i32_e32 vcc_lo, s42, v94
	v_ashrrev_i32_e32 v3, 31, v2
	v_lshlrev_b64 v[2:3], 3, v[2:3]
	v_add_co_u32 v2, s8, s22, v2
	v_add_co_ci_u32_e64 v3, null, s23, v3, s8
	s_nor_b32 s8, vcc_lo, s26
	s_and_saveexec_b32 s29, s8
	s_cbranch_execz .LBB183_34
; %bb.33:                               ;   in Loop: Header=BB183_28 Depth=1
	v_add_co_u32 v4, s8, v2, v72
	v_add_co_ci_u32_e64 v5, null, v3, v73, s8
	global_load_dwordx2 v[4:5], v[4:5], off
	s_waitcnt vmcnt(0)
	v_mul_f64 v[12:13], s[16:17], v[4:5]
.LBB183_34:                             ;   in Loop: Header=BB183_28 Depth=1
	s_or_b32 exec_lo, exec_lo, s29
	s_nor_b32 s29, vcc_lo, s9
	s_and_saveexec_b32 s8, s29
	s_cbranch_execz .LBB183_36
; %bb.35:                               ;   in Loop: Header=BB183_28 Depth=1
	v_add_co_u32 v2, vcc_lo, v2, v74
	v_add_co_ci_u32_e64 v3, null, v3, v75, vcc_lo
	global_load_dwordx2 v[2:3], v[2:3], off
	s_waitcnt vmcnt(0)
	v_mul_f64 v[10:11], s[16:17], v[2:3]
.LBB183_36:                             ;   in Loop: Header=BB183_28 Depth=1
	s_or_b32 exec_lo, exec_lo, s8
	s_mov_b32 s8, 0
.LBB183_37:                             ;   Parent Loop BB183_28 Depth=1
                                        ; =>  This Loop Header: Depth=2
                                        ;       Child Loop BB183_38 Depth 3
	s_lshl_b32 s29, s8, 3
	s_mov_b32 s30, 0
	v_add_nc_u32_e32 v14, s29, v90
	v_add_nc_u32_e32 v95, s29, v91
	s_mov_b32 s29, -1
	ds_read2_b64 v[2:5], v14 offset1:16
	ds_read2_b64 v[18:21], v14 offset0:32 offset1:48
	ds_read2_b64 v[22:25], v14 offset0:64 offset1:80
	v_add_nc_u32_e32 v15, 0x800, v14
	ds_read2_b64 v[26:29], v14 offset0:96 offset1:112
	ds_read2_b64 v[30:33], v14 offset0:128 offset1:144
	;; [unrolled: 1-line block ×5, first 2 shown]
	ds_read2_b64 v[46:49], v15 offset1:16
	ds_read2_b64 v[50:53], v15 offset0:32 offset1:48
	ds_read2_b64 v[54:57], v15 offset0:64 offset1:80
	;; [unrolled: 1-line block ×7, first 2 shown]
	s_waitcnt lgkmcnt(11)
	v_max_f64 v[30:31], v[30:31], v[30:31]
	v_max_f64 v[32:33], v[32:33], v[32:33]
	s_waitcnt lgkmcnt(10)
	v_max_f64 v[34:35], v[34:35], v[34:35]
	v_max_f64 v[36:37], v[36:37], v[36:37]
	;; [unrolled: 3-line block ×3, first 2 shown]
	v_max_f64 v[14:15], v[2:3], v[2:3]
	v_max_f64 v[16:17], v[4:5], v[4:5]
	;; [unrolled: 1-line block ×8, first 2 shown]
	s_waitcnt lgkmcnt(8)
	v_max_f64 v[42:43], v[42:43], v[42:43]
	v_max_f64 v[44:45], v[44:45], v[44:45]
	s_waitcnt lgkmcnt(7)
	v_max_f64 v[46:47], v[46:47], v[46:47]
	v_max_f64 v[48:49], v[48:49], v[48:49]
	;; [unrolled: 3-line block ×9, first 2 shown]
	ds_read2st64_b64 v[2:5], v95 offset1:4
.LBB183_38:                             ;   Parent Loop BB183_28 Depth=1
                                        ;     Parent Loop BB183_37 Depth=2
                                        ; =>    This Inner Loop Header: Depth=3
	v_mov_b32_e32 v95, s30
	s_waitcnt lgkmcnt(0)
	v_max_f64 v[2:3], v[2:3], v[2:3]
	s_and_b32 vcc_lo, exec_lo, s29
	s_mov_b32 s29, 0
	s_mov_b32 s30, s10
	s_clause 0xf
	buffer_load_dword v98, v95, s[0:3], 0 offen
	buffer_load_dword v99, v95, s[0:3], 0 offen offset:4
	buffer_load_dword v100, v95, s[0:3], 0 offen offset:8
	;; [unrolled: 1-line block ×15, first 2 shown]
	v_min_f64 v[96:97], v[14:15], v[2:3]
	s_waitcnt vmcnt(14)
	v_add_f64 v[96:97], v[96:97], v[98:99]
	buffer_store_dword v96, v95, s[0:3], 0 offen
	buffer_store_dword v97, v95, s[0:3], 0 offen offset:4
	v_min_f64 v[96:97], v[16:17], v[2:3]
	s_waitcnt vmcnt(12)
	v_add_f64 v[96:97], v[96:97], v[100:101]
	buffer_store_dword v96, v95, s[0:3], 0 offen offset:8
	buffer_store_dword v97, v95, s[0:3], 0 offen offset:12
	v_min_f64 v[96:97], v[18:19], v[2:3]
	s_waitcnt vmcnt(10)
	v_add_f64 v[96:97], v[96:97], v[102:103]
	buffer_store_dword v96, v95, s[0:3], 0 offen offset:16
	;; [unrolled: 5-line block ×7, first 2 shown]
	buffer_store_dword v97, v95, s[0:3], 0 offen offset:60
	s_clause 0x1
	buffer_load_dword v99, v95, s[0:3], 0 offen offset:68
	buffer_load_dword v98, v95, s[0:3], 0 offen offset:64
	v_min_f64 v[96:97], v[30:31], v[2:3]
	s_waitcnt vmcnt(0)
	v_add_f64 v[96:97], v[96:97], v[98:99]
	buffer_store_dword v97, v95, s[0:3], 0 offen offset:68
	buffer_store_dword v96, v95, s[0:3], 0 offen offset:64
	s_clause 0x1
	buffer_load_dword v98, v95, s[0:3], 0 offen offset:72
	buffer_load_dword v99, v95, s[0:3], 0 offen offset:76
	v_min_f64 v[96:97], v[32:33], v[2:3]
	s_waitcnt vmcnt(0)
	v_add_f64 v[96:97], v[96:97], v[98:99]
	buffer_store_dword v97, v95, s[0:3], 0 offen offset:76
	;; [unrolled: 8-line block ×22, first 2 shown]
	buffer_store_dword v96, v95, s[0:3], 0 offen offset:232
	s_clause 0x1
	buffer_load_dword v98, v95, s[0:3], 0 offen offset:240
	buffer_load_dword v99, v95, s[0:3], 0 offen offset:244
	v_min_f64 v[96:97], v[80:81], v[2:3]
	v_min_f64 v[2:3], v[82:83], v[2:3]
	s_waitcnt vmcnt(0)
	v_add_f64 v[96:97], v[96:97], v[98:99]
	buffer_store_dword v97, v95, s[0:3], 0 offen offset:244
	buffer_store_dword v96, v95, s[0:3], 0 offen offset:240
	s_clause 0x1
	buffer_load_dword v96, v95, s[0:3], 0 offen offset:248
	buffer_load_dword v97, v95, s[0:3], 0 offen offset:252
	s_waitcnt vmcnt(0)
	v_add_f64 v[2:3], v[2:3], v[96:97]
	buffer_store_dword v3, v95, s[0:3], 0 offen offset:252
	buffer_store_dword v2, v95, s[0:3], 0 offen offset:248
	v_mov_b32_e32 v2, v4
	v_mov_b32_e32 v3, v5
	s_cbranch_vccnz .LBB183_38
; %bb.39:                               ;   in Loop: Header=BB183_37 Depth=2
	s_add_i32 s8, s8, 1
	s_cmp_eq_u32 s8, 4
	s_cbranch_scc0 .LBB183_37
; %bb.40:                               ;   in Loop: Header=BB183_28 Depth=1
	v_add3_u32 v4, v84, s27, 4
	v_mov_b32_e32 v76, 0
	v_mov_b32_e32 v78, 0
	;; [unrolled: 1-line block ×4, first 2 shown]
	v_min_i32_e32 v2, s18, v4
	v_cmp_le_i32_e32 vcc_lo, s42, v4
	ds_write2st64_b64 v86, v[8:9], v[6:7] offset1:4
	ds_write2st64_b64 v88, v[12:13], v[10:11] offset1:4
	s_waitcnt lgkmcnt(0)
	s_waitcnt_vscnt null, 0x0
	s_barrier
	v_mad_i64_i32 v[2:3], null, v2, s13, 0
	buffer_gl0_inv
	v_lshlrev_b64 v[2:3], 3, v[2:3]
	v_add_co_u32 v2, s8, s24, v2
	v_add_co_ci_u32_e64 v3, null, s25, v3, s8
	s_or_b32 s8, s6, vcc_lo
	s_nor_b32 s8, s19, s8
	s_and_saveexec_b32 s29, s8
	s_cbranch_execz .LBB183_42
; %bb.41:                               ;   in Loop: Header=BB183_28 Depth=1
	v_add_co_u32 v4, s8, v2, v70
	v_add_co_ci_u32_e64 v5, null, v3, v71, s8
	global_load_dwordx2 v[4:5], v[4:5], off
	s_waitcnt vmcnt(0)
	v_mul_f64 v[78:79], s[16:17], v[4:5]
.LBB183_42:                             ;   in Loop: Header=BB183_28 Depth=1
	s_or_b32 exec_lo, exec_lo, s29
	s_or_b32 s8, s7, vcc_lo
	s_nor_b32 s29, s19, s8
	s_and_saveexec_b32 s8, s29
	s_cbranch_execz .LBB183_44
; %bb.43:                               ;   in Loop: Header=BB183_28 Depth=1
	v_add_co_u32 v2, vcc_lo, v2, v70
	v_add_co_ci_u32_e64 v3, null, v3, v71, vcc_lo
	global_load_dwordx2 v[2:3], v[2:3], off offset:512
	s_waitcnt vmcnt(0)
	v_mul_f64 v[76:77], s[16:17], v[2:3]
.LBB183_44:                             ;   in Loop: Header=BB183_28 Depth=1
	s_or_b32 exec_lo, exec_lo, s8
	v_or_b32_e32 v4, 4, v94
	v_mov_b32_e32 v80, 0
	v_mov_b32_e32 v82, 0
	;; [unrolled: 1-line block ×4, first 2 shown]
	v_min_i32_e32 v2, s18, v4
	v_cmp_le_i32_e32 vcc_lo, s42, v4
	v_ashrrev_i32_e32 v3, 31, v2
	v_lshlrev_b64 v[2:3], 3, v[2:3]
	v_add_co_u32 v2, s8, s22, v2
	v_add_co_ci_u32_e64 v3, null, s23, v3, s8
	s_nor_b32 s8, vcc_lo, s26
	s_and_saveexec_b32 s29, s8
	s_cbranch_execz .LBB183_46
; %bb.45:                               ;   in Loop: Header=BB183_28 Depth=1
	v_add_co_u32 v4, s8, v2, v72
	v_add_co_ci_u32_e64 v5, null, v3, v73, s8
	global_load_dwordx2 v[4:5], v[4:5], off
	s_waitcnt vmcnt(0)
	v_mul_f64 v[82:83], s[16:17], v[4:5]
.LBB183_46:                             ;   in Loop: Header=BB183_28 Depth=1
	s_or_b32 exec_lo, exec_lo, s29
	s_nor_b32 s29, vcc_lo, s9
	s_and_saveexec_b32 s8, s29
	s_cbranch_execz .LBB183_48
; %bb.47:                               ;   in Loop: Header=BB183_28 Depth=1
	v_add_co_u32 v2, vcc_lo, v2, v74
	v_add_co_ci_u32_e64 v3, null, v3, v75, vcc_lo
	global_load_dwordx2 v[2:3], v[2:3], off
	s_waitcnt vmcnt(0)
	v_mul_f64 v[80:81], s[16:17], v[2:3]
.LBB183_48:                             ;   in Loop: Header=BB183_28 Depth=1
	s_or_b32 exec_lo, exec_lo, s8
	s_mov_b32 s8, 0
.LBB183_49:                             ;   Parent Loop BB183_28 Depth=1
                                        ; =>  This Loop Header: Depth=2
                                        ;       Child Loop BB183_50 Depth 3
	s_lshl_b32 s29, s8, 3
	s_mov_b32 s30, 0
	v_add_nc_u32_e32 v30, s29, v87
	v_add_nc_u32_e32 v66, s29, v89
	s_mov_b32 s29, -1
	ds_read2_b64 v[2:5], v30 offset1:16
	ds_read2_b64 v[6:9], v30 offset0:32 offset1:48
	ds_read2_b64 v[10:13], v30 offset0:64 offset1:80
	;; [unrolled: 1-line block ×3, first 2 shown]
	v_add_nc_u32_e32 v62, 0x800, v30
	ds_read2_b64 v[18:21], v30 offset0:128 offset1:144
	ds_read2_b64 v[22:25], v30 offset0:160 offset1:176
	;; [unrolled: 1-line block ×4, first 2 shown]
	ds_read2_b64 v[34:37], v62 offset1:16
	ds_read2_b64 v[38:41], v62 offset0:32 offset1:48
	ds_read2_b64 v[42:45], v62 offset0:64 offset1:80
	ds_read2_b64 v[46:49], v62 offset0:96 offset1:112
	ds_read2_b64 v[50:53], v62 offset0:128 offset1:144
	ds_read2_b64 v[54:57], v62 offset0:160 offset1:176
	ds_read2_b64 v[58:61], v62 offset0:192 offset1:208
	ds_read2_b64 v[62:65], v62 offset0:224 offset1:240
	ds_read2st64_b64 v[66:69], v66 offset1:4
.LBB183_50:                             ;   Parent Loop BB183_28 Depth=1
                                        ;     Parent Loop BB183_49 Depth=2
                                        ; =>    This Inner Loop Header: Depth=3
	s_waitcnt lgkmcnt(16)
	v_max_f64 v[94:95], v[2:3], v[2:3]
	s_waitcnt lgkmcnt(0)
	v_max_f64 v[66:67], v[66:67], v[66:67]
	s_and_b32 vcc_lo, exec_lo, s29
	s_mov_b32 s29, 0
	v_min_f64 v[95:96], v[94:95], v[66:67]
	v_mov_b32_e32 v94, s30
	s_mov_b32 s30, s10
	s_clause 0xf
	buffer_load_dword v97, v94, s[0:3], 0 offen
	buffer_load_dword v98, v94, s[0:3], 0 offen offset:4
	buffer_load_dword v99, v94, s[0:3], 0 offen offset:8
	;; [unrolled: 1-line block ×15, first 2 shown]
	s_waitcnt vmcnt(14)
	v_add_f64 v[95:96], v[95:96], v[97:98]
	buffer_store_dword v95, v94, s[0:3], 0 offen
	buffer_store_dword v96, v94, s[0:3], 0 offen offset:4
	v_max_f64 v[95:96], v[4:5], v[4:5]
	v_min_f64 v[95:96], v[95:96], v[66:67]
	s_waitcnt vmcnt(12)
	v_add_f64 v[95:96], v[95:96], v[99:100]
	buffer_store_dword v95, v94, s[0:3], 0 offen offset:8
	buffer_store_dword v96, v94, s[0:3], 0 offen offset:12
	v_max_f64 v[95:96], v[6:7], v[6:7]
	v_min_f64 v[95:96], v[95:96], v[66:67]
	s_waitcnt vmcnt(10)
	v_add_f64 v[95:96], v[95:96], v[101:102]
	buffer_store_dword v95, v94, s[0:3], 0 offen offset:16
	;; [unrolled: 6-line block ×7, first 2 shown]
	buffer_store_dword v96, v94, s[0:3], 0 offen offset:60
	s_clause 0x1
	buffer_load_dword v98, v94, s[0:3], 0 offen offset:68
	buffer_load_dword v97, v94, s[0:3], 0 offen offset:64
	v_max_f64 v[95:96], v[18:19], v[18:19]
	v_min_f64 v[95:96], v[95:96], v[66:67]
	s_waitcnt vmcnt(0)
	v_add_f64 v[95:96], v[95:96], v[97:98]
	buffer_store_dword v96, v94, s[0:3], 0 offen offset:68
	buffer_store_dword v95, v94, s[0:3], 0 offen offset:64
	s_clause 0x1
	buffer_load_dword v97, v94, s[0:3], 0 offen offset:72
	buffer_load_dword v98, v94, s[0:3], 0 offen offset:76
	v_max_f64 v[95:96], v[20:21], v[20:21]
	v_min_f64 v[95:96], v[95:96], v[66:67]
	s_waitcnt vmcnt(0)
	v_add_f64 v[95:96], v[95:96], v[97:98]
	buffer_store_dword v96, v94, s[0:3], 0 offen offset:76
	;; [unrolled: 9-line block ×23, first 2 shown]
	buffer_store_dword v95, v94, s[0:3], 0 offen offset:240
	v_max_f64 v[95:96], v[64:65], v[64:65]
	v_min_f64 v[66:67], v[95:96], v[66:67]
	s_clause 0x1
	buffer_load_dword v95, v94, s[0:3], 0 offen offset:248
	buffer_load_dword v96, v94, s[0:3], 0 offen offset:252
	s_waitcnt vmcnt(0)
	v_add_f64 v[66:67], v[66:67], v[95:96]
	buffer_store_dword v67, v94, s[0:3], 0 offen offset:252
	buffer_store_dword v66, v94, s[0:3], 0 offen offset:248
	v_mov_b32_e32 v66, v68
	v_mov_b32_e32 v67, v69
	s_cbranch_vccnz .LBB183_50
; %bb.51:                               ;   in Loop: Header=BB183_49 Depth=2
	s_add_i32 s8, s8, 1
	s_cmp_eq_u32 s8, 4
	s_cbranch_scc0 .LBB183_49
; %bb.52:                               ;   in Loop: Header=BB183_28 Depth=1
	s_add_i32 s28, s28, 8
	s_add_i32 s27, s27, 8
	s_cmp_ge_i32 s28, s21
	ds_write2st64_b64 v92, v[78:79], v[76:77] offset1:4
	ds_write2st64_b64 v93, v[82:83], v[80:81] offset1:4
	s_waitcnt lgkmcnt(0)
	s_waitcnt_vscnt null, 0x0
	s_barrier
	buffer_gl0_inv
	s_cbranch_scc0 .LBB183_28
.LBB183_53:
	s_mov_b32 s6, 0
.LBB183_54:                             ; =>This Loop Header: Depth=1
                                        ;     Child Loop BB183_55 Depth 2
	s_lshl_b32 s7, s6, 3
	s_mov_b32 s8, 0
	v_add_nc_u32_e32 v6, s7, v90
	v_add_nc_u32_e32 v70, s7, v91
	s_mov_b32 s7, -1
	ds_read2_b64 v[2:5], v6 offset1:16
	ds_read2_b64 v[10:13], v6 offset0:32 offset1:48
	ds_read2_b64 v[14:17], v6 offset0:64 offset1:80
	v_add_nc_u32_e32 v7, 0x800, v6
	ds_read2_b64 v[18:21], v6 offset0:96 offset1:112
	ds_read2_b64 v[22:25], v6 offset0:128 offset1:144
	ds_read2_b64 v[26:29], v6 offset0:160 offset1:176
	ds_read2_b64 v[30:33], v6 offset0:192 offset1:208
	ds_read2_b64 v[34:37], v6 offset0:224 offset1:240
	ds_read2_b64 v[38:41], v7 offset1:16
	ds_read2_b64 v[42:45], v7 offset0:32 offset1:48
	ds_read2_b64 v[46:49], v7 offset0:64 offset1:80
	;; [unrolled: 1-line block ×7, first 2 shown]
	s_waitcnt lgkmcnt(11)
	v_max_f64 v[22:23], v[22:23], v[22:23]
	v_max_f64 v[24:25], v[24:25], v[24:25]
	s_waitcnt lgkmcnt(10)
	v_max_f64 v[26:27], v[26:27], v[26:27]
	v_max_f64 v[28:29], v[28:29], v[28:29]
	s_waitcnt lgkmcnt(9)
	v_max_f64 v[30:31], v[30:31], v[30:31]
	v_max_f64 v[32:33], v[32:33], v[32:33]
	v_max_f64 v[6:7], v[2:3], v[2:3]
	v_max_f64 v[8:9], v[4:5], v[4:5]
	;; [unrolled: 1-line block ×8, first 2 shown]
	s_waitcnt lgkmcnt(8)
	v_max_f64 v[34:35], v[34:35], v[34:35]
	v_max_f64 v[36:37], v[36:37], v[36:37]
	s_waitcnt lgkmcnt(7)
	v_max_f64 v[38:39], v[38:39], v[38:39]
	v_max_f64 v[40:41], v[40:41], v[40:41]
	;; [unrolled: 3-line block ×9, first 2 shown]
	ds_read2st64_b64 v[2:5], v70 offset1:4
.LBB183_55:                             ;   Parent Loop BB183_54 Depth=1
                                        ; =>  This Inner Loop Header: Depth=2
	v_mov_b32_e32 v70, s8
	s_waitcnt lgkmcnt(0)
	v_max_f64 v[2:3], v[2:3], v[2:3]
	s_and_b32 vcc_lo, exec_lo, s7
	s_mov_b32 s7, 0
	s_mov_b32 s8, s10
	s_clause 0xf
	buffer_load_dword v73, v70, s[0:3], 0 offen
	buffer_load_dword v74, v70, s[0:3], 0 offen offset:4
	buffer_load_dword v75, v70, s[0:3], 0 offen offset:8
	;; [unrolled: 1-line block ×15, first 2 shown]
	v_min_f64 v[71:72], v[6:7], v[2:3]
	s_waitcnt vmcnt(14)
	v_add_f64 v[71:72], v[71:72], v[73:74]
	buffer_store_dword v71, v70, s[0:3], 0 offen
	buffer_store_dword v72, v70, s[0:3], 0 offen offset:4
	v_min_f64 v[71:72], v[8:9], v[2:3]
	s_waitcnt vmcnt(12)
	v_add_f64 v[71:72], v[71:72], v[75:76]
	buffer_store_dword v71, v70, s[0:3], 0 offen offset:8
	buffer_store_dword v72, v70, s[0:3], 0 offen offset:12
	v_min_f64 v[71:72], v[10:11], v[2:3]
	s_waitcnt vmcnt(10)
	v_add_f64 v[71:72], v[71:72], v[77:78]
	buffer_store_dword v71, v70, s[0:3], 0 offen offset:16
	;; [unrolled: 5-line block ×7, first 2 shown]
	buffer_store_dword v72, v70, s[0:3], 0 offen offset:60
	s_clause 0x1
	buffer_load_dword v74, v70, s[0:3], 0 offen offset:68
	buffer_load_dword v73, v70, s[0:3], 0 offen offset:64
	v_min_f64 v[71:72], v[22:23], v[2:3]
	s_waitcnt vmcnt(0)
	v_add_f64 v[71:72], v[71:72], v[73:74]
	buffer_store_dword v72, v70, s[0:3], 0 offen offset:68
	buffer_store_dword v71, v70, s[0:3], 0 offen offset:64
	s_clause 0x1
	buffer_load_dword v73, v70, s[0:3], 0 offen offset:72
	buffer_load_dword v74, v70, s[0:3], 0 offen offset:76
	v_min_f64 v[71:72], v[24:25], v[2:3]
	s_waitcnt vmcnt(0)
	v_add_f64 v[71:72], v[71:72], v[73:74]
	buffer_store_dword v72, v70, s[0:3], 0 offen offset:76
	;; [unrolled: 8-line block ×22, first 2 shown]
	buffer_store_dword v71, v70, s[0:3], 0 offen offset:232
	s_clause 0x1
	buffer_load_dword v73, v70, s[0:3], 0 offen offset:240
	buffer_load_dword v74, v70, s[0:3], 0 offen offset:244
	v_min_f64 v[71:72], v[66:67], v[2:3]
	v_min_f64 v[2:3], v[68:69], v[2:3]
	s_waitcnt vmcnt(0)
	v_add_f64 v[71:72], v[71:72], v[73:74]
	buffer_store_dword v72, v70, s[0:3], 0 offen offset:244
	buffer_store_dword v71, v70, s[0:3], 0 offen offset:240
	s_clause 0x1
	buffer_load_dword v71, v70, s[0:3], 0 offen offset:248
	buffer_load_dword v72, v70, s[0:3], 0 offen offset:252
	s_waitcnt vmcnt(0)
	v_add_f64 v[2:3], v[2:3], v[71:72]
	buffer_store_dword v3, v70, s[0:3], 0 offen offset:252
	buffer_store_dword v2, v70, s[0:3], 0 offen offset:248
	v_mov_b32_e32 v2, v4
	v_mov_b32_e32 v3, v5
	s_cbranch_vccnz .LBB183_55
; %bb.56:                               ;   in Loop: Header=BB183_54 Depth=1
	s_add_i32 s6, s6, 1
	s_cmp_eq_u32 s6, 4
	s_cbranch_scc0 .LBB183_54
; %bb.57:
	s_clause 0x2
	s_load_dwordx2 s[6:7], s[4:5], 0x78
	s_load_dword s43, s[4:5], 0x58
	s_load_dword s42, s[4:5], 0x70
	v_add_nc_u32_e32 v71, s12, v1
	v_add_nc_u32_e32 v0, s11, v0
	v_cndmask_b32_e64 v70, 0, 1, s46
	v_cmp_gt_i32_e64 s13, s41, v71
	s_waitcnt lgkmcnt(0)
	s_mul_i32 s4, s7, s20
	v_mad_i64_i32 v[1:2], null, v71, s43, 0
	v_mad_i64_i32 v[3:4], null, v71, s42, 0
	s_mul_hi_u32 s5, s6, s20
	s_mul_i32 s6, s6, s20
	s_add_i32 s7, s5, s4
	v_cmp_gt_i32_e64 s4, s40, v0
	v_lshlrev_b64 v[5:6], 3, v[1:2]
	s_lshl_b64 s[6:7], s[6:7], 3
	v_lshlrev_b64 v[2:3], 3, v[3:4]
	s_add_u32 s47, s14, s6
	s_addc_u32 s48, s15, s7
	v_ashrrev_i32_e32 v1, 31, v0
	v_add_co_u32 v68, vcc_lo, s44, v5
	v_add_co_ci_u32_e64 v69, null, s45, v6, vcc_lo
	v_add_co_u32 v72, vcc_lo, s47, v2
	v_add_co_ci_u32_e64 v73, null, s48, v3, vcc_lo
	s_and_b32 s6, s13, s4
	s_and_saveexec_b32 s5, s6
	s_cbranch_execz .LBB183_62
; %bb.58:
	s_clause 0x1
	buffer_load_dword v2, off, s[0:3], 0
	buffer_load_dword v3, off, s[0:3], 0 offset:4
	v_lshlrev_b64 v[4:5], 3, v[0:1]
	s_andn2_b32 vcc_lo, exec_lo, s46
	s_cbranch_vccnz .LBB183_60
; %bb.59:
	v_add_co_u32 v6, vcc_lo, v68, v4
	v_add_co_ci_u32_e64 v7, null, v69, v5, vcc_lo
	global_load_dwordx2 v[6:7], v[6:7], off
	s_waitcnt vmcnt(0)
	v_mul_f64 v[6:7], s[38:39], v[6:7]
	s_branch .LBB183_61
.LBB183_60:
	v_mov_b32_e32 v6, 0
	v_mov_b32_e32 v7, 0
.LBB183_61:
	s_waitcnt vmcnt(0)
	v_add_f64 v[2:3], v[2:3], v[6:7]
	v_add_co_u32 v4, vcc_lo, v72, v4
	v_add_co_ci_u32_e64 v5, null, v73, v5, vcc_lo
	global_store_dwordx2 v[4:5], v[2:3], off
.LBB183_62:
	s_or_b32 exec_lo, exec_lo, s5
	v_add_nc_u32_e32 v2, 4, v0
	v_cmp_gt_i32_e64 s5, s40, v2
	v_ashrrev_i32_e32 v3, 31, v2
	s_and_b32 s7, s13, s5
	s_and_saveexec_b32 s6, s7
	s_cbranch_execz .LBB183_67
; %bb.63:
	s_clause 0x1
	buffer_load_dword v4, off, s[0:3], 0 offset:8
	buffer_load_dword v5, off, s[0:3], 0 offset:12
	v_lshlrev_b64 v[6:7], 3, v[2:3]
	s_andn2_b32 vcc_lo, exec_lo, s46
	s_cbranch_vccnz .LBB183_65
; %bb.64:
	v_add_co_u32 v8, vcc_lo, v68, v6
	v_add_co_ci_u32_e64 v9, null, v69, v7, vcc_lo
	global_load_dwordx2 v[8:9], v[8:9], off
	s_waitcnt vmcnt(0)
	v_mul_f64 v[8:9], s[38:39], v[8:9]
	s_branch .LBB183_66
.LBB183_65:
	v_mov_b32_e32 v8, 0
	v_mov_b32_e32 v9, 0
.LBB183_66:
	s_waitcnt vmcnt(0)
	v_add_f64 v[4:5], v[4:5], v[8:9]
	v_add_co_u32 v6, vcc_lo, v72, v6
	v_add_co_ci_u32_e64 v7, null, v73, v7, vcc_lo
	global_store_dwordx2 v[6:7], v[4:5], off
.LBB183_67:
	s_or_b32 exec_lo, exec_lo, s6
	v_add_nc_u32_e32 v4, 8, v0
	v_cmp_gt_i32_e64 s6, s40, v4
	v_ashrrev_i32_e32 v5, 31, v4
	s_and_b32 s8, s13, s6
	s_and_saveexec_b32 s7, s8
	s_cbranch_execz .LBB183_72
; %bb.68:
	s_clause 0x1
	buffer_load_dword v6, off, s[0:3], 0 offset:16
	buffer_load_dword v7, off, s[0:3], 0 offset:20
	v_lshlrev_b64 v[8:9], 3, v[4:5]
	s_andn2_b32 vcc_lo, exec_lo, s46
	s_cbranch_vccnz .LBB183_70
; %bb.69:
	v_add_co_u32 v10, vcc_lo, v68, v8
	v_add_co_ci_u32_e64 v11, null, v69, v9, vcc_lo
	global_load_dwordx2 v[10:11], v[10:11], off
	s_waitcnt vmcnt(0)
	v_mul_f64 v[10:11], s[38:39], v[10:11]
	s_branch .LBB183_71
.LBB183_70:
	v_mov_b32_e32 v10, 0
	v_mov_b32_e32 v11, 0
.LBB183_71:
	s_waitcnt vmcnt(0)
	v_add_f64 v[6:7], v[6:7], v[10:11]
	v_add_co_u32 v8, vcc_lo, v72, v8
	v_add_co_ci_u32_e64 v9, null, v73, v9, vcc_lo
	global_store_dwordx2 v[8:9], v[6:7], off
.LBB183_72:
	;; [unrolled: 31-line block ×31, first 2 shown]
	s_or_b32 exec_lo, exec_lo, s13
	v_add_nc_u32_e32 v68, 64, v71
	v_mad_i64_i32 v[64:65], null, v68, s43, 0
	v_mad_i64_i32 v[66:67], null, v68, s42, 0
	v_cmp_gt_i32_e64 s13, s41, v68
	v_lshlrev_b64 v[64:65], 3, v[64:65]
	s_and_b32 s4, s13, s4
	v_lshlrev_b64 v[66:67], 3, v[66:67]
	v_add_co_u32 v71, vcc_lo, s44, v64
	v_add_co_ci_u32_e64 v72, null, s45, v65, vcc_lo
	v_add_co_u32 v68, vcc_lo, s47, v66
	v_add_co_ci_u32_e64 v69, null, s48, v67, vcc_lo
	s_and_saveexec_b32 s40, s4
	s_xor_b32 s4, exec_lo, s40
	s_cbranch_execnz .LBB183_250
; %bb.218:
	s_or_b32 exec_lo, exec_lo, s4
	s_and_b32 s5, s13, s5
	s_and_saveexec_b32 s4, s5
	s_cbranch_execnz .LBB183_254
.LBB183_219:
	s_or_b32 exec_lo, exec_lo, s4
	s_and_b32 s5, s13, s6
	s_and_saveexec_b32 s4, s5
	s_cbranch_execnz .LBB183_258
.LBB183_220:
	s_or_b32 exec_lo, exec_lo, s4
	s_and_b32 s5, s13, s7
	s_and_saveexec_b32 s4, s5
	s_cbranch_execnz .LBB183_262
.LBB183_221:
	s_or_b32 exec_lo, exec_lo, s4
	s_and_b32 s5, s13, s8
	s_and_saveexec_b32 s4, s5
	s_cbranch_execnz .LBB183_266
.LBB183_222:
	s_or_b32 exec_lo, exec_lo, s4
	s_and_b32 s5, s13, s9
	s_and_saveexec_b32 s4, s5
	s_cbranch_execnz .LBB183_270
.LBB183_223:
	s_or_b32 exec_lo, exec_lo, s4
	s_and_b32 s5, s13, s10
	s_and_saveexec_b32 s4, s5
	s_cbranch_execnz .LBB183_274
.LBB183_224:
	s_or_b32 exec_lo, exec_lo, s4
	s_and_b32 s5, s13, s11
	s_and_saveexec_b32 s4, s5
	s_cbranch_execnz .LBB183_278
.LBB183_225:
	s_or_b32 exec_lo, exec_lo, s4
	s_and_b32 s5, s13, s12
	s_and_saveexec_b32 s4, s5
	s_cbranch_execnz .LBB183_282
.LBB183_226:
	s_or_b32 exec_lo, exec_lo, s4
	s_and_b32 s5, s13, s14
	s_and_saveexec_b32 s4, s5
	s_cbranch_execnz .LBB183_286
.LBB183_227:
	s_or_b32 exec_lo, exec_lo, s4
	s_and_b32 s5, s13, s15
	s_and_saveexec_b32 s4, s5
	s_cbranch_execnz .LBB183_290
.LBB183_228:
	s_or_b32 exec_lo, exec_lo, s4
	s_and_b32 s5, s13, s16
	s_and_saveexec_b32 s4, s5
	s_cbranch_execnz .LBB183_294
.LBB183_229:
	s_or_b32 exec_lo, exec_lo, s4
	s_and_b32 s5, s13, s17
	s_and_saveexec_b32 s4, s5
	s_cbranch_execnz .LBB183_298
.LBB183_230:
	s_or_b32 exec_lo, exec_lo, s4
	s_and_b32 s5, s13, s18
	s_and_saveexec_b32 s4, s5
	s_cbranch_execnz .LBB183_302
.LBB183_231:
	s_or_b32 exec_lo, exec_lo, s4
	s_and_b32 s5, s13, s19
	s_and_saveexec_b32 s4, s5
	s_cbranch_execnz .LBB183_306
.LBB183_232:
	s_or_b32 exec_lo, exec_lo, s4
	s_and_b32 s5, s13, s20
	s_and_saveexec_b32 s4, s5
	s_cbranch_execnz .LBB183_310
.LBB183_233:
	s_or_b32 exec_lo, exec_lo, s4
	s_and_b32 s5, s13, s21
	s_and_saveexec_b32 s4, s5
	s_cbranch_execnz .LBB183_314
.LBB183_234:
	s_or_b32 exec_lo, exec_lo, s4
	s_and_b32 s5, s13, s22
	s_and_saveexec_b32 s4, s5
	s_cbranch_execnz .LBB183_318
.LBB183_235:
	s_or_b32 exec_lo, exec_lo, s4
	s_and_b32 s5, s13, s23
	s_and_saveexec_b32 s4, s5
	s_cbranch_execnz .LBB183_322
.LBB183_236:
	s_or_b32 exec_lo, exec_lo, s4
	s_and_b32 s5, s13, s24
	s_and_saveexec_b32 s4, s5
	s_cbranch_execnz .LBB183_326
.LBB183_237:
	s_or_b32 exec_lo, exec_lo, s4
	s_and_b32 s5, s13, s25
	s_and_saveexec_b32 s4, s5
	s_cbranch_execnz .LBB183_330
.LBB183_238:
	s_or_b32 exec_lo, exec_lo, s4
	s_and_b32 s5, s13, s26
	s_and_saveexec_b32 s4, s5
	s_cbranch_execnz .LBB183_334
.LBB183_239:
	s_or_b32 exec_lo, exec_lo, s4
	s_and_b32 s5, s13, s27
	s_and_saveexec_b32 s4, s5
	s_cbranch_execnz .LBB183_338
.LBB183_240:
	s_or_b32 exec_lo, exec_lo, s4
	s_and_b32 s5, s13, s28
	s_and_saveexec_b32 s4, s5
	s_cbranch_execnz .LBB183_342
.LBB183_241:
	s_or_b32 exec_lo, exec_lo, s4
	s_and_b32 s5, s13, s29
	s_and_saveexec_b32 s4, s5
	s_cbranch_execnz .LBB183_346
.LBB183_242:
	s_or_b32 exec_lo, exec_lo, s4
	s_and_b32 s5, s13, s30
	s_and_saveexec_b32 s4, s5
	s_cbranch_execnz .LBB183_350
.LBB183_243:
	s_or_b32 exec_lo, exec_lo, s4
	s_and_b32 s5, s13, s31
	s_and_saveexec_b32 s4, s5
	s_cbranch_execnz .LBB183_354
.LBB183_244:
	s_or_b32 exec_lo, exec_lo, s4
	s_and_b32 s5, s13, s33
	s_and_saveexec_b32 s4, s5
	s_cbranch_execnz .LBB183_358
.LBB183_245:
	s_or_b32 exec_lo, exec_lo, s4
	s_and_b32 s5, s13, s34
	s_and_saveexec_b32 s4, s5
	s_cbranch_execnz .LBB183_362
.LBB183_246:
	s_or_b32 exec_lo, exec_lo, s4
	s_and_b32 s5, s13, s35
	s_and_saveexec_b32 s4, s5
	s_cbranch_execnz .LBB183_366
.LBB183_247:
	s_or_b32 exec_lo, exec_lo, s4
	s_and_b32 s5, s13, s36
	s_and_saveexec_b32 s4, s5
	s_cbranch_execnz .LBB183_370
.LBB183_248:
	s_or_b32 exec_lo, exec_lo, s4
	s_and_b32 s4, s13, s37
	s_and_saveexec_b32 s5, s4
	s_cbranch_execnz .LBB183_374
.LBB183_249:
	s_endpgm
.LBB183_250:
	s_clause 0x1
	buffer_load_dword v64, off, s[0:3], 0 offset:256
	buffer_load_dword v65, off, s[0:3], 0 offset:260
	v_lshlrev_b64 v[0:1], 3, v[0:1]
	s_andn2_b32 vcc_lo, exec_lo, s46
	s_cbranch_vccnz .LBB183_252
; %bb.251:
	v_add_co_u32 v66, vcc_lo, v71, v0
	v_add_co_ci_u32_e64 v67, null, v72, v1, vcc_lo
	global_load_dwordx2 v[66:67], v[66:67], off
	s_waitcnt vmcnt(0)
	v_mul_f64 v[66:67], s[38:39], v[66:67]
	s_branch .LBB183_253
.LBB183_252:
	v_mov_b32_e32 v66, 0
	v_mov_b32_e32 v67, 0
.LBB183_253:
	s_waitcnt vmcnt(0)
	v_add_f64 v[64:65], v[64:65], v[66:67]
	v_add_co_u32 v0, vcc_lo, v68, v0
	v_add_co_ci_u32_e64 v1, null, v69, v1, vcc_lo
	global_store_dwordx2 v[0:1], v[64:65], off
	s_or_b32 exec_lo, exec_lo, s4
	s_and_b32 s5, s13, s5
	s_and_saveexec_b32 s4, s5
	s_cbranch_execz .LBB183_219
.LBB183_254:
	s_clause 0x1
	buffer_load_dword v0, off, s[0:3], 0 offset:264
	buffer_load_dword v1, off, s[0:3], 0 offset:268
	v_cmp_ne_u32_e32 vcc_lo, 1, v70
	v_lshlrev_b64 v[2:3], 3, v[2:3]
	s_cbranch_vccnz .LBB183_256
; %bb.255:
	v_add_co_u32 v64, vcc_lo, v71, v2
	v_add_co_ci_u32_e64 v65, null, v72, v3, vcc_lo
	global_load_dwordx2 v[64:65], v[64:65], off
	s_waitcnt vmcnt(0)
	v_mul_f64 v[64:65], s[38:39], v[64:65]
	s_branch .LBB183_257
.LBB183_256:
	v_mov_b32_e32 v64, 0
	v_mov_b32_e32 v65, 0
.LBB183_257:
	s_waitcnt vmcnt(0)
	v_add_f64 v[0:1], v[0:1], v[64:65]
	v_add_co_u32 v2, vcc_lo, v68, v2
	v_add_co_ci_u32_e64 v3, null, v69, v3, vcc_lo
	global_store_dwordx2 v[2:3], v[0:1], off
	s_or_b32 exec_lo, exec_lo, s4
	s_and_b32 s5, s13, s6
	s_and_saveexec_b32 s4, s5
	s_cbranch_execz .LBB183_220
.LBB183_258:
	s_clause 0x1
	buffer_load_dword v0, off, s[0:3], 0 offset:272
	buffer_load_dword v1, off, s[0:3], 0 offset:276
	v_cmp_ne_u32_e32 vcc_lo, 1, v70
	v_lshlrev_b64 v[2:3], 3, v[4:5]
	s_cbranch_vccnz .LBB183_260
; %bb.259:
	v_add_co_u32 v4, vcc_lo, v71, v2
	v_add_co_ci_u32_e64 v5, null, v72, v3, vcc_lo
	global_load_dwordx2 v[4:5], v[4:5], off
	s_waitcnt vmcnt(0)
	v_mul_f64 v[4:5], s[38:39], v[4:5]
	s_branch .LBB183_261
.LBB183_260:
	v_mov_b32_e32 v4, 0
	v_mov_b32_e32 v5, 0
.LBB183_261:
	s_waitcnt vmcnt(0)
	v_add_f64 v[0:1], v[0:1], v[4:5]
	v_add_co_u32 v2, vcc_lo, v68, v2
	v_add_co_ci_u32_e64 v3, null, v69, v3, vcc_lo
	global_store_dwordx2 v[2:3], v[0:1], off
	s_or_b32 exec_lo, exec_lo, s4
	s_and_b32 s5, s13, s7
	s_and_saveexec_b32 s4, s5
	s_cbranch_execz .LBB183_221
.LBB183_262:
	s_clause 0x1
	buffer_load_dword v0, off, s[0:3], 0 offset:280
	buffer_load_dword v1, off, s[0:3], 0 offset:284
	v_cmp_ne_u32_e32 vcc_lo, 1, v70
	v_lshlrev_b64 v[2:3], 3, v[6:7]
	s_cbranch_vccnz .LBB183_264
; %bb.263:
	v_add_co_u32 v4, vcc_lo, v71, v2
	v_add_co_ci_u32_e64 v5, null, v72, v3, vcc_lo
	global_load_dwordx2 v[4:5], v[4:5], off
	s_waitcnt vmcnt(0)
	v_mul_f64 v[4:5], s[38:39], v[4:5]
	s_branch .LBB183_265
.LBB183_264:
	v_mov_b32_e32 v4, 0
	v_mov_b32_e32 v5, 0
.LBB183_265:
	s_waitcnt vmcnt(0)
	v_add_f64 v[0:1], v[0:1], v[4:5]
	v_add_co_u32 v2, vcc_lo, v68, v2
	v_add_co_ci_u32_e64 v3, null, v69, v3, vcc_lo
	global_store_dwordx2 v[2:3], v[0:1], off
	s_or_b32 exec_lo, exec_lo, s4
	s_and_b32 s5, s13, s8
	s_and_saveexec_b32 s4, s5
	s_cbranch_execz .LBB183_222
.LBB183_266:
	s_clause 0x1
	buffer_load_dword v0, off, s[0:3], 0 offset:288
	buffer_load_dword v1, off, s[0:3], 0 offset:292
	v_cmp_ne_u32_e32 vcc_lo, 1, v70
	v_lshlrev_b64 v[2:3], 3, v[8:9]
	s_cbranch_vccnz .LBB183_268
; %bb.267:
	v_add_co_u32 v4, vcc_lo, v71, v2
	v_add_co_ci_u32_e64 v5, null, v72, v3, vcc_lo
	global_load_dwordx2 v[4:5], v[4:5], off
	s_waitcnt vmcnt(0)
	v_mul_f64 v[4:5], s[38:39], v[4:5]
	s_branch .LBB183_269
.LBB183_268:
	v_mov_b32_e32 v4, 0
	v_mov_b32_e32 v5, 0
.LBB183_269:
	s_waitcnt vmcnt(0)
	v_add_f64 v[0:1], v[0:1], v[4:5]
	v_add_co_u32 v2, vcc_lo, v68, v2
	v_add_co_ci_u32_e64 v3, null, v69, v3, vcc_lo
	global_store_dwordx2 v[2:3], v[0:1], off
	s_or_b32 exec_lo, exec_lo, s4
	s_and_b32 s5, s13, s9
	s_and_saveexec_b32 s4, s5
	s_cbranch_execz .LBB183_223
.LBB183_270:
	s_clause 0x1
	buffer_load_dword v0, off, s[0:3], 0 offset:296
	buffer_load_dword v1, off, s[0:3], 0 offset:300
	v_cmp_ne_u32_e32 vcc_lo, 1, v70
	v_lshlrev_b64 v[2:3], 3, v[10:11]
	s_cbranch_vccnz .LBB183_272
; %bb.271:
	v_add_co_u32 v4, vcc_lo, v71, v2
	v_add_co_ci_u32_e64 v5, null, v72, v3, vcc_lo
	global_load_dwordx2 v[4:5], v[4:5], off
	s_waitcnt vmcnt(0)
	v_mul_f64 v[4:5], s[38:39], v[4:5]
	s_branch .LBB183_273
.LBB183_272:
	v_mov_b32_e32 v4, 0
	v_mov_b32_e32 v5, 0
.LBB183_273:
	s_waitcnt vmcnt(0)
	v_add_f64 v[0:1], v[0:1], v[4:5]
	v_add_co_u32 v2, vcc_lo, v68, v2
	v_add_co_ci_u32_e64 v3, null, v69, v3, vcc_lo
	global_store_dwordx2 v[2:3], v[0:1], off
	s_or_b32 exec_lo, exec_lo, s4
	s_and_b32 s5, s13, s10
	s_and_saveexec_b32 s4, s5
	s_cbranch_execz .LBB183_224
.LBB183_274:
	s_clause 0x1
	buffer_load_dword v0, off, s[0:3], 0 offset:304
	buffer_load_dword v1, off, s[0:3], 0 offset:308
	v_cmp_ne_u32_e32 vcc_lo, 1, v70
	v_lshlrev_b64 v[2:3], 3, v[12:13]
	s_cbranch_vccnz .LBB183_276
; %bb.275:
	v_add_co_u32 v4, vcc_lo, v71, v2
	v_add_co_ci_u32_e64 v5, null, v72, v3, vcc_lo
	global_load_dwordx2 v[4:5], v[4:5], off
	s_waitcnt vmcnt(0)
	v_mul_f64 v[4:5], s[38:39], v[4:5]
	s_branch .LBB183_277
.LBB183_276:
	v_mov_b32_e32 v4, 0
	v_mov_b32_e32 v5, 0
.LBB183_277:
	s_waitcnt vmcnt(0)
	v_add_f64 v[0:1], v[0:1], v[4:5]
	v_add_co_u32 v2, vcc_lo, v68, v2
	v_add_co_ci_u32_e64 v3, null, v69, v3, vcc_lo
	global_store_dwordx2 v[2:3], v[0:1], off
	s_or_b32 exec_lo, exec_lo, s4
	s_and_b32 s5, s13, s11
	s_and_saveexec_b32 s4, s5
	s_cbranch_execz .LBB183_225
.LBB183_278:
	s_clause 0x1
	buffer_load_dword v0, off, s[0:3], 0 offset:312
	buffer_load_dword v1, off, s[0:3], 0 offset:316
	v_cmp_ne_u32_e32 vcc_lo, 1, v70
	v_lshlrev_b64 v[2:3], 3, v[14:15]
	s_cbranch_vccnz .LBB183_280
; %bb.279:
	v_add_co_u32 v4, vcc_lo, v71, v2
	v_add_co_ci_u32_e64 v5, null, v72, v3, vcc_lo
	global_load_dwordx2 v[4:5], v[4:5], off
	s_waitcnt vmcnt(0)
	v_mul_f64 v[4:5], s[38:39], v[4:5]
	s_branch .LBB183_281
.LBB183_280:
	v_mov_b32_e32 v4, 0
	v_mov_b32_e32 v5, 0
.LBB183_281:
	s_waitcnt vmcnt(0)
	v_add_f64 v[0:1], v[0:1], v[4:5]
	v_add_co_u32 v2, vcc_lo, v68, v2
	v_add_co_ci_u32_e64 v3, null, v69, v3, vcc_lo
	global_store_dwordx2 v[2:3], v[0:1], off
	s_or_b32 exec_lo, exec_lo, s4
	s_and_b32 s5, s13, s12
	s_and_saveexec_b32 s4, s5
	s_cbranch_execz .LBB183_226
.LBB183_282:
	s_clause 0x1
	buffer_load_dword v0, off, s[0:3], 0 offset:320
	buffer_load_dword v1, off, s[0:3], 0 offset:324
	v_cmp_ne_u32_e32 vcc_lo, 1, v70
	v_lshlrev_b64 v[2:3], 3, v[16:17]
	s_cbranch_vccnz .LBB183_284
; %bb.283:
	v_add_co_u32 v4, vcc_lo, v71, v2
	v_add_co_ci_u32_e64 v5, null, v72, v3, vcc_lo
	global_load_dwordx2 v[4:5], v[4:5], off
	s_waitcnt vmcnt(0)
	v_mul_f64 v[4:5], s[38:39], v[4:5]
	s_branch .LBB183_285
.LBB183_284:
	v_mov_b32_e32 v4, 0
	v_mov_b32_e32 v5, 0
.LBB183_285:
	s_waitcnt vmcnt(0)
	v_add_f64 v[0:1], v[0:1], v[4:5]
	v_add_co_u32 v2, vcc_lo, v68, v2
	v_add_co_ci_u32_e64 v3, null, v69, v3, vcc_lo
	global_store_dwordx2 v[2:3], v[0:1], off
	s_or_b32 exec_lo, exec_lo, s4
	s_and_b32 s5, s13, s14
	s_and_saveexec_b32 s4, s5
	s_cbranch_execz .LBB183_227
.LBB183_286:
	s_clause 0x1
	buffer_load_dword v0, off, s[0:3], 0 offset:328
	buffer_load_dword v1, off, s[0:3], 0 offset:332
	v_cmp_ne_u32_e32 vcc_lo, 1, v70
	v_lshlrev_b64 v[2:3], 3, v[18:19]
	s_cbranch_vccnz .LBB183_288
; %bb.287:
	v_add_co_u32 v4, vcc_lo, v71, v2
	v_add_co_ci_u32_e64 v5, null, v72, v3, vcc_lo
	global_load_dwordx2 v[4:5], v[4:5], off
	s_waitcnt vmcnt(0)
	v_mul_f64 v[4:5], s[38:39], v[4:5]
	s_branch .LBB183_289
.LBB183_288:
	v_mov_b32_e32 v4, 0
	v_mov_b32_e32 v5, 0
.LBB183_289:
	s_waitcnt vmcnt(0)
	v_add_f64 v[0:1], v[0:1], v[4:5]
	v_add_co_u32 v2, vcc_lo, v68, v2
	v_add_co_ci_u32_e64 v3, null, v69, v3, vcc_lo
	global_store_dwordx2 v[2:3], v[0:1], off
	s_or_b32 exec_lo, exec_lo, s4
	s_and_b32 s5, s13, s15
	s_and_saveexec_b32 s4, s5
	s_cbranch_execz .LBB183_228
.LBB183_290:
	s_clause 0x1
	buffer_load_dword v0, off, s[0:3], 0 offset:336
	buffer_load_dword v1, off, s[0:3], 0 offset:340
	v_cmp_ne_u32_e32 vcc_lo, 1, v70
	v_lshlrev_b64 v[2:3], 3, v[20:21]
	s_cbranch_vccnz .LBB183_292
; %bb.291:
	v_add_co_u32 v4, vcc_lo, v71, v2
	v_add_co_ci_u32_e64 v5, null, v72, v3, vcc_lo
	global_load_dwordx2 v[4:5], v[4:5], off
	s_waitcnt vmcnt(0)
	v_mul_f64 v[4:5], s[38:39], v[4:5]
	s_branch .LBB183_293
.LBB183_292:
	v_mov_b32_e32 v4, 0
	v_mov_b32_e32 v5, 0
.LBB183_293:
	s_waitcnt vmcnt(0)
	v_add_f64 v[0:1], v[0:1], v[4:5]
	v_add_co_u32 v2, vcc_lo, v68, v2
	v_add_co_ci_u32_e64 v3, null, v69, v3, vcc_lo
	global_store_dwordx2 v[2:3], v[0:1], off
	s_or_b32 exec_lo, exec_lo, s4
	s_and_b32 s5, s13, s16
	s_and_saveexec_b32 s4, s5
	s_cbranch_execz .LBB183_229
.LBB183_294:
	s_clause 0x1
	buffer_load_dword v0, off, s[0:3], 0 offset:344
	buffer_load_dword v1, off, s[0:3], 0 offset:348
	v_cmp_ne_u32_e32 vcc_lo, 1, v70
	v_lshlrev_b64 v[2:3], 3, v[22:23]
	s_cbranch_vccnz .LBB183_296
; %bb.295:
	v_add_co_u32 v4, vcc_lo, v71, v2
	v_add_co_ci_u32_e64 v5, null, v72, v3, vcc_lo
	global_load_dwordx2 v[4:5], v[4:5], off
	s_waitcnt vmcnt(0)
	v_mul_f64 v[4:5], s[38:39], v[4:5]
	s_branch .LBB183_297
.LBB183_296:
	v_mov_b32_e32 v4, 0
	v_mov_b32_e32 v5, 0
.LBB183_297:
	s_waitcnt vmcnt(0)
	v_add_f64 v[0:1], v[0:1], v[4:5]
	v_add_co_u32 v2, vcc_lo, v68, v2
	v_add_co_ci_u32_e64 v3, null, v69, v3, vcc_lo
	global_store_dwordx2 v[2:3], v[0:1], off
	s_or_b32 exec_lo, exec_lo, s4
	s_and_b32 s5, s13, s17
	s_and_saveexec_b32 s4, s5
	s_cbranch_execz .LBB183_230
.LBB183_298:
	s_clause 0x1
	buffer_load_dword v0, off, s[0:3], 0 offset:352
	buffer_load_dword v1, off, s[0:3], 0 offset:356
	v_cmp_ne_u32_e32 vcc_lo, 1, v70
	v_lshlrev_b64 v[2:3], 3, v[24:25]
	s_cbranch_vccnz .LBB183_300
; %bb.299:
	v_add_co_u32 v4, vcc_lo, v71, v2
	v_add_co_ci_u32_e64 v5, null, v72, v3, vcc_lo
	global_load_dwordx2 v[4:5], v[4:5], off
	s_waitcnt vmcnt(0)
	v_mul_f64 v[4:5], s[38:39], v[4:5]
	s_branch .LBB183_301
.LBB183_300:
	v_mov_b32_e32 v4, 0
	v_mov_b32_e32 v5, 0
.LBB183_301:
	s_waitcnt vmcnt(0)
	v_add_f64 v[0:1], v[0:1], v[4:5]
	v_add_co_u32 v2, vcc_lo, v68, v2
	v_add_co_ci_u32_e64 v3, null, v69, v3, vcc_lo
	global_store_dwordx2 v[2:3], v[0:1], off
	s_or_b32 exec_lo, exec_lo, s4
	s_and_b32 s5, s13, s18
	s_and_saveexec_b32 s4, s5
	s_cbranch_execz .LBB183_231
.LBB183_302:
	s_clause 0x1
	buffer_load_dword v0, off, s[0:3], 0 offset:360
	buffer_load_dword v1, off, s[0:3], 0 offset:364
	v_cmp_ne_u32_e32 vcc_lo, 1, v70
	v_lshlrev_b64 v[2:3], 3, v[26:27]
	s_cbranch_vccnz .LBB183_304
; %bb.303:
	v_add_co_u32 v4, vcc_lo, v71, v2
	v_add_co_ci_u32_e64 v5, null, v72, v3, vcc_lo
	global_load_dwordx2 v[4:5], v[4:5], off
	s_waitcnt vmcnt(0)
	v_mul_f64 v[4:5], s[38:39], v[4:5]
	s_branch .LBB183_305
.LBB183_304:
	v_mov_b32_e32 v4, 0
	v_mov_b32_e32 v5, 0
.LBB183_305:
	s_waitcnt vmcnt(0)
	v_add_f64 v[0:1], v[0:1], v[4:5]
	v_add_co_u32 v2, vcc_lo, v68, v2
	v_add_co_ci_u32_e64 v3, null, v69, v3, vcc_lo
	global_store_dwordx2 v[2:3], v[0:1], off
	s_or_b32 exec_lo, exec_lo, s4
	s_and_b32 s5, s13, s19
	s_and_saveexec_b32 s4, s5
	s_cbranch_execz .LBB183_232
.LBB183_306:
	s_clause 0x1
	buffer_load_dword v0, off, s[0:3], 0 offset:368
	buffer_load_dword v1, off, s[0:3], 0 offset:372
	v_cmp_ne_u32_e32 vcc_lo, 1, v70
	v_lshlrev_b64 v[2:3], 3, v[28:29]
	s_cbranch_vccnz .LBB183_308
; %bb.307:
	v_add_co_u32 v4, vcc_lo, v71, v2
	v_add_co_ci_u32_e64 v5, null, v72, v3, vcc_lo
	global_load_dwordx2 v[4:5], v[4:5], off
	s_waitcnt vmcnt(0)
	v_mul_f64 v[4:5], s[38:39], v[4:5]
	s_branch .LBB183_309
.LBB183_308:
	v_mov_b32_e32 v4, 0
	v_mov_b32_e32 v5, 0
.LBB183_309:
	s_waitcnt vmcnt(0)
	v_add_f64 v[0:1], v[0:1], v[4:5]
	v_add_co_u32 v2, vcc_lo, v68, v2
	v_add_co_ci_u32_e64 v3, null, v69, v3, vcc_lo
	global_store_dwordx2 v[2:3], v[0:1], off
	s_or_b32 exec_lo, exec_lo, s4
	s_and_b32 s5, s13, s20
	s_and_saveexec_b32 s4, s5
	s_cbranch_execz .LBB183_233
.LBB183_310:
	s_clause 0x1
	buffer_load_dword v0, off, s[0:3], 0 offset:376
	buffer_load_dword v1, off, s[0:3], 0 offset:380
	v_cmp_ne_u32_e32 vcc_lo, 1, v70
	v_lshlrev_b64 v[2:3], 3, v[30:31]
	s_cbranch_vccnz .LBB183_312
; %bb.311:
	v_add_co_u32 v4, vcc_lo, v71, v2
	v_add_co_ci_u32_e64 v5, null, v72, v3, vcc_lo
	global_load_dwordx2 v[4:5], v[4:5], off
	s_waitcnt vmcnt(0)
	v_mul_f64 v[4:5], s[38:39], v[4:5]
	s_branch .LBB183_313
.LBB183_312:
	v_mov_b32_e32 v4, 0
	v_mov_b32_e32 v5, 0
.LBB183_313:
	s_waitcnt vmcnt(0)
	v_add_f64 v[0:1], v[0:1], v[4:5]
	v_add_co_u32 v2, vcc_lo, v68, v2
	v_add_co_ci_u32_e64 v3, null, v69, v3, vcc_lo
	global_store_dwordx2 v[2:3], v[0:1], off
	s_or_b32 exec_lo, exec_lo, s4
	s_and_b32 s5, s13, s21
	s_and_saveexec_b32 s4, s5
	s_cbranch_execz .LBB183_234
.LBB183_314:
	s_clause 0x1
	buffer_load_dword v0, off, s[0:3], 0 offset:384
	buffer_load_dword v1, off, s[0:3], 0 offset:388
	v_cmp_ne_u32_e32 vcc_lo, 1, v70
	v_lshlrev_b64 v[2:3], 3, v[32:33]
	s_cbranch_vccnz .LBB183_316
; %bb.315:
	v_add_co_u32 v4, vcc_lo, v71, v2
	v_add_co_ci_u32_e64 v5, null, v72, v3, vcc_lo
	global_load_dwordx2 v[4:5], v[4:5], off
	s_waitcnt vmcnt(0)
	v_mul_f64 v[4:5], s[38:39], v[4:5]
	s_branch .LBB183_317
.LBB183_316:
	v_mov_b32_e32 v4, 0
	v_mov_b32_e32 v5, 0
.LBB183_317:
	s_waitcnt vmcnt(0)
	v_add_f64 v[0:1], v[0:1], v[4:5]
	v_add_co_u32 v2, vcc_lo, v68, v2
	v_add_co_ci_u32_e64 v3, null, v69, v3, vcc_lo
	global_store_dwordx2 v[2:3], v[0:1], off
	s_or_b32 exec_lo, exec_lo, s4
	s_and_b32 s5, s13, s22
	s_and_saveexec_b32 s4, s5
	s_cbranch_execz .LBB183_235
.LBB183_318:
	s_clause 0x1
	buffer_load_dword v0, off, s[0:3], 0 offset:392
	buffer_load_dword v1, off, s[0:3], 0 offset:396
	v_cmp_ne_u32_e32 vcc_lo, 1, v70
	v_lshlrev_b64 v[2:3], 3, v[34:35]
	s_cbranch_vccnz .LBB183_320
; %bb.319:
	v_add_co_u32 v4, vcc_lo, v71, v2
	v_add_co_ci_u32_e64 v5, null, v72, v3, vcc_lo
	global_load_dwordx2 v[4:5], v[4:5], off
	s_waitcnt vmcnt(0)
	v_mul_f64 v[4:5], s[38:39], v[4:5]
	s_branch .LBB183_321
.LBB183_320:
	v_mov_b32_e32 v4, 0
	v_mov_b32_e32 v5, 0
.LBB183_321:
	s_waitcnt vmcnt(0)
	v_add_f64 v[0:1], v[0:1], v[4:5]
	v_add_co_u32 v2, vcc_lo, v68, v2
	v_add_co_ci_u32_e64 v3, null, v69, v3, vcc_lo
	global_store_dwordx2 v[2:3], v[0:1], off
	s_or_b32 exec_lo, exec_lo, s4
	s_and_b32 s5, s13, s23
	s_and_saveexec_b32 s4, s5
	s_cbranch_execz .LBB183_236
.LBB183_322:
	s_clause 0x1
	buffer_load_dword v0, off, s[0:3], 0 offset:400
	buffer_load_dword v1, off, s[0:3], 0 offset:404
	v_cmp_ne_u32_e32 vcc_lo, 1, v70
	v_lshlrev_b64 v[2:3], 3, v[36:37]
	s_cbranch_vccnz .LBB183_324
; %bb.323:
	v_add_co_u32 v4, vcc_lo, v71, v2
	v_add_co_ci_u32_e64 v5, null, v72, v3, vcc_lo
	global_load_dwordx2 v[4:5], v[4:5], off
	s_waitcnt vmcnt(0)
	v_mul_f64 v[4:5], s[38:39], v[4:5]
	s_branch .LBB183_325
.LBB183_324:
	v_mov_b32_e32 v4, 0
	v_mov_b32_e32 v5, 0
.LBB183_325:
	s_waitcnt vmcnt(0)
	v_add_f64 v[0:1], v[0:1], v[4:5]
	v_add_co_u32 v2, vcc_lo, v68, v2
	v_add_co_ci_u32_e64 v3, null, v69, v3, vcc_lo
	global_store_dwordx2 v[2:3], v[0:1], off
	s_or_b32 exec_lo, exec_lo, s4
	s_and_b32 s5, s13, s24
	s_and_saveexec_b32 s4, s5
	s_cbranch_execz .LBB183_237
.LBB183_326:
	s_clause 0x1
	buffer_load_dword v0, off, s[0:3], 0 offset:408
	buffer_load_dword v1, off, s[0:3], 0 offset:412
	v_cmp_ne_u32_e32 vcc_lo, 1, v70
	v_lshlrev_b64 v[2:3], 3, v[38:39]
	s_cbranch_vccnz .LBB183_328
; %bb.327:
	v_add_co_u32 v4, vcc_lo, v71, v2
	v_add_co_ci_u32_e64 v5, null, v72, v3, vcc_lo
	global_load_dwordx2 v[4:5], v[4:5], off
	s_waitcnt vmcnt(0)
	v_mul_f64 v[4:5], s[38:39], v[4:5]
	s_branch .LBB183_329
.LBB183_328:
	v_mov_b32_e32 v4, 0
	v_mov_b32_e32 v5, 0
.LBB183_329:
	s_waitcnt vmcnt(0)
	v_add_f64 v[0:1], v[0:1], v[4:5]
	v_add_co_u32 v2, vcc_lo, v68, v2
	v_add_co_ci_u32_e64 v3, null, v69, v3, vcc_lo
	global_store_dwordx2 v[2:3], v[0:1], off
	s_or_b32 exec_lo, exec_lo, s4
	s_and_b32 s5, s13, s25
	s_and_saveexec_b32 s4, s5
	s_cbranch_execz .LBB183_238
.LBB183_330:
	s_clause 0x1
	buffer_load_dword v0, off, s[0:3], 0 offset:416
	buffer_load_dword v1, off, s[0:3], 0 offset:420
	v_cmp_ne_u32_e32 vcc_lo, 1, v70
	v_lshlrev_b64 v[2:3], 3, v[40:41]
	s_cbranch_vccnz .LBB183_332
; %bb.331:
	v_add_co_u32 v4, vcc_lo, v71, v2
	v_add_co_ci_u32_e64 v5, null, v72, v3, vcc_lo
	global_load_dwordx2 v[4:5], v[4:5], off
	s_waitcnt vmcnt(0)
	v_mul_f64 v[4:5], s[38:39], v[4:5]
	s_branch .LBB183_333
.LBB183_332:
	v_mov_b32_e32 v4, 0
	v_mov_b32_e32 v5, 0
.LBB183_333:
	s_waitcnt vmcnt(0)
	v_add_f64 v[0:1], v[0:1], v[4:5]
	v_add_co_u32 v2, vcc_lo, v68, v2
	v_add_co_ci_u32_e64 v3, null, v69, v3, vcc_lo
	global_store_dwordx2 v[2:3], v[0:1], off
	s_or_b32 exec_lo, exec_lo, s4
	s_and_b32 s5, s13, s26
	s_and_saveexec_b32 s4, s5
	s_cbranch_execz .LBB183_239
.LBB183_334:
	s_clause 0x1
	buffer_load_dword v0, off, s[0:3], 0 offset:424
	buffer_load_dword v1, off, s[0:3], 0 offset:428
	v_cmp_ne_u32_e32 vcc_lo, 1, v70
	v_lshlrev_b64 v[2:3], 3, v[42:43]
	s_cbranch_vccnz .LBB183_336
; %bb.335:
	v_add_co_u32 v4, vcc_lo, v71, v2
	v_add_co_ci_u32_e64 v5, null, v72, v3, vcc_lo
	global_load_dwordx2 v[4:5], v[4:5], off
	s_waitcnt vmcnt(0)
	v_mul_f64 v[4:5], s[38:39], v[4:5]
	s_branch .LBB183_337
.LBB183_336:
	v_mov_b32_e32 v4, 0
	v_mov_b32_e32 v5, 0
.LBB183_337:
	s_waitcnt vmcnt(0)
	v_add_f64 v[0:1], v[0:1], v[4:5]
	v_add_co_u32 v2, vcc_lo, v68, v2
	v_add_co_ci_u32_e64 v3, null, v69, v3, vcc_lo
	global_store_dwordx2 v[2:3], v[0:1], off
	s_or_b32 exec_lo, exec_lo, s4
	s_and_b32 s5, s13, s27
	s_and_saveexec_b32 s4, s5
	s_cbranch_execz .LBB183_240
.LBB183_338:
	s_clause 0x1
	buffer_load_dword v0, off, s[0:3], 0 offset:432
	buffer_load_dword v1, off, s[0:3], 0 offset:436
	v_cmp_ne_u32_e32 vcc_lo, 1, v70
	v_lshlrev_b64 v[2:3], 3, v[44:45]
	s_cbranch_vccnz .LBB183_340
; %bb.339:
	v_add_co_u32 v4, vcc_lo, v71, v2
	v_add_co_ci_u32_e64 v5, null, v72, v3, vcc_lo
	global_load_dwordx2 v[4:5], v[4:5], off
	s_waitcnt vmcnt(0)
	v_mul_f64 v[4:5], s[38:39], v[4:5]
	s_branch .LBB183_341
.LBB183_340:
	v_mov_b32_e32 v4, 0
	v_mov_b32_e32 v5, 0
.LBB183_341:
	s_waitcnt vmcnt(0)
	v_add_f64 v[0:1], v[0:1], v[4:5]
	v_add_co_u32 v2, vcc_lo, v68, v2
	v_add_co_ci_u32_e64 v3, null, v69, v3, vcc_lo
	global_store_dwordx2 v[2:3], v[0:1], off
	s_or_b32 exec_lo, exec_lo, s4
	s_and_b32 s5, s13, s28
	s_and_saveexec_b32 s4, s5
	s_cbranch_execz .LBB183_241
.LBB183_342:
	s_clause 0x1
	buffer_load_dword v0, off, s[0:3], 0 offset:440
	buffer_load_dword v1, off, s[0:3], 0 offset:444
	v_cmp_ne_u32_e32 vcc_lo, 1, v70
	v_lshlrev_b64 v[2:3], 3, v[46:47]
	s_cbranch_vccnz .LBB183_344
; %bb.343:
	v_add_co_u32 v4, vcc_lo, v71, v2
	v_add_co_ci_u32_e64 v5, null, v72, v3, vcc_lo
	global_load_dwordx2 v[4:5], v[4:5], off
	s_waitcnt vmcnt(0)
	v_mul_f64 v[4:5], s[38:39], v[4:5]
	s_branch .LBB183_345
.LBB183_344:
	v_mov_b32_e32 v4, 0
	v_mov_b32_e32 v5, 0
.LBB183_345:
	s_waitcnt vmcnt(0)
	v_add_f64 v[0:1], v[0:1], v[4:5]
	v_add_co_u32 v2, vcc_lo, v68, v2
	v_add_co_ci_u32_e64 v3, null, v69, v3, vcc_lo
	global_store_dwordx2 v[2:3], v[0:1], off
	s_or_b32 exec_lo, exec_lo, s4
	s_and_b32 s5, s13, s29
	s_and_saveexec_b32 s4, s5
	s_cbranch_execz .LBB183_242
.LBB183_346:
	s_clause 0x1
	buffer_load_dword v0, off, s[0:3], 0 offset:448
	buffer_load_dword v1, off, s[0:3], 0 offset:452
	v_cmp_ne_u32_e32 vcc_lo, 1, v70
	v_lshlrev_b64 v[2:3], 3, v[48:49]
	s_cbranch_vccnz .LBB183_348
; %bb.347:
	v_add_co_u32 v4, vcc_lo, v71, v2
	v_add_co_ci_u32_e64 v5, null, v72, v3, vcc_lo
	global_load_dwordx2 v[4:5], v[4:5], off
	s_waitcnt vmcnt(0)
	v_mul_f64 v[4:5], s[38:39], v[4:5]
	s_branch .LBB183_349
.LBB183_348:
	v_mov_b32_e32 v4, 0
	v_mov_b32_e32 v5, 0
.LBB183_349:
	s_waitcnt vmcnt(0)
	v_add_f64 v[0:1], v[0:1], v[4:5]
	v_add_co_u32 v2, vcc_lo, v68, v2
	v_add_co_ci_u32_e64 v3, null, v69, v3, vcc_lo
	global_store_dwordx2 v[2:3], v[0:1], off
	s_or_b32 exec_lo, exec_lo, s4
	s_and_b32 s5, s13, s30
	s_and_saveexec_b32 s4, s5
	s_cbranch_execz .LBB183_243
.LBB183_350:
	s_clause 0x1
	buffer_load_dword v0, off, s[0:3], 0 offset:456
	buffer_load_dword v1, off, s[0:3], 0 offset:460
	v_cmp_ne_u32_e32 vcc_lo, 1, v70
	v_lshlrev_b64 v[2:3], 3, v[50:51]
	s_cbranch_vccnz .LBB183_352
; %bb.351:
	v_add_co_u32 v4, vcc_lo, v71, v2
	v_add_co_ci_u32_e64 v5, null, v72, v3, vcc_lo
	global_load_dwordx2 v[4:5], v[4:5], off
	s_waitcnt vmcnt(0)
	v_mul_f64 v[4:5], s[38:39], v[4:5]
	s_branch .LBB183_353
.LBB183_352:
	v_mov_b32_e32 v4, 0
	v_mov_b32_e32 v5, 0
.LBB183_353:
	s_waitcnt vmcnt(0)
	v_add_f64 v[0:1], v[0:1], v[4:5]
	v_add_co_u32 v2, vcc_lo, v68, v2
	v_add_co_ci_u32_e64 v3, null, v69, v3, vcc_lo
	global_store_dwordx2 v[2:3], v[0:1], off
	s_or_b32 exec_lo, exec_lo, s4
	s_and_b32 s5, s13, s31
	s_and_saveexec_b32 s4, s5
	s_cbranch_execz .LBB183_244
.LBB183_354:
	s_clause 0x1
	buffer_load_dword v0, off, s[0:3], 0 offset:464
	buffer_load_dword v1, off, s[0:3], 0 offset:468
	v_cmp_ne_u32_e32 vcc_lo, 1, v70
	v_lshlrev_b64 v[2:3], 3, v[52:53]
	s_cbranch_vccnz .LBB183_356
; %bb.355:
	v_add_co_u32 v4, vcc_lo, v71, v2
	v_add_co_ci_u32_e64 v5, null, v72, v3, vcc_lo
	global_load_dwordx2 v[4:5], v[4:5], off
	s_waitcnt vmcnt(0)
	v_mul_f64 v[4:5], s[38:39], v[4:5]
	s_branch .LBB183_357
.LBB183_356:
	v_mov_b32_e32 v4, 0
	v_mov_b32_e32 v5, 0
.LBB183_357:
	s_waitcnt vmcnt(0)
	v_add_f64 v[0:1], v[0:1], v[4:5]
	v_add_co_u32 v2, vcc_lo, v68, v2
	v_add_co_ci_u32_e64 v3, null, v69, v3, vcc_lo
	global_store_dwordx2 v[2:3], v[0:1], off
	s_or_b32 exec_lo, exec_lo, s4
	s_and_b32 s5, s13, s33
	s_and_saveexec_b32 s4, s5
	s_cbranch_execz .LBB183_245
.LBB183_358:
	s_clause 0x1
	buffer_load_dword v0, off, s[0:3], 0 offset:472
	buffer_load_dword v1, off, s[0:3], 0 offset:476
	v_cmp_ne_u32_e32 vcc_lo, 1, v70
	v_lshlrev_b64 v[2:3], 3, v[54:55]
	s_cbranch_vccnz .LBB183_360
; %bb.359:
	v_add_co_u32 v4, vcc_lo, v71, v2
	v_add_co_ci_u32_e64 v5, null, v72, v3, vcc_lo
	global_load_dwordx2 v[4:5], v[4:5], off
	s_waitcnt vmcnt(0)
	v_mul_f64 v[4:5], s[38:39], v[4:5]
	s_branch .LBB183_361
.LBB183_360:
	v_mov_b32_e32 v4, 0
	v_mov_b32_e32 v5, 0
.LBB183_361:
	s_waitcnt vmcnt(0)
	v_add_f64 v[0:1], v[0:1], v[4:5]
	v_add_co_u32 v2, vcc_lo, v68, v2
	v_add_co_ci_u32_e64 v3, null, v69, v3, vcc_lo
	global_store_dwordx2 v[2:3], v[0:1], off
	s_or_b32 exec_lo, exec_lo, s4
	s_and_b32 s5, s13, s34
	s_and_saveexec_b32 s4, s5
	s_cbranch_execz .LBB183_246
.LBB183_362:
	s_clause 0x1
	buffer_load_dword v0, off, s[0:3], 0 offset:480
	buffer_load_dword v1, off, s[0:3], 0 offset:484
	v_cmp_ne_u32_e32 vcc_lo, 1, v70
	v_lshlrev_b64 v[2:3], 3, v[56:57]
	s_cbranch_vccnz .LBB183_364
; %bb.363:
	v_add_co_u32 v4, vcc_lo, v71, v2
	v_add_co_ci_u32_e64 v5, null, v72, v3, vcc_lo
	global_load_dwordx2 v[4:5], v[4:5], off
	s_waitcnt vmcnt(0)
	v_mul_f64 v[4:5], s[38:39], v[4:5]
	s_branch .LBB183_365
.LBB183_364:
	v_mov_b32_e32 v4, 0
	v_mov_b32_e32 v5, 0
.LBB183_365:
	s_waitcnt vmcnt(0)
	v_add_f64 v[0:1], v[0:1], v[4:5]
	v_add_co_u32 v2, vcc_lo, v68, v2
	v_add_co_ci_u32_e64 v3, null, v69, v3, vcc_lo
	global_store_dwordx2 v[2:3], v[0:1], off
	s_or_b32 exec_lo, exec_lo, s4
	s_and_b32 s5, s13, s35
	s_and_saveexec_b32 s4, s5
	s_cbranch_execz .LBB183_247
.LBB183_366:
	s_clause 0x1
	buffer_load_dword v0, off, s[0:3], 0 offset:488
	buffer_load_dword v1, off, s[0:3], 0 offset:492
	v_cmp_ne_u32_e32 vcc_lo, 1, v70
	v_lshlrev_b64 v[2:3], 3, v[58:59]
	s_cbranch_vccnz .LBB183_368
; %bb.367:
	v_add_co_u32 v4, vcc_lo, v71, v2
	v_add_co_ci_u32_e64 v5, null, v72, v3, vcc_lo
	global_load_dwordx2 v[4:5], v[4:5], off
	s_waitcnt vmcnt(0)
	v_mul_f64 v[4:5], s[38:39], v[4:5]
	s_branch .LBB183_369
.LBB183_368:
	v_mov_b32_e32 v4, 0
	v_mov_b32_e32 v5, 0
.LBB183_369:
	s_waitcnt vmcnt(0)
	v_add_f64 v[0:1], v[0:1], v[4:5]
	v_add_co_u32 v2, vcc_lo, v68, v2
	v_add_co_ci_u32_e64 v3, null, v69, v3, vcc_lo
	global_store_dwordx2 v[2:3], v[0:1], off
	s_or_b32 exec_lo, exec_lo, s4
	s_and_b32 s5, s13, s36
	s_and_saveexec_b32 s4, s5
	s_cbranch_execz .LBB183_248
.LBB183_370:
	s_clause 0x1
	buffer_load_dword v0, off, s[0:3], 0 offset:496
	buffer_load_dword v1, off, s[0:3], 0 offset:500
	v_cmp_ne_u32_e32 vcc_lo, 1, v70
	v_lshlrev_b64 v[2:3], 3, v[60:61]
	s_cbranch_vccnz .LBB183_372
; %bb.371:
	v_add_co_u32 v4, vcc_lo, v71, v2
	v_add_co_ci_u32_e64 v5, null, v72, v3, vcc_lo
	global_load_dwordx2 v[4:5], v[4:5], off
	s_waitcnt vmcnt(0)
	v_mul_f64 v[4:5], s[38:39], v[4:5]
	s_branch .LBB183_373
.LBB183_372:
	v_mov_b32_e32 v4, 0
	v_mov_b32_e32 v5, 0
.LBB183_373:
	s_waitcnt vmcnt(0)
	v_add_f64 v[0:1], v[0:1], v[4:5]
	v_add_co_u32 v2, vcc_lo, v68, v2
	v_add_co_ci_u32_e64 v3, null, v69, v3, vcc_lo
	global_store_dwordx2 v[2:3], v[0:1], off
	s_or_b32 exec_lo, exec_lo, s4
	s_and_b32 s4, s13, s37
	s_and_saveexec_b32 s5, s4
	s_cbranch_execz .LBB183_249
.LBB183_374:
	s_clause 0x1
	buffer_load_dword v0, off, s[0:3], 0 offset:504
	buffer_load_dword v1, off, s[0:3], 0 offset:508
	v_cmp_ne_u32_e32 vcc_lo, 1, v70
	v_lshlrev_b64 v[2:3], 3, v[62:63]
	s_cbranch_vccnz .LBB183_376
; %bb.375:
	v_add_co_u32 v4, vcc_lo, v71, v2
	v_add_co_ci_u32_e64 v5, null, v72, v3, vcc_lo
	global_load_dwordx2 v[4:5], v[4:5], off
	s_waitcnt vmcnt(0)
	v_mul_f64 v[4:5], s[38:39], v[4:5]
	s_branch .LBB183_377
.LBB183_376:
	v_mov_b32_e32 v4, 0
	v_mov_b32_e32 v5, 0
.LBB183_377:
	s_waitcnt vmcnt(0)
	v_add_f64 v[0:1], v[0:1], v[4:5]
	v_add_co_u32 v2, vcc_lo, v68, v2
	v_add_co_ci_u32_e64 v3, null, v69, v3, vcc_lo
	global_store_dwordx2 v[2:3], v[0:1], off
	s_endpgm
	.section	.rodata,"a",@progbits
	.p2align	6, 0x0
	.amdhsa_kernel _ZN12_GLOBAL__N_120geam_min_plus_kernelIdddLi4ELi64ELi128ELi128ELi4ELi64ELi4ELi4ELi64ELc78ELc78ELb0ELb1ELb0EPKdS1_dEEviiiT16_PT17_ilS5_ilS3_S5_ilPT18_ili26rocblas_geam_ex_operation_
		.amdhsa_group_segment_fixed_size 16384
		.amdhsa_private_segment_fixed_size 528
		.amdhsa_kernarg_size 136
		.amdhsa_user_sgpr_count 6
		.amdhsa_user_sgpr_private_segment_buffer 1
		.amdhsa_user_sgpr_dispatch_ptr 0
		.amdhsa_user_sgpr_queue_ptr 0
		.amdhsa_user_sgpr_kernarg_segment_ptr 1
		.amdhsa_user_sgpr_dispatch_id 0
		.amdhsa_user_sgpr_flat_scratch_init 0
		.amdhsa_user_sgpr_private_segment_size 0
		.amdhsa_wavefront_size32 1
		.amdhsa_uses_dynamic_stack 0
		.amdhsa_system_sgpr_private_segment_wavefront_offset 1
		.amdhsa_system_sgpr_workgroup_id_x 1
		.amdhsa_system_sgpr_workgroup_id_y 0
		.amdhsa_system_sgpr_workgroup_id_z 1
		.amdhsa_system_sgpr_workgroup_info 0
		.amdhsa_system_vgpr_workitem_id 1
		.amdhsa_next_free_vgpr 114
		.amdhsa_next_free_sgpr 50
		.amdhsa_reserve_vcc 1
		.amdhsa_reserve_flat_scratch 0
		.amdhsa_float_round_mode_32 0
		.amdhsa_float_round_mode_16_64 0
		.amdhsa_float_denorm_mode_32 3
		.amdhsa_float_denorm_mode_16_64 3
		.amdhsa_dx10_clamp 1
		.amdhsa_ieee_mode 1
		.amdhsa_fp16_overflow 0
		.amdhsa_workgroup_processor_mode 1
		.amdhsa_memory_ordered 1
		.amdhsa_forward_progress 1
		.amdhsa_shared_vgpr_count 0
		.amdhsa_exception_fp_ieee_invalid_op 0
		.amdhsa_exception_fp_denorm_src 0
		.amdhsa_exception_fp_ieee_div_zero 0
		.amdhsa_exception_fp_ieee_overflow 0
		.amdhsa_exception_fp_ieee_underflow 0
		.amdhsa_exception_fp_ieee_inexact 0
		.amdhsa_exception_int_div_zero 0
	.end_amdhsa_kernel
	.section	.text._ZN12_GLOBAL__N_120geam_min_plus_kernelIdddLi4ELi64ELi128ELi128ELi4ELi64ELi4ELi4ELi64ELc78ELc78ELb0ELb1ELb0EPKdS1_dEEviiiT16_PT17_ilS5_ilS3_S5_ilPT18_ili26rocblas_geam_ex_operation_,"axG",@progbits,_ZN12_GLOBAL__N_120geam_min_plus_kernelIdddLi4ELi64ELi128ELi128ELi4ELi64ELi4ELi4ELi64ELc78ELc78ELb0ELb1ELb0EPKdS1_dEEviiiT16_PT17_ilS5_ilS3_S5_ilPT18_ili26rocblas_geam_ex_operation_,comdat
.Lfunc_end183:
	.size	_ZN12_GLOBAL__N_120geam_min_plus_kernelIdddLi4ELi64ELi128ELi128ELi4ELi64ELi4ELi4ELi64ELc78ELc78ELb0ELb1ELb0EPKdS1_dEEviiiT16_PT17_ilS5_ilS3_S5_ilPT18_ili26rocblas_geam_ex_operation_, .Lfunc_end183-_ZN12_GLOBAL__N_120geam_min_plus_kernelIdddLi4ELi64ELi128ELi128ELi4ELi64ELi4ELi4ELi64ELc78ELc78ELb0ELb1ELb0EPKdS1_dEEviiiT16_PT17_ilS5_ilS3_S5_ilPT18_ili26rocblas_geam_ex_operation_
                                        ; -- End function
	.set _ZN12_GLOBAL__N_120geam_min_plus_kernelIdddLi4ELi64ELi128ELi128ELi4ELi64ELi4ELi4ELi64ELc78ELc78ELb0ELb1ELb0EPKdS1_dEEviiiT16_PT17_ilS5_ilS3_S5_ilPT18_ili26rocblas_geam_ex_operation_.num_vgpr, 114
	.set _ZN12_GLOBAL__N_120geam_min_plus_kernelIdddLi4ELi64ELi128ELi128ELi4ELi64ELi4ELi4ELi64ELc78ELc78ELb0ELb1ELb0EPKdS1_dEEviiiT16_PT17_ilS5_ilS3_S5_ilPT18_ili26rocblas_geam_ex_operation_.num_agpr, 0
	.set _ZN12_GLOBAL__N_120geam_min_plus_kernelIdddLi4ELi64ELi128ELi128ELi4ELi64ELi4ELi4ELi64ELc78ELc78ELb0ELb1ELb0EPKdS1_dEEviiiT16_PT17_ilS5_ilS3_S5_ilPT18_ili26rocblas_geam_ex_operation_.numbered_sgpr, 50
	.set _ZN12_GLOBAL__N_120geam_min_plus_kernelIdddLi4ELi64ELi128ELi128ELi4ELi64ELi4ELi4ELi64ELc78ELc78ELb0ELb1ELb0EPKdS1_dEEviiiT16_PT17_ilS5_ilS3_S5_ilPT18_ili26rocblas_geam_ex_operation_.num_named_barrier, 0
	.set _ZN12_GLOBAL__N_120geam_min_plus_kernelIdddLi4ELi64ELi128ELi128ELi4ELi64ELi4ELi4ELi64ELc78ELc78ELb0ELb1ELb0EPKdS1_dEEviiiT16_PT17_ilS5_ilS3_S5_ilPT18_ili26rocblas_geam_ex_operation_.private_seg_size, 528
	.set _ZN12_GLOBAL__N_120geam_min_plus_kernelIdddLi4ELi64ELi128ELi128ELi4ELi64ELi4ELi4ELi64ELc78ELc78ELb0ELb1ELb0EPKdS1_dEEviiiT16_PT17_ilS5_ilS3_S5_ilPT18_ili26rocblas_geam_ex_operation_.uses_vcc, 1
	.set _ZN12_GLOBAL__N_120geam_min_plus_kernelIdddLi4ELi64ELi128ELi128ELi4ELi64ELi4ELi4ELi64ELc78ELc78ELb0ELb1ELb0EPKdS1_dEEviiiT16_PT17_ilS5_ilS3_S5_ilPT18_ili26rocblas_geam_ex_operation_.uses_flat_scratch, 0
	.set _ZN12_GLOBAL__N_120geam_min_plus_kernelIdddLi4ELi64ELi128ELi128ELi4ELi64ELi4ELi4ELi64ELc78ELc78ELb0ELb1ELb0EPKdS1_dEEviiiT16_PT17_ilS5_ilS3_S5_ilPT18_ili26rocblas_geam_ex_operation_.has_dyn_sized_stack, 0
	.set _ZN12_GLOBAL__N_120geam_min_plus_kernelIdddLi4ELi64ELi128ELi128ELi4ELi64ELi4ELi4ELi64ELc78ELc78ELb0ELb1ELb0EPKdS1_dEEviiiT16_PT17_ilS5_ilS3_S5_ilPT18_ili26rocblas_geam_ex_operation_.has_recursion, 0
	.set _ZN12_GLOBAL__N_120geam_min_plus_kernelIdddLi4ELi64ELi128ELi128ELi4ELi64ELi4ELi4ELi64ELc78ELc78ELb0ELb1ELb0EPKdS1_dEEviiiT16_PT17_ilS5_ilS3_S5_ilPT18_ili26rocblas_geam_ex_operation_.has_indirect_call, 0
	.section	.AMDGPU.csdata,"",@progbits
; Kernel info:
; codeLenInByte = 22416
; TotalNumSgprs: 52
; NumVgprs: 114
; ScratchSize: 528
; MemoryBound: 0
; FloatMode: 240
; IeeeMode: 1
; LDSByteSize: 16384 bytes/workgroup (compile time only)
; SGPRBlocks: 0
; VGPRBlocks: 14
; NumSGPRsForWavesPerEU: 52
; NumVGPRsForWavesPerEU: 114
; Occupancy: 8
; WaveLimiterHint : 0
; COMPUTE_PGM_RSRC2:SCRATCH_EN: 1
; COMPUTE_PGM_RSRC2:USER_SGPR: 6
; COMPUTE_PGM_RSRC2:TRAP_HANDLER: 0
; COMPUTE_PGM_RSRC2:TGID_X_EN: 1
; COMPUTE_PGM_RSRC2:TGID_Y_EN: 0
; COMPUTE_PGM_RSRC2:TGID_Z_EN: 1
; COMPUTE_PGM_RSRC2:TIDIG_COMP_CNT: 1
	.section	.text._ZN12_GLOBAL__N_120geam_min_plus_kernelIdddLi4ELi64ELi128ELi128ELi4ELi64ELi4ELi4ELi64ELc78ELc78ELb1ELb1ELb0EdKddEEviiiT16_PT17_ilS4_ilS2_S4_ilPT18_ili26rocblas_geam_ex_operation_,"axG",@progbits,_ZN12_GLOBAL__N_120geam_min_plus_kernelIdddLi4ELi64ELi128ELi128ELi4ELi64ELi4ELi4ELi64ELc78ELc78ELb1ELb1ELb0EdKddEEviiiT16_PT17_ilS4_ilS2_S4_ilPT18_ili26rocblas_geam_ex_operation_,comdat
	.globl	_ZN12_GLOBAL__N_120geam_min_plus_kernelIdddLi4ELi64ELi128ELi128ELi4ELi64ELi4ELi4ELi64ELc78ELc78ELb1ELb1ELb0EdKddEEviiiT16_PT17_ilS4_ilS2_S4_ilPT18_ili26rocblas_geam_ex_operation_ ; -- Begin function _ZN12_GLOBAL__N_120geam_min_plus_kernelIdddLi4ELi64ELi128ELi128ELi4ELi64ELi4ELi4ELi64ELc78ELc78ELb1ELb1ELb0EdKddEEviiiT16_PT17_ilS4_ilS2_S4_ilPT18_ili26rocblas_geam_ex_operation_
	.p2align	8
	.type	_ZN12_GLOBAL__N_120geam_min_plus_kernelIdddLi4ELi64ELi128ELi128ELi4ELi64ELi4ELi4ELi64ELc78ELc78ELb1ELb1ELb0EdKddEEviiiT16_PT17_ilS4_ilS2_S4_ilPT18_ili26rocblas_geam_ex_operation_,@function
_ZN12_GLOBAL__N_120geam_min_plus_kernelIdddLi4ELi64ELi128ELi128ELi4ELi64ELi4ELi4ELi64ELc78ELc78ELb1ELb1ELb0EdKddEEviiiT16_PT17_ilS4_ilS2_S4_ilPT18_ili26rocblas_geam_ex_operation_: ; @_ZN12_GLOBAL__N_120geam_min_plus_kernelIdddLi4ELi64ELi128ELi128ELi4ELi64ELi4ELi4ELi64ELc78ELc78ELb1ELb1ELb0EdKddEEviiiT16_PT17_ilS4_ilS2_S4_ilPT18_ili26rocblas_geam_ex_operation_
; %bb.0:
	s_add_u32 s0, s0, s8
	s_clause 0x1
	s_load_dwordx4 s[12:15], s[4:5], 0x10
	s_load_dwordx4 s[8:11], s[4:5], 0x28
	s_addc_u32 s1, s1, 0
	s_mov_b64 s[16:17], 0
	s_waitcnt lgkmcnt(0)
	v_cmp_eq_f64_e64 s12, s[12:13], 0
	s_and_b32 vcc_lo, exec_lo, s12
	s_cbranch_vccnz .LBB184_2
; %bb.1:
	s_mul_i32 s9, s9, s7
	s_mul_hi_u32 s13, s8, s7
	s_mul_i32 s8, s8, s7
	s_add_i32 s9, s13, s9
	s_lshl_b64 s[8:9], s[8:9], 3
	s_add_u32 s16, s14, s8
	s_addc_u32 s17, s15, s9
.LBB184_2:
	s_clause 0x1
	s_load_dwordx4 s[36:39], s[4:5], 0x40
	s_load_dwordx2 s[8:9], s[4:5], 0x50
	s_andn2_b32 vcc_lo, exec_lo, s12
	s_mov_b32 s12, -1
	s_cbranch_vccnz .LBB184_4
; %bb.3:
	s_mov_b32 s12, 0
.LBB184_4:
	s_mov_b64 s[44:45], 0
	s_andn2_b32 vcc_lo, exec_lo, s12
	s_mov_b64 s[18:19], 0
	s_cbranch_vccnz .LBB184_6
; %bb.5:
	s_waitcnt lgkmcnt(0)
	s_mul_i32 s12, s37, s7
	s_mul_hi_u32 s13, s36, s7
	s_add_i32 s13, s13, s12
	s_mul_i32 s12, s36, s7
	s_lshl_b64 s[12:13], s[12:13], 3
	s_add_u32 s18, s10, s12
	s_addc_u32 s19, s11, s13
.LBB184_6:
	s_waitcnt lgkmcnt(0)
	v_cmp_eq_f64_e64 s10, s[38:39], 0
	v_cmp_neq_f64_e64 s46, s[38:39], 0
	s_load_dwordx4 s[12:15], s[4:5], 0x60
	s_and_b32 vcc_lo, exec_lo, s10
	s_cbranch_vccnz .LBB184_8
; %bb.7:
	s_waitcnt lgkmcnt(0)
	s_mul_i32 s10, s13, s7
	s_mul_hi_u32 s11, s12, s7
	s_add_i32 s11, s11, s10
	s_mul_i32 s10, s12, s7
	s_lshl_b64 s[10:11], s[10:11], 3
	s_add_u32 s44, s8, s10
	s_addc_u32 s45, s9, s11
.LBB184_8:
	s_clause 0x1
	s_load_dwordx4 s[40:43], s[4:5], 0x0
	s_load_dword s21, s[4:5], 0x20
	v_lshl_add_u32 v8, v1, 2, v0
	v_mov_b32_e32 v4, 0
	v_mov_b32_e32 v11, 0
	;; [unrolled: 1-line block ×3, first 2 shown]
	buffer_store_dword v11, off, s[0:3], 0 offset:4
	buffer_store_dword v11, off, s[0:3], 0
	buffer_store_dword v11, off, s[0:3], 0 offset:12
	buffer_store_dword v11, off, s[0:3], 0 offset:8
	;; [unrolled: 1-line block ×12, first 2 shown]
	v_lshrrev_b32_e32 v86, 6, v8
	v_and_b32_e32 v20, 63, v8
	buffer_store_dword v11, off, s[0:3], 0 offset:60
	buffer_store_dword v11, off, s[0:3], 0 offset:56
	;; [unrolled: 1-line block ×19, first 2 shown]
	s_waitcnt lgkmcnt(0)
	s_add_i32 s8, s40, -1
	v_cmp_le_i32_e32 vcc_lo, s42, v86
	s_ashr_i32 s9, s8, 31
	buffer_store_dword v11, off, s[0:3], 0 offset:128
	buffer_store_dword v11, off, s[0:3], 0 offset:140
	;; [unrolled: 1-line block ×4, first 2 shown]
	s_lshr_b32 s9, s9, 25
	buffer_store_dword v11, off, s[0:3], 0 offset:144
	buffer_store_dword v11, off, s[0:3], 0 offset:156
	buffer_store_dword v11, off, s[0:3], 0 offset:152
	buffer_store_dword v11, off, s[0:3], 0 offset:164
	s_add_i32 s8, s8, s9
	buffer_store_dword v11, off, s[0:3], 0 offset:160
	buffer_store_dword v11, off, s[0:3], 0 offset:172
	s_ashr_i32 s8, s8, 7
	buffer_store_dword v11, off, s[0:3], 0 offset:168
	s_add_i32 s10, s8, 1
	s_not_b32 s8, s8
	v_cvt_f32_u32_e32 v2, s10
	buffer_store_dword v11, off, s[0:3], 0 offset:180
	buffer_store_dword v11, off, s[0:3], 0 offset:176
	buffer_store_dword v11, off, s[0:3], 0 offset:188
	buffer_store_dword v11, off, s[0:3], 0 offset:184
	v_rcp_iflag_f32_e32 v2, v2
	buffer_store_dword v11, off, s[0:3], 0 offset:196
	buffer_store_dword v11, off, s[0:3], 0 offset:192
	;; [unrolled: 1-line block ×77, first 2 shown]
	v_mul_f32_e32 v2, 0x4f7ffffe, v2
	buffer_store_dword v11, off, s[0:3], 0 offset:496
	buffer_store_dword v11, off, s[0:3], 0 offset:508
	;; [unrolled: 1-line block ×3, first 2 shown]
	v_cvt_u32_f32_e32 v2, v2
	v_readfirstlane_b32 s9, v2
	v_mad_i64_i32 v[2:3], null, s21, v86, 0
	s_mul_i32 s8, s8, s9
	s_mul_hi_u32 s8, s9, s8
	v_lshlrev_b64 v[2:3], 3, v[2:3]
	s_add_i32 s9, s9, s8
	s_mul_hi_u32 s8, s6, s9
	s_mul_i32 s9, s8, s10
	s_add_i32 s11, s8, 1
	s_sub_i32 s9, s6, s9
	s_sub_i32 s12, s9, s10
	s_cmp_ge_u32 s9, s10
	s_cselect_b32 s8, s11, s8
	s_cselect_b32 s9, s12, s9
	s_add_i32 s11, s8, 1
	s_cmp_ge_u32 s9, s10
	s_cselect_b32 s9, s11, s8
	s_mul_i32 s8, s9, s10
	s_sub_i32 s6, s6, s8
	s_lshl_b32 s12, s6, 7
	v_add_co_u32 v9, s6, s16, v2
	v_or_b32_e32 v6, s12, v20
	v_add_co_ci_u32_e64 v10, null, s17, v3, s6
	v_mov_b32_e32 v2, 0
	v_mov_b32_e32 v3, 0
	v_cmp_le_i32_e64 s6, s40, v6
	v_ashrrev_i32_e32 v7, 31, v6
	s_nor_b32 s8, s6, vcc_lo
	s_and_saveexec_b32 s10, s8
	s_cbranch_execz .LBB184_10
; %bb.9:
	v_lshlrev_b64 v[4:5], 3, v[6:7]
	v_add_co_u32 v4, s8, v9, v4
	v_add_co_ci_u32_e64 v5, null, v10, v5, s8
	global_load_dwordx2 v[4:5], v[4:5], off
.LBB184_10:
	s_or_b32 exec_lo, exec_lo, s10
	v_or_b32_e32 v11, 64, v6
	s_ashr_i32 s22, s21, 31
	v_cmp_le_i32_e64 s8, s40, v11
	s_nor_b32 s11, s8, vcc_lo
	s_and_saveexec_b32 s10, s11
	s_cbranch_execz .LBB184_12
; %bb.11:
	v_lshlrev_b64 v[2:3], 3, v[6:7]
	v_add_co_u32 v2, vcc_lo, v9, v2
	v_add_co_ci_u32_e64 v3, null, v10, v3, vcc_lo
	global_load_dwordx2 v[2:3], v[2:3], off offset:512
.LBB184_12:
	s_or_b32 exec_lo, exec_lo, s10
	s_load_dword s23, s[4:5], 0x38
	v_lshrrev_b32_e32 v21, 2, v8
	v_and_b32_e32 v87, 3, v0
	s_lshl_b32 s13, s9, 7
	v_mov_b32_e32 v16, 0
	v_mov_b32_e32 v18, 0
	v_add_nc_u32_e32 v80, s13, v21
	v_lshlrev_b32_e32 v22, 3, v87
	v_cmp_le_i32_e32 vcc_lo, s42, v87
	v_mov_b32_e32 v17, 0
	v_mov_b32_e32 v19, 0
	v_cmp_le_i32_e64 s9, s41, v80
	v_add_co_u32 v23, s10, s18, v22
	v_add_co_ci_u32_e64 v24, null, s19, 0, s10
	s_nor_b32 s10, vcc_lo, s9
	s_and_saveexec_b32 s11, s10
	s_cbranch_execz .LBB184_14
; %bb.13:
	s_waitcnt lgkmcnt(0)
	v_mad_i64_i32 v[8:9], null, v80, s23, 0
	v_lshlrev_b64 v[8:9], 3, v[8:9]
	v_add_co_u32 v8, s10, v23, v8
	v_add_co_ci_u32_e64 v9, null, v24, v9, s10
	global_load_dwordx2 v[18:19], v[8:9], off
.LBB184_14:
	s_or_b32 exec_lo, exec_lo, s11
	v_add_nc_u32_e32 v81, 64, v80
	v_cmp_le_i32_e64 s10, s41, v81
	s_nor_b32 s20, vcc_lo, s10
	s_and_saveexec_b32 s11, s20
	s_cbranch_execz .LBB184_16
; %bb.15:
	s_waitcnt lgkmcnt(0)
	v_mad_i64_i32 v[8:9], null, v81, s23, 0
	v_lshlrev_b64 v[8:9], 3, v[8:9]
	v_add_co_u32 v8, vcc_lo, v23, v8
	v_add_co_ci_u32_e64 v9, null, v24, v9, vcc_lo
	global_load_dwordx2 v[16:17], v[8:9], off
.LBB184_16:
	s_or_b32 exec_lo, exec_lo, s11
	v_add_nc_u32_e32 v14, 4, v86
	v_mad_u64_u32 v[8:9], null, s21, v14, 0
	v_cmp_le_i32_e32 vcc_lo, s42, v14
	v_mad_u64_u32 v[9:10], null, s22, v14, v[9:10]
	v_mov_b32_e32 v10, 0
	v_mov_b32_e32 v11, 0
	v_lshlrev_b64 v[12:13], 3, v[8:9]
	v_mov_b32_e32 v8, 0
	v_mov_b32_e32 v9, 0
	v_add_co_u32 v12, s11, s16, v12
	v_add_co_ci_u32_e64 v13, null, s17, v13, s11
	s_nor_b32 s11, s6, vcc_lo
	s_and_saveexec_b32 s20, s11
	s_cbranch_execz .LBB184_18
; %bb.17:
	v_lshlrev_b64 v[10:11], 3, v[6:7]
	v_add_co_u32 v10, s11, v12, v10
	v_add_co_ci_u32_e64 v11, null, v13, v11, s11
	global_load_dwordx2 v[10:11], v[10:11], off
.LBB184_18:
	s_or_b32 exec_lo, exec_lo, s20
	s_nor_b32 s20, s8, vcc_lo
	s_and_saveexec_b32 s11, s20
	s_cbranch_execz .LBB184_20
; %bb.19:
	v_lshlrev_b64 v[8:9], 3, v[6:7]
	v_add_co_u32 v8, vcc_lo, v12, v8
	v_add_co_ci_u32_e64 v9, null, v13, v9, vcc_lo
	global_load_dwordx2 v[8:9], v[8:9], off offset:512
.LBB184_20:
	s_or_b32 exec_lo, exec_lo, s11
	v_or_b32_e32 v12, 4, v87
	v_mov_b32_e32 v14, 0
	v_mov_b32_e32 v15, 0
	v_cmp_le_i32_e32 vcc_lo, s42, v12
	v_mov_b32_e32 v12, 0
	v_mov_b32_e32 v13, 0
	s_nor_b32 s11, vcc_lo, s9
	s_and_saveexec_b32 s20, s11
	s_cbranch_execz .LBB184_22
; %bb.21:
	s_waitcnt lgkmcnt(0)
	v_mad_i64_i32 v[14:15], null, v80, s23, 0
	v_lshlrev_b64 v[14:15], 3, v[14:15]
	v_add_co_u32 v14, s11, v23, v14
	v_add_co_ci_u32_e64 v15, null, v24, v15, s11
	global_load_dwordx2 v[14:15], v[14:15], off offset:32
.LBB184_22:
	s_or_b32 exec_lo, exec_lo, s20
	s_nor_b32 s20, vcc_lo, s10
	s_and_saveexec_b32 s11, s20
	s_cbranch_execz .LBB184_24
; %bb.23:
	s_waitcnt lgkmcnt(0)
	v_mad_i64_i32 v[12:13], null, v81, s23, 0
	v_lshlrev_b64 v[12:13], 3, v[12:13]
	v_add_co_u32 v12, vcc_lo, v23, v12
	v_add_co_ci_u32_e64 v13, null, v24, v13, vcc_lo
	global_load_dwordx2 v[12:13], v[12:13], off offset:32
.LBB184_24:
	s_or_b32 exec_lo, exec_lo, s11
	v_lshlrev_b32_e32 v20, 5, v20
	v_lshl_or_b32 v82, v21, 5, v22
	v_lshlrev_b32_e32 v88, 5, v0
	v_lshl_or_b32 v90, v1, 5, 0x2000
	s_mov_b32 s20, 0
	v_lshl_add_u32 v89, v86, 3, v20
	v_add_nc_u32_e32 v91, 0x2000, v82
	s_addk_i32 s20, 0x100
	s_mov_b32 s11, 0
	s_waitcnt vmcnt(0)
	ds_write2st64_b64 v82, v[18:19], v[16:17] offset0:16 offset1:20
	ds_write2st64_b64 v89, v[4:5], v[2:3] offset1:4
	s_waitcnt lgkmcnt(0)
	s_waitcnt_vscnt null, 0x0
	s_barrier
	buffer_gl0_inv
.LBB184_25:                             ; =>This Loop Header: Depth=1
                                        ;     Child Loop BB184_26 Depth 2
	s_lshl_b32 s24, s11, 3
	s_mov_b32 s25, 0
	v_add_nc_u32_e32 v16, s24, v88
	v_add_nc_u32_e32 v83, s24, v90
	s_mov_b32 s24, -1
	ds_read2_b64 v[2:5], v16 offset1:16
	ds_read2_b64 v[20:23], v16 offset0:32 offset1:48
	ds_read2_b64 v[24:27], v16 offset0:64 offset1:80
	;; [unrolled: 1-line block ×4, first 2 shown]
	v_add_nc_u32_e32 v76, 0x800, v16
	ds_read2_b64 v[36:39], v16 offset0:160 offset1:176
	ds_read2_b64 v[40:43], v16 offset0:192 offset1:208
	;; [unrolled: 1-line block ×3, first 2 shown]
	ds_read2_b64 v[48:51], v76 offset1:16
	ds_read2_b64 v[52:55], v76 offset0:32 offset1:48
	ds_read2_b64 v[56:59], v76 offset0:64 offset1:80
	;; [unrolled: 1-line block ×6, first 2 shown]
	s_waitcnt lgkmcnt(9)
	v_max_f64 v[36:37], v[36:37], v[36:37]
	v_max_f64 v[38:39], v[38:39], v[38:39]
	v_max_f64 v[16:17], v[2:3], v[2:3]
	v_max_f64 v[18:19], v[4:5], v[4:5]
	ds_read2_b64 v[2:5], v76 offset0:224 offset1:240
	v_max_f64 v[20:21], v[20:21], v[20:21]
	v_max_f64 v[22:23], v[22:23], v[22:23]
	;; [unrolled: 1-line block ×8, first 2 shown]
	s_waitcnt lgkmcnt(9)
	v_max_f64 v[40:41], v[40:41], v[40:41]
	v_max_f64 v[42:43], v[42:43], v[42:43]
	s_waitcnt lgkmcnt(8)
	v_max_f64 v[44:45], v[44:45], v[44:45]
	v_max_f64 v[46:47], v[46:47], v[46:47]
	;; [unrolled: 3-line block ×10, first 2 shown]
	ds_read2st64_b64 v[2:5], v83 offset1:4
.LBB184_26:                             ;   Parent Loop BB184_25 Depth=1
                                        ; =>  This Inner Loop Header: Depth=2
	v_mov_b32_e32 v83, s25
	s_waitcnt lgkmcnt(0)
	v_max_f64 v[2:3], v[2:3], v[2:3]
	s_and_b32 vcc_lo, exec_lo, s24
	s_mov_b32 s24, 0
	s_mov_b32 s25, s20
	s_clause 0xf
	buffer_load_dword v92, v83, s[0:3], 0 offen
	buffer_load_dword v93, v83, s[0:3], 0 offen offset:4
	buffer_load_dword v94, v83, s[0:3], 0 offen offset:8
	;; [unrolled: 1-line block ×15, first 2 shown]
	v_min_f64 v[84:85], v[16:17], v[2:3]
	s_waitcnt vmcnt(14)
	v_add_f64 v[84:85], v[84:85], v[92:93]
	buffer_store_dword v84, v83, s[0:3], 0 offen
	buffer_store_dword v85, v83, s[0:3], 0 offen offset:4
	v_min_f64 v[84:85], v[18:19], v[2:3]
	s_waitcnt vmcnt(12)
	v_add_f64 v[84:85], v[84:85], v[94:95]
	buffer_store_dword v84, v83, s[0:3], 0 offen offset:8
	buffer_store_dword v85, v83, s[0:3], 0 offen offset:12
	v_min_f64 v[84:85], v[20:21], v[2:3]
	s_waitcnt vmcnt(10)
	v_add_f64 v[84:85], v[84:85], v[96:97]
	buffer_store_dword v84, v83, s[0:3], 0 offen offset:16
	;; [unrolled: 5-line block ×7, first 2 shown]
	buffer_store_dword v85, v83, s[0:3], 0 offen offset:60
	s_clause 0x1
	buffer_load_dword v93, v83, s[0:3], 0 offen offset:68
	buffer_load_dword v92, v83, s[0:3], 0 offen offset:64
	v_min_f64 v[84:85], v[32:33], v[2:3]
	s_waitcnt vmcnt(0)
	v_add_f64 v[84:85], v[84:85], v[92:93]
	buffer_store_dword v85, v83, s[0:3], 0 offen offset:68
	buffer_store_dword v84, v83, s[0:3], 0 offen offset:64
	s_clause 0x1
	buffer_load_dword v92, v83, s[0:3], 0 offen offset:72
	buffer_load_dword v93, v83, s[0:3], 0 offen offset:76
	v_min_f64 v[84:85], v[34:35], v[2:3]
	s_waitcnt vmcnt(0)
	v_add_f64 v[84:85], v[84:85], v[92:93]
	buffer_store_dword v85, v83, s[0:3], 0 offen offset:76
	;; [unrolled: 8-line block ×22, first 2 shown]
	buffer_store_dword v84, v83, s[0:3], 0 offen offset:232
	s_clause 0x1
	buffer_load_dword v92, v83, s[0:3], 0 offen offset:240
	buffer_load_dword v93, v83, s[0:3], 0 offen offset:244
	v_min_f64 v[84:85], v[76:77], v[2:3]
	v_min_f64 v[2:3], v[78:79], v[2:3]
	s_waitcnt vmcnt(0)
	v_add_f64 v[84:85], v[84:85], v[92:93]
	buffer_store_dword v85, v83, s[0:3], 0 offen offset:244
	buffer_store_dword v84, v83, s[0:3], 0 offen offset:240
	s_clause 0x1
	buffer_load_dword v84, v83, s[0:3], 0 offen offset:248
	buffer_load_dword v85, v83, s[0:3], 0 offen offset:252
	s_waitcnt vmcnt(0)
	v_add_f64 v[2:3], v[2:3], v[84:85]
	buffer_store_dword v3, v83, s[0:3], 0 offen offset:252
	buffer_store_dword v2, v83, s[0:3], 0 offen offset:248
	v_mov_b32_e32 v2, v4
	v_mov_b32_e32 v3, v5
	s_cbranch_vccnz .LBB184_26
; %bb.27:                               ;   in Loop: Header=BB184_25 Depth=1
	s_add_i32 s11, s11, 1
	s_cmp_eq_u32 s11, 4
	s_cbranch_scc0 .LBB184_25
; %bb.28:
	v_lshl_add_u32 v92, v0, 5, 0x1000
	v_lshl_add_u32 v93, v1, 5, 0x3000
	s_cmp_lt_i32 s42, 9
	ds_write2st64_b64 v89, v[10:11], v[8:9] offset0:8 offset1:12
	ds_write2st64_b64 v82, v[14:15], v[12:13] offset0:24 offset1:28
	s_waitcnt lgkmcnt(0)
	s_waitcnt_vscnt null, 0x0
	s_barrier
	buffer_gl0_inv
	s_cbranch_scc1 .LBB184_55
; %bb.29:
	v_mad_i64_i32 v[2:3], null, v80, s23, 0
	v_mad_i64_i32 v[4:5], null, v81, s23, 0
	v_lshlrev_b64 v[70:71], 3, v[6:7]
	v_add_nc_u32_e32 v94, 0x1000, v89
	v_add_nc_u32_e32 v95, 0x3000, v82
	v_mov_b32_e32 v77, 0
	v_lshlrev_b64 v[72:73], 3, v[2:3]
	s_add_i32 s23, s42, -8
	v_lshlrev_b64 v[74:75], 3, v[4:5]
	s_mov_b32 s24, 8
	s_mov_b32 s25, 0
.LBB184_30:                             ; =>This Loop Header: Depth=1
                                        ;     Child Loop BB184_39 Depth 2
                                        ;       Child Loop BB184_40 Depth 3
                                        ;     Child Loop BB184_51 Depth 2
                                        ;       Child Loop BB184_52 Depth 3
	v_add_nc_u32_e32 v5, s24, v86
	v_mov_b32_e32 v6, 0
	v_mov_b32_e32 v8, 0
	;; [unrolled: 1-line block ×4, first 2 shown]
	v_mad_u64_u32 v[2:3], null, v5, s21, 0
	v_cmp_le_i32_e32 vcc_lo, s42, v5
	v_mad_u64_u32 v[3:4], null, v5, s22, v[3:4]
	v_lshlrev_b64 v[2:3], 3, v[2:3]
	v_add_co_u32 v2, s11, s16, v2
	v_add_co_ci_u32_e64 v3, null, s17, v3, s11
	s_nor_b32 s11, s6, vcc_lo
	s_and_saveexec_b32 s26, s11
	s_cbranch_execz .LBB184_32
; %bb.31:                               ;   in Loop: Header=BB184_30 Depth=1
	v_add_co_u32 v4, s11, v2, v70
	v_add_co_ci_u32_e64 v5, null, v3, v71, s11
	global_load_dwordx2 v[8:9], v[4:5], off
.LBB184_32:                             ;   in Loop: Header=BB184_30 Depth=1
	s_or_b32 exec_lo, exec_lo, s26
	s_nor_b32 s26, s8, vcc_lo
	s_and_saveexec_b32 s11, s26
	s_cbranch_execz .LBB184_34
; %bb.33:                               ;   in Loop: Header=BB184_30 Depth=1
	v_add_co_u32 v2, vcc_lo, v2, v70
	v_add_co_ci_u32_e64 v3, null, v3, v71, vcc_lo
	global_load_dwordx2 v[6:7], v[2:3], off offset:512
.LBB184_34:                             ;   in Loop: Header=BB184_30 Depth=1
	s_or_b32 exec_lo, exec_lo, s11
	v_or_b32_e32 v76, s24, v87
	v_mov_b32_e32 v10, 0
	v_mov_b32_e32 v12, 0
	;; [unrolled: 1-line block ×4, first 2 shown]
	v_lshlrev_b64 v[2:3], 3, v[76:77]
	v_cmp_le_i32_e32 vcc_lo, s42, v76
	v_add_co_u32 v96, s11, s18, v2
	v_add_co_ci_u32_e64 v97, null, s19, v3, s11
	s_nor_b32 s11, s9, vcc_lo
	s_and_saveexec_b32 s26, s11
	s_cbranch_execz .LBB184_36
; %bb.35:                               ;   in Loop: Header=BB184_30 Depth=1
	v_add_co_u32 v2, s11, v96, v72
	v_add_co_ci_u32_e64 v3, null, v97, v73, s11
	global_load_dwordx2 v[12:13], v[2:3], off
.LBB184_36:                             ;   in Loop: Header=BB184_30 Depth=1
	s_or_b32 exec_lo, exec_lo, s26
	s_nor_b32 s26, s10, vcc_lo
	s_and_saveexec_b32 s11, s26
	s_cbranch_execz .LBB184_38
; %bb.37:                               ;   in Loop: Header=BB184_30 Depth=1
	v_add_co_u32 v2, vcc_lo, v96, v74
	v_add_co_ci_u32_e64 v3, null, v97, v75, vcc_lo
	global_load_dwordx2 v[10:11], v[2:3], off
.LBB184_38:                             ;   in Loop: Header=BB184_30 Depth=1
	s_or_b32 exec_lo, exec_lo, s11
	s_mov_b32 s11, 0
.LBB184_39:                             ;   Parent Loop BB184_30 Depth=1
                                        ; =>  This Loop Header: Depth=2
                                        ;       Child Loop BB184_40 Depth 3
	s_lshl_b32 s26, s11, 3
	s_mov_b32 s27, 0
	v_add_nc_u32_e32 v14, s26, v92
	v_add_nc_u32_e32 v98, s26, v93
	s_mov_b32 s26, -1
	ds_read2_b64 v[2:5], v14 offset1:16
	ds_read2_b64 v[18:21], v14 offset0:32 offset1:48
	ds_read2_b64 v[22:25], v14 offset0:64 offset1:80
	v_add_nc_u32_e32 v15, 0x800, v14
	ds_read2_b64 v[26:29], v14 offset0:96 offset1:112
	ds_read2_b64 v[30:33], v14 offset0:128 offset1:144
	;; [unrolled: 1-line block ×5, first 2 shown]
	ds_read2_b64 v[46:49], v15 offset1:16
	ds_read2_b64 v[50:53], v15 offset0:32 offset1:48
	ds_read2_b64 v[54:57], v15 offset0:64 offset1:80
	;; [unrolled: 1-line block ×7, first 2 shown]
	s_waitcnt lgkmcnt(11)
	v_max_f64 v[30:31], v[30:31], v[30:31]
	v_max_f64 v[32:33], v[32:33], v[32:33]
	s_waitcnt lgkmcnt(10)
	v_max_f64 v[34:35], v[34:35], v[34:35]
	v_max_f64 v[36:37], v[36:37], v[36:37]
	;; [unrolled: 3-line block ×3, first 2 shown]
	v_max_f64 v[14:15], v[2:3], v[2:3]
	v_max_f64 v[16:17], v[4:5], v[4:5]
	;; [unrolled: 1-line block ×8, first 2 shown]
	s_waitcnt lgkmcnt(8)
	v_max_f64 v[42:43], v[42:43], v[42:43]
	v_max_f64 v[44:45], v[44:45], v[44:45]
	s_waitcnt lgkmcnt(7)
	v_max_f64 v[46:47], v[46:47], v[46:47]
	v_max_f64 v[48:49], v[48:49], v[48:49]
	;; [unrolled: 3-line block ×9, first 2 shown]
	ds_read2st64_b64 v[2:5], v98 offset1:4
.LBB184_40:                             ;   Parent Loop BB184_30 Depth=1
                                        ;     Parent Loop BB184_39 Depth=2
                                        ; =>    This Inner Loop Header: Depth=3
	v_mov_b32_e32 v98, s27
	s_waitcnt lgkmcnt(0)
	v_max_f64 v[2:3], v[2:3], v[2:3]
	s_and_b32 vcc_lo, exec_lo, s26
	s_mov_b32 s26, 0
	s_mov_b32 s27, s20
	s_clause 0xf
	buffer_load_dword v101, v98, s[0:3], 0 offen
	buffer_load_dword v102, v98, s[0:3], 0 offen offset:4
	buffer_load_dword v103, v98, s[0:3], 0 offen offset:8
	;; [unrolled: 1-line block ×15, first 2 shown]
	v_min_f64 v[99:100], v[14:15], v[2:3]
	s_waitcnt vmcnt(14)
	v_add_f64 v[99:100], v[99:100], v[101:102]
	buffer_store_dword v99, v98, s[0:3], 0 offen
	buffer_store_dword v100, v98, s[0:3], 0 offen offset:4
	v_min_f64 v[99:100], v[16:17], v[2:3]
	s_waitcnt vmcnt(12)
	v_add_f64 v[99:100], v[99:100], v[103:104]
	buffer_store_dword v99, v98, s[0:3], 0 offen offset:8
	buffer_store_dword v100, v98, s[0:3], 0 offen offset:12
	v_min_f64 v[99:100], v[18:19], v[2:3]
	s_waitcnt vmcnt(10)
	v_add_f64 v[99:100], v[99:100], v[105:106]
	buffer_store_dword v99, v98, s[0:3], 0 offen offset:16
	buffer_store_dword v100, v98, s[0:3], 0 offen offset:20
	v_min_f64 v[99:100], v[20:21], v[2:3]
	s_waitcnt vmcnt(8)
	v_add_f64 v[99:100], v[99:100], v[107:108]
	buffer_store_dword v99, v98, s[0:3], 0 offen offset:24
	buffer_store_dword v100, v98, s[0:3], 0 offen offset:28
	v_min_f64 v[99:100], v[22:23], v[2:3]
	s_waitcnt vmcnt(6)
	v_add_f64 v[99:100], v[99:100], v[109:110]
	buffer_store_dword v99, v98, s[0:3], 0 offen offset:32
	buffer_store_dword v100, v98, s[0:3], 0 offen offset:36
	v_min_f64 v[99:100], v[24:25], v[2:3]
	s_waitcnt vmcnt(4)
	v_add_f64 v[99:100], v[99:100], v[111:112]
	buffer_store_dword v99, v98, s[0:3], 0 offen offset:40
	buffer_store_dword v100, v98, s[0:3], 0 offen offset:44
	v_min_f64 v[99:100], v[26:27], v[2:3]
	s_waitcnt vmcnt(2)
	v_add_f64 v[99:100], v[99:100], v[113:114]
	buffer_store_dword v99, v98, s[0:3], 0 offen offset:48
	buffer_store_dword v100, v98, s[0:3], 0 offen offset:52
	v_min_f64 v[99:100], v[28:29], v[2:3]
	s_waitcnt vmcnt(0)
	v_add_f64 v[99:100], v[99:100], v[115:116]
	buffer_store_dword v99, v98, s[0:3], 0 offen offset:56
	buffer_store_dword v100, v98, s[0:3], 0 offen offset:60
	s_clause 0x1
	buffer_load_dword v102, v98, s[0:3], 0 offen offset:68
	buffer_load_dword v101, v98, s[0:3], 0 offen offset:64
	v_min_f64 v[99:100], v[30:31], v[2:3]
	s_waitcnt vmcnt(0)
	v_add_f64 v[99:100], v[99:100], v[101:102]
	buffer_store_dword v100, v98, s[0:3], 0 offen offset:68
	buffer_store_dword v99, v98, s[0:3], 0 offen offset:64
	s_clause 0x1
	buffer_load_dword v101, v98, s[0:3], 0 offen offset:72
	buffer_load_dword v102, v98, s[0:3], 0 offen offset:76
	v_min_f64 v[99:100], v[32:33], v[2:3]
	s_waitcnt vmcnt(0)
	v_add_f64 v[99:100], v[99:100], v[101:102]
	buffer_store_dword v100, v98, s[0:3], 0 offen offset:76
	;; [unrolled: 8-line block ×22, first 2 shown]
	buffer_store_dword v99, v98, s[0:3], 0 offen offset:232
	s_clause 0x1
	buffer_load_dword v101, v98, s[0:3], 0 offen offset:240
	buffer_load_dword v102, v98, s[0:3], 0 offen offset:244
	v_min_f64 v[99:100], v[82:83], v[2:3]
	v_min_f64 v[2:3], v[84:85], v[2:3]
	s_waitcnt vmcnt(0)
	v_add_f64 v[99:100], v[99:100], v[101:102]
	buffer_store_dword v100, v98, s[0:3], 0 offen offset:244
	buffer_store_dword v99, v98, s[0:3], 0 offen offset:240
	s_clause 0x1
	buffer_load_dword v99, v98, s[0:3], 0 offen offset:248
	buffer_load_dword v100, v98, s[0:3], 0 offen offset:252
	s_waitcnt vmcnt(0)
	v_add_f64 v[2:3], v[2:3], v[99:100]
	buffer_store_dword v3, v98, s[0:3], 0 offen offset:252
	buffer_store_dword v2, v98, s[0:3], 0 offen offset:248
	v_mov_b32_e32 v2, v4
	v_mov_b32_e32 v3, v5
	s_cbranch_vccnz .LBB184_40
; %bb.41:                               ;   in Loop: Header=BB184_39 Depth=2
	s_add_i32 s11, s11, 1
	s_cmp_eq_u32 s11, 4
	s_cbranch_scc0 .LBB184_39
; %bb.42:                               ;   in Loop: Header=BB184_30 Depth=1
	v_add3_u32 v5, v86, s24, 4
	v_mov_b32_e32 v78, 0
	v_mov_b32_e32 v80, 0
	;; [unrolled: 1-line block ×4, first 2 shown]
	v_mad_u64_u32 v[2:3], null, v5, s21, 0
	v_cmp_le_i32_e32 vcc_lo, s42, v5
	ds_write2st64_b64 v89, v[8:9], v[6:7] offset1:4
	ds_write2st64_b64 v91, v[12:13], v[10:11] offset1:4
	s_waitcnt lgkmcnt(0)
	s_waitcnt_vscnt null, 0x0
	s_barrier
	buffer_gl0_inv
	v_mad_u64_u32 v[3:4], null, v5, s22, v[3:4]
	v_lshlrev_b64 v[2:3], 3, v[2:3]
	v_add_co_u32 v2, s11, s16, v2
	v_add_co_ci_u32_e64 v3, null, s17, v3, s11
	s_nor_b32 s11, s6, vcc_lo
	s_and_saveexec_b32 s26, s11
	s_cbranch_execz .LBB184_44
; %bb.43:                               ;   in Loop: Header=BB184_30 Depth=1
	v_add_co_u32 v4, s11, v2, v70
	v_add_co_ci_u32_e64 v5, null, v3, v71, s11
	global_load_dwordx2 v[80:81], v[4:5], off
.LBB184_44:                             ;   in Loop: Header=BB184_30 Depth=1
	s_or_b32 exec_lo, exec_lo, s26
	s_nor_b32 s26, s8, vcc_lo
	s_and_saveexec_b32 s11, s26
	s_cbranch_execz .LBB184_46
; %bb.45:                               ;   in Loop: Header=BB184_30 Depth=1
	v_add_co_u32 v2, vcc_lo, v2, v70
	v_add_co_ci_u32_e64 v3, null, v3, v71, vcc_lo
	global_load_dwordx2 v[78:79], v[2:3], off offset:512
.LBB184_46:                             ;   in Loop: Header=BB184_30 Depth=1
	s_or_b32 exec_lo, exec_lo, s11
	v_or_b32_e32 v2, 4, v76
	v_mov_b32_e32 v82, 0
	v_mov_b32_e32 v84, 0
	v_mov_b32_e32 v83, 0
	v_mov_b32_e32 v85, 0
	v_cmp_le_i32_e32 vcc_lo, s42, v2
	s_nor_b32 s11, s9, vcc_lo
	s_and_saveexec_b32 s26, s11
	s_cbranch_execz .LBB184_48
; %bb.47:                               ;   in Loop: Header=BB184_30 Depth=1
	v_add_co_u32 v2, s11, v96, v72
	v_add_co_ci_u32_e64 v3, null, v97, v73, s11
	global_load_dwordx2 v[84:85], v[2:3], off offset:32
.LBB184_48:                             ;   in Loop: Header=BB184_30 Depth=1
	s_or_b32 exec_lo, exec_lo, s26
	s_nor_b32 s26, s10, vcc_lo
	s_and_saveexec_b32 s11, s26
	s_cbranch_execz .LBB184_50
; %bb.49:                               ;   in Loop: Header=BB184_30 Depth=1
	v_add_co_u32 v2, vcc_lo, v96, v74
	v_add_co_ci_u32_e64 v3, null, v97, v75, vcc_lo
	global_load_dwordx2 v[82:83], v[2:3], off offset:32
.LBB184_50:                             ;   in Loop: Header=BB184_30 Depth=1
	s_or_b32 exec_lo, exec_lo, s11
	s_mov_b32 s11, 0
.LBB184_51:                             ;   Parent Loop BB184_30 Depth=1
                                        ; =>  This Loop Header: Depth=2
                                        ;       Child Loop BB184_52 Depth 3
	s_lshl_b32 s26, s11, 3
	s_mov_b32 s27, 0
	v_add_nc_u32_e32 v30, s26, v88
	v_add_nc_u32_e32 v66, s26, v90
	s_mov_b32 s26, -1
	ds_read2_b64 v[2:5], v30 offset1:16
	ds_read2_b64 v[6:9], v30 offset0:32 offset1:48
	ds_read2_b64 v[10:13], v30 offset0:64 offset1:80
	;; [unrolled: 1-line block ×3, first 2 shown]
	v_add_nc_u32_e32 v62, 0x800, v30
	ds_read2_b64 v[18:21], v30 offset0:128 offset1:144
	ds_read2_b64 v[22:25], v30 offset0:160 offset1:176
	;; [unrolled: 1-line block ×4, first 2 shown]
	ds_read2_b64 v[34:37], v62 offset1:16
	ds_read2_b64 v[38:41], v62 offset0:32 offset1:48
	ds_read2_b64 v[42:45], v62 offset0:64 offset1:80
	;; [unrolled: 1-line block ×7, first 2 shown]
	ds_read2st64_b64 v[66:69], v66 offset1:4
.LBB184_52:                             ;   Parent Loop BB184_30 Depth=1
                                        ;     Parent Loop BB184_51 Depth=2
                                        ; =>    This Inner Loop Header: Depth=3
	v_mov_b32_e32 v76, s27
	s_waitcnt lgkmcnt(16)
	v_max_f64 v[96:97], v[2:3], v[2:3]
	s_waitcnt lgkmcnt(0)
	v_max_f64 v[66:67], v[66:67], v[66:67]
	s_and_b32 vcc_lo, exec_lo, s26
	s_mov_b32 s26, 0
	s_clause 0xf
	buffer_load_dword v98, v76, s[0:3], 0 offen
	buffer_load_dword v99, v76, s[0:3], 0 offen offset:4
	buffer_load_dword v100, v76, s[0:3], 0 offen offset:8
	;; [unrolled: 1-line block ×15, first 2 shown]
	s_mov_b32 s27, s20
	v_min_f64 v[96:97], v[96:97], v[66:67]
	s_waitcnt vmcnt(14)
	v_add_f64 v[96:97], v[96:97], v[98:99]
	buffer_store_dword v96, v76, s[0:3], 0 offen
	buffer_store_dword v97, v76, s[0:3], 0 offen offset:4
	v_max_f64 v[96:97], v[4:5], v[4:5]
	v_min_f64 v[96:97], v[96:97], v[66:67]
	s_waitcnt vmcnt(12)
	v_add_f64 v[96:97], v[96:97], v[100:101]
	buffer_store_dword v96, v76, s[0:3], 0 offen offset:8
	buffer_store_dword v97, v76, s[0:3], 0 offen offset:12
	v_max_f64 v[96:97], v[6:7], v[6:7]
	v_min_f64 v[96:97], v[96:97], v[66:67]
	s_waitcnt vmcnt(10)
	v_add_f64 v[96:97], v[96:97], v[102:103]
	buffer_store_dword v96, v76, s[0:3], 0 offen offset:16
	;; [unrolled: 6-line block ×7, first 2 shown]
	buffer_store_dword v97, v76, s[0:3], 0 offen offset:60
	s_clause 0x1
	buffer_load_dword v99, v76, s[0:3], 0 offen offset:68
	buffer_load_dword v98, v76, s[0:3], 0 offen offset:64
	v_max_f64 v[96:97], v[18:19], v[18:19]
	v_min_f64 v[96:97], v[96:97], v[66:67]
	s_waitcnt vmcnt(0)
	v_add_f64 v[96:97], v[96:97], v[98:99]
	buffer_store_dword v97, v76, s[0:3], 0 offen offset:68
	buffer_store_dword v96, v76, s[0:3], 0 offen offset:64
	s_clause 0x1
	buffer_load_dword v98, v76, s[0:3], 0 offen offset:72
	buffer_load_dword v99, v76, s[0:3], 0 offen offset:76
	v_max_f64 v[96:97], v[20:21], v[20:21]
	v_min_f64 v[96:97], v[96:97], v[66:67]
	s_waitcnt vmcnt(0)
	v_add_f64 v[96:97], v[96:97], v[98:99]
	buffer_store_dword v97, v76, s[0:3], 0 offen offset:76
	;; [unrolled: 9-line block ×23, first 2 shown]
	buffer_store_dword v96, v76, s[0:3], 0 offen offset:240
	v_max_f64 v[96:97], v[64:65], v[64:65]
	v_min_f64 v[66:67], v[96:97], v[66:67]
	s_clause 0x1
	buffer_load_dword v96, v76, s[0:3], 0 offen offset:248
	buffer_load_dword v97, v76, s[0:3], 0 offen offset:252
	s_waitcnt vmcnt(0)
	v_add_f64 v[66:67], v[66:67], v[96:97]
	buffer_store_dword v67, v76, s[0:3], 0 offen offset:252
	buffer_store_dword v66, v76, s[0:3], 0 offen offset:248
	v_mov_b32_e32 v66, v68
	v_mov_b32_e32 v67, v69
	s_cbranch_vccnz .LBB184_52
; %bb.53:                               ;   in Loop: Header=BB184_51 Depth=2
	s_add_i32 s11, s11, 1
	s_cmp_eq_u32 s11, 4
	s_cbranch_scc0 .LBB184_51
; %bb.54:                               ;   in Loop: Header=BB184_30 Depth=1
	s_add_i32 s25, s25, 8
	s_add_i32 s24, s24, 8
	s_cmp_ge_i32 s25, s23
	ds_write2st64_b64 v94, v[80:81], v[78:79] offset1:4
	ds_write2st64_b64 v95, v[84:85], v[82:83] offset1:4
	s_waitcnt lgkmcnt(0)
	s_waitcnt_vscnt null, 0x0
	s_barrier
	buffer_gl0_inv
	s_cbranch_scc0 .LBB184_30
.LBB184_55:
	s_mov_b32 s6, 0
.LBB184_56:                             ; =>This Loop Header: Depth=1
                                        ;     Child Loop BB184_57 Depth 2
	s_lshl_b32 s8, s6, 3
	s_mov_b32 s9, 0
	v_add_nc_u32_e32 v6, s8, v92
	v_add_nc_u32_e32 v70, s8, v93
	s_mov_b32 s8, -1
	ds_read2_b64 v[2:5], v6 offset1:16
	ds_read2_b64 v[10:13], v6 offset0:32 offset1:48
	ds_read2_b64 v[14:17], v6 offset0:64 offset1:80
	v_add_nc_u32_e32 v7, 0x800, v6
	ds_read2_b64 v[18:21], v6 offset0:96 offset1:112
	ds_read2_b64 v[22:25], v6 offset0:128 offset1:144
	;; [unrolled: 1-line block ×5, first 2 shown]
	ds_read2_b64 v[38:41], v7 offset1:16
	ds_read2_b64 v[42:45], v7 offset0:32 offset1:48
	ds_read2_b64 v[46:49], v7 offset0:64 offset1:80
	;; [unrolled: 1-line block ×7, first 2 shown]
	s_waitcnt lgkmcnt(11)
	v_max_f64 v[22:23], v[22:23], v[22:23]
	v_max_f64 v[24:25], v[24:25], v[24:25]
	s_waitcnt lgkmcnt(10)
	v_max_f64 v[26:27], v[26:27], v[26:27]
	v_max_f64 v[28:29], v[28:29], v[28:29]
	;; [unrolled: 3-line block ×3, first 2 shown]
	v_max_f64 v[6:7], v[2:3], v[2:3]
	v_max_f64 v[8:9], v[4:5], v[4:5]
	;; [unrolled: 1-line block ×8, first 2 shown]
	s_waitcnt lgkmcnt(8)
	v_max_f64 v[34:35], v[34:35], v[34:35]
	v_max_f64 v[36:37], v[36:37], v[36:37]
	s_waitcnt lgkmcnt(7)
	v_max_f64 v[38:39], v[38:39], v[38:39]
	v_max_f64 v[40:41], v[40:41], v[40:41]
	;; [unrolled: 3-line block ×9, first 2 shown]
	ds_read2st64_b64 v[2:5], v70 offset1:4
.LBB184_57:                             ;   Parent Loop BB184_56 Depth=1
                                        ; =>  This Inner Loop Header: Depth=2
	v_mov_b32_e32 v70, s9
	s_waitcnt lgkmcnt(0)
	v_max_f64 v[2:3], v[2:3], v[2:3]
	s_and_b32 vcc_lo, exec_lo, s8
	s_mov_b32 s8, 0
	s_mov_b32 s9, s20
	s_clause 0xf
	buffer_load_dword v73, v70, s[0:3], 0 offen
	buffer_load_dword v74, v70, s[0:3], 0 offen offset:4
	buffer_load_dword v75, v70, s[0:3], 0 offen offset:8
	;; [unrolled: 1-line block ×15, first 2 shown]
	v_min_f64 v[71:72], v[6:7], v[2:3]
	s_waitcnt vmcnt(14)
	v_add_f64 v[71:72], v[71:72], v[73:74]
	buffer_store_dword v71, v70, s[0:3], 0 offen
	buffer_store_dword v72, v70, s[0:3], 0 offen offset:4
	v_min_f64 v[71:72], v[8:9], v[2:3]
	s_waitcnt vmcnt(12)
	v_add_f64 v[71:72], v[71:72], v[75:76]
	buffer_store_dword v71, v70, s[0:3], 0 offen offset:8
	buffer_store_dword v72, v70, s[0:3], 0 offen offset:12
	v_min_f64 v[71:72], v[10:11], v[2:3]
	s_waitcnt vmcnt(10)
	v_add_f64 v[71:72], v[71:72], v[77:78]
	buffer_store_dword v71, v70, s[0:3], 0 offen offset:16
	;; [unrolled: 5-line block ×7, first 2 shown]
	buffer_store_dword v72, v70, s[0:3], 0 offen offset:60
	s_clause 0x1
	buffer_load_dword v74, v70, s[0:3], 0 offen offset:68
	buffer_load_dword v73, v70, s[0:3], 0 offen offset:64
	v_min_f64 v[71:72], v[22:23], v[2:3]
	s_waitcnt vmcnt(0)
	v_add_f64 v[71:72], v[71:72], v[73:74]
	buffer_store_dword v72, v70, s[0:3], 0 offen offset:68
	buffer_store_dword v71, v70, s[0:3], 0 offen offset:64
	s_clause 0x1
	buffer_load_dword v73, v70, s[0:3], 0 offen offset:72
	buffer_load_dword v74, v70, s[0:3], 0 offen offset:76
	v_min_f64 v[71:72], v[24:25], v[2:3]
	s_waitcnt vmcnt(0)
	v_add_f64 v[71:72], v[71:72], v[73:74]
	buffer_store_dword v72, v70, s[0:3], 0 offen offset:76
	;; [unrolled: 8-line block ×22, first 2 shown]
	buffer_store_dword v71, v70, s[0:3], 0 offen offset:232
	s_clause 0x1
	buffer_load_dword v73, v70, s[0:3], 0 offen offset:240
	buffer_load_dword v74, v70, s[0:3], 0 offen offset:244
	v_min_f64 v[71:72], v[66:67], v[2:3]
	v_min_f64 v[2:3], v[68:69], v[2:3]
	s_waitcnt vmcnt(0)
	v_add_f64 v[71:72], v[71:72], v[73:74]
	buffer_store_dword v72, v70, s[0:3], 0 offen offset:244
	buffer_store_dword v71, v70, s[0:3], 0 offen offset:240
	s_clause 0x1
	buffer_load_dword v71, v70, s[0:3], 0 offen offset:248
	buffer_load_dword v72, v70, s[0:3], 0 offen offset:252
	s_waitcnt vmcnt(0)
	v_add_f64 v[2:3], v[2:3], v[71:72]
	buffer_store_dword v3, v70, s[0:3], 0 offen offset:252
	buffer_store_dword v2, v70, s[0:3], 0 offen offset:248
	v_mov_b32_e32 v2, v4
	v_mov_b32_e32 v3, v5
	s_cbranch_vccnz .LBB184_57
; %bb.58:                               ;   in Loop: Header=BB184_56 Depth=1
	s_add_i32 s6, s6, 1
	s_cmp_eq_u32 s6, 4
	s_cbranch_scc0 .LBB184_56
; %bb.59:
	s_clause 0x2
	s_load_dwordx2 s[8:9], s[4:5], 0x78
	s_load_dword s43, s[4:5], 0x58
	s_load_dword s42, s[4:5], 0x70
	v_add_nc_u32_e32 v71, s13, v1
	v_add_nc_u32_e32 v0, s12, v0
	v_cndmask_b32_e64 v70, 0, 1, s46
	v_cmp_gt_i32_e64 s13, s41, v71
	s_waitcnt lgkmcnt(0)
	s_mul_i32 s4, s9, s7
	v_mad_i64_i32 v[1:2], null, v71, s43, 0
	v_mad_i64_i32 v[3:4], null, v71, s42, 0
	s_mul_hi_u32 s5, s8, s7
	s_mul_i32 s6, s8, s7
	s_add_i32 s7, s5, s4
	v_cmp_gt_i32_e64 s4, s40, v0
	v_lshlrev_b64 v[5:6], 3, v[1:2]
	s_lshl_b64 s[6:7], s[6:7], 3
	v_lshlrev_b64 v[2:3], 3, v[3:4]
	s_add_u32 s47, s14, s6
	s_addc_u32 s48, s15, s7
	v_ashrrev_i32_e32 v1, 31, v0
	v_add_co_u32 v68, vcc_lo, s44, v5
	v_add_co_ci_u32_e64 v69, null, s45, v6, vcc_lo
	v_add_co_u32 v72, vcc_lo, s47, v2
	v_add_co_ci_u32_e64 v73, null, s48, v3, vcc_lo
	s_and_b32 s6, s13, s4
	s_and_saveexec_b32 s5, s6
	s_cbranch_execz .LBB184_64
; %bb.60:
	s_clause 0x1
	buffer_load_dword v2, off, s[0:3], 0
	buffer_load_dword v3, off, s[0:3], 0 offset:4
	v_lshlrev_b64 v[4:5], 3, v[0:1]
	s_andn2_b32 vcc_lo, exec_lo, s46
	s_cbranch_vccnz .LBB184_62
; %bb.61:
	v_add_co_u32 v6, vcc_lo, v68, v4
	v_add_co_ci_u32_e64 v7, null, v69, v5, vcc_lo
	global_load_dwordx2 v[6:7], v[6:7], off
	s_waitcnt vmcnt(0)
	v_mul_f64 v[6:7], s[38:39], v[6:7]
	s_branch .LBB184_63
.LBB184_62:
	v_mov_b32_e32 v6, 0
	v_mov_b32_e32 v7, 0
.LBB184_63:
	s_waitcnt vmcnt(0)
	v_add_f64 v[2:3], v[2:3], v[6:7]
	v_add_co_u32 v4, vcc_lo, v72, v4
	v_add_co_ci_u32_e64 v5, null, v73, v5, vcc_lo
	global_store_dwordx2 v[4:5], v[2:3], off
.LBB184_64:
	s_or_b32 exec_lo, exec_lo, s5
	v_add_nc_u32_e32 v2, 4, v0
	v_cmp_gt_i32_e64 s5, s40, v2
	v_ashrrev_i32_e32 v3, 31, v2
	s_and_b32 s7, s13, s5
	s_and_saveexec_b32 s6, s7
	s_cbranch_execz .LBB184_69
; %bb.65:
	s_clause 0x1
	buffer_load_dword v4, off, s[0:3], 0 offset:8
	buffer_load_dword v5, off, s[0:3], 0 offset:12
	v_lshlrev_b64 v[6:7], 3, v[2:3]
	s_andn2_b32 vcc_lo, exec_lo, s46
	s_cbranch_vccnz .LBB184_67
; %bb.66:
	v_add_co_u32 v8, vcc_lo, v68, v6
	v_add_co_ci_u32_e64 v9, null, v69, v7, vcc_lo
	global_load_dwordx2 v[8:9], v[8:9], off
	s_waitcnt vmcnt(0)
	v_mul_f64 v[8:9], s[38:39], v[8:9]
	s_branch .LBB184_68
.LBB184_67:
	v_mov_b32_e32 v8, 0
	v_mov_b32_e32 v9, 0
.LBB184_68:
	s_waitcnt vmcnt(0)
	v_add_f64 v[4:5], v[4:5], v[8:9]
	v_add_co_u32 v6, vcc_lo, v72, v6
	v_add_co_ci_u32_e64 v7, null, v73, v7, vcc_lo
	global_store_dwordx2 v[6:7], v[4:5], off
.LBB184_69:
	s_or_b32 exec_lo, exec_lo, s6
	v_add_nc_u32_e32 v4, 8, v0
	v_cmp_gt_i32_e64 s6, s40, v4
	v_ashrrev_i32_e32 v5, 31, v4
	s_and_b32 s8, s13, s6
	s_and_saveexec_b32 s7, s8
	s_cbranch_execz .LBB184_74
; %bb.70:
	s_clause 0x1
	buffer_load_dword v6, off, s[0:3], 0 offset:16
	buffer_load_dword v7, off, s[0:3], 0 offset:20
	v_lshlrev_b64 v[8:9], 3, v[4:5]
	s_andn2_b32 vcc_lo, exec_lo, s46
	s_cbranch_vccnz .LBB184_72
; %bb.71:
	v_add_co_u32 v10, vcc_lo, v68, v8
	v_add_co_ci_u32_e64 v11, null, v69, v9, vcc_lo
	global_load_dwordx2 v[10:11], v[10:11], off
	s_waitcnt vmcnt(0)
	v_mul_f64 v[10:11], s[38:39], v[10:11]
	s_branch .LBB184_73
.LBB184_72:
	v_mov_b32_e32 v10, 0
	v_mov_b32_e32 v11, 0
.LBB184_73:
	s_waitcnt vmcnt(0)
	v_add_f64 v[6:7], v[6:7], v[10:11]
	v_add_co_u32 v8, vcc_lo, v72, v8
	v_add_co_ci_u32_e64 v9, null, v73, v9, vcc_lo
	global_store_dwordx2 v[8:9], v[6:7], off
.LBB184_74:
	;; [unrolled: 31-line block ×31, first 2 shown]
	s_or_b32 exec_lo, exec_lo, s13
	v_add_nc_u32_e32 v68, 64, v71
	v_mad_i64_i32 v[64:65], null, v68, s43, 0
	v_mad_i64_i32 v[66:67], null, v68, s42, 0
	v_cmp_gt_i32_e64 s13, s41, v68
	v_lshlrev_b64 v[64:65], 3, v[64:65]
	s_and_b32 s4, s13, s4
	v_lshlrev_b64 v[66:67], 3, v[66:67]
	v_add_co_u32 v71, vcc_lo, s44, v64
	v_add_co_ci_u32_e64 v72, null, s45, v65, vcc_lo
	v_add_co_u32 v68, vcc_lo, s47, v66
	v_add_co_ci_u32_e64 v69, null, s48, v67, vcc_lo
	s_and_saveexec_b32 s40, s4
	s_xor_b32 s4, exec_lo, s40
	s_cbranch_execnz .LBB184_252
; %bb.220:
	s_or_b32 exec_lo, exec_lo, s4
	s_and_b32 s5, s13, s5
	s_and_saveexec_b32 s4, s5
	s_cbranch_execnz .LBB184_256
.LBB184_221:
	s_or_b32 exec_lo, exec_lo, s4
	s_and_b32 s5, s13, s6
	s_and_saveexec_b32 s4, s5
	s_cbranch_execnz .LBB184_260
.LBB184_222:
	s_or_b32 exec_lo, exec_lo, s4
	s_and_b32 s5, s13, s7
	s_and_saveexec_b32 s4, s5
	s_cbranch_execnz .LBB184_264
.LBB184_223:
	s_or_b32 exec_lo, exec_lo, s4
	s_and_b32 s5, s13, s8
	s_and_saveexec_b32 s4, s5
	s_cbranch_execnz .LBB184_268
.LBB184_224:
	s_or_b32 exec_lo, exec_lo, s4
	s_and_b32 s5, s13, s9
	s_and_saveexec_b32 s4, s5
	s_cbranch_execnz .LBB184_272
.LBB184_225:
	s_or_b32 exec_lo, exec_lo, s4
	s_and_b32 s5, s13, s10
	s_and_saveexec_b32 s4, s5
	s_cbranch_execnz .LBB184_276
.LBB184_226:
	s_or_b32 exec_lo, exec_lo, s4
	s_and_b32 s5, s13, s11
	s_and_saveexec_b32 s4, s5
	s_cbranch_execnz .LBB184_280
.LBB184_227:
	s_or_b32 exec_lo, exec_lo, s4
	s_and_b32 s5, s13, s12
	s_and_saveexec_b32 s4, s5
	s_cbranch_execnz .LBB184_284
.LBB184_228:
	s_or_b32 exec_lo, exec_lo, s4
	s_and_b32 s5, s13, s14
	s_and_saveexec_b32 s4, s5
	s_cbranch_execnz .LBB184_288
.LBB184_229:
	s_or_b32 exec_lo, exec_lo, s4
	s_and_b32 s5, s13, s15
	s_and_saveexec_b32 s4, s5
	s_cbranch_execnz .LBB184_292
.LBB184_230:
	s_or_b32 exec_lo, exec_lo, s4
	s_and_b32 s5, s13, s16
	s_and_saveexec_b32 s4, s5
	s_cbranch_execnz .LBB184_296
.LBB184_231:
	s_or_b32 exec_lo, exec_lo, s4
	s_and_b32 s5, s13, s17
	s_and_saveexec_b32 s4, s5
	s_cbranch_execnz .LBB184_300
.LBB184_232:
	s_or_b32 exec_lo, exec_lo, s4
	s_and_b32 s5, s13, s18
	s_and_saveexec_b32 s4, s5
	s_cbranch_execnz .LBB184_304
.LBB184_233:
	s_or_b32 exec_lo, exec_lo, s4
	s_and_b32 s5, s13, s19
	s_and_saveexec_b32 s4, s5
	s_cbranch_execnz .LBB184_308
.LBB184_234:
	s_or_b32 exec_lo, exec_lo, s4
	s_and_b32 s5, s13, s20
	s_and_saveexec_b32 s4, s5
	s_cbranch_execnz .LBB184_312
.LBB184_235:
	s_or_b32 exec_lo, exec_lo, s4
	s_and_b32 s5, s13, s21
	s_and_saveexec_b32 s4, s5
	s_cbranch_execnz .LBB184_316
.LBB184_236:
	s_or_b32 exec_lo, exec_lo, s4
	s_and_b32 s5, s13, s22
	s_and_saveexec_b32 s4, s5
	s_cbranch_execnz .LBB184_320
.LBB184_237:
	s_or_b32 exec_lo, exec_lo, s4
	s_and_b32 s5, s13, s23
	s_and_saveexec_b32 s4, s5
	s_cbranch_execnz .LBB184_324
.LBB184_238:
	s_or_b32 exec_lo, exec_lo, s4
	s_and_b32 s5, s13, s24
	s_and_saveexec_b32 s4, s5
	s_cbranch_execnz .LBB184_328
.LBB184_239:
	s_or_b32 exec_lo, exec_lo, s4
	s_and_b32 s5, s13, s25
	s_and_saveexec_b32 s4, s5
	s_cbranch_execnz .LBB184_332
.LBB184_240:
	s_or_b32 exec_lo, exec_lo, s4
	s_and_b32 s5, s13, s26
	s_and_saveexec_b32 s4, s5
	s_cbranch_execnz .LBB184_336
.LBB184_241:
	s_or_b32 exec_lo, exec_lo, s4
	s_and_b32 s5, s13, s27
	s_and_saveexec_b32 s4, s5
	s_cbranch_execnz .LBB184_340
.LBB184_242:
	s_or_b32 exec_lo, exec_lo, s4
	s_and_b32 s5, s13, s28
	s_and_saveexec_b32 s4, s5
	s_cbranch_execnz .LBB184_344
.LBB184_243:
	s_or_b32 exec_lo, exec_lo, s4
	s_and_b32 s5, s13, s29
	s_and_saveexec_b32 s4, s5
	s_cbranch_execnz .LBB184_348
.LBB184_244:
	s_or_b32 exec_lo, exec_lo, s4
	s_and_b32 s5, s13, s30
	s_and_saveexec_b32 s4, s5
	s_cbranch_execnz .LBB184_352
.LBB184_245:
	s_or_b32 exec_lo, exec_lo, s4
	s_and_b32 s5, s13, s31
	s_and_saveexec_b32 s4, s5
	s_cbranch_execnz .LBB184_356
.LBB184_246:
	s_or_b32 exec_lo, exec_lo, s4
	s_and_b32 s5, s13, s33
	s_and_saveexec_b32 s4, s5
	s_cbranch_execnz .LBB184_360
.LBB184_247:
	s_or_b32 exec_lo, exec_lo, s4
	s_and_b32 s5, s13, s34
	s_and_saveexec_b32 s4, s5
	s_cbranch_execnz .LBB184_364
.LBB184_248:
	s_or_b32 exec_lo, exec_lo, s4
	s_and_b32 s5, s13, s35
	s_and_saveexec_b32 s4, s5
	s_cbranch_execnz .LBB184_368
.LBB184_249:
	s_or_b32 exec_lo, exec_lo, s4
	s_and_b32 s5, s13, s36
	s_and_saveexec_b32 s4, s5
	s_cbranch_execnz .LBB184_372
.LBB184_250:
	s_or_b32 exec_lo, exec_lo, s4
	s_and_b32 s4, s13, s37
	s_and_saveexec_b32 s5, s4
	s_cbranch_execnz .LBB184_376
.LBB184_251:
	s_endpgm
.LBB184_252:
	s_clause 0x1
	buffer_load_dword v64, off, s[0:3], 0 offset:256
	buffer_load_dword v65, off, s[0:3], 0 offset:260
	v_lshlrev_b64 v[0:1], 3, v[0:1]
	s_andn2_b32 vcc_lo, exec_lo, s46
	s_cbranch_vccnz .LBB184_254
; %bb.253:
	v_add_co_u32 v66, vcc_lo, v71, v0
	v_add_co_ci_u32_e64 v67, null, v72, v1, vcc_lo
	global_load_dwordx2 v[66:67], v[66:67], off
	s_waitcnt vmcnt(0)
	v_mul_f64 v[66:67], s[38:39], v[66:67]
	s_branch .LBB184_255
.LBB184_254:
	v_mov_b32_e32 v66, 0
	v_mov_b32_e32 v67, 0
.LBB184_255:
	s_waitcnt vmcnt(0)
	v_add_f64 v[64:65], v[64:65], v[66:67]
	v_add_co_u32 v0, vcc_lo, v68, v0
	v_add_co_ci_u32_e64 v1, null, v69, v1, vcc_lo
	global_store_dwordx2 v[0:1], v[64:65], off
	s_or_b32 exec_lo, exec_lo, s4
	s_and_b32 s5, s13, s5
	s_and_saveexec_b32 s4, s5
	s_cbranch_execz .LBB184_221
.LBB184_256:
	s_clause 0x1
	buffer_load_dword v0, off, s[0:3], 0 offset:264
	buffer_load_dword v1, off, s[0:3], 0 offset:268
	v_cmp_ne_u32_e32 vcc_lo, 1, v70
	v_lshlrev_b64 v[2:3], 3, v[2:3]
	s_cbranch_vccnz .LBB184_258
; %bb.257:
	v_add_co_u32 v64, vcc_lo, v71, v2
	v_add_co_ci_u32_e64 v65, null, v72, v3, vcc_lo
	global_load_dwordx2 v[64:65], v[64:65], off
	s_waitcnt vmcnt(0)
	v_mul_f64 v[64:65], s[38:39], v[64:65]
	s_branch .LBB184_259
.LBB184_258:
	v_mov_b32_e32 v64, 0
	v_mov_b32_e32 v65, 0
.LBB184_259:
	s_waitcnt vmcnt(0)
	v_add_f64 v[0:1], v[0:1], v[64:65]
	v_add_co_u32 v2, vcc_lo, v68, v2
	v_add_co_ci_u32_e64 v3, null, v69, v3, vcc_lo
	global_store_dwordx2 v[2:3], v[0:1], off
	s_or_b32 exec_lo, exec_lo, s4
	s_and_b32 s5, s13, s6
	s_and_saveexec_b32 s4, s5
	s_cbranch_execz .LBB184_222
.LBB184_260:
	s_clause 0x1
	buffer_load_dword v0, off, s[0:3], 0 offset:272
	buffer_load_dword v1, off, s[0:3], 0 offset:276
	v_cmp_ne_u32_e32 vcc_lo, 1, v70
	v_lshlrev_b64 v[2:3], 3, v[4:5]
	s_cbranch_vccnz .LBB184_262
; %bb.261:
	v_add_co_u32 v4, vcc_lo, v71, v2
	v_add_co_ci_u32_e64 v5, null, v72, v3, vcc_lo
	global_load_dwordx2 v[4:5], v[4:5], off
	s_waitcnt vmcnt(0)
	v_mul_f64 v[4:5], s[38:39], v[4:5]
	s_branch .LBB184_263
.LBB184_262:
	v_mov_b32_e32 v4, 0
	v_mov_b32_e32 v5, 0
.LBB184_263:
	s_waitcnt vmcnt(0)
	v_add_f64 v[0:1], v[0:1], v[4:5]
	v_add_co_u32 v2, vcc_lo, v68, v2
	v_add_co_ci_u32_e64 v3, null, v69, v3, vcc_lo
	global_store_dwordx2 v[2:3], v[0:1], off
	s_or_b32 exec_lo, exec_lo, s4
	s_and_b32 s5, s13, s7
	s_and_saveexec_b32 s4, s5
	s_cbranch_execz .LBB184_223
.LBB184_264:
	s_clause 0x1
	buffer_load_dword v0, off, s[0:3], 0 offset:280
	buffer_load_dword v1, off, s[0:3], 0 offset:284
	v_cmp_ne_u32_e32 vcc_lo, 1, v70
	v_lshlrev_b64 v[2:3], 3, v[6:7]
	s_cbranch_vccnz .LBB184_266
; %bb.265:
	v_add_co_u32 v4, vcc_lo, v71, v2
	v_add_co_ci_u32_e64 v5, null, v72, v3, vcc_lo
	global_load_dwordx2 v[4:5], v[4:5], off
	s_waitcnt vmcnt(0)
	v_mul_f64 v[4:5], s[38:39], v[4:5]
	s_branch .LBB184_267
.LBB184_266:
	v_mov_b32_e32 v4, 0
	v_mov_b32_e32 v5, 0
.LBB184_267:
	s_waitcnt vmcnt(0)
	v_add_f64 v[0:1], v[0:1], v[4:5]
	v_add_co_u32 v2, vcc_lo, v68, v2
	v_add_co_ci_u32_e64 v3, null, v69, v3, vcc_lo
	global_store_dwordx2 v[2:3], v[0:1], off
	s_or_b32 exec_lo, exec_lo, s4
	s_and_b32 s5, s13, s8
	s_and_saveexec_b32 s4, s5
	s_cbranch_execz .LBB184_224
.LBB184_268:
	s_clause 0x1
	buffer_load_dword v0, off, s[0:3], 0 offset:288
	buffer_load_dword v1, off, s[0:3], 0 offset:292
	v_cmp_ne_u32_e32 vcc_lo, 1, v70
	v_lshlrev_b64 v[2:3], 3, v[8:9]
	s_cbranch_vccnz .LBB184_270
; %bb.269:
	v_add_co_u32 v4, vcc_lo, v71, v2
	v_add_co_ci_u32_e64 v5, null, v72, v3, vcc_lo
	global_load_dwordx2 v[4:5], v[4:5], off
	s_waitcnt vmcnt(0)
	v_mul_f64 v[4:5], s[38:39], v[4:5]
	s_branch .LBB184_271
.LBB184_270:
	v_mov_b32_e32 v4, 0
	v_mov_b32_e32 v5, 0
.LBB184_271:
	s_waitcnt vmcnt(0)
	v_add_f64 v[0:1], v[0:1], v[4:5]
	v_add_co_u32 v2, vcc_lo, v68, v2
	v_add_co_ci_u32_e64 v3, null, v69, v3, vcc_lo
	global_store_dwordx2 v[2:3], v[0:1], off
	s_or_b32 exec_lo, exec_lo, s4
	s_and_b32 s5, s13, s9
	s_and_saveexec_b32 s4, s5
	s_cbranch_execz .LBB184_225
.LBB184_272:
	s_clause 0x1
	buffer_load_dword v0, off, s[0:3], 0 offset:296
	buffer_load_dword v1, off, s[0:3], 0 offset:300
	v_cmp_ne_u32_e32 vcc_lo, 1, v70
	v_lshlrev_b64 v[2:3], 3, v[10:11]
	s_cbranch_vccnz .LBB184_274
; %bb.273:
	v_add_co_u32 v4, vcc_lo, v71, v2
	v_add_co_ci_u32_e64 v5, null, v72, v3, vcc_lo
	global_load_dwordx2 v[4:5], v[4:5], off
	s_waitcnt vmcnt(0)
	v_mul_f64 v[4:5], s[38:39], v[4:5]
	s_branch .LBB184_275
.LBB184_274:
	v_mov_b32_e32 v4, 0
	v_mov_b32_e32 v5, 0
.LBB184_275:
	s_waitcnt vmcnt(0)
	v_add_f64 v[0:1], v[0:1], v[4:5]
	v_add_co_u32 v2, vcc_lo, v68, v2
	v_add_co_ci_u32_e64 v3, null, v69, v3, vcc_lo
	global_store_dwordx2 v[2:3], v[0:1], off
	s_or_b32 exec_lo, exec_lo, s4
	s_and_b32 s5, s13, s10
	s_and_saveexec_b32 s4, s5
	s_cbranch_execz .LBB184_226
.LBB184_276:
	s_clause 0x1
	buffer_load_dword v0, off, s[0:3], 0 offset:304
	buffer_load_dword v1, off, s[0:3], 0 offset:308
	v_cmp_ne_u32_e32 vcc_lo, 1, v70
	v_lshlrev_b64 v[2:3], 3, v[12:13]
	s_cbranch_vccnz .LBB184_278
; %bb.277:
	v_add_co_u32 v4, vcc_lo, v71, v2
	v_add_co_ci_u32_e64 v5, null, v72, v3, vcc_lo
	global_load_dwordx2 v[4:5], v[4:5], off
	s_waitcnt vmcnt(0)
	v_mul_f64 v[4:5], s[38:39], v[4:5]
	s_branch .LBB184_279
.LBB184_278:
	v_mov_b32_e32 v4, 0
	v_mov_b32_e32 v5, 0
.LBB184_279:
	s_waitcnt vmcnt(0)
	v_add_f64 v[0:1], v[0:1], v[4:5]
	v_add_co_u32 v2, vcc_lo, v68, v2
	v_add_co_ci_u32_e64 v3, null, v69, v3, vcc_lo
	global_store_dwordx2 v[2:3], v[0:1], off
	s_or_b32 exec_lo, exec_lo, s4
	s_and_b32 s5, s13, s11
	s_and_saveexec_b32 s4, s5
	s_cbranch_execz .LBB184_227
.LBB184_280:
	s_clause 0x1
	buffer_load_dword v0, off, s[0:3], 0 offset:312
	buffer_load_dword v1, off, s[0:3], 0 offset:316
	v_cmp_ne_u32_e32 vcc_lo, 1, v70
	v_lshlrev_b64 v[2:3], 3, v[14:15]
	s_cbranch_vccnz .LBB184_282
; %bb.281:
	v_add_co_u32 v4, vcc_lo, v71, v2
	v_add_co_ci_u32_e64 v5, null, v72, v3, vcc_lo
	global_load_dwordx2 v[4:5], v[4:5], off
	s_waitcnt vmcnt(0)
	v_mul_f64 v[4:5], s[38:39], v[4:5]
	s_branch .LBB184_283
.LBB184_282:
	v_mov_b32_e32 v4, 0
	v_mov_b32_e32 v5, 0
.LBB184_283:
	s_waitcnt vmcnt(0)
	v_add_f64 v[0:1], v[0:1], v[4:5]
	v_add_co_u32 v2, vcc_lo, v68, v2
	v_add_co_ci_u32_e64 v3, null, v69, v3, vcc_lo
	global_store_dwordx2 v[2:3], v[0:1], off
	s_or_b32 exec_lo, exec_lo, s4
	s_and_b32 s5, s13, s12
	s_and_saveexec_b32 s4, s5
	s_cbranch_execz .LBB184_228
.LBB184_284:
	s_clause 0x1
	buffer_load_dword v0, off, s[0:3], 0 offset:320
	buffer_load_dword v1, off, s[0:3], 0 offset:324
	v_cmp_ne_u32_e32 vcc_lo, 1, v70
	v_lshlrev_b64 v[2:3], 3, v[16:17]
	s_cbranch_vccnz .LBB184_286
; %bb.285:
	v_add_co_u32 v4, vcc_lo, v71, v2
	v_add_co_ci_u32_e64 v5, null, v72, v3, vcc_lo
	global_load_dwordx2 v[4:5], v[4:5], off
	s_waitcnt vmcnt(0)
	v_mul_f64 v[4:5], s[38:39], v[4:5]
	s_branch .LBB184_287
.LBB184_286:
	v_mov_b32_e32 v4, 0
	v_mov_b32_e32 v5, 0
.LBB184_287:
	s_waitcnt vmcnt(0)
	v_add_f64 v[0:1], v[0:1], v[4:5]
	v_add_co_u32 v2, vcc_lo, v68, v2
	v_add_co_ci_u32_e64 v3, null, v69, v3, vcc_lo
	global_store_dwordx2 v[2:3], v[0:1], off
	s_or_b32 exec_lo, exec_lo, s4
	s_and_b32 s5, s13, s14
	s_and_saveexec_b32 s4, s5
	s_cbranch_execz .LBB184_229
.LBB184_288:
	s_clause 0x1
	buffer_load_dword v0, off, s[0:3], 0 offset:328
	buffer_load_dword v1, off, s[0:3], 0 offset:332
	v_cmp_ne_u32_e32 vcc_lo, 1, v70
	v_lshlrev_b64 v[2:3], 3, v[18:19]
	s_cbranch_vccnz .LBB184_290
; %bb.289:
	v_add_co_u32 v4, vcc_lo, v71, v2
	v_add_co_ci_u32_e64 v5, null, v72, v3, vcc_lo
	global_load_dwordx2 v[4:5], v[4:5], off
	s_waitcnt vmcnt(0)
	v_mul_f64 v[4:5], s[38:39], v[4:5]
	s_branch .LBB184_291
.LBB184_290:
	v_mov_b32_e32 v4, 0
	v_mov_b32_e32 v5, 0
.LBB184_291:
	s_waitcnt vmcnt(0)
	v_add_f64 v[0:1], v[0:1], v[4:5]
	v_add_co_u32 v2, vcc_lo, v68, v2
	v_add_co_ci_u32_e64 v3, null, v69, v3, vcc_lo
	global_store_dwordx2 v[2:3], v[0:1], off
	s_or_b32 exec_lo, exec_lo, s4
	s_and_b32 s5, s13, s15
	s_and_saveexec_b32 s4, s5
	s_cbranch_execz .LBB184_230
.LBB184_292:
	s_clause 0x1
	buffer_load_dword v0, off, s[0:3], 0 offset:336
	buffer_load_dword v1, off, s[0:3], 0 offset:340
	v_cmp_ne_u32_e32 vcc_lo, 1, v70
	v_lshlrev_b64 v[2:3], 3, v[20:21]
	s_cbranch_vccnz .LBB184_294
; %bb.293:
	v_add_co_u32 v4, vcc_lo, v71, v2
	v_add_co_ci_u32_e64 v5, null, v72, v3, vcc_lo
	global_load_dwordx2 v[4:5], v[4:5], off
	s_waitcnt vmcnt(0)
	v_mul_f64 v[4:5], s[38:39], v[4:5]
	s_branch .LBB184_295
.LBB184_294:
	v_mov_b32_e32 v4, 0
	v_mov_b32_e32 v5, 0
.LBB184_295:
	s_waitcnt vmcnt(0)
	v_add_f64 v[0:1], v[0:1], v[4:5]
	v_add_co_u32 v2, vcc_lo, v68, v2
	v_add_co_ci_u32_e64 v3, null, v69, v3, vcc_lo
	global_store_dwordx2 v[2:3], v[0:1], off
	s_or_b32 exec_lo, exec_lo, s4
	s_and_b32 s5, s13, s16
	s_and_saveexec_b32 s4, s5
	s_cbranch_execz .LBB184_231
.LBB184_296:
	s_clause 0x1
	buffer_load_dword v0, off, s[0:3], 0 offset:344
	buffer_load_dword v1, off, s[0:3], 0 offset:348
	v_cmp_ne_u32_e32 vcc_lo, 1, v70
	v_lshlrev_b64 v[2:3], 3, v[22:23]
	s_cbranch_vccnz .LBB184_298
; %bb.297:
	v_add_co_u32 v4, vcc_lo, v71, v2
	v_add_co_ci_u32_e64 v5, null, v72, v3, vcc_lo
	global_load_dwordx2 v[4:5], v[4:5], off
	s_waitcnt vmcnt(0)
	v_mul_f64 v[4:5], s[38:39], v[4:5]
	s_branch .LBB184_299
.LBB184_298:
	v_mov_b32_e32 v4, 0
	v_mov_b32_e32 v5, 0
.LBB184_299:
	s_waitcnt vmcnt(0)
	v_add_f64 v[0:1], v[0:1], v[4:5]
	v_add_co_u32 v2, vcc_lo, v68, v2
	v_add_co_ci_u32_e64 v3, null, v69, v3, vcc_lo
	global_store_dwordx2 v[2:3], v[0:1], off
	s_or_b32 exec_lo, exec_lo, s4
	s_and_b32 s5, s13, s17
	s_and_saveexec_b32 s4, s5
	s_cbranch_execz .LBB184_232
.LBB184_300:
	s_clause 0x1
	buffer_load_dword v0, off, s[0:3], 0 offset:352
	buffer_load_dword v1, off, s[0:3], 0 offset:356
	v_cmp_ne_u32_e32 vcc_lo, 1, v70
	v_lshlrev_b64 v[2:3], 3, v[24:25]
	s_cbranch_vccnz .LBB184_302
; %bb.301:
	v_add_co_u32 v4, vcc_lo, v71, v2
	v_add_co_ci_u32_e64 v5, null, v72, v3, vcc_lo
	global_load_dwordx2 v[4:5], v[4:5], off
	s_waitcnt vmcnt(0)
	v_mul_f64 v[4:5], s[38:39], v[4:5]
	s_branch .LBB184_303
.LBB184_302:
	v_mov_b32_e32 v4, 0
	v_mov_b32_e32 v5, 0
.LBB184_303:
	s_waitcnt vmcnt(0)
	v_add_f64 v[0:1], v[0:1], v[4:5]
	v_add_co_u32 v2, vcc_lo, v68, v2
	v_add_co_ci_u32_e64 v3, null, v69, v3, vcc_lo
	global_store_dwordx2 v[2:3], v[0:1], off
	s_or_b32 exec_lo, exec_lo, s4
	s_and_b32 s5, s13, s18
	s_and_saveexec_b32 s4, s5
	s_cbranch_execz .LBB184_233
.LBB184_304:
	s_clause 0x1
	buffer_load_dword v0, off, s[0:3], 0 offset:360
	buffer_load_dword v1, off, s[0:3], 0 offset:364
	v_cmp_ne_u32_e32 vcc_lo, 1, v70
	v_lshlrev_b64 v[2:3], 3, v[26:27]
	s_cbranch_vccnz .LBB184_306
; %bb.305:
	v_add_co_u32 v4, vcc_lo, v71, v2
	v_add_co_ci_u32_e64 v5, null, v72, v3, vcc_lo
	global_load_dwordx2 v[4:5], v[4:5], off
	s_waitcnt vmcnt(0)
	v_mul_f64 v[4:5], s[38:39], v[4:5]
	s_branch .LBB184_307
.LBB184_306:
	v_mov_b32_e32 v4, 0
	v_mov_b32_e32 v5, 0
.LBB184_307:
	s_waitcnt vmcnt(0)
	v_add_f64 v[0:1], v[0:1], v[4:5]
	v_add_co_u32 v2, vcc_lo, v68, v2
	v_add_co_ci_u32_e64 v3, null, v69, v3, vcc_lo
	global_store_dwordx2 v[2:3], v[0:1], off
	s_or_b32 exec_lo, exec_lo, s4
	s_and_b32 s5, s13, s19
	s_and_saveexec_b32 s4, s5
	s_cbranch_execz .LBB184_234
.LBB184_308:
	s_clause 0x1
	buffer_load_dword v0, off, s[0:3], 0 offset:368
	buffer_load_dword v1, off, s[0:3], 0 offset:372
	v_cmp_ne_u32_e32 vcc_lo, 1, v70
	v_lshlrev_b64 v[2:3], 3, v[28:29]
	s_cbranch_vccnz .LBB184_310
; %bb.309:
	v_add_co_u32 v4, vcc_lo, v71, v2
	v_add_co_ci_u32_e64 v5, null, v72, v3, vcc_lo
	global_load_dwordx2 v[4:5], v[4:5], off
	s_waitcnt vmcnt(0)
	v_mul_f64 v[4:5], s[38:39], v[4:5]
	s_branch .LBB184_311
.LBB184_310:
	v_mov_b32_e32 v4, 0
	v_mov_b32_e32 v5, 0
.LBB184_311:
	s_waitcnt vmcnt(0)
	v_add_f64 v[0:1], v[0:1], v[4:5]
	v_add_co_u32 v2, vcc_lo, v68, v2
	v_add_co_ci_u32_e64 v3, null, v69, v3, vcc_lo
	global_store_dwordx2 v[2:3], v[0:1], off
	s_or_b32 exec_lo, exec_lo, s4
	s_and_b32 s5, s13, s20
	s_and_saveexec_b32 s4, s5
	s_cbranch_execz .LBB184_235
.LBB184_312:
	s_clause 0x1
	buffer_load_dword v0, off, s[0:3], 0 offset:376
	buffer_load_dword v1, off, s[0:3], 0 offset:380
	v_cmp_ne_u32_e32 vcc_lo, 1, v70
	v_lshlrev_b64 v[2:3], 3, v[30:31]
	s_cbranch_vccnz .LBB184_314
; %bb.313:
	v_add_co_u32 v4, vcc_lo, v71, v2
	v_add_co_ci_u32_e64 v5, null, v72, v3, vcc_lo
	global_load_dwordx2 v[4:5], v[4:5], off
	s_waitcnt vmcnt(0)
	v_mul_f64 v[4:5], s[38:39], v[4:5]
	s_branch .LBB184_315
.LBB184_314:
	v_mov_b32_e32 v4, 0
	v_mov_b32_e32 v5, 0
.LBB184_315:
	s_waitcnt vmcnt(0)
	v_add_f64 v[0:1], v[0:1], v[4:5]
	v_add_co_u32 v2, vcc_lo, v68, v2
	v_add_co_ci_u32_e64 v3, null, v69, v3, vcc_lo
	global_store_dwordx2 v[2:3], v[0:1], off
	s_or_b32 exec_lo, exec_lo, s4
	s_and_b32 s5, s13, s21
	s_and_saveexec_b32 s4, s5
	s_cbranch_execz .LBB184_236
.LBB184_316:
	s_clause 0x1
	buffer_load_dword v0, off, s[0:3], 0 offset:384
	buffer_load_dword v1, off, s[0:3], 0 offset:388
	v_cmp_ne_u32_e32 vcc_lo, 1, v70
	v_lshlrev_b64 v[2:3], 3, v[32:33]
	s_cbranch_vccnz .LBB184_318
; %bb.317:
	v_add_co_u32 v4, vcc_lo, v71, v2
	v_add_co_ci_u32_e64 v5, null, v72, v3, vcc_lo
	global_load_dwordx2 v[4:5], v[4:5], off
	s_waitcnt vmcnt(0)
	v_mul_f64 v[4:5], s[38:39], v[4:5]
	s_branch .LBB184_319
.LBB184_318:
	v_mov_b32_e32 v4, 0
	v_mov_b32_e32 v5, 0
.LBB184_319:
	s_waitcnt vmcnt(0)
	v_add_f64 v[0:1], v[0:1], v[4:5]
	v_add_co_u32 v2, vcc_lo, v68, v2
	v_add_co_ci_u32_e64 v3, null, v69, v3, vcc_lo
	global_store_dwordx2 v[2:3], v[0:1], off
	s_or_b32 exec_lo, exec_lo, s4
	s_and_b32 s5, s13, s22
	s_and_saveexec_b32 s4, s5
	s_cbranch_execz .LBB184_237
.LBB184_320:
	s_clause 0x1
	buffer_load_dword v0, off, s[0:3], 0 offset:392
	buffer_load_dword v1, off, s[0:3], 0 offset:396
	v_cmp_ne_u32_e32 vcc_lo, 1, v70
	v_lshlrev_b64 v[2:3], 3, v[34:35]
	s_cbranch_vccnz .LBB184_322
; %bb.321:
	v_add_co_u32 v4, vcc_lo, v71, v2
	v_add_co_ci_u32_e64 v5, null, v72, v3, vcc_lo
	global_load_dwordx2 v[4:5], v[4:5], off
	s_waitcnt vmcnt(0)
	v_mul_f64 v[4:5], s[38:39], v[4:5]
	s_branch .LBB184_323
.LBB184_322:
	v_mov_b32_e32 v4, 0
	v_mov_b32_e32 v5, 0
.LBB184_323:
	s_waitcnt vmcnt(0)
	v_add_f64 v[0:1], v[0:1], v[4:5]
	v_add_co_u32 v2, vcc_lo, v68, v2
	v_add_co_ci_u32_e64 v3, null, v69, v3, vcc_lo
	global_store_dwordx2 v[2:3], v[0:1], off
	s_or_b32 exec_lo, exec_lo, s4
	s_and_b32 s5, s13, s23
	s_and_saveexec_b32 s4, s5
	s_cbranch_execz .LBB184_238
.LBB184_324:
	s_clause 0x1
	buffer_load_dword v0, off, s[0:3], 0 offset:400
	buffer_load_dword v1, off, s[0:3], 0 offset:404
	v_cmp_ne_u32_e32 vcc_lo, 1, v70
	v_lshlrev_b64 v[2:3], 3, v[36:37]
	s_cbranch_vccnz .LBB184_326
; %bb.325:
	v_add_co_u32 v4, vcc_lo, v71, v2
	v_add_co_ci_u32_e64 v5, null, v72, v3, vcc_lo
	global_load_dwordx2 v[4:5], v[4:5], off
	s_waitcnt vmcnt(0)
	v_mul_f64 v[4:5], s[38:39], v[4:5]
	s_branch .LBB184_327
.LBB184_326:
	v_mov_b32_e32 v4, 0
	v_mov_b32_e32 v5, 0
.LBB184_327:
	s_waitcnt vmcnt(0)
	v_add_f64 v[0:1], v[0:1], v[4:5]
	v_add_co_u32 v2, vcc_lo, v68, v2
	v_add_co_ci_u32_e64 v3, null, v69, v3, vcc_lo
	global_store_dwordx2 v[2:3], v[0:1], off
	s_or_b32 exec_lo, exec_lo, s4
	s_and_b32 s5, s13, s24
	s_and_saveexec_b32 s4, s5
	s_cbranch_execz .LBB184_239
.LBB184_328:
	s_clause 0x1
	buffer_load_dword v0, off, s[0:3], 0 offset:408
	buffer_load_dword v1, off, s[0:3], 0 offset:412
	v_cmp_ne_u32_e32 vcc_lo, 1, v70
	v_lshlrev_b64 v[2:3], 3, v[38:39]
	s_cbranch_vccnz .LBB184_330
; %bb.329:
	v_add_co_u32 v4, vcc_lo, v71, v2
	v_add_co_ci_u32_e64 v5, null, v72, v3, vcc_lo
	global_load_dwordx2 v[4:5], v[4:5], off
	s_waitcnt vmcnt(0)
	v_mul_f64 v[4:5], s[38:39], v[4:5]
	s_branch .LBB184_331
.LBB184_330:
	v_mov_b32_e32 v4, 0
	v_mov_b32_e32 v5, 0
.LBB184_331:
	s_waitcnt vmcnt(0)
	v_add_f64 v[0:1], v[0:1], v[4:5]
	v_add_co_u32 v2, vcc_lo, v68, v2
	v_add_co_ci_u32_e64 v3, null, v69, v3, vcc_lo
	global_store_dwordx2 v[2:3], v[0:1], off
	s_or_b32 exec_lo, exec_lo, s4
	s_and_b32 s5, s13, s25
	s_and_saveexec_b32 s4, s5
	s_cbranch_execz .LBB184_240
.LBB184_332:
	s_clause 0x1
	buffer_load_dword v0, off, s[0:3], 0 offset:416
	buffer_load_dword v1, off, s[0:3], 0 offset:420
	v_cmp_ne_u32_e32 vcc_lo, 1, v70
	v_lshlrev_b64 v[2:3], 3, v[40:41]
	s_cbranch_vccnz .LBB184_334
; %bb.333:
	v_add_co_u32 v4, vcc_lo, v71, v2
	v_add_co_ci_u32_e64 v5, null, v72, v3, vcc_lo
	global_load_dwordx2 v[4:5], v[4:5], off
	s_waitcnt vmcnt(0)
	v_mul_f64 v[4:5], s[38:39], v[4:5]
	s_branch .LBB184_335
.LBB184_334:
	v_mov_b32_e32 v4, 0
	v_mov_b32_e32 v5, 0
.LBB184_335:
	s_waitcnt vmcnt(0)
	v_add_f64 v[0:1], v[0:1], v[4:5]
	v_add_co_u32 v2, vcc_lo, v68, v2
	v_add_co_ci_u32_e64 v3, null, v69, v3, vcc_lo
	global_store_dwordx2 v[2:3], v[0:1], off
	s_or_b32 exec_lo, exec_lo, s4
	s_and_b32 s5, s13, s26
	s_and_saveexec_b32 s4, s5
	s_cbranch_execz .LBB184_241
.LBB184_336:
	s_clause 0x1
	buffer_load_dword v0, off, s[0:3], 0 offset:424
	buffer_load_dword v1, off, s[0:3], 0 offset:428
	v_cmp_ne_u32_e32 vcc_lo, 1, v70
	v_lshlrev_b64 v[2:3], 3, v[42:43]
	s_cbranch_vccnz .LBB184_338
; %bb.337:
	v_add_co_u32 v4, vcc_lo, v71, v2
	v_add_co_ci_u32_e64 v5, null, v72, v3, vcc_lo
	global_load_dwordx2 v[4:5], v[4:5], off
	s_waitcnt vmcnt(0)
	v_mul_f64 v[4:5], s[38:39], v[4:5]
	s_branch .LBB184_339
.LBB184_338:
	v_mov_b32_e32 v4, 0
	v_mov_b32_e32 v5, 0
.LBB184_339:
	s_waitcnt vmcnt(0)
	v_add_f64 v[0:1], v[0:1], v[4:5]
	v_add_co_u32 v2, vcc_lo, v68, v2
	v_add_co_ci_u32_e64 v3, null, v69, v3, vcc_lo
	global_store_dwordx2 v[2:3], v[0:1], off
	s_or_b32 exec_lo, exec_lo, s4
	s_and_b32 s5, s13, s27
	s_and_saveexec_b32 s4, s5
	s_cbranch_execz .LBB184_242
.LBB184_340:
	s_clause 0x1
	buffer_load_dword v0, off, s[0:3], 0 offset:432
	buffer_load_dword v1, off, s[0:3], 0 offset:436
	v_cmp_ne_u32_e32 vcc_lo, 1, v70
	v_lshlrev_b64 v[2:3], 3, v[44:45]
	s_cbranch_vccnz .LBB184_342
; %bb.341:
	v_add_co_u32 v4, vcc_lo, v71, v2
	v_add_co_ci_u32_e64 v5, null, v72, v3, vcc_lo
	global_load_dwordx2 v[4:5], v[4:5], off
	s_waitcnt vmcnt(0)
	v_mul_f64 v[4:5], s[38:39], v[4:5]
	s_branch .LBB184_343
.LBB184_342:
	v_mov_b32_e32 v4, 0
	v_mov_b32_e32 v5, 0
.LBB184_343:
	s_waitcnt vmcnt(0)
	v_add_f64 v[0:1], v[0:1], v[4:5]
	v_add_co_u32 v2, vcc_lo, v68, v2
	v_add_co_ci_u32_e64 v3, null, v69, v3, vcc_lo
	global_store_dwordx2 v[2:3], v[0:1], off
	s_or_b32 exec_lo, exec_lo, s4
	s_and_b32 s5, s13, s28
	s_and_saveexec_b32 s4, s5
	s_cbranch_execz .LBB184_243
.LBB184_344:
	s_clause 0x1
	buffer_load_dword v0, off, s[0:3], 0 offset:440
	buffer_load_dword v1, off, s[0:3], 0 offset:444
	v_cmp_ne_u32_e32 vcc_lo, 1, v70
	v_lshlrev_b64 v[2:3], 3, v[46:47]
	s_cbranch_vccnz .LBB184_346
; %bb.345:
	v_add_co_u32 v4, vcc_lo, v71, v2
	v_add_co_ci_u32_e64 v5, null, v72, v3, vcc_lo
	global_load_dwordx2 v[4:5], v[4:5], off
	s_waitcnt vmcnt(0)
	v_mul_f64 v[4:5], s[38:39], v[4:5]
	s_branch .LBB184_347
.LBB184_346:
	v_mov_b32_e32 v4, 0
	v_mov_b32_e32 v5, 0
.LBB184_347:
	s_waitcnt vmcnt(0)
	v_add_f64 v[0:1], v[0:1], v[4:5]
	v_add_co_u32 v2, vcc_lo, v68, v2
	v_add_co_ci_u32_e64 v3, null, v69, v3, vcc_lo
	global_store_dwordx2 v[2:3], v[0:1], off
	s_or_b32 exec_lo, exec_lo, s4
	s_and_b32 s5, s13, s29
	s_and_saveexec_b32 s4, s5
	s_cbranch_execz .LBB184_244
.LBB184_348:
	s_clause 0x1
	buffer_load_dword v0, off, s[0:3], 0 offset:448
	buffer_load_dword v1, off, s[0:3], 0 offset:452
	v_cmp_ne_u32_e32 vcc_lo, 1, v70
	v_lshlrev_b64 v[2:3], 3, v[48:49]
	s_cbranch_vccnz .LBB184_350
; %bb.349:
	v_add_co_u32 v4, vcc_lo, v71, v2
	v_add_co_ci_u32_e64 v5, null, v72, v3, vcc_lo
	global_load_dwordx2 v[4:5], v[4:5], off
	s_waitcnt vmcnt(0)
	v_mul_f64 v[4:5], s[38:39], v[4:5]
	s_branch .LBB184_351
.LBB184_350:
	v_mov_b32_e32 v4, 0
	v_mov_b32_e32 v5, 0
.LBB184_351:
	s_waitcnt vmcnt(0)
	v_add_f64 v[0:1], v[0:1], v[4:5]
	v_add_co_u32 v2, vcc_lo, v68, v2
	v_add_co_ci_u32_e64 v3, null, v69, v3, vcc_lo
	global_store_dwordx2 v[2:3], v[0:1], off
	s_or_b32 exec_lo, exec_lo, s4
	s_and_b32 s5, s13, s30
	s_and_saveexec_b32 s4, s5
	s_cbranch_execz .LBB184_245
.LBB184_352:
	s_clause 0x1
	buffer_load_dword v0, off, s[0:3], 0 offset:456
	buffer_load_dword v1, off, s[0:3], 0 offset:460
	v_cmp_ne_u32_e32 vcc_lo, 1, v70
	v_lshlrev_b64 v[2:3], 3, v[50:51]
	s_cbranch_vccnz .LBB184_354
; %bb.353:
	v_add_co_u32 v4, vcc_lo, v71, v2
	v_add_co_ci_u32_e64 v5, null, v72, v3, vcc_lo
	global_load_dwordx2 v[4:5], v[4:5], off
	s_waitcnt vmcnt(0)
	v_mul_f64 v[4:5], s[38:39], v[4:5]
	s_branch .LBB184_355
.LBB184_354:
	v_mov_b32_e32 v4, 0
	v_mov_b32_e32 v5, 0
.LBB184_355:
	s_waitcnt vmcnt(0)
	v_add_f64 v[0:1], v[0:1], v[4:5]
	v_add_co_u32 v2, vcc_lo, v68, v2
	v_add_co_ci_u32_e64 v3, null, v69, v3, vcc_lo
	global_store_dwordx2 v[2:3], v[0:1], off
	s_or_b32 exec_lo, exec_lo, s4
	s_and_b32 s5, s13, s31
	s_and_saveexec_b32 s4, s5
	s_cbranch_execz .LBB184_246
.LBB184_356:
	s_clause 0x1
	buffer_load_dword v0, off, s[0:3], 0 offset:464
	buffer_load_dword v1, off, s[0:3], 0 offset:468
	v_cmp_ne_u32_e32 vcc_lo, 1, v70
	v_lshlrev_b64 v[2:3], 3, v[52:53]
	s_cbranch_vccnz .LBB184_358
; %bb.357:
	v_add_co_u32 v4, vcc_lo, v71, v2
	v_add_co_ci_u32_e64 v5, null, v72, v3, vcc_lo
	global_load_dwordx2 v[4:5], v[4:5], off
	s_waitcnt vmcnt(0)
	v_mul_f64 v[4:5], s[38:39], v[4:5]
	s_branch .LBB184_359
.LBB184_358:
	v_mov_b32_e32 v4, 0
	v_mov_b32_e32 v5, 0
.LBB184_359:
	s_waitcnt vmcnt(0)
	v_add_f64 v[0:1], v[0:1], v[4:5]
	v_add_co_u32 v2, vcc_lo, v68, v2
	v_add_co_ci_u32_e64 v3, null, v69, v3, vcc_lo
	global_store_dwordx2 v[2:3], v[0:1], off
	s_or_b32 exec_lo, exec_lo, s4
	s_and_b32 s5, s13, s33
	s_and_saveexec_b32 s4, s5
	s_cbranch_execz .LBB184_247
.LBB184_360:
	s_clause 0x1
	buffer_load_dword v0, off, s[0:3], 0 offset:472
	buffer_load_dword v1, off, s[0:3], 0 offset:476
	v_cmp_ne_u32_e32 vcc_lo, 1, v70
	v_lshlrev_b64 v[2:3], 3, v[54:55]
	s_cbranch_vccnz .LBB184_362
; %bb.361:
	v_add_co_u32 v4, vcc_lo, v71, v2
	v_add_co_ci_u32_e64 v5, null, v72, v3, vcc_lo
	global_load_dwordx2 v[4:5], v[4:5], off
	s_waitcnt vmcnt(0)
	v_mul_f64 v[4:5], s[38:39], v[4:5]
	s_branch .LBB184_363
.LBB184_362:
	v_mov_b32_e32 v4, 0
	v_mov_b32_e32 v5, 0
.LBB184_363:
	s_waitcnt vmcnt(0)
	v_add_f64 v[0:1], v[0:1], v[4:5]
	v_add_co_u32 v2, vcc_lo, v68, v2
	v_add_co_ci_u32_e64 v3, null, v69, v3, vcc_lo
	global_store_dwordx2 v[2:3], v[0:1], off
	s_or_b32 exec_lo, exec_lo, s4
	s_and_b32 s5, s13, s34
	s_and_saveexec_b32 s4, s5
	s_cbranch_execz .LBB184_248
.LBB184_364:
	s_clause 0x1
	buffer_load_dword v0, off, s[0:3], 0 offset:480
	buffer_load_dword v1, off, s[0:3], 0 offset:484
	v_cmp_ne_u32_e32 vcc_lo, 1, v70
	v_lshlrev_b64 v[2:3], 3, v[56:57]
	s_cbranch_vccnz .LBB184_366
; %bb.365:
	v_add_co_u32 v4, vcc_lo, v71, v2
	v_add_co_ci_u32_e64 v5, null, v72, v3, vcc_lo
	global_load_dwordx2 v[4:5], v[4:5], off
	s_waitcnt vmcnt(0)
	v_mul_f64 v[4:5], s[38:39], v[4:5]
	s_branch .LBB184_367
.LBB184_366:
	v_mov_b32_e32 v4, 0
	v_mov_b32_e32 v5, 0
.LBB184_367:
	s_waitcnt vmcnt(0)
	v_add_f64 v[0:1], v[0:1], v[4:5]
	v_add_co_u32 v2, vcc_lo, v68, v2
	v_add_co_ci_u32_e64 v3, null, v69, v3, vcc_lo
	global_store_dwordx2 v[2:3], v[0:1], off
	s_or_b32 exec_lo, exec_lo, s4
	s_and_b32 s5, s13, s35
	s_and_saveexec_b32 s4, s5
	s_cbranch_execz .LBB184_249
.LBB184_368:
	s_clause 0x1
	buffer_load_dword v0, off, s[0:3], 0 offset:488
	buffer_load_dword v1, off, s[0:3], 0 offset:492
	v_cmp_ne_u32_e32 vcc_lo, 1, v70
	v_lshlrev_b64 v[2:3], 3, v[58:59]
	s_cbranch_vccnz .LBB184_370
; %bb.369:
	v_add_co_u32 v4, vcc_lo, v71, v2
	v_add_co_ci_u32_e64 v5, null, v72, v3, vcc_lo
	global_load_dwordx2 v[4:5], v[4:5], off
	s_waitcnt vmcnt(0)
	v_mul_f64 v[4:5], s[38:39], v[4:5]
	s_branch .LBB184_371
.LBB184_370:
	v_mov_b32_e32 v4, 0
	v_mov_b32_e32 v5, 0
.LBB184_371:
	s_waitcnt vmcnt(0)
	v_add_f64 v[0:1], v[0:1], v[4:5]
	v_add_co_u32 v2, vcc_lo, v68, v2
	v_add_co_ci_u32_e64 v3, null, v69, v3, vcc_lo
	global_store_dwordx2 v[2:3], v[0:1], off
	s_or_b32 exec_lo, exec_lo, s4
	s_and_b32 s5, s13, s36
	s_and_saveexec_b32 s4, s5
	s_cbranch_execz .LBB184_250
.LBB184_372:
	s_clause 0x1
	buffer_load_dword v0, off, s[0:3], 0 offset:496
	buffer_load_dword v1, off, s[0:3], 0 offset:500
	v_cmp_ne_u32_e32 vcc_lo, 1, v70
	v_lshlrev_b64 v[2:3], 3, v[60:61]
	s_cbranch_vccnz .LBB184_374
; %bb.373:
	v_add_co_u32 v4, vcc_lo, v71, v2
	v_add_co_ci_u32_e64 v5, null, v72, v3, vcc_lo
	global_load_dwordx2 v[4:5], v[4:5], off
	s_waitcnt vmcnt(0)
	v_mul_f64 v[4:5], s[38:39], v[4:5]
	s_branch .LBB184_375
.LBB184_374:
	v_mov_b32_e32 v4, 0
	v_mov_b32_e32 v5, 0
.LBB184_375:
	s_waitcnt vmcnt(0)
	v_add_f64 v[0:1], v[0:1], v[4:5]
	v_add_co_u32 v2, vcc_lo, v68, v2
	v_add_co_ci_u32_e64 v3, null, v69, v3, vcc_lo
	global_store_dwordx2 v[2:3], v[0:1], off
	s_or_b32 exec_lo, exec_lo, s4
	s_and_b32 s4, s13, s37
	s_and_saveexec_b32 s5, s4
	s_cbranch_execz .LBB184_251
.LBB184_376:
	s_clause 0x1
	buffer_load_dword v0, off, s[0:3], 0 offset:504
	buffer_load_dword v1, off, s[0:3], 0 offset:508
	v_cmp_ne_u32_e32 vcc_lo, 1, v70
	v_lshlrev_b64 v[2:3], 3, v[62:63]
	s_cbranch_vccnz .LBB184_378
; %bb.377:
	v_add_co_u32 v4, vcc_lo, v71, v2
	v_add_co_ci_u32_e64 v5, null, v72, v3, vcc_lo
	global_load_dwordx2 v[4:5], v[4:5], off
	s_waitcnt vmcnt(0)
	v_mul_f64 v[4:5], s[38:39], v[4:5]
	s_branch .LBB184_379
.LBB184_378:
	v_mov_b32_e32 v4, 0
	v_mov_b32_e32 v5, 0
.LBB184_379:
	s_waitcnt vmcnt(0)
	v_add_f64 v[0:1], v[0:1], v[4:5]
	v_add_co_u32 v2, vcc_lo, v68, v2
	v_add_co_ci_u32_e64 v3, null, v69, v3, vcc_lo
	global_store_dwordx2 v[2:3], v[0:1], off
	s_endpgm
	.section	.rodata,"a",@progbits
	.p2align	6, 0x0
	.amdhsa_kernel _ZN12_GLOBAL__N_120geam_min_plus_kernelIdddLi4ELi64ELi128ELi128ELi4ELi64ELi4ELi4ELi64ELc78ELc78ELb1ELb1ELb0EdKddEEviiiT16_PT17_ilS4_ilS2_S4_ilPT18_ili26rocblas_geam_ex_operation_
		.amdhsa_group_segment_fixed_size 16384
		.amdhsa_private_segment_fixed_size 528
		.amdhsa_kernarg_size 136
		.amdhsa_user_sgpr_count 6
		.amdhsa_user_sgpr_private_segment_buffer 1
		.amdhsa_user_sgpr_dispatch_ptr 0
		.amdhsa_user_sgpr_queue_ptr 0
		.amdhsa_user_sgpr_kernarg_segment_ptr 1
		.amdhsa_user_sgpr_dispatch_id 0
		.amdhsa_user_sgpr_flat_scratch_init 0
		.amdhsa_user_sgpr_private_segment_size 0
		.amdhsa_wavefront_size32 1
		.amdhsa_uses_dynamic_stack 0
		.amdhsa_system_sgpr_private_segment_wavefront_offset 1
		.amdhsa_system_sgpr_workgroup_id_x 1
		.amdhsa_system_sgpr_workgroup_id_y 0
		.amdhsa_system_sgpr_workgroup_id_z 1
		.amdhsa_system_sgpr_workgroup_info 0
		.amdhsa_system_vgpr_workitem_id 1
		.amdhsa_next_free_vgpr 117
		.amdhsa_next_free_sgpr 50
		.amdhsa_reserve_vcc 1
		.amdhsa_reserve_flat_scratch 0
		.amdhsa_float_round_mode_32 0
		.amdhsa_float_round_mode_16_64 0
		.amdhsa_float_denorm_mode_32 3
		.amdhsa_float_denorm_mode_16_64 3
		.amdhsa_dx10_clamp 1
		.amdhsa_ieee_mode 1
		.amdhsa_fp16_overflow 0
		.amdhsa_workgroup_processor_mode 1
		.amdhsa_memory_ordered 1
		.amdhsa_forward_progress 1
		.amdhsa_shared_vgpr_count 0
		.amdhsa_exception_fp_ieee_invalid_op 0
		.amdhsa_exception_fp_denorm_src 0
		.amdhsa_exception_fp_ieee_div_zero 0
		.amdhsa_exception_fp_ieee_overflow 0
		.amdhsa_exception_fp_ieee_underflow 0
		.amdhsa_exception_fp_ieee_inexact 0
		.amdhsa_exception_int_div_zero 0
	.end_amdhsa_kernel
	.section	.text._ZN12_GLOBAL__N_120geam_min_plus_kernelIdddLi4ELi64ELi128ELi128ELi4ELi64ELi4ELi4ELi64ELc78ELc78ELb1ELb1ELb0EdKddEEviiiT16_PT17_ilS4_ilS2_S4_ilPT18_ili26rocblas_geam_ex_operation_,"axG",@progbits,_ZN12_GLOBAL__N_120geam_min_plus_kernelIdddLi4ELi64ELi128ELi128ELi4ELi64ELi4ELi4ELi64ELc78ELc78ELb1ELb1ELb0EdKddEEviiiT16_PT17_ilS4_ilS2_S4_ilPT18_ili26rocblas_geam_ex_operation_,comdat
.Lfunc_end184:
	.size	_ZN12_GLOBAL__N_120geam_min_plus_kernelIdddLi4ELi64ELi128ELi128ELi4ELi64ELi4ELi4ELi64ELc78ELc78ELb1ELb1ELb0EdKddEEviiiT16_PT17_ilS4_ilS2_S4_ilPT18_ili26rocblas_geam_ex_operation_, .Lfunc_end184-_ZN12_GLOBAL__N_120geam_min_plus_kernelIdddLi4ELi64ELi128ELi128ELi4ELi64ELi4ELi4ELi64ELc78ELc78ELb1ELb1ELb0EdKddEEviiiT16_PT17_ilS4_ilS2_S4_ilPT18_ili26rocblas_geam_ex_operation_
                                        ; -- End function
	.set _ZN12_GLOBAL__N_120geam_min_plus_kernelIdddLi4ELi64ELi128ELi128ELi4ELi64ELi4ELi4ELi64ELc78ELc78ELb1ELb1ELb0EdKddEEviiiT16_PT17_ilS4_ilS2_S4_ilPT18_ili26rocblas_geam_ex_operation_.num_vgpr, 117
	.set _ZN12_GLOBAL__N_120geam_min_plus_kernelIdddLi4ELi64ELi128ELi128ELi4ELi64ELi4ELi4ELi64ELc78ELc78ELb1ELb1ELb0EdKddEEviiiT16_PT17_ilS4_ilS2_S4_ilPT18_ili26rocblas_geam_ex_operation_.num_agpr, 0
	.set _ZN12_GLOBAL__N_120geam_min_plus_kernelIdddLi4ELi64ELi128ELi128ELi4ELi64ELi4ELi4ELi64ELc78ELc78ELb1ELb1ELb0EdKddEEviiiT16_PT17_ilS4_ilS2_S4_ilPT18_ili26rocblas_geam_ex_operation_.numbered_sgpr, 50
	.set _ZN12_GLOBAL__N_120geam_min_plus_kernelIdddLi4ELi64ELi128ELi128ELi4ELi64ELi4ELi4ELi64ELc78ELc78ELb1ELb1ELb0EdKddEEviiiT16_PT17_ilS4_ilS2_S4_ilPT18_ili26rocblas_geam_ex_operation_.num_named_barrier, 0
	.set _ZN12_GLOBAL__N_120geam_min_plus_kernelIdddLi4ELi64ELi128ELi128ELi4ELi64ELi4ELi4ELi64ELc78ELc78ELb1ELb1ELb0EdKddEEviiiT16_PT17_ilS4_ilS2_S4_ilPT18_ili26rocblas_geam_ex_operation_.private_seg_size, 528
	.set _ZN12_GLOBAL__N_120geam_min_plus_kernelIdddLi4ELi64ELi128ELi128ELi4ELi64ELi4ELi4ELi64ELc78ELc78ELb1ELb1ELb0EdKddEEviiiT16_PT17_ilS4_ilS2_S4_ilPT18_ili26rocblas_geam_ex_operation_.uses_vcc, 1
	.set _ZN12_GLOBAL__N_120geam_min_plus_kernelIdddLi4ELi64ELi128ELi128ELi4ELi64ELi4ELi4ELi64ELc78ELc78ELb1ELb1ELb0EdKddEEviiiT16_PT17_ilS4_ilS2_S4_ilPT18_ili26rocblas_geam_ex_operation_.uses_flat_scratch, 0
	.set _ZN12_GLOBAL__N_120geam_min_plus_kernelIdddLi4ELi64ELi128ELi128ELi4ELi64ELi4ELi4ELi64ELc78ELc78ELb1ELb1ELb0EdKddEEviiiT16_PT17_ilS4_ilS2_S4_ilPT18_ili26rocblas_geam_ex_operation_.has_dyn_sized_stack, 0
	.set _ZN12_GLOBAL__N_120geam_min_plus_kernelIdddLi4ELi64ELi128ELi128ELi4ELi64ELi4ELi4ELi64ELc78ELc78ELb1ELb1ELb0EdKddEEviiiT16_PT17_ilS4_ilS2_S4_ilPT18_ili26rocblas_geam_ex_operation_.has_recursion, 0
	.set _ZN12_GLOBAL__N_120geam_min_plus_kernelIdddLi4ELi64ELi128ELi128ELi4ELi64ELi4ELi4ELi64ELc78ELc78ELb1ELb1ELb0EdKddEEviiiT16_PT17_ilS4_ilS2_S4_ilPT18_ili26rocblas_geam_ex_operation_.has_indirect_call, 0
	.section	.AMDGPU.csdata,"",@progbits
; Kernel info:
; codeLenInByte = 22056
; TotalNumSgprs: 52
; NumVgprs: 117
; ScratchSize: 528
; MemoryBound: 0
; FloatMode: 240
; IeeeMode: 1
; LDSByteSize: 16384 bytes/workgroup (compile time only)
; SGPRBlocks: 0
; VGPRBlocks: 14
; NumSGPRsForWavesPerEU: 52
; NumVGPRsForWavesPerEU: 117
; Occupancy: 8
; WaveLimiterHint : 0
; COMPUTE_PGM_RSRC2:SCRATCH_EN: 1
; COMPUTE_PGM_RSRC2:USER_SGPR: 6
; COMPUTE_PGM_RSRC2:TRAP_HANDLER: 0
; COMPUTE_PGM_RSRC2:TGID_X_EN: 1
; COMPUTE_PGM_RSRC2:TGID_Y_EN: 0
; COMPUTE_PGM_RSRC2:TGID_Z_EN: 1
; COMPUTE_PGM_RSRC2:TIDIG_COMP_CNT: 1
	.section	.text._ZN12_GLOBAL__N_120geam_min_plus_kernelIdddLi4ELi64ELi128ELi128ELi4ELi64ELi4ELi4ELi64ELc78ELc78ELb0ELb1ELb0EdKddEEviiiT16_PT17_ilS4_ilS2_S4_ilPT18_ili26rocblas_geam_ex_operation_,"axG",@progbits,_ZN12_GLOBAL__N_120geam_min_plus_kernelIdddLi4ELi64ELi128ELi128ELi4ELi64ELi4ELi4ELi64ELc78ELc78ELb0ELb1ELb0EdKddEEviiiT16_PT17_ilS4_ilS2_S4_ilPT18_ili26rocblas_geam_ex_operation_,comdat
	.globl	_ZN12_GLOBAL__N_120geam_min_plus_kernelIdddLi4ELi64ELi128ELi128ELi4ELi64ELi4ELi4ELi64ELc78ELc78ELb0ELb1ELb0EdKddEEviiiT16_PT17_ilS4_ilS2_S4_ilPT18_ili26rocblas_geam_ex_operation_ ; -- Begin function _ZN12_GLOBAL__N_120geam_min_plus_kernelIdddLi4ELi64ELi128ELi128ELi4ELi64ELi4ELi4ELi64ELc78ELc78ELb0ELb1ELb0EdKddEEviiiT16_PT17_ilS4_ilS2_S4_ilPT18_ili26rocblas_geam_ex_operation_
	.p2align	8
	.type	_ZN12_GLOBAL__N_120geam_min_plus_kernelIdddLi4ELi64ELi128ELi128ELi4ELi64ELi4ELi4ELi64ELc78ELc78ELb0ELb1ELb0EdKddEEviiiT16_PT17_ilS4_ilS2_S4_ilPT18_ili26rocblas_geam_ex_operation_,@function
_ZN12_GLOBAL__N_120geam_min_plus_kernelIdddLi4ELi64ELi128ELi128ELi4ELi64ELi4ELi4ELi64ELc78ELc78ELb0ELb1ELb0EdKddEEviiiT16_PT17_ilS4_ilS2_S4_ilPT18_ili26rocblas_geam_ex_operation_: ; @_ZN12_GLOBAL__N_120geam_min_plus_kernelIdddLi4ELi64ELi128ELi128ELi4ELi64ELi4ELi4ELi64ELc78ELc78ELb0ELb1ELb0EdKddEEviiiT16_PT17_ilS4_ilS2_S4_ilPT18_ili26rocblas_geam_ex_operation_
; %bb.0:
	s_add_u32 s0, s0, s8
	s_clause 0x1
	s_load_dwordx4 s[16:19], s[4:5], 0x10
	s_load_dwordx4 s[8:11], s[4:5], 0x28
	s_addc_u32 s1, s1, 0
	s_mov_b64 s[20:21], 0
	s_waitcnt lgkmcnt(0)
	v_cmp_eq_f64_e64 s12, s[16:17], 0
	s_and_b32 vcc_lo, exec_lo, s12
	s_cbranch_vccnz .LBB185_2
; %bb.1:
	s_mul_i32 s9, s9, s7
	s_mul_hi_u32 s13, s8, s7
	s_mul_i32 s8, s8, s7
	s_add_i32 s9, s13, s9
	s_lshl_b64 s[8:9], s[8:9], 3
	s_add_u32 s20, s18, s8
	s_addc_u32 s21, s19, s9
.LBB185_2:
	s_clause 0x1
	s_load_dwordx4 s[36:39], s[4:5], 0x40
	s_load_dwordx2 s[8:9], s[4:5], 0x50
	s_andn2_b32 vcc_lo, exec_lo, s12
	s_mov_b32 s12, -1
	s_cbranch_vccnz .LBB185_4
; %bb.3:
	s_mov_b32 s12, 0
.LBB185_4:
	s_mov_b64 s[44:45], 0
	s_andn2_b32 vcc_lo, exec_lo, s12
	s_mov_b64 s[18:19], 0
	s_cbranch_vccnz .LBB185_6
; %bb.5:
	s_waitcnt lgkmcnt(0)
	s_mul_i32 s12, s37, s7
	s_mul_hi_u32 s13, s36, s7
	s_add_i32 s13, s13, s12
	s_mul_i32 s12, s36, s7
	s_lshl_b64 s[12:13], s[12:13], 3
	s_add_u32 s18, s10, s12
	s_addc_u32 s19, s11, s13
.LBB185_6:
	s_waitcnt lgkmcnt(0)
	v_cmp_eq_f64_e64 s10, s[38:39], 0
	v_cmp_neq_f64_e64 s46, s[38:39], 0
	s_load_dwordx4 s[12:15], s[4:5], 0x60
	s_and_b32 vcc_lo, exec_lo, s10
	s_cbranch_vccnz .LBB185_8
; %bb.7:
	s_waitcnt lgkmcnt(0)
	s_mul_i32 s10, s13, s7
	s_mul_hi_u32 s11, s12, s7
	s_add_i32 s11, s11, s10
	s_mul_i32 s10, s12, s7
	s_lshl_b64 s[10:11], s[10:11], 3
	s_add_u32 s44, s8, s10
	s_addc_u32 s45, s9, s11
.LBB185_8:
	s_clause 0x1
	s_load_dwordx4 s[40:43], s[4:5], 0x0
	s_load_dword s22, s[4:5], 0x20
	v_lshl_add_u32 v8, v1, 2, v0
	v_cmp_eq_f64_e64 s24, s[16:17], 0
	v_mov_b32_e32 v11, 0
	buffer_store_dword v11, off, s[0:3], 0 offset:4
	buffer_store_dword v11, off, s[0:3], 0
	buffer_store_dword v11, off, s[0:3], 0 offset:12
	buffer_store_dword v11, off, s[0:3], 0 offset:8
	;; [unrolled: 1-line block ×12, first 2 shown]
	v_lshrrev_b32_e32 v84, 6, v8
	v_and_b32_e32 v20, 63, v8
	buffer_store_dword v11, off, s[0:3], 0 offset:60
	buffer_store_dword v11, off, s[0:3], 0 offset:56
	;; [unrolled: 1-line block ×19, first 2 shown]
	s_waitcnt lgkmcnt(0)
	s_add_i32 s8, s40, -1
	v_cmp_le_i32_e32 vcc_lo, s42, v84
	s_ashr_i32 s9, s8, 31
	buffer_store_dword v11, off, s[0:3], 0 offset:128
	buffer_store_dword v11, off, s[0:3], 0 offset:140
	;; [unrolled: 1-line block ×4, first 2 shown]
	s_lshr_b32 s9, s9, 25
	buffer_store_dword v11, off, s[0:3], 0 offset:144
	buffer_store_dword v11, off, s[0:3], 0 offset:156
	;; [unrolled: 1-line block ×4, first 2 shown]
	s_add_i32 s8, s8, s9
	buffer_store_dword v11, off, s[0:3], 0 offset:160
	buffer_store_dword v11, off, s[0:3], 0 offset:172
	s_ashr_i32 s8, s8, 7
	buffer_store_dword v11, off, s[0:3], 0 offset:168
	s_add_i32 s10, s8, 1
	s_not_b32 s8, s8
	v_cvt_f32_u32_e32 v2, s10
	buffer_store_dword v11, off, s[0:3], 0 offset:180
	buffer_store_dword v11, off, s[0:3], 0 offset:176
	;; [unrolled: 1-line block ×4, first 2 shown]
	v_rcp_iflag_f32_e32 v2, v2
	buffer_store_dword v11, off, s[0:3], 0 offset:196
	buffer_store_dword v11, off, s[0:3], 0 offset:192
	;; [unrolled: 1-line block ×71, first 2 shown]
	v_mul_f32_e32 v2, 0x4f7ffffe, v2
	buffer_store_dword v11, off, s[0:3], 0 offset:472
	buffer_store_dword v11, off, s[0:3], 0 offset:484
	;; [unrolled: 1-line block ×9, first 2 shown]
	v_cvt_u32_f32_e32 v2, v2
	v_readfirstlane_b32 s9, v2
	s_mul_i32 s8, s8, s9
	s_mul_hi_u32 s8, s9, s8
	s_add_i32 s9, s9, s8
	s_mul_hi_u32 s8, s6, s9
	s_mul_i32 s9, s8, s10
	s_add_i32 s11, s8, 1
	s_sub_i32 s9, s6, s9
	s_sub_i32 s12, s9, s10
	s_cmp_ge_u32 s9, s10
	s_cselect_b32 s8, s11, s8
	s_cselect_b32 s9, s12, s9
	s_add_i32 s11, s8, 1
	s_cmp_ge_u32 s9, s10
	s_cselect_b32 s9, s11, s8
	s_add_i32 s23, s42, -1
	s_mul_i32 s8, s9, s10
	v_min_i32_e32 v2, s23, v84
	s_sub_i32 s6, s6, s8
	s_lshl_b32 s12, s6, 7
	v_mad_i64_i32 v[2:3], null, s22, v2, 0
	v_or_b32_e32 v6, s12, v20
	v_cmp_le_i32_e64 s6, s40, v6
	v_lshlrev_b64 v[4:5], 3, v[2:3]
	v_mov_b32_e32 v2, 0
	v_mov_b32_e32 v3, 0
	v_ashrrev_i32_e32 v7, 31, v6
	v_add_co_u32 v9, s8, s20, v4
	v_add_co_ci_u32_e64 v10, null, s21, v5, s8
	v_mov_b32_e32 v4, 0
	v_mov_b32_e32 v5, 0
	s_or_b32 s8, s6, vcc_lo
	s_nor_b32 s8, s24, s8
	s_and_saveexec_b32 s10, s8
	s_cbranch_execz .LBB185_10
; %bb.9:
	v_lshlrev_b64 v[4:5], 3, v[6:7]
	v_add_co_u32 v4, s8, v9, v4
	v_add_co_ci_u32_e64 v5, null, v10, v5, s8
	global_load_dwordx2 v[4:5], v[4:5], off
	s_waitcnt vmcnt(0)
	v_mul_f64 v[4:5], s[16:17], v[4:5]
.LBB185_10:
	s_or_b32 exec_lo, exec_lo, s10
	v_or_b32_e32 v11, 64, v6
	v_cmp_le_i32_e64 s8, s40, v11
	s_or_b32 s10, s8, vcc_lo
	s_nor_b32 s11, s24, s10
	s_and_saveexec_b32 s10, s11
	s_cbranch_execz .LBB185_12
; %bb.11:
	v_lshlrev_b64 v[2:3], 3, v[6:7]
	v_add_co_u32 v2, vcc_lo, v9, v2
	v_add_co_ci_u32_e64 v3, null, v10, v3, vcc_lo
	global_load_dwordx2 v[2:3], v[2:3], off offset:512
	s_waitcnt vmcnt(0)
	v_mul_f64 v[2:3], s[16:17], v[2:3]
.LBB185_12:
	s_or_b32 exec_lo, exec_lo, s10
	v_and_b32_e32 v85, 3, v0
	s_load_dword s25, s[4:5], 0x38
	v_lshrrev_b32_e32 v21, 2, v8
	s_lshl_b32 s13, s9, 7
	v_mov_b32_e32 v16, 0
	v_min_i32_e32 v9, s23, v85
	v_cmp_le_i32_e32 vcc_lo, s42, v85
	v_add_nc_u32_e32 v80, s13, v21
	v_mov_b32_e32 v18, 0
	v_mov_b32_e32 v17, 0
	v_ashrrev_i32_e32 v10, 31, v9
	v_mov_b32_e32 v19, 0
	v_cmp_le_i32_e64 s9, s41, v80
	v_lshlrev_b64 v[8:9], 3, v[9:10]
	v_add_co_u32 v8, s10, s18, v8
	v_add_co_ci_u32_e64 v9, null, s19, v9, s10
	s_or_b32 s10, vcc_lo, s9
	s_nor_b32 s10, s24, s10
	s_and_saveexec_b32 s11, s10
	s_cbranch_execz .LBB185_14
; %bb.13:
	s_waitcnt lgkmcnt(0)
	v_mad_i64_i32 v[10:11], null, v80, s25, 0
	v_lshlrev_b64 v[10:11], 3, v[10:11]
	v_add_co_u32 v10, s10, v8, v10
	v_add_co_ci_u32_e64 v11, null, v9, v11, s10
	global_load_dwordx2 v[10:11], v[10:11], off
	s_waitcnt vmcnt(0)
	v_mul_f64 v[18:19], s[16:17], v[10:11]
.LBB185_14:
	s_or_b32 exec_lo, exec_lo, s11
	v_add_nc_u32_e32 v81, 64, v80
	v_cmp_le_i32_e64 s10, s41, v81
	s_or_b32 s11, vcc_lo, s10
	s_nor_b32 s26, s24, s11
	s_and_saveexec_b32 s11, s26
	s_cbranch_execz .LBB185_16
; %bb.15:
	s_waitcnt lgkmcnt(0)
	v_mad_i64_i32 v[10:11], null, v81, s25, 0
	v_lshlrev_b64 v[10:11], 3, v[10:11]
	v_add_co_u32 v8, vcc_lo, v8, v10
	v_add_co_ci_u32_e64 v9, null, v9, v11, vcc_lo
	global_load_dwordx2 v[8:9], v[8:9], off
	s_waitcnt vmcnt(0)
	v_mul_f64 v[16:17], s[16:17], v[8:9]
.LBB185_16:
	s_or_b32 exec_lo, exec_lo, s11
	v_add_nc_u32_e32 v14, 4, v84
	v_mov_b32_e32 v10, 0
	v_mov_b32_e32 v11, 0
	v_min_i32_e32 v8, s23, v14
	v_cmp_le_i32_e32 vcc_lo, s42, v14
	v_mad_i64_i32 v[8:9], null, s22, v8, 0
	v_lshlrev_b64 v[12:13], 3, v[8:9]
	v_mov_b32_e32 v8, 0
	v_mov_b32_e32 v9, 0
	v_add_co_u32 v12, s11, s20, v12
	v_add_co_ci_u32_e64 v13, null, s21, v13, s11
	s_or_b32 s11, s6, vcc_lo
	s_nor_b32 s11, s24, s11
	s_and_saveexec_b32 s26, s11
	s_cbranch_execz .LBB185_18
; %bb.17:
	v_lshlrev_b64 v[10:11], 3, v[6:7]
	v_add_co_u32 v10, s11, v12, v10
	v_add_co_ci_u32_e64 v11, null, v13, v11, s11
	global_load_dwordx2 v[10:11], v[10:11], off
	s_waitcnt vmcnt(0)
	v_mul_f64 v[10:11], s[16:17], v[10:11]
.LBB185_18:
	s_or_b32 exec_lo, exec_lo, s26
	s_or_b32 s11, s8, vcc_lo
	s_nor_b32 s26, s24, s11
	s_and_saveexec_b32 s11, s26
	s_cbranch_execz .LBB185_20
; %bb.19:
	v_lshlrev_b64 v[8:9], 3, v[6:7]
	v_add_co_u32 v8, vcc_lo, v12, v8
	v_add_co_ci_u32_e64 v9, null, v13, v9, vcc_lo
	global_load_dwordx2 v[8:9], v[8:9], off offset:512
	s_waitcnt vmcnt(0)
	v_mul_f64 v[8:9], s[16:17], v[8:9]
.LBB185_20:
	s_or_b32 exec_lo, exec_lo, s11
	v_or_b32_e32 v24, 4, v85
	v_mov_b32_e32 v14, 0
	v_mov_b32_e32 v15, 0
	v_min_i32_e32 v12, s23, v24
	v_cmp_le_i32_e32 vcc_lo, s42, v24
	v_ashrrev_i32_e32 v13, 31, v12
	v_lshlrev_b64 v[22:23], 3, v[12:13]
	v_mov_b32_e32 v12, 0
	v_mov_b32_e32 v13, 0
	v_add_co_u32 v22, s11, s18, v22
	v_add_co_ci_u32_e64 v23, null, s19, v23, s11
	s_or_b32 s11, vcc_lo, s9
	s_nor_b32 s11, s24, s11
	s_and_saveexec_b32 s26, s11
	s_cbranch_execz .LBB185_22
; %bb.21:
	s_waitcnt lgkmcnt(0)
	v_mad_i64_i32 v[14:15], null, v80, s25, 0
	v_lshlrev_b64 v[14:15], 3, v[14:15]
	v_add_co_u32 v14, s11, v22, v14
	v_add_co_ci_u32_e64 v15, null, v23, v15, s11
	global_load_dwordx2 v[14:15], v[14:15], off
	s_waitcnt vmcnt(0)
	v_mul_f64 v[14:15], s[16:17], v[14:15]
.LBB185_22:
	s_or_b32 exec_lo, exec_lo, s26
	s_or_b32 s11, vcc_lo, s10
	s_nor_b32 s26, s24, s11
	s_and_saveexec_b32 s11, s26
	s_cbranch_execz .LBB185_24
; %bb.23:
	s_waitcnt lgkmcnt(0)
	v_mad_i64_i32 v[12:13], null, v81, s25, 0
	v_lshlrev_b64 v[12:13], 3, v[12:13]
	v_add_co_u32 v12, vcc_lo, v22, v12
	v_add_co_ci_u32_e64 v13, null, v23, v13, vcc_lo
	global_load_dwordx2 v[12:13], v[12:13], off
	s_waitcnt vmcnt(0)
	v_mul_f64 v[12:13], s[16:17], v[12:13]
.LBB185_24:
	s_or_b32 exec_lo, exec_lo, s11
	v_lshlrev_b32_e32 v22, 3, v85
	v_lshlrev_b32_e32 v20, 5, v20
	;; [unrolled: 1-line block ×3, first 2 shown]
	v_lshl_or_b32 v89, v1, 5, 0x2000
	s_mov_b32 s11, 0
	v_lshl_or_b32 v82, v21, 5, v22
	v_lshl_add_u32 v86, v84, 3, v20
	s_addk_i32 s11, 0x100
	s_mov_b32 s26, 0
	v_add_nc_u32_e32 v88, 0x2000, v82
	ds_write2st64_b64 v86, v[4:5], v[2:3] offset1:4
	ds_write2st64_b64 v82, v[18:19], v[16:17] offset0:16 offset1:20
	s_waitcnt lgkmcnt(0)
	s_waitcnt_vscnt null, 0x0
	s_barrier
	buffer_gl0_inv
.LBB185_25:                             ; =>This Loop Header: Depth=1
                                        ;     Child Loop BB185_26 Depth 2
	s_lshl_b32 s27, s26, 3
	s_mov_b32 s28, 0
	v_add_nc_u32_e32 v16, s27, v87
	v_add_nc_u32_e32 v83, s27, v89
	s_mov_b32 s27, -1
	ds_read2_b64 v[2:5], v16 offset1:16
	ds_read2_b64 v[20:23], v16 offset0:32 offset1:48
	ds_read2_b64 v[24:27], v16 offset0:64 offset1:80
	;; [unrolled: 1-line block ×4, first 2 shown]
	v_add_nc_u32_e32 v76, 0x800, v16
	ds_read2_b64 v[36:39], v16 offset0:160 offset1:176
	ds_read2_b64 v[40:43], v16 offset0:192 offset1:208
	;; [unrolled: 1-line block ×3, first 2 shown]
	ds_read2_b64 v[48:51], v76 offset1:16
	ds_read2_b64 v[52:55], v76 offset0:32 offset1:48
	ds_read2_b64 v[56:59], v76 offset0:64 offset1:80
	ds_read2_b64 v[60:63], v76 offset0:96 offset1:112
	ds_read2_b64 v[64:67], v76 offset0:128 offset1:144
	ds_read2_b64 v[68:71], v76 offset0:160 offset1:176
	ds_read2_b64 v[72:75], v76 offset0:192 offset1:208
	s_waitcnt lgkmcnt(9)
	v_max_f64 v[36:37], v[36:37], v[36:37]
	v_max_f64 v[38:39], v[38:39], v[38:39]
	;; [unrolled: 1-line block ×4, first 2 shown]
	ds_read2_b64 v[2:5], v76 offset0:224 offset1:240
	v_max_f64 v[20:21], v[20:21], v[20:21]
	v_max_f64 v[22:23], v[22:23], v[22:23]
	;; [unrolled: 1-line block ×8, first 2 shown]
	s_waitcnt lgkmcnt(9)
	v_max_f64 v[40:41], v[40:41], v[40:41]
	v_max_f64 v[42:43], v[42:43], v[42:43]
	s_waitcnt lgkmcnt(8)
	v_max_f64 v[44:45], v[44:45], v[44:45]
	v_max_f64 v[46:47], v[46:47], v[46:47]
	;; [unrolled: 3-line block ×10, first 2 shown]
	ds_read2st64_b64 v[2:5], v83 offset1:4
.LBB185_26:                             ;   Parent Loop BB185_25 Depth=1
                                        ; =>  This Inner Loop Header: Depth=2
	v_mov_b32_e32 v83, s28
	s_waitcnt lgkmcnt(0)
	v_max_f64 v[2:3], v[2:3], v[2:3]
	s_and_b32 vcc_lo, exec_lo, s27
	s_mov_b32 s27, 0
	s_mov_b32 s28, s11
	s_clause 0xf
	buffer_load_dword v92, v83, s[0:3], 0 offen
	buffer_load_dword v93, v83, s[0:3], 0 offen offset:4
	buffer_load_dword v94, v83, s[0:3], 0 offen offset:8
	;; [unrolled: 1-line block ×15, first 2 shown]
	v_min_f64 v[90:91], v[16:17], v[2:3]
	s_waitcnt vmcnt(14)
	v_add_f64 v[90:91], v[90:91], v[92:93]
	buffer_store_dword v90, v83, s[0:3], 0 offen
	buffer_store_dword v91, v83, s[0:3], 0 offen offset:4
	v_min_f64 v[90:91], v[18:19], v[2:3]
	s_waitcnt vmcnt(12)
	v_add_f64 v[90:91], v[90:91], v[94:95]
	buffer_store_dword v90, v83, s[0:3], 0 offen offset:8
	buffer_store_dword v91, v83, s[0:3], 0 offen offset:12
	v_min_f64 v[90:91], v[20:21], v[2:3]
	s_waitcnt vmcnt(10)
	v_add_f64 v[90:91], v[90:91], v[96:97]
	buffer_store_dword v90, v83, s[0:3], 0 offen offset:16
	;; [unrolled: 5-line block ×7, first 2 shown]
	buffer_store_dword v91, v83, s[0:3], 0 offen offset:60
	s_clause 0x1
	buffer_load_dword v93, v83, s[0:3], 0 offen offset:68
	buffer_load_dword v92, v83, s[0:3], 0 offen offset:64
	v_min_f64 v[90:91], v[32:33], v[2:3]
	s_waitcnt vmcnt(0)
	v_add_f64 v[90:91], v[90:91], v[92:93]
	buffer_store_dword v91, v83, s[0:3], 0 offen offset:68
	buffer_store_dword v90, v83, s[0:3], 0 offen offset:64
	s_clause 0x1
	buffer_load_dword v92, v83, s[0:3], 0 offen offset:72
	buffer_load_dword v93, v83, s[0:3], 0 offen offset:76
	v_min_f64 v[90:91], v[34:35], v[2:3]
	s_waitcnt vmcnt(0)
	v_add_f64 v[90:91], v[90:91], v[92:93]
	buffer_store_dword v91, v83, s[0:3], 0 offen offset:76
	;; [unrolled: 8-line block ×22, first 2 shown]
	buffer_store_dword v90, v83, s[0:3], 0 offen offset:232
	s_clause 0x1
	buffer_load_dword v92, v83, s[0:3], 0 offen offset:240
	buffer_load_dword v93, v83, s[0:3], 0 offen offset:244
	v_min_f64 v[90:91], v[76:77], v[2:3]
	v_min_f64 v[2:3], v[78:79], v[2:3]
	s_waitcnt vmcnt(0)
	v_add_f64 v[90:91], v[90:91], v[92:93]
	buffer_store_dword v91, v83, s[0:3], 0 offen offset:244
	buffer_store_dword v90, v83, s[0:3], 0 offen offset:240
	s_clause 0x1
	buffer_load_dword v90, v83, s[0:3], 0 offen offset:248
	buffer_load_dword v91, v83, s[0:3], 0 offen offset:252
	s_waitcnt vmcnt(0)
	v_add_f64 v[2:3], v[2:3], v[90:91]
	buffer_store_dword v3, v83, s[0:3], 0 offen offset:252
	buffer_store_dword v2, v83, s[0:3], 0 offen offset:248
	v_mov_b32_e32 v2, v4
	v_mov_b32_e32 v3, v5
	s_cbranch_vccnz .LBB185_26
; %bb.27:                               ;   in Loop: Header=BB185_25 Depth=1
	s_add_i32 s26, s26, 1
	s_cmp_eq_u32 s26, 4
	s_cbranch_scc0 .LBB185_25
; %bb.28:
	v_lshl_add_u32 v90, v0, 5, 0x1000
	v_lshl_add_u32 v91, v1, 5, 0x3000
	s_cmp_lt_i32 s42, 9
	ds_write2st64_b64 v86, v[10:11], v[8:9] offset0:8 offset1:12
	ds_write2st64_b64 v82, v[14:15], v[12:13] offset0:24 offset1:28
	s_waitcnt lgkmcnt(0)
	s_waitcnt_vscnt null, 0x0
	s_barrier
	buffer_gl0_inv
	s_cbranch_scc1 .LBB185_55
; %bb.29:
	v_mad_i64_i32 v[2:3], null, v80, s25, 0
	v_mad_i64_i32 v[4:5], null, v81, s25, 0
	v_lshlrev_b64 v[70:71], 3, v[6:7]
	v_add_nc_u32_e32 v92, 0x1000, v86
	v_add_nc_u32_e32 v93, 0x3000, v82
	s_add_i32 s25, s42, -8
	v_lshlrev_b64 v[72:73], 3, v[2:3]
	s_or_b32 s26, s9, s24
	v_lshlrev_b64 v[74:75], 3, v[4:5]
	s_or_b32 s10, s10, s24
	s_mov_b32 s27, 8
	s_mov_b32 s28, 0
.LBB185_30:                             ; =>This Loop Header: Depth=1
                                        ;     Child Loop BB185_39 Depth 2
                                        ;       Child Loop BB185_40 Depth 3
                                        ;     Child Loop BB185_51 Depth 2
                                        ;       Child Loop BB185_52 Depth 3
	v_add_nc_u32_e32 v4, s27, v84
	v_mov_b32_e32 v6, 0
	v_mov_b32_e32 v8, 0
	;; [unrolled: 1-line block ×4, first 2 shown]
	v_min_i32_e32 v2, s23, v4
	v_cmp_le_i32_e32 vcc_lo, s42, v4
	v_mad_i64_i32 v[2:3], null, v2, s22, 0
	v_lshlrev_b64 v[2:3], 3, v[2:3]
	v_add_co_u32 v2, s9, s20, v2
	v_add_co_ci_u32_e64 v3, null, s21, v3, s9
	s_or_b32 s9, s6, vcc_lo
	s_nor_b32 s9, s24, s9
	s_and_saveexec_b32 s29, s9
	s_cbranch_execz .LBB185_32
; %bb.31:                               ;   in Loop: Header=BB185_30 Depth=1
	v_add_co_u32 v4, s9, v2, v70
	v_add_co_ci_u32_e64 v5, null, v3, v71, s9
	global_load_dwordx2 v[4:5], v[4:5], off
	s_waitcnt vmcnt(0)
	v_mul_f64 v[8:9], s[16:17], v[4:5]
.LBB185_32:                             ;   in Loop: Header=BB185_30 Depth=1
	s_or_b32 exec_lo, exec_lo, s29
	s_or_b32 s9, s8, vcc_lo
	s_nor_b32 s29, s24, s9
	s_and_saveexec_b32 s9, s29
	s_cbranch_execz .LBB185_34
; %bb.33:                               ;   in Loop: Header=BB185_30 Depth=1
	v_add_co_u32 v2, vcc_lo, v2, v70
	v_add_co_ci_u32_e64 v3, null, v3, v71, vcc_lo
	global_load_dwordx2 v[2:3], v[2:3], off offset:512
	s_waitcnt vmcnt(0)
	v_mul_f64 v[6:7], s[16:17], v[2:3]
.LBB185_34:                             ;   in Loop: Header=BB185_30 Depth=1
	s_or_b32 exec_lo, exec_lo, s9
	v_or_b32_e32 v94, s27, v85
	v_mov_b32_e32 v10, 0
	v_mov_b32_e32 v12, 0
	;; [unrolled: 1-line block ×4, first 2 shown]
	v_min_i32_e32 v2, s23, v94
	v_cmp_le_i32_e32 vcc_lo, s42, v94
	v_ashrrev_i32_e32 v3, 31, v2
	v_lshlrev_b64 v[2:3], 3, v[2:3]
	v_add_co_u32 v2, s9, s18, v2
	v_add_co_ci_u32_e64 v3, null, s19, v3, s9
	s_nor_b32 s9, vcc_lo, s26
	s_and_saveexec_b32 s29, s9
	s_cbranch_execz .LBB185_36
; %bb.35:                               ;   in Loop: Header=BB185_30 Depth=1
	v_add_co_u32 v4, s9, v2, v72
	v_add_co_ci_u32_e64 v5, null, v3, v73, s9
	global_load_dwordx2 v[4:5], v[4:5], off
	s_waitcnt vmcnt(0)
	v_mul_f64 v[12:13], s[16:17], v[4:5]
.LBB185_36:                             ;   in Loop: Header=BB185_30 Depth=1
	s_or_b32 exec_lo, exec_lo, s29
	s_nor_b32 s29, vcc_lo, s10
	s_and_saveexec_b32 s9, s29
	s_cbranch_execz .LBB185_38
; %bb.37:                               ;   in Loop: Header=BB185_30 Depth=1
	v_add_co_u32 v2, vcc_lo, v2, v74
	v_add_co_ci_u32_e64 v3, null, v3, v75, vcc_lo
	global_load_dwordx2 v[2:3], v[2:3], off
	s_waitcnt vmcnt(0)
	v_mul_f64 v[10:11], s[16:17], v[2:3]
.LBB185_38:                             ;   in Loop: Header=BB185_30 Depth=1
	s_or_b32 exec_lo, exec_lo, s9
	s_mov_b32 s9, 0
.LBB185_39:                             ;   Parent Loop BB185_30 Depth=1
                                        ; =>  This Loop Header: Depth=2
                                        ;       Child Loop BB185_40 Depth 3
	s_lshl_b32 s29, s9, 3
	s_mov_b32 s30, 0
	v_add_nc_u32_e32 v14, s29, v90
	v_add_nc_u32_e32 v95, s29, v91
	s_mov_b32 s29, -1
	ds_read2_b64 v[2:5], v14 offset1:16
	ds_read2_b64 v[18:21], v14 offset0:32 offset1:48
	ds_read2_b64 v[22:25], v14 offset0:64 offset1:80
	v_add_nc_u32_e32 v15, 0x800, v14
	ds_read2_b64 v[26:29], v14 offset0:96 offset1:112
	ds_read2_b64 v[30:33], v14 offset0:128 offset1:144
	;; [unrolled: 1-line block ×5, first 2 shown]
	ds_read2_b64 v[46:49], v15 offset1:16
	ds_read2_b64 v[50:53], v15 offset0:32 offset1:48
	ds_read2_b64 v[54:57], v15 offset0:64 offset1:80
	;; [unrolled: 1-line block ×7, first 2 shown]
	s_waitcnt lgkmcnt(11)
	v_max_f64 v[30:31], v[30:31], v[30:31]
	v_max_f64 v[32:33], v[32:33], v[32:33]
	s_waitcnt lgkmcnt(10)
	v_max_f64 v[34:35], v[34:35], v[34:35]
	v_max_f64 v[36:37], v[36:37], v[36:37]
	;; [unrolled: 3-line block ×3, first 2 shown]
	v_max_f64 v[14:15], v[2:3], v[2:3]
	v_max_f64 v[16:17], v[4:5], v[4:5]
	;; [unrolled: 1-line block ×8, first 2 shown]
	s_waitcnt lgkmcnt(8)
	v_max_f64 v[42:43], v[42:43], v[42:43]
	v_max_f64 v[44:45], v[44:45], v[44:45]
	s_waitcnt lgkmcnt(7)
	v_max_f64 v[46:47], v[46:47], v[46:47]
	v_max_f64 v[48:49], v[48:49], v[48:49]
	;; [unrolled: 3-line block ×9, first 2 shown]
	ds_read2st64_b64 v[2:5], v95 offset1:4
.LBB185_40:                             ;   Parent Loop BB185_30 Depth=1
                                        ;     Parent Loop BB185_39 Depth=2
                                        ; =>    This Inner Loop Header: Depth=3
	v_mov_b32_e32 v95, s30
	s_waitcnt lgkmcnt(0)
	v_max_f64 v[2:3], v[2:3], v[2:3]
	s_and_b32 vcc_lo, exec_lo, s29
	s_mov_b32 s29, 0
	s_mov_b32 s30, s11
	s_clause 0xf
	buffer_load_dword v98, v95, s[0:3], 0 offen
	buffer_load_dword v99, v95, s[0:3], 0 offen offset:4
	buffer_load_dword v100, v95, s[0:3], 0 offen offset:8
	;; [unrolled: 1-line block ×15, first 2 shown]
	v_min_f64 v[96:97], v[14:15], v[2:3]
	s_waitcnt vmcnt(14)
	v_add_f64 v[96:97], v[96:97], v[98:99]
	buffer_store_dword v96, v95, s[0:3], 0 offen
	buffer_store_dword v97, v95, s[0:3], 0 offen offset:4
	v_min_f64 v[96:97], v[16:17], v[2:3]
	s_waitcnt vmcnt(12)
	v_add_f64 v[96:97], v[96:97], v[100:101]
	buffer_store_dword v96, v95, s[0:3], 0 offen offset:8
	buffer_store_dword v97, v95, s[0:3], 0 offen offset:12
	v_min_f64 v[96:97], v[18:19], v[2:3]
	s_waitcnt vmcnt(10)
	v_add_f64 v[96:97], v[96:97], v[102:103]
	buffer_store_dword v96, v95, s[0:3], 0 offen offset:16
	;; [unrolled: 5-line block ×7, first 2 shown]
	buffer_store_dword v97, v95, s[0:3], 0 offen offset:60
	s_clause 0x1
	buffer_load_dword v99, v95, s[0:3], 0 offen offset:68
	buffer_load_dword v98, v95, s[0:3], 0 offen offset:64
	v_min_f64 v[96:97], v[30:31], v[2:3]
	s_waitcnt vmcnt(0)
	v_add_f64 v[96:97], v[96:97], v[98:99]
	buffer_store_dword v97, v95, s[0:3], 0 offen offset:68
	buffer_store_dword v96, v95, s[0:3], 0 offen offset:64
	s_clause 0x1
	buffer_load_dword v98, v95, s[0:3], 0 offen offset:72
	buffer_load_dword v99, v95, s[0:3], 0 offen offset:76
	v_min_f64 v[96:97], v[32:33], v[2:3]
	s_waitcnt vmcnt(0)
	v_add_f64 v[96:97], v[96:97], v[98:99]
	buffer_store_dword v97, v95, s[0:3], 0 offen offset:76
	;; [unrolled: 8-line block ×22, first 2 shown]
	buffer_store_dword v96, v95, s[0:3], 0 offen offset:232
	s_clause 0x1
	buffer_load_dword v98, v95, s[0:3], 0 offen offset:240
	buffer_load_dword v99, v95, s[0:3], 0 offen offset:244
	v_min_f64 v[96:97], v[80:81], v[2:3]
	v_min_f64 v[2:3], v[82:83], v[2:3]
	s_waitcnt vmcnt(0)
	v_add_f64 v[96:97], v[96:97], v[98:99]
	buffer_store_dword v97, v95, s[0:3], 0 offen offset:244
	buffer_store_dword v96, v95, s[0:3], 0 offen offset:240
	s_clause 0x1
	buffer_load_dword v96, v95, s[0:3], 0 offen offset:248
	buffer_load_dword v97, v95, s[0:3], 0 offen offset:252
	s_waitcnt vmcnt(0)
	v_add_f64 v[2:3], v[2:3], v[96:97]
	buffer_store_dword v3, v95, s[0:3], 0 offen offset:252
	buffer_store_dword v2, v95, s[0:3], 0 offen offset:248
	v_mov_b32_e32 v2, v4
	v_mov_b32_e32 v3, v5
	s_cbranch_vccnz .LBB185_40
; %bb.41:                               ;   in Loop: Header=BB185_39 Depth=2
	s_add_i32 s9, s9, 1
	s_cmp_eq_u32 s9, 4
	s_cbranch_scc0 .LBB185_39
; %bb.42:                               ;   in Loop: Header=BB185_30 Depth=1
	v_add3_u32 v4, v84, s27, 4
	v_mov_b32_e32 v76, 0
	v_mov_b32_e32 v78, 0
	;; [unrolled: 1-line block ×4, first 2 shown]
	v_min_i32_e32 v2, s23, v4
	v_cmp_le_i32_e32 vcc_lo, s42, v4
	ds_write2st64_b64 v86, v[8:9], v[6:7] offset1:4
	ds_write2st64_b64 v88, v[12:13], v[10:11] offset1:4
	s_waitcnt lgkmcnt(0)
	s_waitcnt_vscnt null, 0x0
	s_barrier
	v_mad_i64_i32 v[2:3], null, v2, s22, 0
	buffer_gl0_inv
	v_lshlrev_b64 v[2:3], 3, v[2:3]
	v_add_co_u32 v2, s9, s20, v2
	v_add_co_ci_u32_e64 v3, null, s21, v3, s9
	s_or_b32 s9, s6, vcc_lo
	s_nor_b32 s9, s24, s9
	s_and_saveexec_b32 s29, s9
	s_cbranch_execz .LBB185_44
; %bb.43:                               ;   in Loop: Header=BB185_30 Depth=1
	v_add_co_u32 v4, s9, v2, v70
	v_add_co_ci_u32_e64 v5, null, v3, v71, s9
	global_load_dwordx2 v[4:5], v[4:5], off
	s_waitcnt vmcnt(0)
	v_mul_f64 v[78:79], s[16:17], v[4:5]
.LBB185_44:                             ;   in Loop: Header=BB185_30 Depth=1
	s_or_b32 exec_lo, exec_lo, s29
	s_or_b32 s9, s8, vcc_lo
	s_nor_b32 s29, s24, s9
	s_and_saveexec_b32 s9, s29
	s_cbranch_execz .LBB185_46
; %bb.45:                               ;   in Loop: Header=BB185_30 Depth=1
	v_add_co_u32 v2, vcc_lo, v2, v70
	v_add_co_ci_u32_e64 v3, null, v3, v71, vcc_lo
	global_load_dwordx2 v[2:3], v[2:3], off offset:512
	s_waitcnt vmcnt(0)
	v_mul_f64 v[76:77], s[16:17], v[2:3]
.LBB185_46:                             ;   in Loop: Header=BB185_30 Depth=1
	s_or_b32 exec_lo, exec_lo, s9
	v_or_b32_e32 v4, 4, v94
	v_mov_b32_e32 v80, 0
	v_mov_b32_e32 v82, 0
	;; [unrolled: 1-line block ×4, first 2 shown]
	v_min_i32_e32 v2, s23, v4
	v_cmp_le_i32_e32 vcc_lo, s42, v4
	v_ashrrev_i32_e32 v3, 31, v2
	v_lshlrev_b64 v[2:3], 3, v[2:3]
	v_add_co_u32 v2, s9, s18, v2
	v_add_co_ci_u32_e64 v3, null, s19, v3, s9
	s_nor_b32 s9, vcc_lo, s26
	s_and_saveexec_b32 s29, s9
	s_cbranch_execz .LBB185_48
; %bb.47:                               ;   in Loop: Header=BB185_30 Depth=1
	v_add_co_u32 v4, s9, v2, v72
	v_add_co_ci_u32_e64 v5, null, v3, v73, s9
	global_load_dwordx2 v[4:5], v[4:5], off
	s_waitcnt vmcnt(0)
	v_mul_f64 v[82:83], s[16:17], v[4:5]
.LBB185_48:                             ;   in Loop: Header=BB185_30 Depth=1
	s_or_b32 exec_lo, exec_lo, s29
	s_nor_b32 s29, vcc_lo, s10
	s_and_saveexec_b32 s9, s29
	s_cbranch_execz .LBB185_50
; %bb.49:                               ;   in Loop: Header=BB185_30 Depth=1
	v_add_co_u32 v2, vcc_lo, v2, v74
	v_add_co_ci_u32_e64 v3, null, v3, v75, vcc_lo
	global_load_dwordx2 v[2:3], v[2:3], off
	s_waitcnt vmcnt(0)
	v_mul_f64 v[80:81], s[16:17], v[2:3]
.LBB185_50:                             ;   in Loop: Header=BB185_30 Depth=1
	s_or_b32 exec_lo, exec_lo, s9
	s_mov_b32 s9, 0
.LBB185_51:                             ;   Parent Loop BB185_30 Depth=1
                                        ; =>  This Loop Header: Depth=2
                                        ;       Child Loop BB185_52 Depth 3
	s_lshl_b32 s29, s9, 3
	s_mov_b32 s30, 0
	v_add_nc_u32_e32 v30, s29, v87
	v_add_nc_u32_e32 v66, s29, v89
	s_mov_b32 s29, -1
	ds_read2_b64 v[2:5], v30 offset1:16
	ds_read2_b64 v[6:9], v30 offset0:32 offset1:48
	ds_read2_b64 v[10:13], v30 offset0:64 offset1:80
	;; [unrolled: 1-line block ×3, first 2 shown]
	v_add_nc_u32_e32 v62, 0x800, v30
	ds_read2_b64 v[18:21], v30 offset0:128 offset1:144
	ds_read2_b64 v[22:25], v30 offset0:160 offset1:176
	;; [unrolled: 1-line block ×4, first 2 shown]
	ds_read2_b64 v[34:37], v62 offset1:16
	ds_read2_b64 v[38:41], v62 offset0:32 offset1:48
	ds_read2_b64 v[42:45], v62 offset0:64 offset1:80
	;; [unrolled: 1-line block ×7, first 2 shown]
	ds_read2st64_b64 v[66:69], v66 offset1:4
.LBB185_52:                             ;   Parent Loop BB185_30 Depth=1
                                        ;     Parent Loop BB185_51 Depth=2
                                        ; =>    This Inner Loop Header: Depth=3
	s_waitcnt lgkmcnt(16)
	v_max_f64 v[94:95], v[2:3], v[2:3]
	s_waitcnt lgkmcnt(0)
	v_max_f64 v[66:67], v[66:67], v[66:67]
	s_and_b32 vcc_lo, exec_lo, s29
	s_mov_b32 s29, 0
	v_min_f64 v[95:96], v[94:95], v[66:67]
	v_mov_b32_e32 v94, s30
	s_mov_b32 s30, s11
	s_clause 0xf
	buffer_load_dword v97, v94, s[0:3], 0 offen
	buffer_load_dword v98, v94, s[0:3], 0 offen offset:4
	buffer_load_dword v99, v94, s[0:3], 0 offen offset:8
	;; [unrolled: 1-line block ×15, first 2 shown]
	s_waitcnt vmcnt(14)
	v_add_f64 v[95:96], v[95:96], v[97:98]
	buffer_store_dword v95, v94, s[0:3], 0 offen
	buffer_store_dword v96, v94, s[0:3], 0 offen offset:4
	v_max_f64 v[95:96], v[4:5], v[4:5]
	v_min_f64 v[95:96], v[95:96], v[66:67]
	s_waitcnt vmcnt(12)
	v_add_f64 v[95:96], v[95:96], v[99:100]
	buffer_store_dword v95, v94, s[0:3], 0 offen offset:8
	buffer_store_dword v96, v94, s[0:3], 0 offen offset:12
	v_max_f64 v[95:96], v[6:7], v[6:7]
	v_min_f64 v[95:96], v[95:96], v[66:67]
	s_waitcnt vmcnt(10)
	v_add_f64 v[95:96], v[95:96], v[101:102]
	buffer_store_dword v95, v94, s[0:3], 0 offen offset:16
	;; [unrolled: 6-line block ×7, first 2 shown]
	buffer_store_dword v96, v94, s[0:3], 0 offen offset:60
	s_clause 0x1
	buffer_load_dword v98, v94, s[0:3], 0 offen offset:68
	buffer_load_dword v97, v94, s[0:3], 0 offen offset:64
	v_max_f64 v[95:96], v[18:19], v[18:19]
	v_min_f64 v[95:96], v[95:96], v[66:67]
	s_waitcnt vmcnt(0)
	v_add_f64 v[95:96], v[95:96], v[97:98]
	buffer_store_dword v96, v94, s[0:3], 0 offen offset:68
	buffer_store_dword v95, v94, s[0:3], 0 offen offset:64
	s_clause 0x1
	buffer_load_dword v97, v94, s[0:3], 0 offen offset:72
	buffer_load_dword v98, v94, s[0:3], 0 offen offset:76
	v_max_f64 v[95:96], v[20:21], v[20:21]
	v_min_f64 v[95:96], v[95:96], v[66:67]
	s_waitcnt vmcnt(0)
	v_add_f64 v[95:96], v[95:96], v[97:98]
	buffer_store_dword v96, v94, s[0:3], 0 offen offset:76
	;; [unrolled: 9-line block ×23, first 2 shown]
	buffer_store_dword v95, v94, s[0:3], 0 offen offset:240
	v_max_f64 v[95:96], v[64:65], v[64:65]
	v_min_f64 v[66:67], v[95:96], v[66:67]
	s_clause 0x1
	buffer_load_dword v95, v94, s[0:3], 0 offen offset:248
	buffer_load_dword v96, v94, s[0:3], 0 offen offset:252
	s_waitcnt vmcnt(0)
	v_add_f64 v[66:67], v[66:67], v[95:96]
	buffer_store_dword v67, v94, s[0:3], 0 offen offset:252
	buffer_store_dword v66, v94, s[0:3], 0 offen offset:248
	v_mov_b32_e32 v66, v68
	v_mov_b32_e32 v67, v69
	s_cbranch_vccnz .LBB185_52
; %bb.53:                               ;   in Loop: Header=BB185_51 Depth=2
	s_add_i32 s9, s9, 1
	s_cmp_eq_u32 s9, 4
	s_cbranch_scc0 .LBB185_51
; %bb.54:                               ;   in Loop: Header=BB185_30 Depth=1
	s_add_i32 s28, s28, 8
	s_add_i32 s27, s27, 8
	s_cmp_ge_i32 s28, s25
	ds_write2st64_b64 v92, v[78:79], v[76:77] offset1:4
	ds_write2st64_b64 v93, v[82:83], v[80:81] offset1:4
	s_waitcnt lgkmcnt(0)
	s_waitcnt_vscnt null, 0x0
	s_barrier
	buffer_gl0_inv
	s_cbranch_scc0 .LBB185_30
.LBB185_55:
	s_mov_b32 s6, 0
.LBB185_56:                             ; =>This Loop Header: Depth=1
                                        ;     Child Loop BB185_57 Depth 2
	s_lshl_b32 s8, s6, 3
	s_mov_b32 s9, 0
	v_add_nc_u32_e32 v6, s8, v90
	v_add_nc_u32_e32 v70, s8, v91
	s_mov_b32 s8, -1
	ds_read2_b64 v[2:5], v6 offset1:16
	ds_read2_b64 v[10:13], v6 offset0:32 offset1:48
	ds_read2_b64 v[14:17], v6 offset0:64 offset1:80
	v_add_nc_u32_e32 v7, 0x800, v6
	ds_read2_b64 v[18:21], v6 offset0:96 offset1:112
	ds_read2_b64 v[22:25], v6 offset0:128 offset1:144
	;; [unrolled: 1-line block ×5, first 2 shown]
	ds_read2_b64 v[38:41], v7 offset1:16
	ds_read2_b64 v[42:45], v7 offset0:32 offset1:48
	ds_read2_b64 v[46:49], v7 offset0:64 offset1:80
	;; [unrolled: 1-line block ×7, first 2 shown]
	s_waitcnt lgkmcnt(11)
	v_max_f64 v[22:23], v[22:23], v[22:23]
	v_max_f64 v[24:25], v[24:25], v[24:25]
	s_waitcnt lgkmcnt(10)
	v_max_f64 v[26:27], v[26:27], v[26:27]
	v_max_f64 v[28:29], v[28:29], v[28:29]
	;; [unrolled: 3-line block ×3, first 2 shown]
	v_max_f64 v[6:7], v[2:3], v[2:3]
	v_max_f64 v[8:9], v[4:5], v[4:5]
	;; [unrolled: 1-line block ×8, first 2 shown]
	s_waitcnt lgkmcnt(8)
	v_max_f64 v[34:35], v[34:35], v[34:35]
	v_max_f64 v[36:37], v[36:37], v[36:37]
	s_waitcnt lgkmcnt(7)
	v_max_f64 v[38:39], v[38:39], v[38:39]
	v_max_f64 v[40:41], v[40:41], v[40:41]
	;; [unrolled: 3-line block ×9, first 2 shown]
	ds_read2st64_b64 v[2:5], v70 offset1:4
.LBB185_57:                             ;   Parent Loop BB185_56 Depth=1
                                        ; =>  This Inner Loop Header: Depth=2
	v_mov_b32_e32 v70, s9
	s_waitcnt lgkmcnt(0)
	v_max_f64 v[2:3], v[2:3], v[2:3]
	s_and_b32 vcc_lo, exec_lo, s8
	s_mov_b32 s8, 0
	s_mov_b32 s9, s11
	s_clause 0xf
	buffer_load_dword v73, v70, s[0:3], 0 offen
	buffer_load_dword v74, v70, s[0:3], 0 offen offset:4
	buffer_load_dword v75, v70, s[0:3], 0 offen offset:8
	;; [unrolled: 1-line block ×15, first 2 shown]
	v_min_f64 v[71:72], v[6:7], v[2:3]
	s_waitcnt vmcnt(14)
	v_add_f64 v[71:72], v[71:72], v[73:74]
	buffer_store_dword v71, v70, s[0:3], 0 offen
	buffer_store_dword v72, v70, s[0:3], 0 offen offset:4
	v_min_f64 v[71:72], v[8:9], v[2:3]
	s_waitcnt vmcnt(12)
	v_add_f64 v[71:72], v[71:72], v[75:76]
	buffer_store_dword v71, v70, s[0:3], 0 offen offset:8
	buffer_store_dword v72, v70, s[0:3], 0 offen offset:12
	v_min_f64 v[71:72], v[10:11], v[2:3]
	s_waitcnt vmcnt(10)
	v_add_f64 v[71:72], v[71:72], v[77:78]
	buffer_store_dword v71, v70, s[0:3], 0 offen offset:16
	buffer_store_dword v72, v70, s[0:3], 0 offen offset:20
	v_min_f64 v[71:72], v[12:13], v[2:3]
	s_waitcnt vmcnt(8)
	v_add_f64 v[71:72], v[71:72], v[79:80]
	buffer_store_dword v71, v70, s[0:3], 0 offen offset:24
	buffer_store_dword v72, v70, s[0:3], 0 offen offset:28
	v_min_f64 v[71:72], v[14:15], v[2:3]
	s_waitcnt vmcnt(6)
	v_add_f64 v[71:72], v[71:72], v[81:82]
	buffer_store_dword v71, v70, s[0:3], 0 offen offset:32
	buffer_store_dword v72, v70, s[0:3], 0 offen offset:36
	v_min_f64 v[71:72], v[16:17], v[2:3]
	s_waitcnt vmcnt(4)
	v_add_f64 v[71:72], v[71:72], v[83:84]
	buffer_store_dword v71, v70, s[0:3], 0 offen offset:40
	buffer_store_dword v72, v70, s[0:3], 0 offen offset:44
	v_min_f64 v[71:72], v[18:19], v[2:3]
	s_waitcnt vmcnt(2)
	v_add_f64 v[71:72], v[71:72], v[85:86]
	buffer_store_dword v71, v70, s[0:3], 0 offen offset:48
	buffer_store_dword v72, v70, s[0:3], 0 offen offset:52
	v_min_f64 v[71:72], v[20:21], v[2:3]
	s_waitcnt vmcnt(0)
	v_add_f64 v[71:72], v[71:72], v[87:88]
	buffer_store_dword v71, v70, s[0:3], 0 offen offset:56
	buffer_store_dword v72, v70, s[0:3], 0 offen offset:60
	s_clause 0x1
	buffer_load_dword v74, v70, s[0:3], 0 offen offset:68
	buffer_load_dword v73, v70, s[0:3], 0 offen offset:64
	v_min_f64 v[71:72], v[22:23], v[2:3]
	s_waitcnt vmcnt(0)
	v_add_f64 v[71:72], v[71:72], v[73:74]
	buffer_store_dword v72, v70, s[0:3], 0 offen offset:68
	buffer_store_dword v71, v70, s[0:3], 0 offen offset:64
	s_clause 0x1
	buffer_load_dword v73, v70, s[0:3], 0 offen offset:72
	buffer_load_dword v74, v70, s[0:3], 0 offen offset:76
	v_min_f64 v[71:72], v[24:25], v[2:3]
	s_waitcnt vmcnt(0)
	v_add_f64 v[71:72], v[71:72], v[73:74]
	buffer_store_dword v72, v70, s[0:3], 0 offen offset:76
	;; [unrolled: 8-line block ×22, first 2 shown]
	buffer_store_dword v71, v70, s[0:3], 0 offen offset:232
	s_clause 0x1
	buffer_load_dword v73, v70, s[0:3], 0 offen offset:240
	buffer_load_dword v74, v70, s[0:3], 0 offen offset:244
	v_min_f64 v[71:72], v[66:67], v[2:3]
	v_min_f64 v[2:3], v[68:69], v[2:3]
	s_waitcnt vmcnt(0)
	v_add_f64 v[71:72], v[71:72], v[73:74]
	buffer_store_dword v72, v70, s[0:3], 0 offen offset:244
	buffer_store_dword v71, v70, s[0:3], 0 offen offset:240
	s_clause 0x1
	buffer_load_dword v71, v70, s[0:3], 0 offen offset:248
	buffer_load_dword v72, v70, s[0:3], 0 offen offset:252
	s_waitcnt vmcnt(0)
	v_add_f64 v[2:3], v[2:3], v[71:72]
	buffer_store_dword v3, v70, s[0:3], 0 offen offset:252
	buffer_store_dword v2, v70, s[0:3], 0 offen offset:248
	v_mov_b32_e32 v2, v4
	v_mov_b32_e32 v3, v5
	s_cbranch_vccnz .LBB185_57
; %bb.58:                               ;   in Loop: Header=BB185_56 Depth=1
	s_add_i32 s6, s6, 1
	s_cmp_eq_u32 s6, 4
	s_cbranch_scc0 .LBB185_56
; %bb.59:
	s_clause 0x2
	s_load_dwordx2 s[8:9], s[4:5], 0x78
	s_load_dword s43, s[4:5], 0x58
	s_load_dword s42, s[4:5], 0x70
	v_add_nc_u32_e32 v71, s13, v1
	v_add_nc_u32_e32 v0, s12, v0
	v_cndmask_b32_e64 v70, 0, 1, s46
	v_cmp_gt_i32_e64 s13, s41, v71
	s_waitcnt lgkmcnt(0)
	s_mul_i32 s4, s9, s7
	v_mad_i64_i32 v[1:2], null, v71, s43, 0
	v_mad_i64_i32 v[3:4], null, v71, s42, 0
	s_mul_hi_u32 s5, s8, s7
	s_mul_i32 s6, s8, s7
	s_add_i32 s7, s5, s4
	v_cmp_gt_i32_e64 s4, s40, v0
	v_lshlrev_b64 v[5:6], 3, v[1:2]
	s_lshl_b64 s[6:7], s[6:7], 3
	v_lshlrev_b64 v[2:3], 3, v[3:4]
	s_add_u32 s47, s14, s6
	s_addc_u32 s48, s15, s7
	v_ashrrev_i32_e32 v1, 31, v0
	v_add_co_u32 v68, vcc_lo, s44, v5
	v_add_co_ci_u32_e64 v69, null, s45, v6, vcc_lo
	v_add_co_u32 v72, vcc_lo, s47, v2
	v_add_co_ci_u32_e64 v73, null, s48, v3, vcc_lo
	s_and_b32 s6, s13, s4
	s_and_saveexec_b32 s5, s6
	s_cbranch_execz .LBB185_64
; %bb.60:
	s_clause 0x1
	buffer_load_dword v2, off, s[0:3], 0
	buffer_load_dword v3, off, s[0:3], 0 offset:4
	v_lshlrev_b64 v[4:5], 3, v[0:1]
	s_andn2_b32 vcc_lo, exec_lo, s46
	s_cbranch_vccnz .LBB185_62
; %bb.61:
	v_add_co_u32 v6, vcc_lo, v68, v4
	v_add_co_ci_u32_e64 v7, null, v69, v5, vcc_lo
	global_load_dwordx2 v[6:7], v[6:7], off
	s_waitcnt vmcnt(0)
	v_mul_f64 v[6:7], s[38:39], v[6:7]
	s_branch .LBB185_63
.LBB185_62:
	v_mov_b32_e32 v6, 0
	v_mov_b32_e32 v7, 0
.LBB185_63:
	s_waitcnt vmcnt(0)
	v_add_f64 v[2:3], v[2:3], v[6:7]
	v_add_co_u32 v4, vcc_lo, v72, v4
	v_add_co_ci_u32_e64 v5, null, v73, v5, vcc_lo
	global_store_dwordx2 v[4:5], v[2:3], off
.LBB185_64:
	s_or_b32 exec_lo, exec_lo, s5
	v_add_nc_u32_e32 v2, 4, v0
	v_cmp_gt_i32_e64 s5, s40, v2
	v_ashrrev_i32_e32 v3, 31, v2
	s_and_b32 s7, s13, s5
	s_and_saveexec_b32 s6, s7
	s_cbranch_execz .LBB185_69
; %bb.65:
	s_clause 0x1
	buffer_load_dword v4, off, s[0:3], 0 offset:8
	buffer_load_dword v5, off, s[0:3], 0 offset:12
	v_lshlrev_b64 v[6:7], 3, v[2:3]
	s_andn2_b32 vcc_lo, exec_lo, s46
	s_cbranch_vccnz .LBB185_67
; %bb.66:
	v_add_co_u32 v8, vcc_lo, v68, v6
	v_add_co_ci_u32_e64 v9, null, v69, v7, vcc_lo
	global_load_dwordx2 v[8:9], v[8:9], off
	s_waitcnt vmcnt(0)
	v_mul_f64 v[8:9], s[38:39], v[8:9]
	s_branch .LBB185_68
.LBB185_67:
	v_mov_b32_e32 v8, 0
	v_mov_b32_e32 v9, 0
.LBB185_68:
	s_waitcnt vmcnt(0)
	v_add_f64 v[4:5], v[4:5], v[8:9]
	v_add_co_u32 v6, vcc_lo, v72, v6
	v_add_co_ci_u32_e64 v7, null, v73, v7, vcc_lo
	global_store_dwordx2 v[6:7], v[4:5], off
.LBB185_69:
	s_or_b32 exec_lo, exec_lo, s6
	v_add_nc_u32_e32 v4, 8, v0
	v_cmp_gt_i32_e64 s6, s40, v4
	v_ashrrev_i32_e32 v5, 31, v4
	s_and_b32 s8, s13, s6
	s_and_saveexec_b32 s7, s8
	s_cbranch_execz .LBB185_74
; %bb.70:
	s_clause 0x1
	buffer_load_dword v6, off, s[0:3], 0 offset:16
	buffer_load_dword v7, off, s[0:3], 0 offset:20
	v_lshlrev_b64 v[8:9], 3, v[4:5]
	s_andn2_b32 vcc_lo, exec_lo, s46
	s_cbranch_vccnz .LBB185_72
; %bb.71:
	v_add_co_u32 v10, vcc_lo, v68, v8
	v_add_co_ci_u32_e64 v11, null, v69, v9, vcc_lo
	global_load_dwordx2 v[10:11], v[10:11], off
	s_waitcnt vmcnt(0)
	v_mul_f64 v[10:11], s[38:39], v[10:11]
	s_branch .LBB185_73
.LBB185_72:
	v_mov_b32_e32 v10, 0
	v_mov_b32_e32 v11, 0
.LBB185_73:
	s_waitcnt vmcnt(0)
	v_add_f64 v[6:7], v[6:7], v[10:11]
	v_add_co_u32 v8, vcc_lo, v72, v8
	v_add_co_ci_u32_e64 v9, null, v73, v9, vcc_lo
	global_store_dwordx2 v[8:9], v[6:7], off
.LBB185_74:
	;; [unrolled: 31-line block ×31, first 2 shown]
	s_or_b32 exec_lo, exec_lo, s13
	v_add_nc_u32_e32 v68, 64, v71
	v_mad_i64_i32 v[64:65], null, v68, s43, 0
	v_mad_i64_i32 v[66:67], null, v68, s42, 0
	v_cmp_gt_i32_e64 s13, s41, v68
	v_lshlrev_b64 v[64:65], 3, v[64:65]
	s_and_b32 s4, s13, s4
	v_lshlrev_b64 v[66:67], 3, v[66:67]
	v_add_co_u32 v71, vcc_lo, s44, v64
	v_add_co_ci_u32_e64 v72, null, s45, v65, vcc_lo
	v_add_co_u32 v68, vcc_lo, s47, v66
	v_add_co_ci_u32_e64 v69, null, s48, v67, vcc_lo
	s_and_saveexec_b32 s40, s4
	s_xor_b32 s4, exec_lo, s40
	s_cbranch_execnz .LBB185_252
; %bb.220:
	s_or_b32 exec_lo, exec_lo, s4
	s_and_b32 s5, s13, s5
	s_and_saveexec_b32 s4, s5
	s_cbranch_execnz .LBB185_256
.LBB185_221:
	s_or_b32 exec_lo, exec_lo, s4
	s_and_b32 s5, s13, s6
	s_and_saveexec_b32 s4, s5
	s_cbranch_execnz .LBB185_260
.LBB185_222:
	s_or_b32 exec_lo, exec_lo, s4
	s_and_b32 s5, s13, s7
	s_and_saveexec_b32 s4, s5
	s_cbranch_execnz .LBB185_264
.LBB185_223:
	s_or_b32 exec_lo, exec_lo, s4
	s_and_b32 s5, s13, s8
	s_and_saveexec_b32 s4, s5
	s_cbranch_execnz .LBB185_268
.LBB185_224:
	s_or_b32 exec_lo, exec_lo, s4
	s_and_b32 s5, s13, s9
	s_and_saveexec_b32 s4, s5
	s_cbranch_execnz .LBB185_272
.LBB185_225:
	s_or_b32 exec_lo, exec_lo, s4
	s_and_b32 s5, s13, s10
	s_and_saveexec_b32 s4, s5
	s_cbranch_execnz .LBB185_276
.LBB185_226:
	s_or_b32 exec_lo, exec_lo, s4
	s_and_b32 s5, s13, s11
	s_and_saveexec_b32 s4, s5
	s_cbranch_execnz .LBB185_280
.LBB185_227:
	s_or_b32 exec_lo, exec_lo, s4
	s_and_b32 s5, s13, s12
	s_and_saveexec_b32 s4, s5
	s_cbranch_execnz .LBB185_284
.LBB185_228:
	s_or_b32 exec_lo, exec_lo, s4
	s_and_b32 s5, s13, s14
	s_and_saveexec_b32 s4, s5
	s_cbranch_execnz .LBB185_288
.LBB185_229:
	s_or_b32 exec_lo, exec_lo, s4
	s_and_b32 s5, s13, s15
	s_and_saveexec_b32 s4, s5
	s_cbranch_execnz .LBB185_292
.LBB185_230:
	s_or_b32 exec_lo, exec_lo, s4
	s_and_b32 s5, s13, s16
	s_and_saveexec_b32 s4, s5
	s_cbranch_execnz .LBB185_296
.LBB185_231:
	s_or_b32 exec_lo, exec_lo, s4
	s_and_b32 s5, s13, s17
	s_and_saveexec_b32 s4, s5
	s_cbranch_execnz .LBB185_300
.LBB185_232:
	s_or_b32 exec_lo, exec_lo, s4
	s_and_b32 s5, s13, s18
	s_and_saveexec_b32 s4, s5
	s_cbranch_execnz .LBB185_304
.LBB185_233:
	s_or_b32 exec_lo, exec_lo, s4
	s_and_b32 s5, s13, s19
	s_and_saveexec_b32 s4, s5
	s_cbranch_execnz .LBB185_308
.LBB185_234:
	s_or_b32 exec_lo, exec_lo, s4
	s_and_b32 s5, s13, s20
	s_and_saveexec_b32 s4, s5
	s_cbranch_execnz .LBB185_312
.LBB185_235:
	s_or_b32 exec_lo, exec_lo, s4
	s_and_b32 s5, s13, s21
	s_and_saveexec_b32 s4, s5
	s_cbranch_execnz .LBB185_316
.LBB185_236:
	s_or_b32 exec_lo, exec_lo, s4
	s_and_b32 s5, s13, s22
	s_and_saveexec_b32 s4, s5
	s_cbranch_execnz .LBB185_320
.LBB185_237:
	s_or_b32 exec_lo, exec_lo, s4
	s_and_b32 s5, s13, s23
	s_and_saveexec_b32 s4, s5
	s_cbranch_execnz .LBB185_324
.LBB185_238:
	s_or_b32 exec_lo, exec_lo, s4
	s_and_b32 s5, s13, s24
	s_and_saveexec_b32 s4, s5
	s_cbranch_execnz .LBB185_328
.LBB185_239:
	s_or_b32 exec_lo, exec_lo, s4
	s_and_b32 s5, s13, s25
	s_and_saveexec_b32 s4, s5
	s_cbranch_execnz .LBB185_332
.LBB185_240:
	s_or_b32 exec_lo, exec_lo, s4
	s_and_b32 s5, s13, s26
	s_and_saveexec_b32 s4, s5
	s_cbranch_execnz .LBB185_336
.LBB185_241:
	s_or_b32 exec_lo, exec_lo, s4
	s_and_b32 s5, s13, s27
	s_and_saveexec_b32 s4, s5
	s_cbranch_execnz .LBB185_340
.LBB185_242:
	s_or_b32 exec_lo, exec_lo, s4
	s_and_b32 s5, s13, s28
	s_and_saveexec_b32 s4, s5
	s_cbranch_execnz .LBB185_344
.LBB185_243:
	s_or_b32 exec_lo, exec_lo, s4
	s_and_b32 s5, s13, s29
	s_and_saveexec_b32 s4, s5
	s_cbranch_execnz .LBB185_348
.LBB185_244:
	s_or_b32 exec_lo, exec_lo, s4
	s_and_b32 s5, s13, s30
	s_and_saveexec_b32 s4, s5
	s_cbranch_execnz .LBB185_352
.LBB185_245:
	s_or_b32 exec_lo, exec_lo, s4
	s_and_b32 s5, s13, s31
	s_and_saveexec_b32 s4, s5
	s_cbranch_execnz .LBB185_356
.LBB185_246:
	s_or_b32 exec_lo, exec_lo, s4
	s_and_b32 s5, s13, s33
	s_and_saveexec_b32 s4, s5
	s_cbranch_execnz .LBB185_360
.LBB185_247:
	s_or_b32 exec_lo, exec_lo, s4
	s_and_b32 s5, s13, s34
	s_and_saveexec_b32 s4, s5
	s_cbranch_execnz .LBB185_364
.LBB185_248:
	s_or_b32 exec_lo, exec_lo, s4
	s_and_b32 s5, s13, s35
	s_and_saveexec_b32 s4, s5
	s_cbranch_execnz .LBB185_368
.LBB185_249:
	s_or_b32 exec_lo, exec_lo, s4
	s_and_b32 s5, s13, s36
	s_and_saveexec_b32 s4, s5
	s_cbranch_execnz .LBB185_372
.LBB185_250:
	s_or_b32 exec_lo, exec_lo, s4
	s_and_b32 s4, s13, s37
	s_and_saveexec_b32 s5, s4
	s_cbranch_execnz .LBB185_376
.LBB185_251:
	s_endpgm
.LBB185_252:
	s_clause 0x1
	buffer_load_dword v64, off, s[0:3], 0 offset:256
	buffer_load_dword v65, off, s[0:3], 0 offset:260
	v_lshlrev_b64 v[0:1], 3, v[0:1]
	s_andn2_b32 vcc_lo, exec_lo, s46
	s_cbranch_vccnz .LBB185_254
; %bb.253:
	v_add_co_u32 v66, vcc_lo, v71, v0
	v_add_co_ci_u32_e64 v67, null, v72, v1, vcc_lo
	global_load_dwordx2 v[66:67], v[66:67], off
	s_waitcnt vmcnt(0)
	v_mul_f64 v[66:67], s[38:39], v[66:67]
	s_branch .LBB185_255
.LBB185_254:
	v_mov_b32_e32 v66, 0
	v_mov_b32_e32 v67, 0
.LBB185_255:
	s_waitcnt vmcnt(0)
	v_add_f64 v[64:65], v[64:65], v[66:67]
	v_add_co_u32 v0, vcc_lo, v68, v0
	v_add_co_ci_u32_e64 v1, null, v69, v1, vcc_lo
	global_store_dwordx2 v[0:1], v[64:65], off
	s_or_b32 exec_lo, exec_lo, s4
	s_and_b32 s5, s13, s5
	s_and_saveexec_b32 s4, s5
	s_cbranch_execz .LBB185_221
.LBB185_256:
	s_clause 0x1
	buffer_load_dword v0, off, s[0:3], 0 offset:264
	buffer_load_dword v1, off, s[0:3], 0 offset:268
	v_cmp_ne_u32_e32 vcc_lo, 1, v70
	v_lshlrev_b64 v[2:3], 3, v[2:3]
	s_cbranch_vccnz .LBB185_258
; %bb.257:
	v_add_co_u32 v64, vcc_lo, v71, v2
	v_add_co_ci_u32_e64 v65, null, v72, v3, vcc_lo
	global_load_dwordx2 v[64:65], v[64:65], off
	s_waitcnt vmcnt(0)
	v_mul_f64 v[64:65], s[38:39], v[64:65]
	s_branch .LBB185_259
.LBB185_258:
	v_mov_b32_e32 v64, 0
	v_mov_b32_e32 v65, 0
.LBB185_259:
	s_waitcnt vmcnt(0)
	v_add_f64 v[0:1], v[0:1], v[64:65]
	v_add_co_u32 v2, vcc_lo, v68, v2
	v_add_co_ci_u32_e64 v3, null, v69, v3, vcc_lo
	global_store_dwordx2 v[2:3], v[0:1], off
	s_or_b32 exec_lo, exec_lo, s4
	s_and_b32 s5, s13, s6
	s_and_saveexec_b32 s4, s5
	s_cbranch_execz .LBB185_222
.LBB185_260:
	s_clause 0x1
	buffer_load_dword v0, off, s[0:3], 0 offset:272
	buffer_load_dword v1, off, s[0:3], 0 offset:276
	v_cmp_ne_u32_e32 vcc_lo, 1, v70
	v_lshlrev_b64 v[2:3], 3, v[4:5]
	s_cbranch_vccnz .LBB185_262
; %bb.261:
	v_add_co_u32 v4, vcc_lo, v71, v2
	v_add_co_ci_u32_e64 v5, null, v72, v3, vcc_lo
	global_load_dwordx2 v[4:5], v[4:5], off
	s_waitcnt vmcnt(0)
	v_mul_f64 v[4:5], s[38:39], v[4:5]
	s_branch .LBB185_263
.LBB185_262:
	v_mov_b32_e32 v4, 0
	v_mov_b32_e32 v5, 0
.LBB185_263:
	s_waitcnt vmcnt(0)
	v_add_f64 v[0:1], v[0:1], v[4:5]
	v_add_co_u32 v2, vcc_lo, v68, v2
	v_add_co_ci_u32_e64 v3, null, v69, v3, vcc_lo
	global_store_dwordx2 v[2:3], v[0:1], off
	s_or_b32 exec_lo, exec_lo, s4
	s_and_b32 s5, s13, s7
	s_and_saveexec_b32 s4, s5
	s_cbranch_execz .LBB185_223
.LBB185_264:
	s_clause 0x1
	buffer_load_dword v0, off, s[0:3], 0 offset:280
	buffer_load_dword v1, off, s[0:3], 0 offset:284
	v_cmp_ne_u32_e32 vcc_lo, 1, v70
	v_lshlrev_b64 v[2:3], 3, v[6:7]
	s_cbranch_vccnz .LBB185_266
; %bb.265:
	v_add_co_u32 v4, vcc_lo, v71, v2
	v_add_co_ci_u32_e64 v5, null, v72, v3, vcc_lo
	global_load_dwordx2 v[4:5], v[4:5], off
	s_waitcnt vmcnt(0)
	v_mul_f64 v[4:5], s[38:39], v[4:5]
	s_branch .LBB185_267
.LBB185_266:
	v_mov_b32_e32 v4, 0
	v_mov_b32_e32 v5, 0
.LBB185_267:
	s_waitcnt vmcnt(0)
	v_add_f64 v[0:1], v[0:1], v[4:5]
	v_add_co_u32 v2, vcc_lo, v68, v2
	v_add_co_ci_u32_e64 v3, null, v69, v3, vcc_lo
	global_store_dwordx2 v[2:3], v[0:1], off
	s_or_b32 exec_lo, exec_lo, s4
	s_and_b32 s5, s13, s8
	s_and_saveexec_b32 s4, s5
	s_cbranch_execz .LBB185_224
.LBB185_268:
	s_clause 0x1
	buffer_load_dword v0, off, s[0:3], 0 offset:288
	buffer_load_dword v1, off, s[0:3], 0 offset:292
	v_cmp_ne_u32_e32 vcc_lo, 1, v70
	v_lshlrev_b64 v[2:3], 3, v[8:9]
	s_cbranch_vccnz .LBB185_270
; %bb.269:
	v_add_co_u32 v4, vcc_lo, v71, v2
	v_add_co_ci_u32_e64 v5, null, v72, v3, vcc_lo
	global_load_dwordx2 v[4:5], v[4:5], off
	s_waitcnt vmcnt(0)
	v_mul_f64 v[4:5], s[38:39], v[4:5]
	s_branch .LBB185_271
.LBB185_270:
	v_mov_b32_e32 v4, 0
	v_mov_b32_e32 v5, 0
.LBB185_271:
	s_waitcnt vmcnt(0)
	v_add_f64 v[0:1], v[0:1], v[4:5]
	v_add_co_u32 v2, vcc_lo, v68, v2
	v_add_co_ci_u32_e64 v3, null, v69, v3, vcc_lo
	global_store_dwordx2 v[2:3], v[0:1], off
	s_or_b32 exec_lo, exec_lo, s4
	s_and_b32 s5, s13, s9
	s_and_saveexec_b32 s4, s5
	s_cbranch_execz .LBB185_225
.LBB185_272:
	s_clause 0x1
	buffer_load_dword v0, off, s[0:3], 0 offset:296
	buffer_load_dword v1, off, s[0:3], 0 offset:300
	v_cmp_ne_u32_e32 vcc_lo, 1, v70
	v_lshlrev_b64 v[2:3], 3, v[10:11]
	s_cbranch_vccnz .LBB185_274
; %bb.273:
	v_add_co_u32 v4, vcc_lo, v71, v2
	v_add_co_ci_u32_e64 v5, null, v72, v3, vcc_lo
	global_load_dwordx2 v[4:5], v[4:5], off
	s_waitcnt vmcnt(0)
	v_mul_f64 v[4:5], s[38:39], v[4:5]
	s_branch .LBB185_275
.LBB185_274:
	v_mov_b32_e32 v4, 0
	v_mov_b32_e32 v5, 0
.LBB185_275:
	s_waitcnt vmcnt(0)
	v_add_f64 v[0:1], v[0:1], v[4:5]
	v_add_co_u32 v2, vcc_lo, v68, v2
	v_add_co_ci_u32_e64 v3, null, v69, v3, vcc_lo
	global_store_dwordx2 v[2:3], v[0:1], off
	s_or_b32 exec_lo, exec_lo, s4
	s_and_b32 s5, s13, s10
	s_and_saveexec_b32 s4, s5
	s_cbranch_execz .LBB185_226
.LBB185_276:
	s_clause 0x1
	buffer_load_dword v0, off, s[0:3], 0 offset:304
	buffer_load_dword v1, off, s[0:3], 0 offset:308
	v_cmp_ne_u32_e32 vcc_lo, 1, v70
	v_lshlrev_b64 v[2:3], 3, v[12:13]
	s_cbranch_vccnz .LBB185_278
; %bb.277:
	v_add_co_u32 v4, vcc_lo, v71, v2
	v_add_co_ci_u32_e64 v5, null, v72, v3, vcc_lo
	global_load_dwordx2 v[4:5], v[4:5], off
	s_waitcnt vmcnt(0)
	v_mul_f64 v[4:5], s[38:39], v[4:5]
	s_branch .LBB185_279
.LBB185_278:
	v_mov_b32_e32 v4, 0
	v_mov_b32_e32 v5, 0
.LBB185_279:
	s_waitcnt vmcnt(0)
	v_add_f64 v[0:1], v[0:1], v[4:5]
	v_add_co_u32 v2, vcc_lo, v68, v2
	v_add_co_ci_u32_e64 v3, null, v69, v3, vcc_lo
	global_store_dwordx2 v[2:3], v[0:1], off
	s_or_b32 exec_lo, exec_lo, s4
	s_and_b32 s5, s13, s11
	s_and_saveexec_b32 s4, s5
	s_cbranch_execz .LBB185_227
.LBB185_280:
	s_clause 0x1
	buffer_load_dword v0, off, s[0:3], 0 offset:312
	buffer_load_dword v1, off, s[0:3], 0 offset:316
	v_cmp_ne_u32_e32 vcc_lo, 1, v70
	v_lshlrev_b64 v[2:3], 3, v[14:15]
	s_cbranch_vccnz .LBB185_282
; %bb.281:
	v_add_co_u32 v4, vcc_lo, v71, v2
	v_add_co_ci_u32_e64 v5, null, v72, v3, vcc_lo
	global_load_dwordx2 v[4:5], v[4:5], off
	s_waitcnt vmcnt(0)
	v_mul_f64 v[4:5], s[38:39], v[4:5]
	s_branch .LBB185_283
.LBB185_282:
	v_mov_b32_e32 v4, 0
	v_mov_b32_e32 v5, 0
.LBB185_283:
	s_waitcnt vmcnt(0)
	v_add_f64 v[0:1], v[0:1], v[4:5]
	v_add_co_u32 v2, vcc_lo, v68, v2
	v_add_co_ci_u32_e64 v3, null, v69, v3, vcc_lo
	global_store_dwordx2 v[2:3], v[0:1], off
	s_or_b32 exec_lo, exec_lo, s4
	s_and_b32 s5, s13, s12
	s_and_saveexec_b32 s4, s5
	s_cbranch_execz .LBB185_228
.LBB185_284:
	s_clause 0x1
	buffer_load_dword v0, off, s[0:3], 0 offset:320
	buffer_load_dword v1, off, s[0:3], 0 offset:324
	v_cmp_ne_u32_e32 vcc_lo, 1, v70
	v_lshlrev_b64 v[2:3], 3, v[16:17]
	s_cbranch_vccnz .LBB185_286
; %bb.285:
	v_add_co_u32 v4, vcc_lo, v71, v2
	v_add_co_ci_u32_e64 v5, null, v72, v3, vcc_lo
	global_load_dwordx2 v[4:5], v[4:5], off
	s_waitcnt vmcnt(0)
	v_mul_f64 v[4:5], s[38:39], v[4:5]
	s_branch .LBB185_287
.LBB185_286:
	v_mov_b32_e32 v4, 0
	v_mov_b32_e32 v5, 0
.LBB185_287:
	s_waitcnt vmcnt(0)
	v_add_f64 v[0:1], v[0:1], v[4:5]
	v_add_co_u32 v2, vcc_lo, v68, v2
	v_add_co_ci_u32_e64 v3, null, v69, v3, vcc_lo
	global_store_dwordx2 v[2:3], v[0:1], off
	s_or_b32 exec_lo, exec_lo, s4
	s_and_b32 s5, s13, s14
	s_and_saveexec_b32 s4, s5
	s_cbranch_execz .LBB185_229
.LBB185_288:
	s_clause 0x1
	buffer_load_dword v0, off, s[0:3], 0 offset:328
	buffer_load_dword v1, off, s[0:3], 0 offset:332
	v_cmp_ne_u32_e32 vcc_lo, 1, v70
	v_lshlrev_b64 v[2:3], 3, v[18:19]
	s_cbranch_vccnz .LBB185_290
; %bb.289:
	v_add_co_u32 v4, vcc_lo, v71, v2
	v_add_co_ci_u32_e64 v5, null, v72, v3, vcc_lo
	global_load_dwordx2 v[4:5], v[4:5], off
	s_waitcnt vmcnt(0)
	v_mul_f64 v[4:5], s[38:39], v[4:5]
	s_branch .LBB185_291
.LBB185_290:
	v_mov_b32_e32 v4, 0
	v_mov_b32_e32 v5, 0
.LBB185_291:
	s_waitcnt vmcnt(0)
	v_add_f64 v[0:1], v[0:1], v[4:5]
	v_add_co_u32 v2, vcc_lo, v68, v2
	v_add_co_ci_u32_e64 v3, null, v69, v3, vcc_lo
	global_store_dwordx2 v[2:3], v[0:1], off
	s_or_b32 exec_lo, exec_lo, s4
	s_and_b32 s5, s13, s15
	s_and_saveexec_b32 s4, s5
	s_cbranch_execz .LBB185_230
.LBB185_292:
	s_clause 0x1
	buffer_load_dword v0, off, s[0:3], 0 offset:336
	buffer_load_dword v1, off, s[0:3], 0 offset:340
	v_cmp_ne_u32_e32 vcc_lo, 1, v70
	v_lshlrev_b64 v[2:3], 3, v[20:21]
	s_cbranch_vccnz .LBB185_294
; %bb.293:
	v_add_co_u32 v4, vcc_lo, v71, v2
	v_add_co_ci_u32_e64 v5, null, v72, v3, vcc_lo
	global_load_dwordx2 v[4:5], v[4:5], off
	s_waitcnt vmcnt(0)
	v_mul_f64 v[4:5], s[38:39], v[4:5]
	s_branch .LBB185_295
.LBB185_294:
	v_mov_b32_e32 v4, 0
	v_mov_b32_e32 v5, 0
.LBB185_295:
	s_waitcnt vmcnt(0)
	v_add_f64 v[0:1], v[0:1], v[4:5]
	v_add_co_u32 v2, vcc_lo, v68, v2
	v_add_co_ci_u32_e64 v3, null, v69, v3, vcc_lo
	global_store_dwordx2 v[2:3], v[0:1], off
	s_or_b32 exec_lo, exec_lo, s4
	s_and_b32 s5, s13, s16
	s_and_saveexec_b32 s4, s5
	s_cbranch_execz .LBB185_231
.LBB185_296:
	s_clause 0x1
	buffer_load_dword v0, off, s[0:3], 0 offset:344
	buffer_load_dword v1, off, s[0:3], 0 offset:348
	v_cmp_ne_u32_e32 vcc_lo, 1, v70
	v_lshlrev_b64 v[2:3], 3, v[22:23]
	s_cbranch_vccnz .LBB185_298
; %bb.297:
	v_add_co_u32 v4, vcc_lo, v71, v2
	v_add_co_ci_u32_e64 v5, null, v72, v3, vcc_lo
	global_load_dwordx2 v[4:5], v[4:5], off
	s_waitcnt vmcnt(0)
	v_mul_f64 v[4:5], s[38:39], v[4:5]
	s_branch .LBB185_299
.LBB185_298:
	v_mov_b32_e32 v4, 0
	v_mov_b32_e32 v5, 0
.LBB185_299:
	s_waitcnt vmcnt(0)
	v_add_f64 v[0:1], v[0:1], v[4:5]
	v_add_co_u32 v2, vcc_lo, v68, v2
	v_add_co_ci_u32_e64 v3, null, v69, v3, vcc_lo
	global_store_dwordx2 v[2:3], v[0:1], off
	s_or_b32 exec_lo, exec_lo, s4
	s_and_b32 s5, s13, s17
	s_and_saveexec_b32 s4, s5
	s_cbranch_execz .LBB185_232
.LBB185_300:
	s_clause 0x1
	buffer_load_dword v0, off, s[0:3], 0 offset:352
	buffer_load_dword v1, off, s[0:3], 0 offset:356
	v_cmp_ne_u32_e32 vcc_lo, 1, v70
	v_lshlrev_b64 v[2:3], 3, v[24:25]
	s_cbranch_vccnz .LBB185_302
; %bb.301:
	v_add_co_u32 v4, vcc_lo, v71, v2
	v_add_co_ci_u32_e64 v5, null, v72, v3, vcc_lo
	global_load_dwordx2 v[4:5], v[4:5], off
	s_waitcnt vmcnt(0)
	v_mul_f64 v[4:5], s[38:39], v[4:5]
	s_branch .LBB185_303
.LBB185_302:
	v_mov_b32_e32 v4, 0
	v_mov_b32_e32 v5, 0
.LBB185_303:
	s_waitcnt vmcnt(0)
	v_add_f64 v[0:1], v[0:1], v[4:5]
	v_add_co_u32 v2, vcc_lo, v68, v2
	v_add_co_ci_u32_e64 v3, null, v69, v3, vcc_lo
	global_store_dwordx2 v[2:3], v[0:1], off
	s_or_b32 exec_lo, exec_lo, s4
	s_and_b32 s5, s13, s18
	s_and_saveexec_b32 s4, s5
	s_cbranch_execz .LBB185_233
.LBB185_304:
	s_clause 0x1
	buffer_load_dword v0, off, s[0:3], 0 offset:360
	buffer_load_dword v1, off, s[0:3], 0 offset:364
	v_cmp_ne_u32_e32 vcc_lo, 1, v70
	v_lshlrev_b64 v[2:3], 3, v[26:27]
	s_cbranch_vccnz .LBB185_306
; %bb.305:
	v_add_co_u32 v4, vcc_lo, v71, v2
	v_add_co_ci_u32_e64 v5, null, v72, v3, vcc_lo
	global_load_dwordx2 v[4:5], v[4:5], off
	s_waitcnt vmcnt(0)
	v_mul_f64 v[4:5], s[38:39], v[4:5]
	s_branch .LBB185_307
.LBB185_306:
	v_mov_b32_e32 v4, 0
	v_mov_b32_e32 v5, 0
.LBB185_307:
	s_waitcnt vmcnt(0)
	v_add_f64 v[0:1], v[0:1], v[4:5]
	v_add_co_u32 v2, vcc_lo, v68, v2
	v_add_co_ci_u32_e64 v3, null, v69, v3, vcc_lo
	global_store_dwordx2 v[2:3], v[0:1], off
	s_or_b32 exec_lo, exec_lo, s4
	s_and_b32 s5, s13, s19
	s_and_saveexec_b32 s4, s5
	s_cbranch_execz .LBB185_234
.LBB185_308:
	s_clause 0x1
	buffer_load_dword v0, off, s[0:3], 0 offset:368
	buffer_load_dword v1, off, s[0:3], 0 offset:372
	v_cmp_ne_u32_e32 vcc_lo, 1, v70
	v_lshlrev_b64 v[2:3], 3, v[28:29]
	s_cbranch_vccnz .LBB185_310
; %bb.309:
	v_add_co_u32 v4, vcc_lo, v71, v2
	v_add_co_ci_u32_e64 v5, null, v72, v3, vcc_lo
	global_load_dwordx2 v[4:5], v[4:5], off
	s_waitcnt vmcnt(0)
	v_mul_f64 v[4:5], s[38:39], v[4:5]
	s_branch .LBB185_311
.LBB185_310:
	v_mov_b32_e32 v4, 0
	v_mov_b32_e32 v5, 0
.LBB185_311:
	s_waitcnt vmcnt(0)
	v_add_f64 v[0:1], v[0:1], v[4:5]
	v_add_co_u32 v2, vcc_lo, v68, v2
	v_add_co_ci_u32_e64 v3, null, v69, v3, vcc_lo
	global_store_dwordx2 v[2:3], v[0:1], off
	s_or_b32 exec_lo, exec_lo, s4
	s_and_b32 s5, s13, s20
	s_and_saveexec_b32 s4, s5
	s_cbranch_execz .LBB185_235
.LBB185_312:
	s_clause 0x1
	buffer_load_dword v0, off, s[0:3], 0 offset:376
	buffer_load_dword v1, off, s[0:3], 0 offset:380
	v_cmp_ne_u32_e32 vcc_lo, 1, v70
	v_lshlrev_b64 v[2:3], 3, v[30:31]
	s_cbranch_vccnz .LBB185_314
; %bb.313:
	v_add_co_u32 v4, vcc_lo, v71, v2
	v_add_co_ci_u32_e64 v5, null, v72, v3, vcc_lo
	global_load_dwordx2 v[4:5], v[4:5], off
	s_waitcnt vmcnt(0)
	v_mul_f64 v[4:5], s[38:39], v[4:5]
	s_branch .LBB185_315
.LBB185_314:
	v_mov_b32_e32 v4, 0
	v_mov_b32_e32 v5, 0
.LBB185_315:
	s_waitcnt vmcnt(0)
	v_add_f64 v[0:1], v[0:1], v[4:5]
	v_add_co_u32 v2, vcc_lo, v68, v2
	v_add_co_ci_u32_e64 v3, null, v69, v3, vcc_lo
	global_store_dwordx2 v[2:3], v[0:1], off
	s_or_b32 exec_lo, exec_lo, s4
	s_and_b32 s5, s13, s21
	s_and_saveexec_b32 s4, s5
	s_cbranch_execz .LBB185_236
.LBB185_316:
	s_clause 0x1
	buffer_load_dword v0, off, s[0:3], 0 offset:384
	buffer_load_dword v1, off, s[0:3], 0 offset:388
	v_cmp_ne_u32_e32 vcc_lo, 1, v70
	v_lshlrev_b64 v[2:3], 3, v[32:33]
	s_cbranch_vccnz .LBB185_318
; %bb.317:
	v_add_co_u32 v4, vcc_lo, v71, v2
	v_add_co_ci_u32_e64 v5, null, v72, v3, vcc_lo
	global_load_dwordx2 v[4:5], v[4:5], off
	s_waitcnt vmcnt(0)
	v_mul_f64 v[4:5], s[38:39], v[4:5]
	s_branch .LBB185_319
.LBB185_318:
	v_mov_b32_e32 v4, 0
	v_mov_b32_e32 v5, 0
.LBB185_319:
	s_waitcnt vmcnt(0)
	v_add_f64 v[0:1], v[0:1], v[4:5]
	v_add_co_u32 v2, vcc_lo, v68, v2
	v_add_co_ci_u32_e64 v3, null, v69, v3, vcc_lo
	global_store_dwordx2 v[2:3], v[0:1], off
	s_or_b32 exec_lo, exec_lo, s4
	s_and_b32 s5, s13, s22
	s_and_saveexec_b32 s4, s5
	s_cbranch_execz .LBB185_237
.LBB185_320:
	s_clause 0x1
	buffer_load_dword v0, off, s[0:3], 0 offset:392
	buffer_load_dword v1, off, s[0:3], 0 offset:396
	v_cmp_ne_u32_e32 vcc_lo, 1, v70
	v_lshlrev_b64 v[2:3], 3, v[34:35]
	s_cbranch_vccnz .LBB185_322
; %bb.321:
	v_add_co_u32 v4, vcc_lo, v71, v2
	v_add_co_ci_u32_e64 v5, null, v72, v3, vcc_lo
	global_load_dwordx2 v[4:5], v[4:5], off
	s_waitcnt vmcnt(0)
	v_mul_f64 v[4:5], s[38:39], v[4:5]
	s_branch .LBB185_323
.LBB185_322:
	v_mov_b32_e32 v4, 0
	v_mov_b32_e32 v5, 0
.LBB185_323:
	s_waitcnt vmcnt(0)
	v_add_f64 v[0:1], v[0:1], v[4:5]
	v_add_co_u32 v2, vcc_lo, v68, v2
	v_add_co_ci_u32_e64 v3, null, v69, v3, vcc_lo
	global_store_dwordx2 v[2:3], v[0:1], off
	s_or_b32 exec_lo, exec_lo, s4
	s_and_b32 s5, s13, s23
	s_and_saveexec_b32 s4, s5
	s_cbranch_execz .LBB185_238
.LBB185_324:
	s_clause 0x1
	buffer_load_dword v0, off, s[0:3], 0 offset:400
	buffer_load_dword v1, off, s[0:3], 0 offset:404
	v_cmp_ne_u32_e32 vcc_lo, 1, v70
	v_lshlrev_b64 v[2:3], 3, v[36:37]
	s_cbranch_vccnz .LBB185_326
; %bb.325:
	v_add_co_u32 v4, vcc_lo, v71, v2
	v_add_co_ci_u32_e64 v5, null, v72, v3, vcc_lo
	global_load_dwordx2 v[4:5], v[4:5], off
	s_waitcnt vmcnt(0)
	v_mul_f64 v[4:5], s[38:39], v[4:5]
	s_branch .LBB185_327
.LBB185_326:
	v_mov_b32_e32 v4, 0
	v_mov_b32_e32 v5, 0
.LBB185_327:
	s_waitcnt vmcnt(0)
	v_add_f64 v[0:1], v[0:1], v[4:5]
	v_add_co_u32 v2, vcc_lo, v68, v2
	v_add_co_ci_u32_e64 v3, null, v69, v3, vcc_lo
	global_store_dwordx2 v[2:3], v[0:1], off
	s_or_b32 exec_lo, exec_lo, s4
	s_and_b32 s5, s13, s24
	s_and_saveexec_b32 s4, s5
	s_cbranch_execz .LBB185_239
.LBB185_328:
	s_clause 0x1
	buffer_load_dword v0, off, s[0:3], 0 offset:408
	buffer_load_dword v1, off, s[0:3], 0 offset:412
	v_cmp_ne_u32_e32 vcc_lo, 1, v70
	v_lshlrev_b64 v[2:3], 3, v[38:39]
	s_cbranch_vccnz .LBB185_330
; %bb.329:
	v_add_co_u32 v4, vcc_lo, v71, v2
	v_add_co_ci_u32_e64 v5, null, v72, v3, vcc_lo
	global_load_dwordx2 v[4:5], v[4:5], off
	s_waitcnt vmcnt(0)
	v_mul_f64 v[4:5], s[38:39], v[4:5]
	s_branch .LBB185_331
.LBB185_330:
	v_mov_b32_e32 v4, 0
	v_mov_b32_e32 v5, 0
.LBB185_331:
	s_waitcnt vmcnt(0)
	v_add_f64 v[0:1], v[0:1], v[4:5]
	v_add_co_u32 v2, vcc_lo, v68, v2
	v_add_co_ci_u32_e64 v3, null, v69, v3, vcc_lo
	global_store_dwordx2 v[2:3], v[0:1], off
	s_or_b32 exec_lo, exec_lo, s4
	s_and_b32 s5, s13, s25
	s_and_saveexec_b32 s4, s5
	s_cbranch_execz .LBB185_240
.LBB185_332:
	s_clause 0x1
	buffer_load_dword v0, off, s[0:3], 0 offset:416
	buffer_load_dword v1, off, s[0:3], 0 offset:420
	v_cmp_ne_u32_e32 vcc_lo, 1, v70
	v_lshlrev_b64 v[2:3], 3, v[40:41]
	s_cbranch_vccnz .LBB185_334
; %bb.333:
	v_add_co_u32 v4, vcc_lo, v71, v2
	v_add_co_ci_u32_e64 v5, null, v72, v3, vcc_lo
	global_load_dwordx2 v[4:5], v[4:5], off
	s_waitcnt vmcnt(0)
	v_mul_f64 v[4:5], s[38:39], v[4:5]
	s_branch .LBB185_335
.LBB185_334:
	v_mov_b32_e32 v4, 0
	v_mov_b32_e32 v5, 0
.LBB185_335:
	s_waitcnt vmcnt(0)
	v_add_f64 v[0:1], v[0:1], v[4:5]
	v_add_co_u32 v2, vcc_lo, v68, v2
	v_add_co_ci_u32_e64 v3, null, v69, v3, vcc_lo
	global_store_dwordx2 v[2:3], v[0:1], off
	s_or_b32 exec_lo, exec_lo, s4
	s_and_b32 s5, s13, s26
	s_and_saveexec_b32 s4, s5
	s_cbranch_execz .LBB185_241
.LBB185_336:
	s_clause 0x1
	buffer_load_dword v0, off, s[0:3], 0 offset:424
	buffer_load_dword v1, off, s[0:3], 0 offset:428
	v_cmp_ne_u32_e32 vcc_lo, 1, v70
	v_lshlrev_b64 v[2:3], 3, v[42:43]
	s_cbranch_vccnz .LBB185_338
; %bb.337:
	v_add_co_u32 v4, vcc_lo, v71, v2
	v_add_co_ci_u32_e64 v5, null, v72, v3, vcc_lo
	global_load_dwordx2 v[4:5], v[4:5], off
	s_waitcnt vmcnt(0)
	v_mul_f64 v[4:5], s[38:39], v[4:5]
	s_branch .LBB185_339
.LBB185_338:
	v_mov_b32_e32 v4, 0
	v_mov_b32_e32 v5, 0
.LBB185_339:
	s_waitcnt vmcnt(0)
	v_add_f64 v[0:1], v[0:1], v[4:5]
	v_add_co_u32 v2, vcc_lo, v68, v2
	v_add_co_ci_u32_e64 v3, null, v69, v3, vcc_lo
	global_store_dwordx2 v[2:3], v[0:1], off
	s_or_b32 exec_lo, exec_lo, s4
	s_and_b32 s5, s13, s27
	s_and_saveexec_b32 s4, s5
	s_cbranch_execz .LBB185_242
.LBB185_340:
	s_clause 0x1
	buffer_load_dword v0, off, s[0:3], 0 offset:432
	buffer_load_dword v1, off, s[0:3], 0 offset:436
	v_cmp_ne_u32_e32 vcc_lo, 1, v70
	v_lshlrev_b64 v[2:3], 3, v[44:45]
	s_cbranch_vccnz .LBB185_342
; %bb.341:
	v_add_co_u32 v4, vcc_lo, v71, v2
	v_add_co_ci_u32_e64 v5, null, v72, v3, vcc_lo
	global_load_dwordx2 v[4:5], v[4:5], off
	s_waitcnt vmcnt(0)
	v_mul_f64 v[4:5], s[38:39], v[4:5]
	s_branch .LBB185_343
.LBB185_342:
	v_mov_b32_e32 v4, 0
	v_mov_b32_e32 v5, 0
.LBB185_343:
	s_waitcnt vmcnt(0)
	v_add_f64 v[0:1], v[0:1], v[4:5]
	v_add_co_u32 v2, vcc_lo, v68, v2
	v_add_co_ci_u32_e64 v3, null, v69, v3, vcc_lo
	global_store_dwordx2 v[2:3], v[0:1], off
	s_or_b32 exec_lo, exec_lo, s4
	s_and_b32 s5, s13, s28
	s_and_saveexec_b32 s4, s5
	s_cbranch_execz .LBB185_243
.LBB185_344:
	s_clause 0x1
	buffer_load_dword v0, off, s[0:3], 0 offset:440
	buffer_load_dword v1, off, s[0:3], 0 offset:444
	v_cmp_ne_u32_e32 vcc_lo, 1, v70
	v_lshlrev_b64 v[2:3], 3, v[46:47]
	s_cbranch_vccnz .LBB185_346
; %bb.345:
	v_add_co_u32 v4, vcc_lo, v71, v2
	v_add_co_ci_u32_e64 v5, null, v72, v3, vcc_lo
	global_load_dwordx2 v[4:5], v[4:5], off
	s_waitcnt vmcnt(0)
	v_mul_f64 v[4:5], s[38:39], v[4:5]
	s_branch .LBB185_347
.LBB185_346:
	v_mov_b32_e32 v4, 0
	v_mov_b32_e32 v5, 0
.LBB185_347:
	s_waitcnt vmcnt(0)
	v_add_f64 v[0:1], v[0:1], v[4:5]
	v_add_co_u32 v2, vcc_lo, v68, v2
	v_add_co_ci_u32_e64 v3, null, v69, v3, vcc_lo
	global_store_dwordx2 v[2:3], v[0:1], off
	s_or_b32 exec_lo, exec_lo, s4
	s_and_b32 s5, s13, s29
	s_and_saveexec_b32 s4, s5
	s_cbranch_execz .LBB185_244
.LBB185_348:
	s_clause 0x1
	buffer_load_dword v0, off, s[0:3], 0 offset:448
	buffer_load_dword v1, off, s[0:3], 0 offset:452
	v_cmp_ne_u32_e32 vcc_lo, 1, v70
	v_lshlrev_b64 v[2:3], 3, v[48:49]
	s_cbranch_vccnz .LBB185_350
; %bb.349:
	v_add_co_u32 v4, vcc_lo, v71, v2
	v_add_co_ci_u32_e64 v5, null, v72, v3, vcc_lo
	global_load_dwordx2 v[4:5], v[4:5], off
	s_waitcnt vmcnt(0)
	v_mul_f64 v[4:5], s[38:39], v[4:5]
	s_branch .LBB185_351
.LBB185_350:
	v_mov_b32_e32 v4, 0
	v_mov_b32_e32 v5, 0
.LBB185_351:
	s_waitcnt vmcnt(0)
	v_add_f64 v[0:1], v[0:1], v[4:5]
	v_add_co_u32 v2, vcc_lo, v68, v2
	v_add_co_ci_u32_e64 v3, null, v69, v3, vcc_lo
	global_store_dwordx2 v[2:3], v[0:1], off
	s_or_b32 exec_lo, exec_lo, s4
	s_and_b32 s5, s13, s30
	s_and_saveexec_b32 s4, s5
	s_cbranch_execz .LBB185_245
.LBB185_352:
	s_clause 0x1
	buffer_load_dword v0, off, s[0:3], 0 offset:456
	buffer_load_dword v1, off, s[0:3], 0 offset:460
	v_cmp_ne_u32_e32 vcc_lo, 1, v70
	v_lshlrev_b64 v[2:3], 3, v[50:51]
	s_cbranch_vccnz .LBB185_354
; %bb.353:
	v_add_co_u32 v4, vcc_lo, v71, v2
	v_add_co_ci_u32_e64 v5, null, v72, v3, vcc_lo
	global_load_dwordx2 v[4:5], v[4:5], off
	s_waitcnt vmcnt(0)
	v_mul_f64 v[4:5], s[38:39], v[4:5]
	s_branch .LBB185_355
.LBB185_354:
	v_mov_b32_e32 v4, 0
	v_mov_b32_e32 v5, 0
.LBB185_355:
	s_waitcnt vmcnt(0)
	v_add_f64 v[0:1], v[0:1], v[4:5]
	v_add_co_u32 v2, vcc_lo, v68, v2
	v_add_co_ci_u32_e64 v3, null, v69, v3, vcc_lo
	global_store_dwordx2 v[2:3], v[0:1], off
	s_or_b32 exec_lo, exec_lo, s4
	s_and_b32 s5, s13, s31
	s_and_saveexec_b32 s4, s5
	s_cbranch_execz .LBB185_246
.LBB185_356:
	s_clause 0x1
	buffer_load_dword v0, off, s[0:3], 0 offset:464
	buffer_load_dword v1, off, s[0:3], 0 offset:468
	v_cmp_ne_u32_e32 vcc_lo, 1, v70
	v_lshlrev_b64 v[2:3], 3, v[52:53]
	s_cbranch_vccnz .LBB185_358
; %bb.357:
	v_add_co_u32 v4, vcc_lo, v71, v2
	v_add_co_ci_u32_e64 v5, null, v72, v3, vcc_lo
	global_load_dwordx2 v[4:5], v[4:5], off
	s_waitcnt vmcnt(0)
	v_mul_f64 v[4:5], s[38:39], v[4:5]
	s_branch .LBB185_359
.LBB185_358:
	v_mov_b32_e32 v4, 0
	v_mov_b32_e32 v5, 0
.LBB185_359:
	s_waitcnt vmcnt(0)
	v_add_f64 v[0:1], v[0:1], v[4:5]
	v_add_co_u32 v2, vcc_lo, v68, v2
	v_add_co_ci_u32_e64 v3, null, v69, v3, vcc_lo
	global_store_dwordx2 v[2:3], v[0:1], off
	s_or_b32 exec_lo, exec_lo, s4
	s_and_b32 s5, s13, s33
	s_and_saveexec_b32 s4, s5
	s_cbranch_execz .LBB185_247
.LBB185_360:
	s_clause 0x1
	buffer_load_dword v0, off, s[0:3], 0 offset:472
	buffer_load_dword v1, off, s[0:3], 0 offset:476
	v_cmp_ne_u32_e32 vcc_lo, 1, v70
	v_lshlrev_b64 v[2:3], 3, v[54:55]
	s_cbranch_vccnz .LBB185_362
; %bb.361:
	v_add_co_u32 v4, vcc_lo, v71, v2
	v_add_co_ci_u32_e64 v5, null, v72, v3, vcc_lo
	global_load_dwordx2 v[4:5], v[4:5], off
	s_waitcnt vmcnt(0)
	v_mul_f64 v[4:5], s[38:39], v[4:5]
	s_branch .LBB185_363
.LBB185_362:
	v_mov_b32_e32 v4, 0
	v_mov_b32_e32 v5, 0
.LBB185_363:
	s_waitcnt vmcnt(0)
	v_add_f64 v[0:1], v[0:1], v[4:5]
	v_add_co_u32 v2, vcc_lo, v68, v2
	v_add_co_ci_u32_e64 v3, null, v69, v3, vcc_lo
	global_store_dwordx2 v[2:3], v[0:1], off
	s_or_b32 exec_lo, exec_lo, s4
	s_and_b32 s5, s13, s34
	s_and_saveexec_b32 s4, s5
	s_cbranch_execz .LBB185_248
.LBB185_364:
	s_clause 0x1
	buffer_load_dword v0, off, s[0:3], 0 offset:480
	buffer_load_dword v1, off, s[0:3], 0 offset:484
	v_cmp_ne_u32_e32 vcc_lo, 1, v70
	v_lshlrev_b64 v[2:3], 3, v[56:57]
	s_cbranch_vccnz .LBB185_366
; %bb.365:
	v_add_co_u32 v4, vcc_lo, v71, v2
	v_add_co_ci_u32_e64 v5, null, v72, v3, vcc_lo
	global_load_dwordx2 v[4:5], v[4:5], off
	s_waitcnt vmcnt(0)
	v_mul_f64 v[4:5], s[38:39], v[4:5]
	s_branch .LBB185_367
.LBB185_366:
	v_mov_b32_e32 v4, 0
	v_mov_b32_e32 v5, 0
.LBB185_367:
	s_waitcnt vmcnt(0)
	v_add_f64 v[0:1], v[0:1], v[4:5]
	v_add_co_u32 v2, vcc_lo, v68, v2
	v_add_co_ci_u32_e64 v3, null, v69, v3, vcc_lo
	global_store_dwordx2 v[2:3], v[0:1], off
	s_or_b32 exec_lo, exec_lo, s4
	s_and_b32 s5, s13, s35
	s_and_saveexec_b32 s4, s5
	s_cbranch_execz .LBB185_249
.LBB185_368:
	s_clause 0x1
	buffer_load_dword v0, off, s[0:3], 0 offset:488
	buffer_load_dword v1, off, s[0:3], 0 offset:492
	v_cmp_ne_u32_e32 vcc_lo, 1, v70
	v_lshlrev_b64 v[2:3], 3, v[58:59]
	s_cbranch_vccnz .LBB185_370
; %bb.369:
	v_add_co_u32 v4, vcc_lo, v71, v2
	v_add_co_ci_u32_e64 v5, null, v72, v3, vcc_lo
	global_load_dwordx2 v[4:5], v[4:5], off
	s_waitcnt vmcnt(0)
	v_mul_f64 v[4:5], s[38:39], v[4:5]
	s_branch .LBB185_371
.LBB185_370:
	v_mov_b32_e32 v4, 0
	v_mov_b32_e32 v5, 0
.LBB185_371:
	s_waitcnt vmcnt(0)
	v_add_f64 v[0:1], v[0:1], v[4:5]
	v_add_co_u32 v2, vcc_lo, v68, v2
	v_add_co_ci_u32_e64 v3, null, v69, v3, vcc_lo
	global_store_dwordx2 v[2:3], v[0:1], off
	s_or_b32 exec_lo, exec_lo, s4
	s_and_b32 s5, s13, s36
	s_and_saveexec_b32 s4, s5
	s_cbranch_execz .LBB185_250
.LBB185_372:
	s_clause 0x1
	buffer_load_dword v0, off, s[0:3], 0 offset:496
	buffer_load_dword v1, off, s[0:3], 0 offset:500
	v_cmp_ne_u32_e32 vcc_lo, 1, v70
	v_lshlrev_b64 v[2:3], 3, v[60:61]
	s_cbranch_vccnz .LBB185_374
; %bb.373:
	v_add_co_u32 v4, vcc_lo, v71, v2
	v_add_co_ci_u32_e64 v5, null, v72, v3, vcc_lo
	global_load_dwordx2 v[4:5], v[4:5], off
	s_waitcnt vmcnt(0)
	v_mul_f64 v[4:5], s[38:39], v[4:5]
	s_branch .LBB185_375
.LBB185_374:
	v_mov_b32_e32 v4, 0
	v_mov_b32_e32 v5, 0
.LBB185_375:
	s_waitcnt vmcnt(0)
	v_add_f64 v[0:1], v[0:1], v[4:5]
	v_add_co_u32 v2, vcc_lo, v68, v2
	v_add_co_ci_u32_e64 v3, null, v69, v3, vcc_lo
	global_store_dwordx2 v[2:3], v[0:1], off
	s_or_b32 exec_lo, exec_lo, s4
	s_and_b32 s4, s13, s37
	s_and_saveexec_b32 s5, s4
	s_cbranch_execz .LBB185_251
.LBB185_376:
	s_clause 0x1
	buffer_load_dword v0, off, s[0:3], 0 offset:504
	buffer_load_dword v1, off, s[0:3], 0 offset:508
	v_cmp_ne_u32_e32 vcc_lo, 1, v70
	v_lshlrev_b64 v[2:3], 3, v[62:63]
	s_cbranch_vccnz .LBB185_378
; %bb.377:
	v_add_co_u32 v4, vcc_lo, v71, v2
	v_add_co_ci_u32_e64 v5, null, v72, v3, vcc_lo
	global_load_dwordx2 v[4:5], v[4:5], off
	s_waitcnt vmcnt(0)
	v_mul_f64 v[4:5], s[38:39], v[4:5]
	s_branch .LBB185_379
.LBB185_378:
	v_mov_b32_e32 v4, 0
	v_mov_b32_e32 v5, 0
.LBB185_379:
	s_waitcnt vmcnt(0)
	v_add_f64 v[0:1], v[0:1], v[4:5]
	v_add_co_u32 v2, vcc_lo, v68, v2
	v_add_co_ci_u32_e64 v3, null, v69, v3, vcc_lo
	global_store_dwordx2 v[2:3], v[0:1], off
	s_endpgm
	.section	.rodata,"a",@progbits
	.p2align	6, 0x0
	.amdhsa_kernel _ZN12_GLOBAL__N_120geam_min_plus_kernelIdddLi4ELi64ELi128ELi128ELi4ELi64ELi4ELi4ELi64ELc78ELc78ELb0ELb1ELb0EdKddEEviiiT16_PT17_ilS4_ilS2_S4_ilPT18_ili26rocblas_geam_ex_operation_
		.amdhsa_group_segment_fixed_size 16384
		.amdhsa_private_segment_fixed_size 528
		.amdhsa_kernarg_size 136
		.amdhsa_user_sgpr_count 6
		.amdhsa_user_sgpr_private_segment_buffer 1
		.amdhsa_user_sgpr_dispatch_ptr 0
		.amdhsa_user_sgpr_queue_ptr 0
		.amdhsa_user_sgpr_kernarg_segment_ptr 1
		.amdhsa_user_sgpr_dispatch_id 0
		.amdhsa_user_sgpr_flat_scratch_init 0
		.amdhsa_user_sgpr_private_segment_size 0
		.amdhsa_wavefront_size32 1
		.amdhsa_uses_dynamic_stack 0
		.amdhsa_system_sgpr_private_segment_wavefront_offset 1
		.amdhsa_system_sgpr_workgroup_id_x 1
		.amdhsa_system_sgpr_workgroup_id_y 0
		.amdhsa_system_sgpr_workgroup_id_z 1
		.amdhsa_system_sgpr_workgroup_info 0
		.amdhsa_system_vgpr_workitem_id 1
		.amdhsa_next_free_vgpr 114
		.amdhsa_next_free_sgpr 50
		.amdhsa_reserve_vcc 1
		.amdhsa_reserve_flat_scratch 0
		.amdhsa_float_round_mode_32 0
		.amdhsa_float_round_mode_16_64 0
		.amdhsa_float_denorm_mode_32 3
		.amdhsa_float_denorm_mode_16_64 3
		.amdhsa_dx10_clamp 1
		.amdhsa_ieee_mode 1
		.amdhsa_fp16_overflow 0
		.amdhsa_workgroup_processor_mode 1
		.amdhsa_memory_ordered 1
		.amdhsa_forward_progress 1
		.amdhsa_shared_vgpr_count 0
		.amdhsa_exception_fp_ieee_invalid_op 0
		.amdhsa_exception_fp_denorm_src 0
		.amdhsa_exception_fp_ieee_div_zero 0
		.amdhsa_exception_fp_ieee_overflow 0
		.amdhsa_exception_fp_ieee_underflow 0
		.amdhsa_exception_fp_ieee_inexact 0
		.amdhsa_exception_int_div_zero 0
	.end_amdhsa_kernel
	.section	.text._ZN12_GLOBAL__N_120geam_min_plus_kernelIdddLi4ELi64ELi128ELi128ELi4ELi64ELi4ELi4ELi64ELc78ELc78ELb0ELb1ELb0EdKddEEviiiT16_PT17_ilS4_ilS2_S4_ilPT18_ili26rocblas_geam_ex_operation_,"axG",@progbits,_ZN12_GLOBAL__N_120geam_min_plus_kernelIdddLi4ELi64ELi128ELi128ELi4ELi64ELi4ELi4ELi64ELc78ELc78ELb0ELb1ELb0EdKddEEviiiT16_PT17_ilS4_ilS2_S4_ilPT18_ili26rocblas_geam_ex_operation_,comdat
.Lfunc_end185:
	.size	_ZN12_GLOBAL__N_120geam_min_plus_kernelIdddLi4ELi64ELi128ELi128ELi4ELi64ELi4ELi4ELi64ELc78ELc78ELb0ELb1ELb0EdKddEEviiiT16_PT17_ilS4_ilS2_S4_ilPT18_ili26rocblas_geam_ex_operation_, .Lfunc_end185-_ZN12_GLOBAL__N_120geam_min_plus_kernelIdddLi4ELi64ELi128ELi128ELi4ELi64ELi4ELi4ELi64ELc78ELc78ELb0ELb1ELb0EdKddEEviiiT16_PT17_ilS4_ilS2_S4_ilPT18_ili26rocblas_geam_ex_operation_
                                        ; -- End function
	.set _ZN12_GLOBAL__N_120geam_min_plus_kernelIdddLi4ELi64ELi128ELi128ELi4ELi64ELi4ELi4ELi64ELc78ELc78ELb0ELb1ELb0EdKddEEviiiT16_PT17_ilS4_ilS2_S4_ilPT18_ili26rocblas_geam_ex_operation_.num_vgpr, 114
	.set _ZN12_GLOBAL__N_120geam_min_plus_kernelIdddLi4ELi64ELi128ELi128ELi4ELi64ELi4ELi4ELi64ELc78ELc78ELb0ELb1ELb0EdKddEEviiiT16_PT17_ilS4_ilS2_S4_ilPT18_ili26rocblas_geam_ex_operation_.num_agpr, 0
	.set _ZN12_GLOBAL__N_120geam_min_plus_kernelIdddLi4ELi64ELi128ELi128ELi4ELi64ELi4ELi4ELi64ELc78ELc78ELb0ELb1ELb0EdKddEEviiiT16_PT17_ilS4_ilS2_S4_ilPT18_ili26rocblas_geam_ex_operation_.numbered_sgpr, 50
	.set _ZN12_GLOBAL__N_120geam_min_plus_kernelIdddLi4ELi64ELi128ELi128ELi4ELi64ELi4ELi4ELi64ELc78ELc78ELb0ELb1ELb0EdKddEEviiiT16_PT17_ilS4_ilS2_S4_ilPT18_ili26rocblas_geam_ex_operation_.num_named_barrier, 0
	.set _ZN12_GLOBAL__N_120geam_min_plus_kernelIdddLi4ELi64ELi128ELi128ELi4ELi64ELi4ELi4ELi64ELc78ELc78ELb0ELb1ELb0EdKddEEviiiT16_PT17_ilS4_ilS2_S4_ilPT18_ili26rocblas_geam_ex_operation_.private_seg_size, 528
	.set _ZN12_GLOBAL__N_120geam_min_plus_kernelIdddLi4ELi64ELi128ELi128ELi4ELi64ELi4ELi4ELi64ELc78ELc78ELb0ELb1ELb0EdKddEEviiiT16_PT17_ilS4_ilS2_S4_ilPT18_ili26rocblas_geam_ex_operation_.uses_vcc, 1
	.set _ZN12_GLOBAL__N_120geam_min_plus_kernelIdddLi4ELi64ELi128ELi128ELi4ELi64ELi4ELi4ELi64ELc78ELc78ELb0ELb1ELb0EdKddEEviiiT16_PT17_ilS4_ilS2_S4_ilPT18_ili26rocblas_geam_ex_operation_.uses_flat_scratch, 0
	.set _ZN12_GLOBAL__N_120geam_min_plus_kernelIdddLi4ELi64ELi128ELi128ELi4ELi64ELi4ELi4ELi64ELc78ELc78ELb0ELb1ELb0EdKddEEviiiT16_PT17_ilS4_ilS2_S4_ilPT18_ili26rocblas_geam_ex_operation_.has_dyn_sized_stack, 0
	.set _ZN12_GLOBAL__N_120geam_min_plus_kernelIdddLi4ELi64ELi128ELi128ELi4ELi64ELi4ELi4ELi64ELc78ELc78ELb0ELb1ELb0EdKddEEviiiT16_PT17_ilS4_ilS2_S4_ilPT18_ili26rocblas_geam_ex_operation_.has_recursion, 0
	.set _ZN12_GLOBAL__N_120geam_min_plus_kernelIdddLi4ELi64ELi128ELi128ELi4ELi64ELi4ELi4ELi64ELc78ELc78ELb0ELb1ELb0EdKddEEviiiT16_PT17_ilS4_ilS2_S4_ilPT18_ili26rocblas_geam_ex_operation_.has_indirect_call, 0
	.section	.AMDGPU.csdata,"",@progbits
; Kernel info:
; codeLenInByte = 22384
; TotalNumSgprs: 52
; NumVgprs: 114
; ScratchSize: 528
; MemoryBound: 0
; FloatMode: 240
; IeeeMode: 1
; LDSByteSize: 16384 bytes/workgroup (compile time only)
; SGPRBlocks: 0
; VGPRBlocks: 14
; NumSGPRsForWavesPerEU: 52
; NumVGPRsForWavesPerEU: 114
; Occupancy: 8
; WaveLimiterHint : 0
; COMPUTE_PGM_RSRC2:SCRATCH_EN: 1
; COMPUTE_PGM_RSRC2:USER_SGPR: 6
; COMPUTE_PGM_RSRC2:TRAP_HANDLER: 0
; COMPUTE_PGM_RSRC2:TGID_X_EN: 1
; COMPUTE_PGM_RSRC2:TGID_Y_EN: 0
; COMPUTE_PGM_RSRC2:TGID_Z_EN: 1
; COMPUTE_PGM_RSRC2:TIDIG_COMP_CNT: 1
	.section	.text._ZN12_GLOBAL__N_120geam_min_plus_kernelIdddLi4ELi64ELi128ELi128ELi4ELi4ELi64ELi4ELi64ELc84ELc78ELb0ELb0ELb0EPKdS1_dEEviiiT16_PT17_ilS5_ilS3_S5_ilPT18_ili26rocblas_geam_ex_operation_,"axG",@progbits,_ZN12_GLOBAL__N_120geam_min_plus_kernelIdddLi4ELi64ELi128ELi128ELi4ELi4ELi64ELi4ELi64ELc84ELc78ELb0ELb0ELb0EPKdS1_dEEviiiT16_PT17_ilS5_ilS3_S5_ilPT18_ili26rocblas_geam_ex_operation_,comdat
	.globl	_ZN12_GLOBAL__N_120geam_min_plus_kernelIdddLi4ELi64ELi128ELi128ELi4ELi4ELi64ELi4ELi64ELc84ELc78ELb0ELb0ELb0EPKdS1_dEEviiiT16_PT17_ilS5_ilS3_S5_ilPT18_ili26rocblas_geam_ex_operation_ ; -- Begin function _ZN12_GLOBAL__N_120geam_min_plus_kernelIdddLi4ELi64ELi128ELi128ELi4ELi4ELi64ELi4ELi64ELc84ELc78ELb0ELb0ELb0EPKdS1_dEEviiiT16_PT17_ilS5_ilS3_S5_ilPT18_ili26rocblas_geam_ex_operation_
	.p2align	8
	.type	_ZN12_GLOBAL__N_120geam_min_plus_kernelIdddLi4ELi64ELi128ELi128ELi4ELi4ELi64ELi4ELi64ELc84ELc78ELb0ELb0ELb0EPKdS1_dEEviiiT16_PT17_ilS5_ilS3_S5_ilPT18_ili26rocblas_geam_ex_operation_,@function
_ZN12_GLOBAL__N_120geam_min_plus_kernelIdddLi4ELi64ELi128ELi128ELi4ELi4ELi64ELi4ELi64ELc84ELc78ELb0ELb0ELb0EPKdS1_dEEviiiT16_PT17_ilS5_ilS3_S5_ilPT18_ili26rocblas_geam_ex_operation_: ; @_ZN12_GLOBAL__N_120geam_min_plus_kernelIdddLi4ELi64ELi128ELi128ELi4ELi4ELi64ELi4ELi64ELc84ELc78ELb0ELb0ELb0EPKdS1_dEEviiiT16_PT17_ilS5_ilS3_S5_ilPT18_ili26rocblas_geam_ex_operation_
; %bb.0:
	s_load_dwordx4 s[16:19], s[4:5], 0x10
	s_mov_b32 s20, s7
	s_mov_b32 s21, 0
	s_add_u32 s0, s0, s8
	s_addc_u32 s1, s1, 0
	s_lshl_b64 s[22:23], s[20:21], 3
	s_clause 0x1
	s_load_dwordx4 s[8:11], s[4:5], 0x28
	s_load_dwordx2 s[26:27], s[4:5], 0x50
	s_mov_b64 s[24:25], 0
	s_waitcnt lgkmcnt(0)
	s_add_u32 s12, s16, s22
	s_addc_u32 s13, s17, s23
	s_load_dwordx2 s[16:17], s[12:13], 0x0
	s_load_dwordx4 s[12:15], s[4:5], 0x40
	s_waitcnt lgkmcnt(0)
	v_cmp_eq_f64_e64 s7, s[16:17], 0
	v_cmp_neq_f64_e64 s21, s[16:17], 0
	s_add_u32 s14, s14, s22
	s_addc_u32 s15, s15, s23
	s_mov_b64 s[22:23], 0
	s_and_b32 vcc_lo, exec_lo, s7
	s_cbranch_vccnz .LBB186_2
; %bb.1:
	s_mul_i32 s7, s9, s20
	s_mul_hi_u32 s9, s8, s20
	s_mul_i32 s8, s8, s20
	s_add_i32 s9, s9, s7
	s_lshl_b64 s[8:9], s[8:9], 3
	s_add_u32 s24, s18, s8
	s_addc_u32 s25, s19, s9
.LBB186_2:
	s_load_dwordx2 s[14:15], s[14:15], 0x0
	v_cndmask_b32_e64 v2, 0, 1, s21
	s_andn2_b32 vcc_lo, exec_lo, s21
	v_cmp_ne_u32_e64 s7, 1, v2
	s_cbranch_vccnz .LBB186_4
; %bb.3:
	s_mul_i32 s8, s13, s20
	s_mul_hi_u32 s9, s12, s20
	s_add_i32 s9, s9, s8
	s_mul_i32 s8, s12, s20
	s_lshl_b64 s[8:9], s[8:9], 3
	s_add_u32 s22, s10, s8
	s_addc_u32 s23, s11, s9
.LBB186_4:
	s_waitcnt lgkmcnt(0)
	v_cmp_eq_f64_e64 s12, s[14:15], 0
	s_load_dwordx4 s[8:11], s[4:5], 0x60
	s_and_b32 vcc_lo, exec_lo, s12
	s_mov_b64 s[12:13], 0
	s_cbranch_vccnz .LBB186_6
; %bb.5:
	s_waitcnt lgkmcnt(0)
	s_mul_i32 s9, s9, s20
	s_mul_hi_u32 s12, s8, s20
	s_mul_i32 s8, s8, s20
	s_add_i32 s9, s12, s9
	s_lshl_b64 s[8:9], s[8:9], 3
	s_add_u32 s12, s26, s8
	s_addc_u32 s13, s27, s9
.LBB186_6:
	s_waitcnt lgkmcnt(0)
	s_clause 0x1
	s_load_dword s8, s[4:5], 0x0
	s_load_dword s19, s[4:5], 0x20
	v_lshrrev_b32_e32 v2, 2, v0
	v_and_b32_e32 v90, 3, v0
	v_mov_b32_e32 v4, 0
	v_mov_b32_e32 v6, 0
	v_mov_b32_e32 v5, 0
	v_add_nc_u32_e32 v78, v2, v1
	v_lshlrev_b32_e32 v80, 3, v90
	buffer_store_dword v6, off, s[0:3], 0 offset:4
	buffer_store_dword v6, off, s[0:3], 0
	buffer_store_dword v6, off, s[0:3], 0 offset:12
	buffer_store_dword v6, off, s[0:3], 0 offset:8
	;; [unrolled: 1-line block ×35, first 2 shown]
	s_waitcnt lgkmcnt(0)
	s_add_i32 s8, s8, -1
	buffer_store_dword v6, off, s[0:3], 0 offset:144
	buffer_store_dword v6, off, s[0:3], 0 offset:156
	;; [unrolled: 1-line block ×4, first 2 shown]
	s_ashr_i32 s9, s8, 31
	buffer_store_dword v6, off, s[0:3], 0 offset:160
	buffer_store_dword v6, off, s[0:3], 0 offset:172
	s_lshr_b32 s9, s9, 25
	buffer_store_dword v6, off, s[0:3], 0 offset:168
	s_add_i32 s8, s8, s9
	buffer_store_dword v6, off, s[0:3], 0 offset:180
	s_ashr_i32 s8, s8, 7
	buffer_store_dword v6, off, s[0:3], 0 offset:176
	s_add_i32 s9, s8, 1
	s_not_b32 s8, s8
	v_cvt_f32_u32_e32 v2, s9
	buffer_store_dword v6, off, s[0:3], 0 offset:188
	buffer_store_dword v6, off, s[0:3], 0 offset:184
	;; [unrolled: 1-line block ×4, first 2 shown]
	v_rcp_iflag_f32_e32 v2, v2
	buffer_store_dword v6, off, s[0:3], 0 offset:204
	buffer_store_dword v6, off, s[0:3], 0 offset:200
	;; [unrolled: 1-line block ×78, first 2 shown]
	v_mul_f32_e32 v2, 0x4f7ffffe, v2
	v_cvt_u32_f32_e32 v2, v2
	v_readfirstlane_b32 s18, v2
	v_mov_b32_e32 v2, 0
	v_mov_b32_e32 v3, 0
	s_mul_i32 s8, s8, s18
	s_mul_hi_u32 s8, s18, s8
	s_add_i32 s18, s18, s8
	s_mul_hi_u32 s8, s6, s18
	s_mul_i32 s18, s8, s9
	s_add_i32 s21, s8, 1
	s_sub_i32 s18, s6, s18
	s_sub_i32 s26, s18, s9
	s_cmp_ge_u32 s18, s9
	s_cselect_b32 s8, s21, s8
	s_cselect_b32 s18, s26, s18
	s_add_i32 s21, s8, 1
	s_cmp_ge_u32 s18, s9
	s_cselect_b32 s8, s21, s8
	s_and_b32 vcc_lo, exec_lo, s7
	s_mul_i32 s9, s8, s9
	s_sub_i32 s6, s6, s9
	v_add_co_u32 v18, s9, s24, v80
	s_lshl_b32 s6, s6, 7
	v_add_co_ci_u32_e64 v19, null, s25, 0, s9
	v_add_nc_u32_e32 v79, s6, v78
	s_cbranch_vccnz .LBB186_8
; %bb.7:
	v_mad_i64_i32 v[2:3], null, v79, s19, 0
	v_lshlrev_b64 v[2:3], 3, v[2:3]
	v_add_co_u32 v2, vcc_lo, v18, v2
	v_add_co_ci_u32_e64 v3, null, v19, v3, vcc_lo
	global_load_dwordx2 v[2:3], v[2:3], off
	s_waitcnt vmcnt(0)
	v_mul_f64 v[2:3], s[16:17], v[2:3]
.LBB186_8:
	s_load_dword s21, s[4:5], 0x38
	s_lshl_b32 s8, s8, 7
	v_mov_b32_e32 v14, 0
	v_add_nc_u32_e32 v81, s8, v78
	v_mov_b32_e32 v16, 0
	v_add_nc_u32_e32 v83, 64, v79
	v_mov_b32_e32 v15, 0
	v_mov_b32_e32 v17, 0
	v_add_nc_u32_e32 v82, 64, v81
	s_and_b32 vcc_lo, exec_lo, s7
	s_cbranch_vccnz .LBB186_10
; %bb.9:
	v_mad_i64_i32 v[4:5], null, v83, s19, 0
	s_waitcnt lgkmcnt(0)
	v_mad_i64_i32 v[6:7], null, v81, s21, 0
	v_mad_i64_i32 v[8:9], null, v82, s21, 0
	v_add_co_u32 v10, s9, s22, v80
	v_lshlrev_b64 v[4:5], 3, v[4:5]
	v_add_co_ci_u32_e64 v11, null, s23, 0, s9
	v_lshlrev_b64 v[6:7], 3, v[6:7]
	v_lshlrev_b64 v[8:9], 3, v[8:9]
	v_add_co_u32 v4, vcc_lo, v18, v4
	v_add_co_ci_u32_e64 v5, null, v19, v5, vcc_lo
	v_add_co_u32 v6, vcc_lo, v10, v6
	v_add_co_ci_u32_e64 v7, null, v11, v7, vcc_lo
	;; [unrolled: 2-line block ×3, first 2 shown]
	global_load_dwordx2 v[4:5], v[4:5], off
	s_clause 0x1
	global_load_dwordx2 v[6:7], v[6:7], off
	global_load_dwordx2 v[8:9], v[8:9], off
	s_waitcnt vmcnt(2)
	v_mul_f64 v[4:5], s[16:17], v[4:5]
	s_waitcnt vmcnt(1)
	v_mul_f64 v[14:15], s[16:17], v[6:7]
	;; [unrolled: 2-line block ×3, first 2 shown]
.LBB186_10:
	v_mov_b32_e32 v8, 0
	v_mov_b32_e32 v6, 0
	;; [unrolled: 1-line block ×4, first 2 shown]
	s_and_b32 vcc_lo, exec_lo, s7
	s_cbranch_vccnz .LBB186_12
; %bb.11:
	v_mad_i64_i32 v[6:7], null, v79, s19, 0
	v_lshlrev_b64 v[6:7], 3, v[6:7]
	v_add_co_u32 v6, vcc_lo, v18, v6
	v_add_co_ci_u32_e64 v7, null, v19, v7, vcc_lo
	global_load_dwordx2 v[6:7], v[6:7], off offset:32
	s_waitcnt vmcnt(0)
	v_mul_f64 v[6:7], s[16:17], v[6:7]
.LBB186_12:
	v_mov_b32_e32 v10, 0
	v_mov_b32_e32 v12, 0
	;; [unrolled: 1-line block ×4, first 2 shown]
	s_and_b32 vcc_lo, exec_lo, s7
	s_cbranch_vccnz .LBB186_14
; %bb.13:
	v_mad_i64_i32 v[8:9], null, v83, s19, 0
	s_waitcnt lgkmcnt(0)
	v_mad_i64_i32 v[10:11], null, v81, s21, 0
	v_mad_i64_i32 v[12:13], null, v82, s21, 0
	v_lshlrev_b64 v[8:9], 3, v[8:9]
	v_lshlrev_b64 v[10:11], 3, v[10:11]
	v_lshlrev_b64 v[12:13], 3, v[12:13]
	v_add_co_u32 v8, vcc_lo, v18, v8
	v_add_co_u32 v18, s9, s22, v80
	v_add_co_ci_u32_e64 v9, null, v19, v9, vcc_lo
	v_add_co_ci_u32_e64 v19, null, s23, 0, s9
	v_add_co_u32 v10, vcc_lo, v18, v10
	v_add_co_ci_u32_e64 v11, null, v19, v11, vcc_lo
	v_add_co_u32 v12, vcc_lo, v18, v12
	v_add_co_ci_u32_e64 v13, null, v19, v13, vcc_lo
	global_load_dwordx2 v[8:9], v[8:9], off offset:32
	s_clause 0x1
	global_load_dwordx2 v[10:11], v[10:11], off offset:32
	global_load_dwordx2 v[12:13], v[12:13], off offset:32
	s_waitcnt vmcnt(2)
	v_mul_f64 v[8:9], s[16:17], v[8:9]
	s_waitcnt vmcnt(1)
	v_mul_f64 v[10:11], s[16:17], v[10:11]
	;; [unrolled: 2-line block ×3, first 2 shown]
.LBB186_14:
	v_cmp_neq_f64_e64 s9, s[14:15], 0
	v_lshlrev_b32_e32 v18, 5, v78
	v_lshlrev_b32_e32 v93, 5, v0
	v_lshl_or_b32 v94, v1, 5, 0x2000
	s_mov_b32 s18, 0
	s_mov_b32 s26, 0
	v_lshl_or_b32 v91, v90, 3, v18
	s_addk_i32 s18, 0x100
	v_add_nc_u32_e32 v92, 0x2000, v91
	ds_write2st64_b64 v91, v[2:3], v[4:5] offset1:4
	ds_write2st64_b64 v91, v[14:15], v[16:17] offset0:16 offset1:20
	s_waitcnt lgkmcnt(0)
	s_waitcnt_vscnt null, 0x0
	s_barrier
	buffer_gl0_inv
.LBB186_15:                             ; =>This Loop Header: Depth=1
                                        ;     Child Loop BB186_16 Depth 2
	s_lshl_b32 s27, s26, 3
	s_mov_b32 s28, 0
	v_add_nc_u32_e32 v14, s27, v93
	v_add_nc_u32_e32 v84, s27, v94
	s_mov_b32 s27, -1
	ds_read2_b64 v[2:5], v14 offset1:16
	ds_read2_b64 v[18:21], v14 offset0:32 offset1:48
	ds_read2_b64 v[22:25], v14 offset0:64 offset1:80
	;; [unrolled: 1-line block ×4, first 2 shown]
	v_add_nc_u32_e32 v74, 0x800, v14
	ds_read2_b64 v[34:37], v14 offset0:160 offset1:176
	ds_read2_b64 v[38:41], v14 offset0:192 offset1:208
	;; [unrolled: 1-line block ×3, first 2 shown]
	ds_read2_b64 v[46:49], v74 offset1:16
	ds_read2_b64 v[50:53], v74 offset0:32 offset1:48
	ds_read2_b64 v[54:57], v74 offset0:64 offset1:80
	;; [unrolled: 1-line block ×6, first 2 shown]
	s_waitcnt lgkmcnt(9)
	v_max_f64 v[34:35], v[34:35], v[34:35]
	v_max_f64 v[36:37], v[36:37], v[36:37]
	;; [unrolled: 1-line block ×4, first 2 shown]
	ds_read2_b64 v[2:5], v74 offset0:224 offset1:240
	v_max_f64 v[18:19], v[18:19], v[18:19]
	v_max_f64 v[20:21], v[20:21], v[20:21]
	;; [unrolled: 1-line block ×8, first 2 shown]
	s_waitcnt lgkmcnt(9)
	v_max_f64 v[38:39], v[38:39], v[38:39]
	v_max_f64 v[40:41], v[40:41], v[40:41]
	s_waitcnt lgkmcnt(8)
	v_max_f64 v[42:43], v[42:43], v[42:43]
	v_max_f64 v[44:45], v[44:45], v[44:45]
	;; [unrolled: 3-line block ×10, first 2 shown]
	ds_read2st64_b64 v[2:5], v84 offset1:4
.LBB186_16:                             ;   Parent Loop BB186_15 Depth=1
                                        ; =>  This Inner Loop Header: Depth=2
	v_mov_b32_e32 v217, s28
	s_waitcnt lgkmcnt(0)
	v_max_f64 v[153:154], v[2:3], v[2:3]
	v_mov_b32_e32 v2, v4
	v_mov_b32_e32 v3, v5
	s_and_b32 vcc_lo, exec_lo, s27
	s_clause 0x3e
	buffer_load_dword v84, v217, s[0:3], 0 offen
	buffer_load_dword v85, v217, s[0:3], 0 offen offset:4
	buffer_load_dword v86, v217, s[0:3], 0 offen offset:8
	;; [unrolled: 1-line block ×63, first 2 shown]
	s_mov_b32 s27, 0
	s_mov_b32 s28, s18
	v_min_f64 v[155:156], v[14:15], v[153:154]
	v_min_f64 v[157:158], v[16:17], v[153:154]
	;; [unrolled: 1-line block ×32, first 2 shown]
	s_waitcnt vmcnt(62)
	v_add_f64 v[84:85], v[155:156], v[84:85]
	s_waitcnt vmcnt(60)
	v_add_f64 v[86:87], v[157:158], v[86:87]
	;; [unrolled: 2-line block ×32, first 2 shown]
	buffer_store_dword v84, v217, s[0:3], 0 offen
	buffer_store_dword v85, v217, s[0:3], 0 offen offset:4
	buffer_store_dword v86, v217, s[0:3], 0 offen offset:8
	;; [unrolled: 1-line block ×63, first 2 shown]
	s_cbranch_vccnz .LBB186_16
; %bb.17:                               ;   in Loop: Header=BB186_15 Depth=1
	s_add_i32 s26, s26, 1
	s_cmp_eq_u32 s26, 4
	s_cbranch_scc0 .LBB186_15
; %bb.18:
	s_load_dword s26, s[4:5], 0x8
	v_lshl_or_b32 v2, v78, 5, v80
	v_lshl_add_u32 v95, v0, 5, 0x1000
	v_lshl_add_u32 v96, v1, 5, 0x3000
	ds_write2st64_b64 v2, v[6:7], v[8:9] offset0:8 offset1:12
	ds_write2st64_b64 v2, v[10:11], v[12:13] offset0:24 offset1:28
	s_waitcnt lgkmcnt(0)
	s_waitcnt_vscnt null, 0x0
	s_barrier
	buffer_gl0_inv
	s_cmp_lt_i32 s26, 9
	s_cbranch_scc1 .LBB186_37
; %bb.19:
	v_mad_i64_i32 v[3:4], null, v79, s19, 0
	v_mad_i64_i32 v[5:6], null, v83, s19, 0
	v_mad_i64_i32 v[7:8], null, v81, s21, 0
	v_mad_i64_i32 v[9:10], null, v82, s21, 0
	v_lshlrev_b64 v[70:71], 3, v[3:4]
	v_add_nc_u32_e32 v97, 0x1000, v2
	v_lshlrev_b64 v[72:73], 3, v[5:6]
	v_add_nc_u32_e32 v98, 0x3000, v2
	v_lshlrev_b64 v[74:75], 3, v[7:8]
	v_mov_b32_e32 v79, 0
	v_lshlrev_b64 v[76:77], 3, v[9:10]
	s_add_i32 s19, s26, -8
	s_mov_b32 s21, 8
	s_mov_b32 s26, 0
.LBB186_20:                             ; =>This Loop Header: Depth=1
                                        ;     Child Loop BB186_25 Depth 2
                                        ;       Child Loop BB186_26 Depth 3
                                        ;     Child Loop BB186_33 Depth 2
                                        ;       Child Loop BB186_34 Depth 3
	v_or_b32_e32 v78, s21, v90
	v_mov_b32_e32 v10, 0
	v_mov_b32_e32 v8, 0
	;; [unrolled: 1-line block ×4, first 2 shown]
	v_lshlrev_b64 v[6:7], 3, v[78:79]
	v_add_co_u32 v78, vcc_lo, s24, v6
	v_add_co_ci_u32_e64 v99, null, s25, v7, vcc_lo
	s_and_b32 vcc_lo, exec_lo, s7
	s_cbranch_vccnz .LBB186_22
; %bb.21:                               ;   in Loop: Header=BB186_20 Depth=1
	v_add_co_u32 v2, vcc_lo, v78, v70
	v_add_co_ci_u32_e64 v3, null, v99, v71, vcc_lo
	global_load_dwordx2 v[2:3], v[2:3], off
	s_waitcnt vmcnt(0)
	v_mul_f64 v[8:9], s[16:17], v[2:3]
.LBB186_22:                             ;   in Loop: Header=BB186_20 Depth=1
	v_mov_b32_e32 v12, 0
	v_mov_b32_e32 v14, 0
	;; [unrolled: 1-line block ×4, first 2 shown]
	s_and_b32 vcc_lo, exec_lo, s7
	s_cbranch_vccnz .LBB186_24
; %bb.23:                               ;   in Loop: Header=BB186_20 Depth=1
	v_add_co_u32 v10, vcc_lo, s22, v6
	v_add_co_ci_u32_e64 v11, null, s23, v7, vcc_lo
	v_add_co_u32 v2, vcc_lo, v78, v72
	v_add_co_ci_u32_e64 v3, null, v99, v73, vcc_lo
	;; [unrolled: 2-line block ×4, first 2 shown]
	global_load_dwordx2 v[2:3], v[2:3], off
	s_clause 0x1
	global_load_dwordx2 v[4:5], v[4:5], off
	global_load_dwordx2 v[14:15], v[10:11], off
	s_waitcnt vmcnt(2)
	v_mul_f64 v[10:11], s[16:17], v[2:3]
	s_waitcnt vmcnt(1)
	v_mul_f64 v[12:13], s[16:17], v[4:5]
	;; [unrolled: 2-line block ×3, first 2 shown]
.LBB186_24:                             ;   in Loop: Header=BB186_20 Depth=1
	s_mov_b32 s27, 0
.LBB186_25:                             ;   Parent Loop BB186_20 Depth=1
                                        ; =>  This Loop Header: Depth=2
                                        ;       Child Loop BB186_26 Depth 3
	s_lshl_b32 s28, s27, 3
	s_mov_b32 s29, 0
	v_add_nc_u32_e32 v16, s28, v95
	v_add_nc_u32_e32 v104, s28, v96
	s_mov_b32 s28, -1
	ds_read2_b64 v[2:5], v16 offset1:16
	ds_read2_b64 v[20:23], v16 offset0:32 offset1:48
	ds_read2_b64 v[24:27], v16 offset0:64 offset1:80
	v_add_nc_u32_e32 v17, 0x800, v16
	ds_read2_b64 v[28:31], v16 offset0:96 offset1:112
	ds_read2_b64 v[32:35], v16 offset0:128 offset1:144
	;; [unrolled: 1-line block ×5, first 2 shown]
	ds_read2_b64 v[48:51], v17 offset1:16
	ds_read2_b64 v[52:55], v17 offset0:32 offset1:48
	ds_read2_b64 v[56:59], v17 offset0:64 offset1:80
	;; [unrolled: 1-line block ×7, first 2 shown]
	s_waitcnt lgkmcnt(11)
	v_max_f64 v[32:33], v[32:33], v[32:33]
	v_max_f64 v[34:35], v[34:35], v[34:35]
	s_waitcnt lgkmcnt(10)
	v_max_f64 v[36:37], v[36:37], v[36:37]
	v_max_f64 v[38:39], v[38:39], v[38:39]
	;; [unrolled: 3-line block ×3, first 2 shown]
	v_max_f64 v[16:17], v[2:3], v[2:3]
	v_max_f64 v[18:19], v[4:5], v[4:5]
	;; [unrolled: 1-line block ×8, first 2 shown]
	s_waitcnt lgkmcnt(8)
	v_max_f64 v[44:45], v[44:45], v[44:45]
	v_max_f64 v[46:47], v[46:47], v[46:47]
	s_waitcnt lgkmcnt(7)
	v_max_f64 v[48:49], v[48:49], v[48:49]
	v_max_f64 v[50:51], v[50:51], v[50:51]
	;; [unrolled: 3-line block ×9, first 2 shown]
	ds_read2st64_b64 v[2:5], v104 offset1:4
.LBB186_26:                             ;   Parent Loop BB186_20 Depth=1
                                        ;     Parent Loop BB186_25 Depth=2
                                        ; =>    This Inner Loop Header: Depth=3
	v_mov_b32_e32 v228, s29
	s_waitcnt lgkmcnt(0)
	v_max_f64 v[164:165], v[2:3], v[2:3]
	v_mov_b32_e32 v2, v4
	v_mov_b32_e32 v3, v5
	s_and_b32 vcc_lo, exec_lo, s28
	s_clause 0x3e
	buffer_load_dword v100, v228, s[0:3], 0 offen
	buffer_load_dword v101, v228, s[0:3], 0 offen offset:4
	buffer_load_dword v102, v228, s[0:3], 0 offen offset:8
	;; [unrolled: 1-line block ×63, first 2 shown]
	s_mov_b32 s28, 0
	s_mov_b32 s29, s18
	v_min_f64 v[166:167], v[16:17], v[164:165]
	v_min_f64 v[168:169], v[18:19], v[164:165]
	;; [unrolled: 1-line block ×32, first 2 shown]
	s_waitcnt vmcnt(62)
	v_add_f64 v[100:101], v[166:167], v[100:101]
	s_waitcnt vmcnt(60)
	v_add_f64 v[102:103], v[168:169], v[102:103]
	;; [unrolled: 2-line block ×32, first 2 shown]
	buffer_store_dword v100, v228, s[0:3], 0 offen
	buffer_store_dword v101, v228, s[0:3], 0 offen offset:4
	buffer_store_dword v102, v228, s[0:3], 0 offen offset:8
	;; [unrolled: 1-line block ×63, first 2 shown]
	s_cbranch_vccnz .LBB186_26
; %bb.27:                               ;   in Loop: Header=BB186_25 Depth=2
	s_add_i32 s27, s27, 1
	s_cmp_eq_u32 s27, 4
	s_cbranch_scc0 .LBB186_25
; %bb.28:                               ;   in Loop: Header=BB186_20 Depth=1
	v_mov_b32_e32 v82, 0
	v_mov_b32_e32 v80, 0
	;; [unrolled: 1-line block ×4, first 2 shown]
	s_and_b32 vcc_lo, exec_lo, s7
	ds_write2st64_b64 v91, v[8:9], v[10:11] offset1:4
	ds_write2st64_b64 v92, v[12:13], v[14:15] offset1:4
	s_waitcnt lgkmcnt(0)
	s_waitcnt_vscnt null, 0x0
	s_barrier
	buffer_gl0_inv
	s_cbranch_vccnz .LBB186_30
; %bb.29:                               ;   in Loop: Header=BB186_20 Depth=1
	v_add_co_u32 v2, vcc_lo, v78, v70
	v_add_co_ci_u32_e64 v3, null, v99, v71, vcc_lo
	global_load_dwordx2 v[2:3], v[2:3], off offset:32
	s_waitcnt vmcnt(0)
	v_mul_f64 v[80:81], s[16:17], v[2:3]
.LBB186_30:                             ;   in Loop: Header=BB186_20 Depth=1
	v_mov_b32_e32 v84, 0
	v_mov_b32_e32 v86, 0
	;; [unrolled: 1-line block ×4, first 2 shown]
	s_and_b32 vcc_lo, exec_lo, s7
	s_cbranch_vccnz .LBB186_32
; %bb.31:                               ;   in Loop: Header=BB186_20 Depth=1
	v_add_co_u32 v6, vcc_lo, s22, v6
	v_add_co_ci_u32_e64 v7, null, s23, v7, vcc_lo
	v_add_co_u32 v2, vcc_lo, v78, v72
	v_add_co_ci_u32_e64 v3, null, v99, v73, vcc_lo
	;; [unrolled: 2-line block ×4, first 2 shown]
	global_load_dwordx2 v[2:3], v[2:3], off offset:32
	s_clause 0x1
	global_load_dwordx2 v[4:5], v[4:5], off offset:32
	global_load_dwordx2 v[6:7], v[6:7], off offset:32
	s_waitcnt vmcnt(2)
	v_mul_f64 v[82:83], s[16:17], v[2:3]
	s_waitcnt vmcnt(1)
	v_mul_f64 v[84:85], s[16:17], v[4:5]
	;; [unrolled: 2-line block ×3, first 2 shown]
.LBB186_32:                             ;   in Loop: Header=BB186_20 Depth=1
	s_mov_b32 s27, 0
.LBB186_33:                             ;   Parent Loop BB186_20 Depth=1
                                        ; =>  This Loop Header: Depth=2
                                        ;       Child Loop BB186_34 Depth 3
	s_lshl_b32 s28, s27, 3
	s_mov_b32 s29, 0
	v_add_nc_u32_e32 v30, s28, v93
	v_add_nc_u32_e32 v66, s28, v94
	s_mov_b32 s28, -1
	ds_read2_b64 v[2:5], v30 offset1:16
	ds_read2_b64 v[6:9], v30 offset0:32 offset1:48
	ds_read2_b64 v[10:13], v30 offset0:64 offset1:80
	;; [unrolled: 1-line block ×3, first 2 shown]
	v_add_nc_u32_e32 v62, 0x800, v30
	ds_read2_b64 v[18:21], v30 offset0:128 offset1:144
	ds_read2_b64 v[22:25], v30 offset0:160 offset1:176
	;; [unrolled: 1-line block ×4, first 2 shown]
	ds_read2_b64 v[34:37], v62 offset1:16
	ds_read2_b64 v[38:41], v62 offset0:32 offset1:48
	ds_read2_b64 v[42:45], v62 offset0:64 offset1:80
	;; [unrolled: 1-line block ×7, first 2 shown]
	ds_read2st64_b64 v[66:69], v66 offset1:4
.LBB186_34:                             ;   Parent Loop BB186_20 Depth=1
                                        ;     Parent Loop BB186_33 Depth=2
                                        ; =>    This Inner Loop Header: Depth=3
	v_mov_b32_e32 v78, s29
	s_waitcnt lgkmcnt(16)
	v_max_f64 v[161:162], v[2:3], v[2:3]
	s_waitcnt lgkmcnt(0)
	v_max_f64 v[163:164], v[66:67], v[66:67]
	v_max_f64 v[165:166], v[4:5], v[4:5]
	;; [unrolled: 1-line block ×3, first 2 shown]
	s_clause 0x3e
	buffer_load_dword v88, v78, s[0:3], 0 offen
	buffer_load_dword v89, v78, s[0:3], 0 offen offset:4
	buffer_load_dword v99, v78, s[0:3], 0 offen offset:8
	;; [unrolled: 1-line block ×63, first 2 shown]
	v_max_f64 v[169:170], v[8:9], v[8:9]
	v_max_f64 v[171:172], v[10:11], v[10:11]
	;; [unrolled: 1-line block ×29, first 2 shown]
	v_min_f64 v[161:162], v[161:162], v[163:164]
	v_min_f64 v[165:166], v[165:166], v[163:164]
	;; [unrolled: 1-line block ×32, first 2 shown]
	v_mov_b32_e32 v66, v68
	v_mov_b32_e32 v67, v69
	s_and_b32 vcc_lo, exec_lo, s28
	s_mov_b32 s28, 0
	s_mov_b32 s29, s18
	s_waitcnt vmcnt(62)
	v_add_f64 v[88:89], v[161:162], v[88:89]
	s_waitcnt vmcnt(60)
	v_add_f64 v[99:100], v[165:166], v[99:100]
	;; [unrolled: 2-line block ×32, first 2 shown]
	buffer_store_dword v88, v78, s[0:3], 0 offen
	buffer_store_dword v89, v78, s[0:3], 0 offen offset:4
	buffer_store_dword v99, v78, s[0:3], 0 offen offset:8
	;; [unrolled: 1-line block ×63, first 2 shown]
	s_cbranch_vccnz .LBB186_34
; %bb.35:                               ;   in Loop: Header=BB186_33 Depth=2
	s_add_i32 s27, s27, 1
	s_cmp_eq_u32 s27, 4
	s_cbranch_scc0 .LBB186_33
; %bb.36:                               ;   in Loop: Header=BB186_20 Depth=1
	s_add_i32 s26, s26, 8
	s_add_i32 s21, s21, 8
	s_cmp_ge_i32 s26, s19
	ds_write2st64_b64 v97, v[80:81], v[82:83] offset1:4
	ds_write2st64_b64 v98, v[84:85], v[86:87] offset1:4
	s_waitcnt lgkmcnt(0)
	s_waitcnt_vscnt null, 0x0
	s_barrier
	buffer_gl0_inv
	s_cbranch_scc0 .LBB186_20
.LBB186_37:
	s_mov_b32 s7, 0
.LBB186_38:                             ; =>This Loop Header: Depth=1
                                        ;     Child Loop BB186_39 Depth 2
	s_lshl_b32 s16, s7, 3
	s_mov_b32 s17, 0
	v_add_nc_u32_e32 v6, s16, v95
	v_add_nc_u32_e32 v70, s16, v96
	s_mov_b32 s16, -1
	ds_read2_b64 v[2:5], v6 offset1:16
	ds_read2_b64 v[10:13], v6 offset0:32 offset1:48
	ds_read2_b64 v[14:17], v6 offset0:64 offset1:80
	v_add_nc_u32_e32 v7, 0x800, v6
	ds_read2_b64 v[18:21], v6 offset0:96 offset1:112
	ds_read2_b64 v[22:25], v6 offset0:128 offset1:144
	;; [unrolled: 1-line block ×5, first 2 shown]
	ds_read2_b64 v[38:41], v7 offset1:16
	ds_read2_b64 v[42:45], v7 offset0:32 offset1:48
	ds_read2_b64 v[46:49], v7 offset0:64 offset1:80
	;; [unrolled: 1-line block ×7, first 2 shown]
	s_waitcnt lgkmcnt(11)
	v_max_f64 v[22:23], v[22:23], v[22:23]
	v_max_f64 v[24:25], v[24:25], v[24:25]
	s_waitcnt lgkmcnt(10)
	v_max_f64 v[26:27], v[26:27], v[26:27]
	v_max_f64 v[28:29], v[28:29], v[28:29]
	;; [unrolled: 3-line block ×3, first 2 shown]
	v_max_f64 v[6:7], v[2:3], v[2:3]
	v_max_f64 v[8:9], v[4:5], v[4:5]
	v_max_f64 v[10:11], v[10:11], v[10:11]
	v_max_f64 v[12:13], v[12:13], v[12:13]
	v_max_f64 v[14:15], v[14:15], v[14:15]
	v_max_f64 v[16:17], v[16:17], v[16:17]
	v_max_f64 v[18:19], v[18:19], v[18:19]
	v_max_f64 v[20:21], v[20:21], v[20:21]
	s_waitcnt lgkmcnt(8)
	v_max_f64 v[34:35], v[34:35], v[34:35]
	v_max_f64 v[36:37], v[36:37], v[36:37]
	s_waitcnt lgkmcnt(7)
	v_max_f64 v[38:39], v[38:39], v[38:39]
	v_max_f64 v[40:41], v[40:41], v[40:41]
	;; [unrolled: 3-line block ×9, first 2 shown]
	ds_read2st64_b64 v[2:5], v70 offset1:4
.LBB186_39:                             ;   Parent Loop BB186_38 Depth=1
                                        ; =>  This Inner Loop Header: Depth=2
	v_mov_b32_e32 v94, s17
	s_waitcnt lgkmcnt(0)
	v_max_f64 v[137:138], v[2:3], v[2:3]
	v_mov_b32_e32 v2, v4
	v_mov_b32_e32 v3, v5
	s_and_b32 vcc_lo, exec_lo, s16
	s_clause 0x3e
	buffer_load_dword v70, v94, s[0:3], 0 offen
	buffer_load_dword v71, v94, s[0:3], 0 offen offset:4
	buffer_load_dword v72, v94, s[0:3], 0 offen offset:8
	;; [unrolled: 1-line block ×63, first 2 shown]
	s_mov_b32 s16, 0
	s_mov_b32 s17, s18
	v_min_f64 v[139:140], v[6:7], v[137:138]
	v_min_f64 v[141:142], v[8:9], v[137:138]
	;; [unrolled: 1-line block ×32, first 2 shown]
	s_waitcnt vmcnt(62)
	v_add_f64 v[70:71], v[139:140], v[70:71]
	s_waitcnt vmcnt(60)
	v_add_f64 v[72:73], v[141:142], v[72:73]
	s_waitcnt vmcnt(58)
	v_add_f64 v[74:75], v[143:144], v[74:75]
	s_waitcnt vmcnt(56)
	v_add_f64 v[76:77], v[145:146], v[76:77]
	s_waitcnt vmcnt(54)
	v_add_f64 v[78:79], v[147:148], v[78:79]
	s_waitcnt vmcnt(52)
	v_add_f64 v[80:81], v[149:150], v[80:81]
	s_waitcnt vmcnt(50)
	v_add_f64 v[82:83], v[151:152], v[82:83]
	s_waitcnt vmcnt(48)
	v_add_f64 v[84:85], v[153:154], v[84:85]
	s_waitcnt vmcnt(45)
	v_add_f64 v[88:89], v[157:158], v[88:89]
	s_waitcnt vmcnt(43)
	v_add_f64 v[90:91], v[159:160], v[90:91]
	s_waitcnt vmcnt(41)
	v_add_f64 v[92:93], v[161:162], v[92:93]
	s_waitcnt vmcnt(40)
	v_add_f64 v[86:87], v[155:156], v[86:87]
	s_waitcnt vmcnt(38)
	v_add_f64 v[97:98], v[163:164], v[97:98]
	s_waitcnt vmcnt(36)
	v_add_f64 v[99:100], v[165:166], v[99:100]
	s_waitcnt vmcnt(34)
	v_add_f64 v[101:102], v[167:168], v[101:102]
	s_waitcnt vmcnt(32)
	v_add_f64 v[103:104], v[169:170], v[103:104]
	s_waitcnt vmcnt(30)
	v_add_f64 v[105:106], v[171:172], v[105:106]
	s_waitcnt vmcnt(28)
	v_add_f64 v[107:108], v[173:174], v[107:108]
	s_waitcnt vmcnt(26)
	v_add_f64 v[109:110], v[175:176], v[109:110]
	s_waitcnt vmcnt(24)
	v_add_f64 v[111:112], v[177:178], v[111:112]
	s_waitcnt vmcnt(22)
	v_add_f64 v[113:114], v[179:180], v[113:114]
	s_waitcnt vmcnt(20)
	v_add_f64 v[115:116], v[181:182], v[115:116]
	s_waitcnt vmcnt(18)
	v_add_f64 v[117:118], v[183:184], v[117:118]
	s_waitcnt vmcnt(16)
	v_add_f64 v[119:120], v[185:186], v[119:120]
	s_waitcnt vmcnt(14)
	v_add_f64 v[121:122], v[187:188], v[121:122]
	s_waitcnt vmcnt(12)
	v_add_f64 v[123:124], v[189:190], v[123:124]
	s_waitcnt vmcnt(10)
	v_add_f64 v[125:126], v[191:192], v[125:126]
	s_waitcnt vmcnt(8)
	v_add_f64 v[127:128], v[193:194], v[127:128]
	s_waitcnt vmcnt(6)
	v_add_f64 v[129:130], v[195:196], v[129:130]
	s_waitcnt vmcnt(4)
	v_add_f64 v[131:132], v[197:198], v[131:132]
	s_waitcnt vmcnt(2)
	v_add_f64 v[133:134], v[199:200], v[133:134]
	s_waitcnt vmcnt(0)
	v_add_f64 v[135:136], v[137:138], v[135:136]
	buffer_store_dword v70, v94, s[0:3], 0 offen
	buffer_store_dword v71, v94, s[0:3], 0 offen offset:4
	buffer_store_dword v72, v94, s[0:3], 0 offen offset:8
	;; [unrolled: 1-line block ×63, first 2 shown]
	s_cbranch_vccnz .LBB186_39
; %bb.40:                               ;   in Loop: Header=BB186_38 Depth=1
	s_add_i32 s7, s7, 1
	s_cmp_eq_u32 s7, 4
	s_cbranch_scc0 .LBB186_38
; %bb.41:
	s_clause 0x1
	buffer_load_dword v2, off, s[0:3], 0
	buffer_load_dword v3, off, s[0:3], 0 offset:4
	s_load_dword s7, s[4:5], 0x58
	v_add_nc_u32_e32 v71, s8, v1
	v_add_nc_u32_e32 v12, s6, v0
	v_cndmask_b32_e64 v0, 0, 1, s9
	v_mov_b32_e32 v8, 0
	v_mov_b32_e32 v9, 0
	v_ashrrev_i32_e32 v13, 31, v12
	v_cmp_ne_u32_e64 s6, 1, v0
	v_lshlrev_b64 v[0:1], 3, v[12:13]
	s_waitcnt lgkmcnt(0)
	v_mad_i64_i32 v[4:5], null, v71, s7, 0
	v_lshlrev_b64 v[6:7], 3, v[4:5]
	v_mov_b32_e32 v4, 0
	v_mov_b32_e32 v5, 0
	v_add_co_u32 v72, vcc_lo, s12, v6
	v_add_co_ci_u32_e64 v73, null, s13, v7, vcc_lo
	s_andn2_b32 vcc_lo, exec_lo, s9
	s_cbranch_vccnz .LBB186_43
; %bb.42:
	v_add_co_u32 v6, vcc_lo, v72, v0
	v_add_co_ci_u32_e64 v7, null, v73, v1, vcc_lo
	global_load_dwordx2 v[6:7], v[6:7], off
	s_waitcnt vmcnt(0)
	v_mul_f64 v[8:9], s[14:15], v[6:7]
.LBB186_43:
	s_clause 0x1
	buffer_load_dword v6, off, s[0:3], 0 offset:8
	buffer_load_dword v7, off, s[0:3], 0 offset:12
	s_clause 0x1
	s_load_dwordx2 s[8:9], s[4:5], 0x78
	s_load_dword s4, s[4:5], 0x70
	s_waitcnt vmcnt(2)
	v_add_f64 v[8:9], v[2:3], v[8:9]
	s_waitcnt lgkmcnt(0)
	s_mul_i32 s5, s9, s20
	v_mad_i64_i32 v[10:11], null, v71, s4, 0
	s_mul_hi_u32 s9, s8, s20
	s_mul_i32 s8, s8, s20
	s_add_i32 s9, s9, s5
	s_lshl_b64 s[8:9], s[8:9], 3
	v_lshlrev_b64 v[2:3], 3, v[10:11]
	v_add_nc_u32_e32 v10, 4, v12
	s_add_u32 s5, s10, s8
	s_addc_u32 s8, s11, s9
	v_ashrrev_i32_e32 v11, 31, v10
	v_add_co_u32 v74, vcc_lo, s5, v2
	v_add_co_ci_u32_e64 v75, null, s8, v3, vcc_lo
	v_lshlrev_b64 v[2:3], 3, v[10:11]
	v_add_co_u32 v13, vcc_lo, v74, v0
	v_add_co_ci_u32_e64 v14, null, v75, v1, vcc_lo
	s_and_b32 vcc_lo, exec_lo, s6
	global_store_dwordx2 v[13:14], v[8:9], off
	s_cbranch_vccnz .LBB186_45
; %bb.44:
	v_add_co_u32 v4, vcc_lo, v72, v2
	v_add_co_ci_u32_e64 v5, null, v73, v3, vcc_lo
	global_load_dwordx2 v[4:5], v[4:5], off
	s_waitcnt vmcnt(0)
	v_mul_f64 v[4:5], s[14:15], v[4:5]
.LBB186_45:
	s_clause 0x1
	buffer_load_dword v10, off, s[0:3], 0 offset:16
	buffer_load_dword v11, off, s[0:3], 0 offset:20
	s_waitcnt vmcnt(2)
	v_add_f64 v[13:14], v[6:7], v[4:5]
	v_add_nc_u32_e32 v4, 8, v12
	v_add_co_u32 v15, vcc_lo, v74, v2
	v_mov_b32_e32 v8, 0
	v_mov_b32_e32 v6, 0
	v_ashrrev_i32_e32 v5, 31, v4
	v_add_co_ci_u32_e64 v16, null, v75, v3, vcc_lo
	v_mov_b32_e32 v9, 0
	v_mov_b32_e32 v7, 0
	v_lshlrev_b64 v[4:5], 3, v[4:5]
	s_and_b32 vcc_lo, exec_lo, s6
	global_store_dwordx2 v[15:16], v[13:14], off
	s_cbranch_vccnz .LBB186_47
; %bb.46:
	v_add_co_u32 v6, vcc_lo, v72, v4
	v_add_co_ci_u32_e64 v7, null, v73, v5, vcc_lo
	global_load_dwordx2 v[6:7], v[6:7], off
	s_waitcnt vmcnt(0)
	v_mul_f64 v[6:7], s[14:15], v[6:7]
.LBB186_47:
	s_clause 0x1
	buffer_load_dword v13, off, s[0:3], 0 offset:24
	buffer_load_dword v14, off, s[0:3], 0 offset:28
	s_waitcnt vmcnt(2)
	v_add_f64 v[10:11], v[10:11], v[6:7]
	v_add_nc_u32_e32 v6, 12, v12
	v_add_co_u32 v15, vcc_lo, v74, v4
	v_add_co_ci_u32_e64 v16, null, v75, v5, vcc_lo
	v_ashrrev_i32_e32 v7, 31, v6
	s_and_b32 vcc_lo, exec_lo, s6
	v_lshlrev_b64 v[6:7], 3, v[6:7]
	global_store_dwordx2 v[15:16], v[10:11], off
	s_cbranch_vccnz .LBB186_49
; %bb.48:
	v_add_co_u32 v8, vcc_lo, v72, v6
	v_add_co_ci_u32_e64 v9, null, v73, v7, vcc_lo
	global_load_dwordx2 v[8:9], v[8:9], off
	s_waitcnt vmcnt(0)
	v_mul_f64 v[8:9], s[14:15], v[8:9]
.LBB186_49:
	s_clause 0x1
	buffer_load_dword v10, off, s[0:3], 0 offset:32
	buffer_load_dword v11, off, s[0:3], 0 offset:36
	s_waitcnt vmcnt(2)
	v_add_f64 v[17:18], v[13:14], v[8:9]
	v_add_nc_u32_e32 v8, 16, v12
	v_add_co_u32 v19, vcc_lo, v74, v6
	v_mov_b32_e32 v13, 0
	v_mov_b32_e32 v15, 0
	v_ashrrev_i32_e32 v9, 31, v8
	v_add_co_ci_u32_e64 v20, null, v75, v7, vcc_lo
	v_mov_b32_e32 v14, 0
	v_mov_b32_e32 v16, 0
	v_lshlrev_b64 v[8:9], 3, v[8:9]
	s_and_b32 vcc_lo, exec_lo, s6
	global_store_dwordx2 v[19:20], v[17:18], off
	s_cbranch_vccnz .LBB186_51
; %bb.50:
	v_add_co_u32 v15, vcc_lo, v72, v8
	v_add_co_ci_u32_e64 v16, null, v73, v9, vcc_lo
	global_load_dwordx2 v[15:16], v[15:16], off
	s_waitcnt vmcnt(0)
	v_mul_f64 v[15:16], s[14:15], v[15:16]
.LBB186_51:
	s_clause 0x1
	buffer_load_dword v17, off, s[0:3], 0 offset:40
	buffer_load_dword v18, off, s[0:3], 0 offset:44
	s_waitcnt vmcnt(2)
	v_add_f64 v[15:16], v[10:11], v[15:16]
	v_add_nc_u32_e32 v10, 20, v12
	v_add_co_u32 v19, vcc_lo, v74, v8
	v_add_co_ci_u32_e64 v20, null, v75, v9, vcc_lo
	v_ashrrev_i32_e32 v11, 31, v10
	s_and_b32 vcc_lo, exec_lo, s6
	v_lshlrev_b64 v[10:11], 3, v[10:11]
	;; [unrolled: 44-line block ×15, first 2 shown]
	global_store_dwordx2 v[76:77], v[67:68], off
	s_cbranch_vccnz .LBB186_105
; %bb.104:
	v_add_co_u32 v65, vcc_lo, v72, v63
	v_add_co_ci_u32_e64 v66, null, v73, v64, vcc_lo
	global_load_dwordx2 v[65:66], v[65:66], off
	s_waitcnt vmcnt(0)
	v_mul_f64 v[65:66], s[14:15], v[65:66]
.LBB186_105:
	s_clause 0x1
	buffer_load_dword v67, off, s[0:3], 0 offset:256
	buffer_load_dword v68, off, s[0:3], 0 offset:260
	v_add_nc_u32_e32 v76, 64, v71
	s_waitcnt vmcnt(2)
	v_add_f64 v[69:70], v[69:70], v[65:66]
	v_add_co_u32 v74, vcc_lo, v74, v63
	v_add_co_ci_u32_e64 v75, null, v75, v64, vcc_lo
	v_mad_i64_i32 v[65:66], null, v76, s7, 0
	v_mov_b32_e32 v71, 0
	v_mov_b32_e32 v72, 0
	v_lshlrev_b64 v[77:78], 3, v[65:66]
	v_mov_b32_e32 v65, 0
	v_mov_b32_e32 v66, 0
	v_add_co_u32 v12, vcc_lo, s12, v77
	v_add_co_ci_u32_e64 v73, null, s13, v78, vcc_lo
	s_and_b32 vcc_lo, exec_lo, s6
	global_store_dwordx2 v[74:75], v[69:70], off
	s_cbranch_vccnz .LBB186_107
; %bb.106:
	v_add_co_u32 v69, vcc_lo, v12, v0
	v_add_co_ci_u32_e64 v70, null, v73, v1, vcc_lo
	global_load_dwordx2 v[69:70], v[69:70], off
	s_waitcnt vmcnt(0)
	v_mul_f64 v[71:72], s[14:15], v[69:70]
.LBB186_107:
	s_clause 0x1
	buffer_load_dword v69, off, s[0:3], 0 offset:264
	buffer_load_dword v70, off, s[0:3], 0 offset:268
	v_mad_i64_i32 v[74:75], null, v76, s4, 0
	s_waitcnt vmcnt(2)
	v_add_f64 v[67:68], v[67:68], v[71:72]
	v_lshlrev_b64 v[71:72], 3, v[74:75]
	v_add_co_u32 v71, vcc_lo, s5, v71
	v_add_co_ci_u32_e64 v72, null, s8, v72, vcc_lo
	v_add_co_u32 v0, vcc_lo, v71, v0
	v_add_co_ci_u32_e64 v1, null, v72, v1, vcc_lo
	s_and_b32 vcc_lo, exec_lo, s6
	global_store_dwordx2 v[0:1], v[67:68], off
	s_cbranch_vccnz .LBB186_109
; %bb.108:
	v_add_co_u32 v0, vcc_lo, v12, v2
	v_add_co_ci_u32_e64 v1, null, v73, v3, vcc_lo
	global_load_dwordx2 v[0:1], v[0:1], off
	s_waitcnt vmcnt(0)
	v_mul_f64 v[65:66], s[14:15], v[0:1]
.LBB186_109:
	s_clause 0x1
	buffer_load_dword v67, off, s[0:3], 0 offset:272
	buffer_load_dword v68, off, s[0:3], 0 offset:276
	s_waitcnt vmcnt(2)
	v_add_f64 v[65:66], v[69:70], v[65:66]
	v_add_co_u32 v69, vcc_lo, v71, v2
	v_add_co_ci_u32_e64 v70, null, v72, v3, vcc_lo
	v_mov_b32_e32 v0, 0
	v_mov_b32_e32 v2, 0
	;; [unrolled: 1-line block ×4, first 2 shown]
	s_and_b32 vcc_lo, exec_lo, s6
	global_store_dwordx2 v[69:70], v[65:66], off
	s_cbranch_vccnz .LBB186_111
; %bb.110:
	v_add_co_u32 v2, vcc_lo, v12, v4
	v_add_co_ci_u32_e64 v3, null, v73, v5, vcc_lo
	global_load_dwordx2 v[2:3], v[2:3], off
	s_waitcnt vmcnt(0)
	v_mul_f64 v[2:3], s[14:15], v[2:3]
.LBB186_111:
	s_clause 0x1
	buffer_load_dword v65, off, s[0:3], 0 offset:280
	buffer_load_dword v66, off, s[0:3], 0 offset:284
	s_waitcnt vmcnt(2)
	v_add_f64 v[2:3], v[67:68], v[2:3]
	v_add_co_u32 v4, vcc_lo, v71, v4
	v_add_co_ci_u32_e64 v5, null, v72, v5, vcc_lo
	s_and_b32 vcc_lo, exec_lo, s6
	global_store_dwordx2 v[4:5], v[2:3], off
	s_cbranch_vccnz .LBB186_113
; %bb.112:
	v_add_co_u32 v0, vcc_lo, v12, v6
	v_add_co_ci_u32_e64 v1, null, v73, v7, vcc_lo
	global_load_dwordx2 v[0:1], v[0:1], off
	s_waitcnt vmcnt(0)
	v_mul_f64 v[0:1], s[14:15], v[0:1]
.LBB186_113:
	s_clause 0x1
	buffer_load_dword v2, off, s[0:3], 0 offset:288
	buffer_load_dword v3, off, s[0:3], 0 offset:292
	s_waitcnt vmcnt(2)
	v_add_f64 v[4:5], v[65:66], v[0:1]
	v_add_co_u32 v65, vcc_lo, v71, v6
	v_add_co_ci_u32_e64 v66, null, v72, v7, vcc_lo
	v_mov_b32_e32 v0, 0
	v_mov_b32_e32 v6, 0
	;; [unrolled: 1-line block ×4, first 2 shown]
	s_and_b32 vcc_lo, exec_lo, s6
	global_store_dwordx2 v[65:66], v[4:5], off
	s_cbranch_vccnz .LBB186_115
; %bb.114:
	v_add_co_u32 v4, vcc_lo, v12, v8
	v_add_co_ci_u32_e64 v5, null, v73, v9, vcc_lo
	global_load_dwordx2 v[4:5], v[4:5], off
	s_waitcnt vmcnt(0)
	v_mul_f64 v[6:7], s[14:15], v[4:5]
.LBB186_115:
	s_clause 0x1
	buffer_load_dword v4, off, s[0:3], 0 offset:296
	buffer_load_dword v5, off, s[0:3], 0 offset:300
	s_waitcnt vmcnt(2)
	v_add_f64 v[2:3], v[2:3], v[6:7]
	v_add_co_u32 v6, vcc_lo, v71, v8
	v_add_co_ci_u32_e64 v7, null, v72, v9, vcc_lo
	s_and_b32 vcc_lo, exec_lo, s6
	global_store_dwordx2 v[6:7], v[2:3], off
	s_cbranch_vccnz .LBB186_117
; %bb.116:
	v_add_co_u32 v0, vcc_lo, v12, v10
	v_add_co_ci_u32_e64 v1, null, v73, v11, vcc_lo
	global_load_dwordx2 v[0:1], v[0:1], off
	s_waitcnt vmcnt(0)
	v_mul_f64 v[0:1], s[14:15], v[0:1]
.LBB186_117:
	s_clause 0x1
	buffer_load_dword v2, off, s[0:3], 0 offset:304
	buffer_load_dword v3, off, s[0:3], 0 offset:308
	s_waitcnt vmcnt(2)
	v_add_f64 v[4:5], v[4:5], v[0:1]
	v_add_co_u32 v8, vcc_lo, v71, v10
	v_mov_b32_e32 v0, 0
	v_mov_b32_e32 v6, 0
	v_add_co_ci_u32_e64 v9, null, v72, v11, vcc_lo
	v_mov_b32_e32 v1, 0
	v_mov_b32_e32 v7, 0
	s_and_b32 vcc_lo, exec_lo, s6
	global_store_dwordx2 v[8:9], v[4:5], off
	s_cbranch_vccnz .LBB186_119
; %bb.118:
	v_add_co_u32 v4, vcc_lo, v12, v13
	v_add_co_ci_u32_e64 v5, null, v73, v14, vcc_lo
	global_load_dwordx2 v[4:5], v[4:5], off
	s_waitcnt vmcnt(0)
	v_mul_f64 v[6:7], s[14:15], v[4:5]
.LBB186_119:
	s_clause 0x1
	buffer_load_dword v4, off, s[0:3], 0 offset:312
	buffer_load_dword v5, off, s[0:3], 0 offset:316
	s_waitcnt vmcnt(2)
	v_add_f64 v[2:3], v[2:3], v[6:7]
	v_add_co_u32 v6, vcc_lo, v71, v13
	v_add_co_ci_u32_e64 v7, null, v72, v14, vcc_lo
	s_and_b32 vcc_lo, exec_lo, s6
	global_store_dwordx2 v[6:7], v[2:3], off
	s_cbranch_vccnz .LBB186_121
; %bb.120:
	v_add_co_u32 v0, vcc_lo, v12, v15
	v_add_co_ci_u32_e64 v1, null, v73, v16, vcc_lo
	global_load_dwordx2 v[0:1], v[0:1], off
	s_waitcnt vmcnt(0)
	v_mul_f64 v[0:1], s[14:15], v[0:1]
.LBB186_121:
	s_clause 0x1
	buffer_load_dword v2, off, s[0:3], 0 offset:320
	buffer_load_dword v3, off, s[0:3], 0 offset:324
	s_waitcnt vmcnt(2)
	v_add_f64 v[4:5], v[4:5], v[0:1]
	v_add_co_u32 v8, vcc_lo, v71, v15
	v_mov_b32_e32 v0, 0
	v_mov_b32_e32 v6, 0
	v_add_co_ci_u32_e64 v9, null, v72, v16, vcc_lo
	v_mov_b32_e32 v1, 0
	v_mov_b32_e32 v7, 0
	;; [unrolled: 38-line block ×13, first 2 shown]
	s_and_b32 vcc_lo, exec_lo, s6
	global_store_dwordx2 v[8:9], v[4:5], off
	s_cbranch_vccnz .LBB186_167
; %bb.166:
	v_add_co_u32 v4, vcc_lo, v12, v61
	v_add_co_ci_u32_e64 v5, null, v73, v62, vcc_lo
	global_load_dwordx2 v[4:5], v[4:5], off
	s_waitcnt vmcnt(0)
	v_mul_f64 v[6:7], s[14:15], v[4:5]
.LBB186_167:
	s_clause 0x1
	buffer_load_dword v4, off, s[0:3], 0 offset:504
	buffer_load_dword v5, off, s[0:3], 0 offset:508
	s_waitcnt vmcnt(2)
	v_add_f64 v[2:3], v[2:3], v[6:7]
	v_add_co_u32 v6, vcc_lo, v71, v61
	v_add_co_ci_u32_e64 v7, null, v72, v62, vcc_lo
	s_and_b32 vcc_lo, exec_lo, s6
	global_store_dwordx2 v[6:7], v[2:3], off
	s_cbranch_vccnz .LBB186_169
; %bb.168:
	v_add_co_u32 v0, vcc_lo, v12, v63
	v_add_co_ci_u32_e64 v1, null, v73, v64, vcc_lo
	global_load_dwordx2 v[0:1], v[0:1], off
	s_waitcnt vmcnt(0)
	v_mul_f64 v[0:1], s[14:15], v[0:1]
.LBB186_169:
	s_waitcnt vmcnt(0)
	v_add_f64 v[0:1], v[4:5], v[0:1]
	v_add_co_u32 v2, vcc_lo, v71, v63
	v_add_co_ci_u32_e64 v3, null, v72, v64, vcc_lo
	global_store_dwordx2 v[2:3], v[0:1], off
	s_endpgm
	.section	.rodata,"a",@progbits
	.p2align	6, 0x0
	.amdhsa_kernel _ZN12_GLOBAL__N_120geam_min_plus_kernelIdddLi4ELi64ELi128ELi128ELi4ELi4ELi64ELi4ELi64ELc84ELc78ELb0ELb0ELb0EPKdS1_dEEviiiT16_PT17_ilS5_ilS3_S5_ilPT18_ili26rocblas_geam_ex_operation_
		.amdhsa_group_segment_fixed_size 16384
		.amdhsa_private_segment_fixed_size 528
		.amdhsa_kernarg_size 136
		.amdhsa_user_sgpr_count 6
		.amdhsa_user_sgpr_private_segment_buffer 1
		.amdhsa_user_sgpr_dispatch_ptr 0
		.amdhsa_user_sgpr_queue_ptr 0
		.amdhsa_user_sgpr_kernarg_segment_ptr 1
		.amdhsa_user_sgpr_dispatch_id 0
		.amdhsa_user_sgpr_flat_scratch_init 0
		.amdhsa_user_sgpr_private_segment_size 0
		.amdhsa_wavefront_size32 1
		.amdhsa_uses_dynamic_stack 0
		.amdhsa_system_sgpr_private_segment_wavefront_offset 1
		.amdhsa_system_sgpr_workgroup_id_x 1
		.amdhsa_system_sgpr_workgroup_id_y 0
		.amdhsa_system_sgpr_workgroup_id_z 1
		.amdhsa_system_sgpr_workgroup_info 0
		.amdhsa_system_vgpr_workitem_id 1
		.amdhsa_next_free_vgpr 229
		.amdhsa_next_free_sgpr 30
		.amdhsa_reserve_vcc 1
		.amdhsa_reserve_flat_scratch 0
		.amdhsa_float_round_mode_32 0
		.amdhsa_float_round_mode_16_64 0
		.amdhsa_float_denorm_mode_32 3
		.amdhsa_float_denorm_mode_16_64 3
		.amdhsa_dx10_clamp 1
		.amdhsa_ieee_mode 1
		.amdhsa_fp16_overflow 0
		.amdhsa_workgroup_processor_mode 1
		.amdhsa_memory_ordered 1
		.amdhsa_forward_progress 1
		.amdhsa_shared_vgpr_count 0
		.amdhsa_exception_fp_ieee_invalid_op 0
		.amdhsa_exception_fp_denorm_src 0
		.amdhsa_exception_fp_ieee_div_zero 0
		.amdhsa_exception_fp_ieee_overflow 0
		.amdhsa_exception_fp_ieee_underflow 0
		.amdhsa_exception_fp_ieee_inexact 0
		.amdhsa_exception_int_div_zero 0
	.end_amdhsa_kernel
	.section	.text._ZN12_GLOBAL__N_120geam_min_plus_kernelIdddLi4ELi64ELi128ELi128ELi4ELi4ELi64ELi4ELi64ELc84ELc78ELb0ELb0ELb0EPKdS1_dEEviiiT16_PT17_ilS5_ilS3_S5_ilPT18_ili26rocblas_geam_ex_operation_,"axG",@progbits,_ZN12_GLOBAL__N_120geam_min_plus_kernelIdddLi4ELi64ELi128ELi128ELi4ELi4ELi64ELi4ELi64ELc84ELc78ELb0ELb0ELb0EPKdS1_dEEviiiT16_PT17_ilS5_ilS3_S5_ilPT18_ili26rocblas_geam_ex_operation_,comdat
.Lfunc_end186:
	.size	_ZN12_GLOBAL__N_120geam_min_plus_kernelIdddLi4ELi64ELi128ELi128ELi4ELi4ELi64ELi4ELi64ELc84ELc78ELb0ELb0ELb0EPKdS1_dEEviiiT16_PT17_ilS5_ilS3_S5_ilPT18_ili26rocblas_geam_ex_operation_, .Lfunc_end186-_ZN12_GLOBAL__N_120geam_min_plus_kernelIdddLi4ELi64ELi128ELi128ELi4ELi4ELi64ELi4ELi64ELc84ELc78ELb0ELb0ELb0EPKdS1_dEEviiiT16_PT17_ilS5_ilS3_S5_ilPT18_ili26rocblas_geam_ex_operation_
                                        ; -- End function
	.set _ZN12_GLOBAL__N_120geam_min_plus_kernelIdddLi4ELi64ELi128ELi128ELi4ELi4ELi64ELi4ELi64ELc84ELc78ELb0ELb0ELb0EPKdS1_dEEviiiT16_PT17_ilS5_ilS3_S5_ilPT18_ili26rocblas_geam_ex_operation_.num_vgpr, 229
	.set _ZN12_GLOBAL__N_120geam_min_plus_kernelIdddLi4ELi64ELi128ELi128ELi4ELi4ELi64ELi4ELi64ELc84ELc78ELb0ELb0ELb0EPKdS1_dEEviiiT16_PT17_ilS5_ilS3_S5_ilPT18_ili26rocblas_geam_ex_operation_.num_agpr, 0
	.set _ZN12_GLOBAL__N_120geam_min_plus_kernelIdddLi4ELi64ELi128ELi128ELi4ELi4ELi64ELi4ELi64ELc84ELc78ELb0ELb0ELb0EPKdS1_dEEviiiT16_PT17_ilS5_ilS3_S5_ilPT18_ili26rocblas_geam_ex_operation_.numbered_sgpr, 30
	.set _ZN12_GLOBAL__N_120geam_min_plus_kernelIdddLi4ELi64ELi128ELi128ELi4ELi4ELi64ELi4ELi64ELc84ELc78ELb0ELb0ELb0EPKdS1_dEEviiiT16_PT17_ilS5_ilS3_S5_ilPT18_ili26rocblas_geam_ex_operation_.num_named_barrier, 0
	.set _ZN12_GLOBAL__N_120geam_min_plus_kernelIdddLi4ELi64ELi128ELi128ELi4ELi4ELi64ELi4ELi64ELc84ELc78ELb0ELb0ELb0EPKdS1_dEEviiiT16_PT17_ilS5_ilS3_S5_ilPT18_ili26rocblas_geam_ex_operation_.private_seg_size, 528
	.set _ZN12_GLOBAL__N_120geam_min_plus_kernelIdddLi4ELi64ELi128ELi128ELi4ELi4ELi64ELi4ELi64ELc84ELc78ELb0ELb0ELb0EPKdS1_dEEviiiT16_PT17_ilS5_ilS3_S5_ilPT18_ili26rocblas_geam_ex_operation_.uses_vcc, 1
	.set _ZN12_GLOBAL__N_120geam_min_plus_kernelIdddLi4ELi64ELi128ELi128ELi4ELi4ELi64ELi4ELi64ELc84ELc78ELb0ELb0ELb0EPKdS1_dEEviiiT16_PT17_ilS5_ilS3_S5_ilPT18_ili26rocblas_geam_ex_operation_.uses_flat_scratch, 0
	.set _ZN12_GLOBAL__N_120geam_min_plus_kernelIdddLi4ELi64ELi128ELi128ELi4ELi4ELi64ELi4ELi64ELc84ELc78ELb0ELb0ELb0EPKdS1_dEEviiiT16_PT17_ilS5_ilS3_S5_ilPT18_ili26rocblas_geam_ex_operation_.has_dyn_sized_stack, 0
	.set _ZN12_GLOBAL__N_120geam_min_plus_kernelIdddLi4ELi64ELi128ELi128ELi4ELi4ELi64ELi4ELi64ELc84ELc78ELb0ELb0ELb0EPKdS1_dEEviiiT16_PT17_ilS5_ilS3_S5_ilPT18_ili26rocblas_geam_ex_operation_.has_recursion, 0
	.set _ZN12_GLOBAL__N_120geam_min_plus_kernelIdddLi4ELi64ELi128ELi128ELi4ELi4ELi64ELi4ELi64ELc84ELc78ELb0ELb0ELb0EPKdS1_dEEviiiT16_PT17_ilS5_ilS3_S5_ilPT18_ili26rocblas_geam_ex_operation_.has_indirect_call, 0
	.section	.AMDGPU.csdata,"",@progbits
; Kernel info:
; codeLenInByte = 19300
; TotalNumSgprs: 32
; NumVgprs: 229
; ScratchSize: 528
; MemoryBound: 1
; FloatMode: 240
; IeeeMode: 1
; LDSByteSize: 16384 bytes/workgroup (compile time only)
; SGPRBlocks: 0
; VGPRBlocks: 28
; NumSGPRsForWavesPerEU: 32
; NumVGPRsForWavesPerEU: 229
; Occupancy: 4
; WaveLimiterHint : 1
; COMPUTE_PGM_RSRC2:SCRATCH_EN: 1
; COMPUTE_PGM_RSRC2:USER_SGPR: 6
; COMPUTE_PGM_RSRC2:TRAP_HANDLER: 0
; COMPUTE_PGM_RSRC2:TGID_X_EN: 1
; COMPUTE_PGM_RSRC2:TGID_Y_EN: 0
; COMPUTE_PGM_RSRC2:TGID_Z_EN: 1
; COMPUTE_PGM_RSRC2:TIDIG_COMP_CNT: 1
	.section	.text._ZN12_GLOBAL__N_120geam_min_plus_kernelIdddLi4ELi64ELi128ELi128ELi4ELi4ELi64ELi4ELi64ELc84ELc78ELb1ELb0ELb0EdKddEEviiiT16_PT17_ilS4_ilS2_S4_ilPT18_ili26rocblas_geam_ex_operation_,"axG",@progbits,_ZN12_GLOBAL__N_120geam_min_plus_kernelIdddLi4ELi64ELi128ELi128ELi4ELi4ELi64ELi4ELi64ELc84ELc78ELb1ELb0ELb0EdKddEEviiiT16_PT17_ilS4_ilS2_S4_ilPT18_ili26rocblas_geam_ex_operation_,comdat
	.globl	_ZN12_GLOBAL__N_120geam_min_plus_kernelIdddLi4ELi64ELi128ELi128ELi4ELi4ELi64ELi4ELi64ELc84ELc78ELb1ELb0ELb0EdKddEEviiiT16_PT17_ilS4_ilS2_S4_ilPT18_ili26rocblas_geam_ex_operation_ ; -- Begin function _ZN12_GLOBAL__N_120geam_min_plus_kernelIdddLi4ELi64ELi128ELi128ELi4ELi4ELi64ELi4ELi64ELc84ELc78ELb1ELb0ELb0EdKddEEviiiT16_PT17_ilS4_ilS2_S4_ilPT18_ili26rocblas_geam_ex_operation_
	.p2align	8
	.type	_ZN12_GLOBAL__N_120geam_min_plus_kernelIdddLi4ELi64ELi128ELi128ELi4ELi4ELi64ELi4ELi64ELc84ELc78ELb1ELb0ELb0EdKddEEviiiT16_PT17_ilS4_ilS2_S4_ilPT18_ili26rocblas_geam_ex_operation_,@function
_ZN12_GLOBAL__N_120geam_min_plus_kernelIdddLi4ELi64ELi128ELi128ELi4ELi4ELi64ELi4ELi64ELc84ELc78ELb1ELb0ELb0EdKddEEviiiT16_PT17_ilS4_ilS2_S4_ilPT18_ili26rocblas_geam_ex_operation_: ; @_ZN12_GLOBAL__N_120geam_min_plus_kernelIdddLi4ELi64ELi128ELi128ELi4ELi4ELi64ELi4ELi64ELc84ELc78ELb1ELb0ELb0EdKddEEviiiT16_PT17_ilS4_ilS2_S4_ilPT18_ili26rocblas_geam_ex_operation_
; %bb.0:
	s_add_u32 s0, s0, s8
	s_clause 0x1
	s_load_dwordx4 s[8:11], s[4:5], 0x10
	s_load_dwordx4 s[12:15], s[4:5], 0x28
	s_addc_u32 s1, s1, 0
	s_mov_b64 s[18:19], 0
	s_waitcnt lgkmcnt(0)
	v_cmp_eq_f64_e64 s16, s[8:9], 0
	s_and_b32 vcc_lo, exec_lo, s16
	s_cbranch_vccnz .LBB187_2
; %bb.1:
	s_mul_i32 s8, s13, s7
	s_mul_hi_u32 s9, s12, s7
	s_add_i32 s9, s9, s8
	s_mul_i32 s8, s12, s7
	s_lshl_b64 s[8:9], s[8:9], 3
	s_add_u32 s18, s10, s8
	s_addc_u32 s19, s11, s9
.LBB187_2:
	s_clause 0x1
	s_load_dwordx4 s[8:11], s[4:5], 0x40
	s_load_dwordx2 s[22:23], s[4:5], 0x50
	s_andn2_b32 vcc_lo, exec_lo, s16
	s_mov_b32 s12, -1
	s_cbranch_vccz .LBB187_154
; %bb.3:
	s_mov_b64 s[16:17], 0
	s_andn2_b32 vcc_lo, exec_lo, s12
	s_mov_b64 s[20:21], 0
	s_cbranch_vccz .LBB187_155
.LBB187_4:
	s_waitcnt lgkmcnt(0)
	v_cmp_eq_f64_e64 s8, s[10:11], 0
	s_load_dwordx4 s[12:15], s[4:5], 0x60
	s_and_b32 vcc_lo, exec_lo, s8
	s_cbranch_vccnz .LBB187_6
.LBB187_5:
	s_waitcnt lgkmcnt(0)
	s_mul_i32 s8, s13, s7
	s_mul_hi_u32 s9, s12, s7
	s_add_i32 s9, s9, s8
	s_mul_i32 s8, s12, s7
	s_lshl_b64 s[8:9], s[8:9], 3
	s_add_u32 s16, s22, s8
	s_addc_u32 s17, s23, s9
.LBB187_6:
	s_load_dword s8, s[4:5], 0x0
	s_waitcnt lgkmcnt(0)
	s_clause 0x1
	s_load_dword s12, s[4:5], 0x20
	s_load_dword s13, s[4:5], 0x38
	v_and_b32_e32 v96, 3, v0
	v_lshlrev_b32_e32 v97, 5, v0
	v_lshl_or_b32 v98, v1, 5, 0x2000
	v_lshlrev_b32_e32 v23, 3, v96
	s_add_i32 s8, s8, -1
	s_ashr_i32 s9, s8, 31
	s_lshr_b32 s9, s9, 25
	s_add_i32 s8, s8, s9
	s_ashr_i32 s8, s8, 7
	s_add_i32 s9, s8, 1
	s_not_b32 s8, s8
	v_cvt_f32_u32_e32 v2, s9
	v_rcp_iflag_f32_e32 v2, v2
	v_mul_f32_e32 v2, 0x4f7ffffe, v2
	v_cvt_u32_f32_e32 v2, v2
	v_readfirstlane_b32 s22, v2
	v_lshrrev_b32_e32 v2, 2, v0
	s_mul_i32 s8, s8, s22
	v_add_nc_u32_e32 v22, v2, v1
	s_mul_hi_u32 s8, s22, s8
	s_add_i32 s22, s22, s8
	s_mov_b32 s8, 0
	s_mul_hi_u32 s22, s6, s22
	s_addk_i32 s8, 0x100
	s_mul_i32 s23, s22, s9
	s_add_i32 s24, s22, 1
	s_sub_i32 s23, s6, s23
	v_lshl_or_b32 v99, v22, 5, v23
	s_sub_i32 s25, s23, s9
	s_cmp_ge_u32 s23, s9
	s_cselect_b32 s22, s24, s22
	s_cselect_b32 s23, s25, s23
	s_add_i32 s24, s22, 1
	s_cmp_ge_u32 s23, s9
	v_add_nc_u32_e32 v100, 0x2000, v99
	s_cselect_b32 s22, s24, s22
	s_mul_i32 s23, s22, s9
	s_lshl_b32 s9, s22, 7
	s_sub_i32 s6, s6, s23
	v_add_nc_u32_e32 v4, s9, v22
	s_lshl_b32 s6, s6, 7
	v_add_co_u32 v8, s22, s18, v23
	v_add_nc_u32_e32 v6, s6, v22
	s_waitcnt lgkmcnt(0)
	v_mad_i64_i32 v[2:3], null, v4, s13, 0
	v_add_nc_u32_e32 v7, 64, v4
	v_add_co_ci_u32_e64 v9, null, s19, 0, s22
	v_add_nc_u32_e32 v10, 64, v6
	v_mad_i64_i32 v[4:5], null, v6, s12, 0
	v_mad_i64_i32 v[6:7], null, v7, s13, 0
	v_lshlrev_b64 v[70:71], 3, v[2:3]
	v_mad_i64_i32 v[2:3], null, v10, s12, 0
	v_add_co_u32 v10, s12, s20, v23
	v_lshlrev_b64 v[72:73], 3, v[4:5]
	v_add_co_ci_u32_e64 v11, null, s21, 0, s12
	v_lshlrev_b64 v[74:75], 3, v[6:7]
	v_add_co_u32 v4, vcc_lo, v10, v70
	v_lshlrev_b64 v[76:77], 3, v[2:3]
	v_add_co_ci_u32_e64 v5, null, v11, v71, vcc_lo
	v_add_co_u32 v2, vcc_lo, v8, v72
	v_add_co_ci_u32_e64 v3, null, v9, v73, vcc_lo
	v_add_co_u32 v6, vcc_lo, v10, v74
	;; [unrolled: 2-line block ×3, first 2 shown]
	v_add_co_ci_u32_e64 v11, null, v9, v77, vcc_lo
	s_clause 0x1
	global_load_dwordx2 v[14:15], v[4:5], off
	global_load_dwordx2 v[16:17], v[6:7], off
	s_clause 0x1
	global_load_dwordx2 v[18:19], v[2:3], off
	global_load_dwordx2 v[20:21], v[10:11], off
	s_clause 0x1
	global_load_dwordx2 v[6:7], v[6:7], off offset:32
	global_load_dwordx2 v[8:9], v[4:5], off offset:32
	s_clause 0x1
	global_load_dwordx2 v[10:11], v[10:11], off offset:32
	global_load_dwordx2 v[12:13], v[2:3], off offset:32
	v_cmp_neq_f64_e64 s12, s[10:11], 0
	v_mov_b32_e32 v2, 0
	s_mov_b32 s13, 0
	buffer_store_dword v2, off, s[0:3], 0 offset:4
	buffer_store_dword v2, off, s[0:3], 0
	buffer_store_dword v2, off, s[0:3], 0 offset:12
	buffer_store_dword v2, off, s[0:3], 0 offset:8
	;; [unrolled: 1-line block ×126, first 2 shown]
	s_waitcnt vmcnt(6)
	ds_write2st64_b64 v99, v[14:15], v[16:17] offset0:16 offset1:20
	s_waitcnt vmcnt(4)
	ds_write2st64_b64 v99, v[18:19], v[20:21] offset1:4
	s_waitcnt vmcnt(0) lgkmcnt(0)
	s_waitcnt_vscnt null, 0x0
	s_barrier
	buffer_gl0_inv
.LBB187_7:                              ; =>This Loop Header: Depth=1
                                        ;     Child Loop BB187_8 Depth 2
	s_lshl_b32 s22, s13, 3
	s_mov_b32 s23, 0
	v_add_nc_u32_e32 v14, s22, v97
	v_add_nc_u32_e32 v86, s22, v98
	s_mov_b32 s22, -1
	ds_read2_b64 v[2:5], v14 offset1:16
	ds_read2_b64 v[18:21], v14 offset0:32 offset1:48
	ds_read2_b64 v[22:25], v14 offset0:64 offset1:80
	;; [unrolled: 1-line block ×4, first 2 shown]
	v_add_nc_u32_e32 v82, 0x800, v14
	ds_read2_b64 v[34:37], v14 offset0:160 offset1:176
	ds_read2_b64 v[38:41], v14 offset0:192 offset1:208
	;; [unrolled: 1-line block ×3, first 2 shown]
	ds_read2_b64 v[46:49], v82 offset1:16
	ds_read2_b64 v[50:53], v82 offset0:32 offset1:48
	ds_read2_b64 v[54:57], v82 offset0:64 offset1:80
	;; [unrolled: 1-line block ×6, first 2 shown]
	s_waitcnt lgkmcnt(9)
	v_max_f64 v[34:35], v[34:35], v[34:35]
	v_max_f64 v[36:37], v[36:37], v[36:37]
	;; [unrolled: 1-line block ×4, first 2 shown]
	ds_read2_b64 v[2:5], v82 offset0:224 offset1:240
	v_max_f64 v[18:19], v[18:19], v[18:19]
	v_max_f64 v[20:21], v[20:21], v[20:21]
	;; [unrolled: 1-line block ×8, first 2 shown]
	s_waitcnt lgkmcnt(9)
	v_max_f64 v[38:39], v[38:39], v[38:39]
	v_max_f64 v[40:41], v[40:41], v[40:41]
	s_waitcnt lgkmcnt(8)
	v_max_f64 v[42:43], v[42:43], v[42:43]
	v_max_f64 v[44:45], v[44:45], v[44:45]
	;; [unrolled: 3-line block ×10, first 2 shown]
	ds_read2st64_b64 v[2:5], v86 offset1:4
.LBB187_8:                              ;   Parent Loop BB187_7 Depth=1
                                        ; =>  This Inner Loop Header: Depth=2
	v_mov_b32_e32 v219, s23
	s_waitcnt lgkmcnt(0)
	v_max_f64 v[155:156], v[2:3], v[2:3]
	v_mov_b32_e32 v2, v4
	v_mov_b32_e32 v3, v5
	s_and_b32 vcc_lo, exec_lo, s22
	s_clause 0x3e
	buffer_load_dword v86, v219, s[0:3], 0 offen
	buffer_load_dword v87, v219, s[0:3], 0 offen offset:4
	buffer_load_dword v88, v219, s[0:3], 0 offen offset:8
	;; [unrolled: 1-line block ×63, first 2 shown]
	s_mov_b32 s22, 0
	s_mov_b32 s23, s8
	v_min_f64 v[157:158], v[14:15], v[155:156]
	v_min_f64 v[159:160], v[16:17], v[155:156]
	;; [unrolled: 1-line block ×32, first 2 shown]
	s_waitcnt vmcnt(62)
	v_add_f64 v[86:87], v[157:158], v[86:87]
	s_waitcnt vmcnt(60)
	v_add_f64 v[88:89], v[159:160], v[88:89]
	;; [unrolled: 2-line block ×32, first 2 shown]
	buffer_store_dword v86, v219, s[0:3], 0 offen
	buffer_store_dword v87, v219, s[0:3], 0 offen offset:4
	buffer_store_dword v88, v219, s[0:3], 0 offen offset:8
	;; [unrolled: 1-line block ×63, first 2 shown]
	s_cbranch_vccnz .LBB187_8
; %bb.9:                                ;   in Loop: Header=BB187_7 Depth=1
	s_add_i32 s13, s13, 1
	s_cmp_eq_u32 s13, 4
	s_cbranch_scc0 .LBB187_7
; %bb.10:
	s_load_dword s13, s[4:5], 0x8
	v_lshl_add_u32 v101, v0, 5, 0x1000
	v_lshl_add_u32 v102, v1, 5, 0x3000
	ds_write2st64_b64 v99, v[12:13], v[10:11] offset0:8 offset1:12
	ds_write2st64_b64 v99, v[8:9], v[6:7] offset0:24 offset1:28
	s_waitcnt lgkmcnt(0)
	s_waitcnt_vscnt null, 0x0
	s_barrier
	buffer_gl0_inv
	s_cmp_lt_i32 s13, 9
	s_cbranch_scc1 .LBB187_21
; %bb.11:
	v_add_nc_u32_e32 v103, 0x1000, v99
	v_add_nc_u32_e32 v104, 0x3000, v99
	v_mov_b32_e32 v79, 0
	s_add_i32 s13, s13, -8
	s_mov_b32 s22, 8
	s_mov_b32 s23, 0
.LBB187_12:                             ; =>This Loop Header: Depth=1
                                        ;     Child Loop BB187_13 Depth 2
                                        ;       Child Loop BB187_14 Depth 3
                                        ;     Child Loop BB187_17 Depth 2
                                        ;       Child Loop BB187_18 Depth 3
	v_or_b32_e32 v78, s22, v96
	s_mov_b32 s24, 0
	v_lshlrev_b64 v[2:3], 3, v[78:79]
	v_add_co_u32 v4, vcc_lo, s18, v2
	v_add_co_ci_u32_e64 v5, null, s19, v3, vcc_lo
	v_add_co_u32 v2, vcc_lo, s20, v2
	v_add_co_ci_u32_e64 v3, null, s21, v3, vcc_lo
	;; [unrolled: 2-line block ×6, first 2 shown]
	s_clause 0x1
	global_load_dwordx2 v[14:15], v[6:7], off
	global_load_dwordx2 v[16:17], v[8:9], off
	s_clause 0x1
	global_load_dwordx2 v[18:19], v[10:11], off
	global_load_dwordx2 v[20:21], v[12:13], off
.LBB187_13:                             ;   Parent Loop BB187_12 Depth=1
                                        ; =>  This Loop Header: Depth=2
                                        ;       Child Loop BB187_14 Depth 3
	s_lshl_b32 s25, s24, 3
	s_mov_b32 s26, 0
	v_add_nc_u32_e32 v22, s25, v101
	v_add_nc_u32_e32 v78, s25, v102
	s_mov_b32 s25, -1
	ds_read2_b64 v[2:5], v22 offset1:16
	ds_read2_b64 v[26:29], v22 offset0:32 offset1:48
	ds_read2_b64 v[30:33], v22 offset0:64 offset1:80
	v_add_nc_u32_e32 v23, 0x800, v22
	ds_read2_b64 v[34:37], v22 offset0:96 offset1:112
	ds_read2_b64 v[38:41], v22 offset0:128 offset1:144
	;; [unrolled: 1-line block ×5, first 2 shown]
	ds_read2_b64 v[54:57], v23 offset1:16
	ds_read2_b64 v[58:61], v23 offset0:32 offset1:48
	ds_read2_b64 v[62:65], v23 offset0:64 offset1:80
	;; [unrolled: 1-line block ×7, first 2 shown]
	s_waitcnt lgkmcnt(11)
	v_max_f64 v[38:39], v[38:39], v[38:39]
	v_max_f64 v[40:41], v[40:41], v[40:41]
	s_waitcnt lgkmcnt(10)
	v_max_f64 v[42:43], v[42:43], v[42:43]
	v_max_f64 v[44:45], v[44:45], v[44:45]
	;; [unrolled: 3-line block ×3, first 2 shown]
	v_max_f64 v[22:23], v[2:3], v[2:3]
	v_max_f64 v[24:25], v[4:5], v[4:5]
	;; [unrolled: 1-line block ×8, first 2 shown]
	s_waitcnt lgkmcnt(8)
	v_max_f64 v[50:51], v[50:51], v[50:51]
	v_max_f64 v[52:53], v[52:53], v[52:53]
	s_waitcnt lgkmcnt(7)
	v_max_f64 v[54:55], v[54:55], v[54:55]
	v_max_f64 v[56:57], v[56:57], v[56:57]
	;; [unrolled: 3-line block ×9, first 2 shown]
	ds_read2st64_b64 v[2:5], v78 offset1:4
.LBB187_14:                             ;   Parent Loop BB187_12 Depth=1
                                        ;     Parent Loop BB187_13 Depth=2
                                        ; =>    This Inner Loop Header: Depth=3
	v_mov_b32_e32 v78, s26
	s_waitcnt lgkmcnt(0)
	v_max_f64 v[169:170], v[2:3], v[2:3]
	v_mov_b32_e32 v2, v4
	v_mov_b32_e32 v3, v5
	s_and_b32 vcc_lo, exec_lo, s25
	s_clause 0x3e
	buffer_load_dword v105, v78, s[0:3], 0 offen
	buffer_load_dword v106, v78, s[0:3], 0 offen offset:4
	buffer_load_dword v107, v78, s[0:3], 0 offen offset:8
	;; [unrolled: 1-line block ×63, first 2 shown]
	s_mov_b32 s25, 0
	s_mov_b32 s26, s8
	v_min_f64 v[171:172], v[22:23], v[169:170]
	v_min_f64 v[173:174], v[24:25], v[169:170]
	;; [unrolled: 1-line block ×32, first 2 shown]
	s_waitcnt vmcnt(62)
	v_add_f64 v[105:106], v[171:172], v[105:106]
	s_waitcnt vmcnt(60)
	v_add_f64 v[107:108], v[173:174], v[107:108]
	s_waitcnt vmcnt(58)
	v_add_f64 v[109:110], v[175:176], v[109:110]
	s_waitcnt vmcnt(56)
	v_add_f64 v[111:112], v[177:178], v[111:112]
	s_waitcnt vmcnt(54)
	v_add_f64 v[113:114], v[179:180], v[113:114]
	s_waitcnt vmcnt(52)
	v_add_f64 v[115:116], v[181:182], v[115:116]
	s_waitcnt vmcnt(50)
	v_add_f64 v[117:118], v[183:184], v[117:118]
	s_waitcnt vmcnt(48)
	v_add_f64 v[119:120], v[185:186], v[119:120]
	s_waitcnt vmcnt(45)
	v_add_f64 v[123:124], v[189:190], v[123:124]
	s_waitcnt vmcnt(43)
	v_add_f64 v[125:126], v[191:192], v[125:126]
	s_waitcnt vmcnt(41)
	v_add_f64 v[127:128], v[193:194], v[127:128]
	s_waitcnt vmcnt(40)
	v_add_f64 v[121:122], v[187:188], v[121:122]
	s_waitcnt vmcnt(38)
	v_add_f64 v[129:130], v[195:196], v[129:130]
	s_waitcnt vmcnt(36)
	v_add_f64 v[131:132], v[197:198], v[131:132]
	s_waitcnt vmcnt(34)
	v_add_f64 v[133:134], v[199:200], v[133:134]
	s_waitcnt vmcnt(32)
	v_add_f64 v[135:136], v[201:202], v[135:136]
	s_waitcnt vmcnt(30)
	v_add_f64 v[137:138], v[203:204], v[137:138]
	s_waitcnt vmcnt(28)
	v_add_f64 v[139:140], v[205:206], v[139:140]
	s_waitcnt vmcnt(26)
	v_add_f64 v[141:142], v[207:208], v[141:142]
	s_waitcnt vmcnt(24)
	v_add_f64 v[143:144], v[209:210], v[143:144]
	s_waitcnt vmcnt(22)
	v_add_f64 v[145:146], v[211:212], v[145:146]
	s_waitcnt vmcnt(20)
	v_add_f64 v[147:148], v[213:214], v[147:148]
	s_waitcnt vmcnt(18)
	v_add_f64 v[149:150], v[215:216], v[149:150]
	s_waitcnt vmcnt(16)
	v_add_f64 v[151:152], v[217:218], v[151:152]
	s_waitcnt vmcnt(14)
	v_add_f64 v[153:154], v[219:220], v[153:154]
	s_waitcnt vmcnt(12)
	v_add_f64 v[155:156], v[221:222], v[155:156]
	s_waitcnt vmcnt(10)
	v_add_f64 v[157:158], v[223:224], v[157:158]
	s_waitcnt vmcnt(8)
	v_add_f64 v[159:160], v[225:226], v[159:160]
	s_waitcnt vmcnt(6)
	v_add_f64 v[161:162], v[227:228], v[161:162]
	s_waitcnt vmcnt(4)
	v_add_f64 v[163:164], v[229:230], v[163:164]
	s_waitcnt vmcnt(2)
	v_add_f64 v[165:166], v[231:232], v[165:166]
	s_waitcnt vmcnt(0)
	v_add_f64 v[167:168], v[169:170], v[167:168]
	buffer_store_dword v105, v78, s[0:3], 0 offen
	buffer_store_dword v106, v78, s[0:3], 0 offen offset:4
	buffer_store_dword v107, v78, s[0:3], 0 offen offset:8
	;; [unrolled: 1-line block ×63, first 2 shown]
	s_cbranch_vccnz .LBB187_14
; %bb.15:                               ;   in Loop: Header=BB187_13 Depth=2
	s_add_i32 s24, s24, 1
	s_cmp_eq_u32 s24, 4
	s_cbranch_scc0 .LBB187_13
; %bb.16:                               ;   in Loop: Header=BB187_12 Depth=1
	ds_write2st64_b64 v99, v[14:15], v[16:17] offset1:4
	ds_write2st64_b64 v100, v[18:19], v[20:21] offset1:4
	s_waitcnt lgkmcnt(0)
	s_waitcnt_vscnt null, 0x0
	s_barrier
	buffer_gl0_inv
	s_clause 0x1
	global_load_dwordx2 v[80:81], v[6:7], off offset:32
	global_load_dwordx2 v[82:83], v[8:9], off offset:32
	s_clause 0x1
	global_load_dwordx2 v[84:85], v[10:11], off offset:32
	global_load_dwordx2 v[86:87], v[12:13], off offset:32
	s_mov_b32 s24, 0
.LBB187_17:                             ;   Parent Loop BB187_12 Depth=1
                                        ; =>  This Loop Header: Depth=2
                                        ;       Child Loop BB187_18 Depth 3
	s_lshl_b32 s25, s24, 3
	s_mov_b32 s26, 0
	v_add_nc_u32_e32 v30, s25, v97
	v_add_nc_u32_e32 v66, s25, v98
	s_mov_b32 s25, -1
	ds_read2_b64 v[2:5], v30 offset1:16
	ds_read2_b64 v[6:9], v30 offset0:32 offset1:48
	ds_read2_b64 v[10:13], v30 offset0:64 offset1:80
	;; [unrolled: 1-line block ×3, first 2 shown]
	v_add_nc_u32_e32 v62, 0x800, v30
	ds_read2_b64 v[18:21], v30 offset0:128 offset1:144
	ds_read2_b64 v[22:25], v30 offset0:160 offset1:176
	;; [unrolled: 1-line block ×4, first 2 shown]
	ds_read2_b64 v[34:37], v62 offset1:16
	ds_read2_b64 v[38:41], v62 offset0:32 offset1:48
	ds_read2_b64 v[42:45], v62 offset0:64 offset1:80
	;; [unrolled: 1-line block ×7, first 2 shown]
	ds_read2st64_b64 v[66:69], v66 offset1:4
.LBB187_18:                             ;   Parent Loop BB187_12 Depth=1
                                        ;     Parent Loop BB187_17 Depth=2
                                        ; =>    This Inner Loop Header: Depth=3
	v_mov_b32_e32 v78, s26
	s_waitcnt lgkmcnt(16)
	v_max_f64 v[161:162], v[2:3], v[2:3]
	s_waitcnt lgkmcnt(0)
	v_max_f64 v[163:164], v[66:67], v[66:67]
	v_max_f64 v[165:166], v[4:5], v[4:5]
	;; [unrolled: 1-line block ×3, first 2 shown]
	s_clause 0x3e
	buffer_load_dword v88, v78, s[0:3], 0 offen
	buffer_load_dword v89, v78, s[0:3], 0 offen offset:4
	buffer_load_dword v90, v78, s[0:3], 0 offen offset:8
	buffer_load_dword v91, v78, s[0:3], 0 offen offset:12
	buffer_load_dword v92, v78, s[0:3], 0 offen offset:16
	buffer_load_dword v93, v78, s[0:3], 0 offen offset:20
	buffer_load_dword v94, v78, s[0:3], 0 offen offset:24
	buffer_load_dword v95, v78, s[0:3], 0 offen offset:28
	buffer_load_dword v105, v78, s[0:3], 0 offen offset:32
	buffer_load_dword v106, v78, s[0:3], 0 offen offset:36
	buffer_load_dword v107, v78, s[0:3], 0 offen offset:40
	buffer_load_dword v108, v78, s[0:3], 0 offen offset:44
	buffer_load_dword v109, v78, s[0:3], 0 offen offset:48
	buffer_load_dword v110, v78, s[0:3], 0 offen offset:52
	buffer_load_dword v111, v78, s[0:3], 0 offen offset:56
	buffer_load_dword v112, v78, s[0:3], 0 offen offset:60
	buffer_load_dword v114, v78, s[0:3], 0 offen offset:68
	buffer_load_dword v115, v78, s[0:3], 0 offen offset:72
	buffer_load_dword v116, v78, s[0:3], 0 offen offset:76
	buffer_load_dword v117, v78, s[0:3], 0 offen offset:80
	buffer_load_dword v118, v78, s[0:3], 0 offen offset:84
	buffer_load_dword v119, v78, s[0:3], 0 offen offset:88
	buffer_load_dword v120, v78, s[0:3], 0 offen offset:92
	buffer_load_dword v113, v78, s[0:3], 0 offen offset:64
	buffer_load_dword v121, v78, s[0:3], 0 offen offset:96
	buffer_load_dword v122, v78, s[0:3], 0 offen offset:100
	buffer_load_dword v123, v78, s[0:3], 0 offen offset:104
	buffer_load_dword v124, v78, s[0:3], 0 offen offset:108
	buffer_load_dword v125, v78, s[0:3], 0 offen offset:112
	buffer_load_dword v126, v78, s[0:3], 0 offen offset:116
	buffer_load_dword v127, v78, s[0:3], 0 offen offset:120
	buffer_load_dword v128, v78, s[0:3], 0 offen offset:124
	buffer_load_dword v129, v78, s[0:3], 0 offen offset:128
	buffer_load_dword v130, v78, s[0:3], 0 offen offset:132
	buffer_load_dword v131, v78, s[0:3], 0 offen offset:136
	buffer_load_dword v132, v78, s[0:3], 0 offen offset:140
	buffer_load_dword v133, v78, s[0:3], 0 offen offset:144
	buffer_load_dword v134, v78, s[0:3], 0 offen offset:148
	buffer_load_dword v135, v78, s[0:3], 0 offen offset:152
	buffer_load_dword v136, v78, s[0:3], 0 offen offset:156
	buffer_load_dword v137, v78, s[0:3], 0 offen offset:160
	buffer_load_dword v138, v78, s[0:3], 0 offen offset:164
	buffer_load_dword v139, v78, s[0:3], 0 offen offset:168
	buffer_load_dword v140, v78, s[0:3], 0 offen offset:172
	buffer_load_dword v141, v78, s[0:3], 0 offen offset:176
	buffer_load_dword v142, v78, s[0:3], 0 offen offset:180
	buffer_load_dword v143, v78, s[0:3], 0 offen offset:184
	buffer_load_dword v144, v78, s[0:3], 0 offen offset:188
	buffer_load_dword v145, v78, s[0:3], 0 offen offset:192
	buffer_load_dword v146, v78, s[0:3], 0 offen offset:196
	buffer_load_dword v147, v78, s[0:3], 0 offen offset:200
	buffer_load_dword v148, v78, s[0:3], 0 offen offset:204
	buffer_load_dword v149, v78, s[0:3], 0 offen offset:208
	buffer_load_dword v150, v78, s[0:3], 0 offen offset:212
	buffer_load_dword v151, v78, s[0:3], 0 offen offset:216
	buffer_load_dword v152, v78, s[0:3], 0 offen offset:220
	buffer_load_dword v153, v78, s[0:3], 0 offen offset:224
	buffer_load_dword v154, v78, s[0:3], 0 offen offset:228
	buffer_load_dword v155, v78, s[0:3], 0 offen offset:232
	buffer_load_dword v156, v78, s[0:3], 0 offen offset:236
	buffer_load_dword v157, v78, s[0:3], 0 offen offset:240
	buffer_load_dword v158, v78, s[0:3], 0 offen offset:244
	buffer_load_dword v159, v78, s[0:3], 0 offen offset:248
	buffer_load_dword v160, v78, s[0:3], 0 offen offset:252
	v_max_f64 v[169:170], v[8:9], v[8:9]
	v_max_f64 v[171:172], v[10:11], v[10:11]
	v_max_f64 v[173:174], v[12:13], v[12:13]
	v_max_f64 v[175:176], v[14:15], v[14:15]
	v_max_f64 v[177:178], v[16:17], v[16:17]
	v_max_f64 v[179:180], v[18:19], v[18:19]
	v_max_f64 v[181:182], v[20:21], v[20:21]
	v_max_f64 v[183:184], v[22:23], v[22:23]
	v_max_f64 v[185:186], v[24:25], v[24:25]
	v_max_f64 v[187:188], v[26:27], v[26:27]
	v_max_f64 v[189:190], v[28:29], v[28:29]
	v_max_f64 v[191:192], v[30:31], v[30:31]
	v_max_f64 v[193:194], v[32:33], v[32:33]
	v_max_f64 v[195:196], v[34:35], v[34:35]
	v_max_f64 v[197:198], v[36:37], v[36:37]
	v_max_f64 v[199:200], v[38:39], v[38:39]
	v_max_f64 v[201:202], v[40:41], v[40:41]
	v_max_f64 v[203:204], v[42:43], v[42:43]
	v_max_f64 v[205:206], v[44:45], v[44:45]
	v_max_f64 v[207:208], v[46:47], v[46:47]
	v_max_f64 v[209:210], v[48:49], v[48:49]
	v_max_f64 v[211:212], v[50:51], v[50:51]
	v_max_f64 v[213:214], v[52:53], v[52:53]
	v_max_f64 v[215:216], v[54:55], v[54:55]
	v_max_f64 v[217:218], v[56:57], v[56:57]
	v_max_f64 v[219:220], v[58:59], v[58:59]
	v_max_f64 v[221:222], v[60:61], v[60:61]
	v_max_f64 v[223:224], v[62:63], v[62:63]
	v_max_f64 v[225:226], v[64:65], v[64:65]
	v_min_f64 v[161:162], v[161:162], v[163:164]
	v_min_f64 v[165:166], v[165:166], v[163:164]
	;; [unrolled: 1-line block ×32, first 2 shown]
	v_mov_b32_e32 v66, v68
	v_mov_b32_e32 v67, v69
	s_and_b32 vcc_lo, exec_lo, s25
	s_mov_b32 s25, 0
	s_mov_b32 s26, s8
	s_waitcnt vmcnt(62)
	v_add_f64 v[88:89], v[161:162], v[88:89]
	s_waitcnt vmcnt(60)
	v_add_f64 v[90:91], v[165:166], v[90:91]
	;; [unrolled: 2-line block ×32, first 2 shown]
	buffer_store_dword v88, v78, s[0:3], 0 offen
	buffer_store_dword v89, v78, s[0:3], 0 offen offset:4
	buffer_store_dword v90, v78, s[0:3], 0 offen offset:8
	;; [unrolled: 1-line block ×63, first 2 shown]
	s_cbranch_vccnz .LBB187_18
; %bb.19:                               ;   in Loop: Header=BB187_17 Depth=2
	s_add_i32 s24, s24, 1
	s_cmp_eq_u32 s24, 4
	s_cbranch_scc0 .LBB187_17
; %bb.20:                               ;   in Loop: Header=BB187_12 Depth=1
	s_add_i32 s23, s23, 8
	s_add_i32 s22, s22, 8
	s_cmp_ge_i32 s23, s13
	ds_write2st64_b64 v103, v[80:81], v[82:83] offset1:4
	ds_write2st64_b64 v104, v[84:85], v[86:87] offset1:4
	s_waitcnt lgkmcnt(0)
	s_waitcnt_vscnt null, 0x0
	s_barrier
	buffer_gl0_inv
	s_cbranch_scc0 .LBB187_12
.LBB187_21:
	s_mov_b32 s13, 0
.LBB187_22:                             ; =>This Loop Header: Depth=1
                                        ;     Child Loop BB187_23 Depth 2
	s_lshl_b32 s18, s13, 3
	s_mov_b32 s19, 0
	v_add_nc_u32_e32 v6, s18, v101
	v_add_nc_u32_e32 v70, s18, v102
	s_mov_b32 s18, -1
	ds_read2_b64 v[2:5], v6 offset1:16
	ds_read2_b64 v[10:13], v6 offset0:32 offset1:48
	ds_read2_b64 v[14:17], v6 offset0:64 offset1:80
	v_add_nc_u32_e32 v7, 0x800, v6
	ds_read2_b64 v[18:21], v6 offset0:96 offset1:112
	ds_read2_b64 v[22:25], v6 offset0:128 offset1:144
	;; [unrolled: 1-line block ×5, first 2 shown]
	ds_read2_b64 v[38:41], v7 offset1:16
	ds_read2_b64 v[42:45], v7 offset0:32 offset1:48
	ds_read2_b64 v[46:49], v7 offset0:64 offset1:80
	;; [unrolled: 1-line block ×7, first 2 shown]
	s_waitcnt lgkmcnt(11)
	v_max_f64 v[22:23], v[22:23], v[22:23]
	v_max_f64 v[24:25], v[24:25], v[24:25]
	s_waitcnt lgkmcnt(10)
	v_max_f64 v[26:27], v[26:27], v[26:27]
	v_max_f64 v[28:29], v[28:29], v[28:29]
	;; [unrolled: 3-line block ×3, first 2 shown]
	v_max_f64 v[6:7], v[2:3], v[2:3]
	v_max_f64 v[8:9], v[4:5], v[4:5]
	;; [unrolled: 1-line block ×8, first 2 shown]
	s_waitcnt lgkmcnt(8)
	v_max_f64 v[34:35], v[34:35], v[34:35]
	v_max_f64 v[36:37], v[36:37], v[36:37]
	s_waitcnt lgkmcnt(7)
	v_max_f64 v[38:39], v[38:39], v[38:39]
	v_max_f64 v[40:41], v[40:41], v[40:41]
	;; [unrolled: 3-line block ×9, first 2 shown]
	ds_read2st64_b64 v[2:5], v70 offset1:4
.LBB187_23:                             ;   Parent Loop BB187_22 Depth=1
                                        ; =>  This Inner Loop Header: Depth=2
	v_mov_b32_e32 v100, s19
	s_waitcnt lgkmcnt(0)
	v_max_f64 v[137:138], v[2:3], v[2:3]
	v_mov_b32_e32 v2, v4
	v_mov_b32_e32 v3, v5
	s_and_b32 vcc_lo, exec_lo, s18
	s_clause 0x3e
	buffer_load_dword v70, v100, s[0:3], 0 offen
	buffer_load_dword v71, v100, s[0:3], 0 offen offset:4
	buffer_load_dword v72, v100, s[0:3], 0 offen offset:8
	;; [unrolled: 1-line block ×63, first 2 shown]
	s_mov_b32 s18, 0
	s_mov_b32 s19, s8
	v_min_f64 v[139:140], v[6:7], v[137:138]
	v_min_f64 v[141:142], v[8:9], v[137:138]
	;; [unrolled: 1-line block ×32, first 2 shown]
	s_waitcnt vmcnt(62)
	v_add_f64 v[70:71], v[139:140], v[70:71]
	s_waitcnt vmcnt(60)
	v_add_f64 v[72:73], v[141:142], v[72:73]
	;; [unrolled: 2-line block ×32, first 2 shown]
	buffer_store_dword v70, v100, s[0:3], 0 offen
	buffer_store_dword v71, v100, s[0:3], 0 offen offset:4
	buffer_store_dword v72, v100, s[0:3], 0 offen offset:8
	;; [unrolled: 1-line block ×63, first 2 shown]
	s_cbranch_vccnz .LBB187_23
; %bb.24:                               ;   in Loop: Header=BB187_22 Depth=1
	s_add_i32 s13, s13, 1
	s_cmp_eq_u32 s13, 4
	s_cbranch_scc0 .LBB187_22
; %bb.25:
	s_clause 0x1
	buffer_load_dword v2, off, s[0:3], 0
	buffer_load_dword v3, off, s[0:3], 0 offset:4
	s_load_dword s8, s[4:5], 0x58
	v_add_nc_u32_e32 v71, s9, v1
	v_add_nc_u32_e32 v12, s6, v0
	v_cndmask_b32_e64 v0, 0, 1, s12
	v_mov_b32_e32 v8, 0
	v_mov_b32_e32 v9, 0
	v_ashrrev_i32_e32 v13, 31, v12
	v_cmp_ne_u32_e64 s6, 1, v0
	v_lshlrev_b64 v[0:1], 3, v[12:13]
	s_waitcnt lgkmcnt(0)
	v_mad_i64_i32 v[4:5], null, v71, s8, 0
	v_lshlrev_b64 v[6:7], 3, v[4:5]
	v_mov_b32_e32 v4, 0
	v_mov_b32_e32 v5, 0
	v_add_co_u32 v72, vcc_lo, s16, v6
	v_add_co_ci_u32_e64 v73, null, s17, v7, vcc_lo
	s_andn2_b32 vcc_lo, exec_lo, s12
	s_cbranch_vccnz .LBB187_27
; %bb.26:
	v_add_co_u32 v6, vcc_lo, v72, v0
	v_add_co_ci_u32_e64 v7, null, v73, v1, vcc_lo
	global_load_dwordx2 v[6:7], v[6:7], off
	s_waitcnt vmcnt(0)
	v_mul_f64 v[8:9], s[10:11], v[6:7]
.LBB187_27:
	s_clause 0x1
	buffer_load_dword v6, off, s[0:3], 0 offset:8
	buffer_load_dword v7, off, s[0:3], 0 offset:12
	s_clause 0x1
	s_load_dwordx2 s[12:13], s[4:5], 0x78
	s_load_dword s4, s[4:5], 0x70
	s_waitcnt vmcnt(2)
	v_add_f64 v[8:9], v[2:3], v[8:9]
	s_waitcnt lgkmcnt(0)
	s_mul_i32 s5, s13, s7
	v_mad_i64_i32 v[10:11], null, v71, s4, 0
	s_mul_hi_u32 s9, s12, s7
	s_mul_i32 s12, s12, s7
	s_add_i32 s13, s9, s5
	s_lshl_b64 s[12:13], s[12:13], 3
	v_lshlrev_b64 v[2:3], 3, v[10:11]
	v_add_nc_u32_e32 v10, 4, v12
	s_add_u32 s5, s14, s12
	s_addc_u32 s7, s15, s13
	v_ashrrev_i32_e32 v11, 31, v10
	v_add_co_u32 v74, vcc_lo, s5, v2
	v_add_co_ci_u32_e64 v75, null, s7, v3, vcc_lo
	v_lshlrev_b64 v[2:3], 3, v[10:11]
	v_add_co_u32 v13, vcc_lo, v74, v0
	v_add_co_ci_u32_e64 v14, null, v75, v1, vcc_lo
	s_and_b32 vcc_lo, exec_lo, s6
	global_store_dwordx2 v[13:14], v[8:9], off
	s_cbranch_vccnz .LBB187_29
; %bb.28:
	v_add_co_u32 v4, vcc_lo, v72, v2
	v_add_co_ci_u32_e64 v5, null, v73, v3, vcc_lo
	global_load_dwordx2 v[4:5], v[4:5], off
	s_waitcnt vmcnt(0)
	v_mul_f64 v[4:5], s[10:11], v[4:5]
.LBB187_29:
	s_clause 0x1
	buffer_load_dword v10, off, s[0:3], 0 offset:16
	buffer_load_dword v11, off, s[0:3], 0 offset:20
	s_waitcnt vmcnt(2)
	v_add_f64 v[13:14], v[6:7], v[4:5]
	v_add_nc_u32_e32 v4, 8, v12
	v_add_co_u32 v15, vcc_lo, v74, v2
	v_mov_b32_e32 v8, 0
	v_mov_b32_e32 v6, 0
	v_ashrrev_i32_e32 v5, 31, v4
	v_add_co_ci_u32_e64 v16, null, v75, v3, vcc_lo
	v_mov_b32_e32 v9, 0
	v_mov_b32_e32 v7, 0
	v_lshlrev_b64 v[4:5], 3, v[4:5]
	s_and_b32 vcc_lo, exec_lo, s6
	global_store_dwordx2 v[15:16], v[13:14], off
	s_cbranch_vccnz .LBB187_31
; %bb.30:
	v_add_co_u32 v6, vcc_lo, v72, v4
	v_add_co_ci_u32_e64 v7, null, v73, v5, vcc_lo
	global_load_dwordx2 v[6:7], v[6:7], off
	s_waitcnt vmcnt(0)
	v_mul_f64 v[6:7], s[10:11], v[6:7]
.LBB187_31:
	s_clause 0x1
	buffer_load_dword v13, off, s[0:3], 0 offset:24
	buffer_load_dword v14, off, s[0:3], 0 offset:28
	s_waitcnt vmcnt(2)
	v_add_f64 v[10:11], v[10:11], v[6:7]
	v_add_nc_u32_e32 v6, 12, v12
	v_add_co_u32 v15, vcc_lo, v74, v4
	v_add_co_ci_u32_e64 v16, null, v75, v5, vcc_lo
	v_ashrrev_i32_e32 v7, 31, v6
	s_and_b32 vcc_lo, exec_lo, s6
	v_lshlrev_b64 v[6:7], 3, v[6:7]
	global_store_dwordx2 v[15:16], v[10:11], off
	s_cbranch_vccnz .LBB187_33
; %bb.32:
	v_add_co_u32 v8, vcc_lo, v72, v6
	v_add_co_ci_u32_e64 v9, null, v73, v7, vcc_lo
	global_load_dwordx2 v[8:9], v[8:9], off
	s_waitcnt vmcnt(0)
	v_mul_f64 v[8:9], s[10:11], v[8:9]
.LBB187_33:
	s_clause 0x1
	buffer_load_dword v10, off, s[0:3], 0 offset:32
	buffer_load_dword v11, off, s[0:3], 0 offset:36
	s_waitcnt vmcnt(2)
	v_add_f64 v[17:18], v[13:14], v[8:9]
	v_add_nc_u32_e32 v8, 16, v12
	v_add_co_u32 v19, vcc_lo, v74, v6
	v_mov_b32_e32 v13, 0
	v_mov_b32_e32 v15, 0
	v_ashrrev_i32_e32 v9, 31, v8
	v_add_co_ci_u32_e64 v20, null, v75, v7, vcc_lo
	v_mov_b32_e32 v14, 0
	v_mov_b32_e32 v16, 0
	v_lshlrev_b64 v[8:9], 3, v[8:9]
	s_and_b32 vcc_lo, exec_lo, s6
	global_store_dwordx2 v[19:20], v[17:18], off
	s_cbranch_vccnz .LBB187_35
; %bb.34:
	v_add_co_u32 v15, vcc_lo, v72, v8
	v_add_co_ci_u32_e64 v16, null, v73, v9, vcc_lo
	global_load_dwordx2 v[15:16], v[15:16], off
	s_waitcnt vmcnt(0)
	v_mul_f64 v[15:16], s[10:11], v[15:16]
.LBB187_35:
	s_clause 0x1
	buffer_load_dword v17, off, s[0:3], 0 offset:40
	buffer_load_dword v18, off, s[0:3], 0 offset:44
	s_waitcnt vmcnt(2)
	v_add_f64 v[15:16], v[10:11], v[15:16]
	v_add_nc_u32_e32 v10, 20, v12
	v_add_co_u32 v19, vcc_lo, v74, v8
	v_add_co_ci_u32_e64 v20, null, v75, v9, vcc_lo
	v_ashrrev_i32_e32 v11, 31, v10
	s_and_b32 vcc_lo, exec_lo, s6
	v_lshlrev_b64 v[10:11], 3, v[10:11]
	;; [unrolled: 44-line block ×15, first 2 shown]
	global_store_dwordx2 v[76:77], v[67:68], off
	s_cbranch_vccnz .LBB187_89
; %bb.88:
	v_add_co_u32 v65, vcc_lo, v72, v63
	v_add_co_ci_u32_e64 v66, null, v73, v64, vcc_lo
	global_load_dwordx2 v[65:66], v[65:66], off
	s_waitcnt vmcnt(0)
	v_mul_f64 v[65:66], s[10:11], v[65:66]
.LBB187_89:
	s_clause 0x1
	buffer_load_dword v67, off, s[0:3], 0 offset:256
	buffer_load_dword v68, off, s[0:3], 0 offset:260
	v_add_nc_u32_e32 v76, 64, v71
	s_waitcnt vmcnt(2)
	v_add_f64 v[69:70], v[69:70], v[65:66]
	v_add_co_u32 v74, vcc_lo, v74, v63
	v_add_co_ci_u32_e64 v75, null, v75, v64, vcc_lo
	v_mad_i64_i32 v[65:66], null, v76, s8, 0
	v_mov_b32_e32 v71, 0
	v_mov_b32_e32 v72, 0
	v_lshlrev_b64 v[77:78], 3, v[65:66]
	v_mov_b32_e32 v65, 0
	v_mov_b32_e32 v66, 0
	v_add_co_u32 v12, vcc_lo, s16, v77
	v_add_co_ci_u32_e64 v73, null, s17, v78, vcc_lo
	s_and_b32 vcc_lo, exec_lo, s6
	global_store_dwordx2 v[74:75], v[69:70], off
	s_cbranch_vccnz .LBB187_91
; %bb.90:
	v_add_co_u32 v69, vcc_lo, v12, v0
	v_add_co_ci_u32_e64 v70, null, v73, v1, vcc_lo
	global_load_dwordx2 v[69:70], v[69:70], off
	s_waitcnt vmcnt(0)
	v_mul_f64 v[71:72], s[10:11], v[69:70]
.LBB187_91:
	s_clause 0x1
	buffer_load_dword v69, off, s[0:3], 0 offset:264
	buffer_load_dword v70, off, s[0:3], 0 offset:268
	v_mad_i64_i32 v[74:75], null, v76, s4, 0
	s_waitcnt vmcnt(2)
	v_add_f64 v[67:68], v[67:68], v[71:72]
	v_lshlrev_b64 v[71:72], 3, v[74:75]
	v_add_co_u32 v71, vcc_lo, s5, v71
	v_add_co_ci_u32_e64 v72, null, s7, v72, vcc_lo
	v_add_co_u32 v0, vcc_lo, v71, v0
	v_add_co_ci_u32_e64 v1, null, v72, v1, vcc_lo
	s_and_b32 vcc_lo, exec_lo, s6
	global_store_dwordx2 v[0:1], v[67:68], off
	s_cbranch_vccnz .LBB187_93
; %bb.92:
	v_add_co_u32 v0, vcc_lo, v12, v2
	v_add_co_ci_u32_e64 v1, null, v73, v3, vcc_lo
	global_load_dwordx2 v[0:1], v[0:1], off
	s_waitcnt vmcnt(0)
	v_mul_f64 v[65:66], s[10:11], v[0:1]
.LBB187_93:
	s_clause 0x1
	buffer_load_dword v67, off, s[0:3], 0 offset:272
	buffer_load_dword v68, off, s[0:3], 0 offset:276
	s_waitcnt vmcnt(2)
	v_add_f64 v[65:66], v[69:70], v[65:66]
	v_add_co_u32 v69, vcc_lo, v71, v2
	v_add_co_ci_u32_e64 v70, null, v72, v3, vcc_lo
	v_mov_b32_e32 v0, 0
	v_mov_b32_e32 v2, 0
	;; [unrolled: 1-line block ×4, first 2 shown]
	s_and_b32 vcc_lo, exec_lo, s6
	global_store_dwordx2 v[69:70], v[65:66], off
	s_cbranch_vccnz .LBB187_95
; %bb.94:
	v_add_co_u32 v2, vcc_lo, v12, v4
	v_add_co_ci_u32_e64 v3, null, v73, v5, vcc_lo
	global_load_dwordx2 v[2:3], v[2:3], off
	s_waitcnt vmcnt(0)
	v_mul_f64 v[2:3], s[10:11], v[2:3]
.LBB187_95:
	s_clause 0x1
	buffer_load_dword v65, off, s[0:3], 0 offset:280
	buffer_load_dword v66, off, s[0:3], 0 offset:284
	s_waitcnt vmcnt(2)
	v_add_f64 v[2:3], v[67:68], v[2:3]
	v_add_co_u32 v4, vcc_lo, v71, v4
	v_add_co_ci_u32_e64 v5, null, v72, v5, vcc_lo
	s_and_b32 vcc_lo, exec_lo, s6
	global_store_dwordx2 v[4:5], v[2:3], off
	s_cbranch_vccnz .LBB187_97
; %bb.96:
	v_add_co_u32 v0, vcc_lo, v12, v6
	v_add_co_ci_u32_e64 v1, null, v73, v7, vcc_lo
	global_load_dwordx2 v[0:1], v[0:1], off
	s_waitcnt vmcnt(0)
	v_mul_f64 v[0:1], s[10:11], v[0:1]
.LBB187_97:
	s_clause 0x1
	buffer_load_dword v2, off, s[0:3], 0 offset:288
	buffer_load_dword v3, off, s[0:3], 0 offset:292
	s_waitcnt vmcnt(2)
	v_add_f64 v[4:5], v[65:66], v[0:1]
	v_add_co_u32 v65, vcc_lo, v71, v6
	v_add_co_ci_u32_e64 v66, null, v72, v7, vcc_lo
	v_mov_b32_e32 v0, 0
	v_mov_b32_e32 v6, 0
	;; [unrolled: 1-line block ×4, first 2 shown]
	s_and_b32 vcc_lo, exec_lo, s6
	global_store_dwordx2 v[65:66], v[4:5], off
	s_cbranch_vccnz .LBB187_99
; %bb.98:
	v_add_co_u32 v4, vcc_lo, v12, v8
	v_add_co_ci_u32_e64 v5, null, v73, v9, vcc_lo
	global_load_dwordx2 v[4:5], v[4:5], off
	s_waitcnt vmcnt(0)
	v_mul_f64 v[6:7], s[10:11], v[4:5]
.LBB187_99:
	s_clause 0x1
	buffer_load_dword v4, off, s[0:3], 0 offset:296
	buffer_load_dword v5, off, s[0:3], 0 offset:300
	s_waitcnt vmcnt(2)
	v_add_f64 v[2:3], v[2:3], v[6:7]
	v_add_co_u32 v6, vcc_lo, v71, v8
	v_add_co_ci_u32_e64 v7, null, v72, v9, vcc_lo
	s_and_b32 vcc_lo, exec_lo, s6
	global_store_dwordx2 v[6:7], v[2:3], off
	s_cbranch_vccnz .LBB187_101
; %bb.100:
	v_add_co_u32 v0, vcc_lo, v12, v10
	v_add_co_ci_u32_e64 v1, null, v73, v11, vcc_lo
	global_load_dwordx2 v[0:1], v[0:1], off
	s_waitcnt vmcnt(0)
	v_mul_f64 v[0:1], s[10:11], v[0:1]
.LBB187_101:
	s_clause 0x1
	buffer_load_dword v2, off, s[0:3], 0 offset:304
	buffer_load_dword v3, off, s[0:3], 0 offset:308
	s_waitcnt vmcnt(2)
	v_add_f64 v[4:5], v[4:5], v[0:1]
	v_add_co_u32 v8, vcc_lo, v71, v10
	v_mov_b32_e32 v0, 0
	v_mov_b32_e32 v6, 0
	v_add_co_ci_u32_e64 v9, null, v72, v11, vcc_lo
	v_mov_b32_e32 v1, 0
	v_mov_b32_e32 v7, 0
	s_and_b32 vcc_lo, exec_lo, s6
	global_store_dwordx2 v[8:9], v[4:5], off
	s_cbranch_vccnz .LBB187_103
; %bb.102:
	v_add_co_u32 v4, vcc_lo, v12, v13
	v_add_co_ci_u32_e64 v5, null, v73, v14, vcc_lo
	global_load_dwordx2 v[4:5], v[4:5], off
	s_waitcnt vmcnt(0)
	v_mul_f64 v[6:7], s[10:11], v[4:5]
.LBB187_103:
	s_clause 0x1
	buffer_load_dword v4, off, s[0:3], 0 offset:312
	buffer_load_dword v5, off, s[0:3], 0 offset:316
	s_waitcnt vmcnt(2)
	v_add_f64 v[2:3], v[2:3], v[6:7]
	v_add_co_u32 v6, vcc_lo, v71, v13
	v_add_co_ci_u32_e64 v7, null, v72, v14, vcc_lo
	s_and_b32 vcc_lo, exec_lo, s6
	global_store_dwordx2 v[6:7], v[2:3], off
	s_cbranch_vccnz .LBB187_105
; %bb.104:
	v_add_co_u32 v0, vcc_lo, v12, v15
	v_add_co_ci_u32_e64 v1, null, v73, v16, vcc_lo
	global_load_dwordx2 v[0:1], v[0:1], off
	s_waitcnt vmcnt(0)
	v_mul_f64 v[0:1], s[10:11], v[0:1]
.LBB187_105:
	s_clause 0x1
	buffer_load_dword v2, off, s[0:3], 0 offset:320
	buffer_load_dword v3, off, s[0:3], 0 offset:324
	s_waitcnt vmcnt(2)
	v_add_f64 v[4:5], v[4:5], v[0:1]
	v_add_co_u32 v8, vcc_lo, v71, v15
	v_mov_b32_e32 v0, 0
	v_mov_b32_e32 v6, 0
	v_add_co_ci_u32_e64 v9, null, v72, v16, vcc_lo
	v_mov_b32_e32 v1, 0
	v_mov_b32_e32 v7, 0
	;; [unrolled: 38-line block ×13, first 2 shown]
	s_and_b32 vcc_lo, exec_lo, s6
	global_store_dwordx2 v[8:9], v[4:5], off
	s_cbranch_vccnz .LBB187_151
; %bb.150:
	v_add_co_u32 v4, vcc_lo, v12, v61
	v_add_co_ci_u32_e64 v5, null, v73, v62, vcc_lo
	global_load_dwordx2 v[4:5], v[4:5], off
	s_waitcnt vmcnt(0)
	v_mul_f64 v[6:7], s[10:11], v[4:5]
.LBB187_151:
	s_clause 0x1
	buffer_load_dword v4, off, s[0:3], 0 offset:504
	buffer_load_dword v5, off, s[0:3], 0 offset:508
	s_waitcnt vmcnt(2)
	v_add_f64 v[2:3], v[2:3], v[6:7]
	v_add_co_u32 v6, vcc_lo, v71, v61
	v_add_co_ci_u32_e64 v7, null, v72, v62, vcc_lo
	s_and_b32 vcc_lo, exec_lo, s6
	global_store_dwordx2 v[6:7], v[2:3], off
	s_cbranch_vccnz .LBB187_153
; %bb.152:
	v_add_co_u32 v0, vcc_lo, v12, v63
	v_add_co_ci_u32_e64 v1, null, v73, v64, vcc_lo
	global_load_dwordx2 v[0:1], v[0:1], off
	s_waitcnt vmcnt(0)
	v_mul_f64 v[0:1], s[10:11], v[0:1]
.LBB187_153:
	s_waitcnt vmcnt(0)
	v_add_f64 v[0:1], v[4:5], v[0:1]
	v_add_co_u32 v2, vcc_lo, v71, v63
	v_add_co_ci_u32_e64 v3, null, v72, v64, vcc_lo
	global_store_dwordx2 v[2:3], v[0:1], off
	s_endpgm
.LBB187_154:
	s_mov_b64 s[16:17], 0
	s_mov_b64 s[20:21], 0
	s_cbranch_execnz .LBB187_4
.LBB187_155:
	s_waitcnt lgkmcnt(0)
	s_mul_i32 s9, s9, s7
	s_mul_hi_u32 s12, s8, s7
	s_mul_i32 s8, s8, s7
	s_add_i32 s9, s12, s9
	s_lshl_b64 s[8:9], s[8:9], 3
	s_add_u32 s20, s14, s8
	s_addc_u32 s21, s15, s9
	v_cmp_eq_f64_e64 s8, s[10:11], 0
	s_load_dwordx4 s[12:15], s[4:5], 0x60
	s_and_b32 vcc_lo, exec_lo, s8
	s_cbranch_vccz .LBB187_5
	s_branch .LBB187_6
	.section	.rodata,"a",@progbits
	.p2align	6, 0x0
	.amdhsa_kernel _ZN12_GLOBAL__N_120geam_min_plus_kernelIdddLi4ELi64ELi128ELi128ELi4ELi4ELi64ELi4ELi64ELc84ELc78ELb1ELb0ELb0EdKddEEviiiT16_PT17_ilS4_ilS2_S4_ilPT18_ili26rocblas_geam_ex_operation_
		.amdhsa_group_segment_fixed_size 16384
		.amdhsa_private_segment_fixed_size 528
		.amdhsa_kernarg_size 136
		.amdhsa_user_sgpr_count 6
		.amdhsa_user_sgpr_private_segment_buffer 1
		.amdhsa_user_sgpr_dispatch_ptr 0
		.amdhsa_user_sgpr_queue_ptr 0
		.amdhsa_user_sgpr_kernarg_segment_ptr 1
		.amdhsa_user_sgpr_dispatch_id 0
		.amdhsa_user_sgpr_flat_scratch_init 0
		.amdhsa_user_sgpr_private_segment_size 0
		.amdhsa_wavefront_size32 1
		.amdhsa_uses_dynamic_stack 0
		.amdhsa_system_sgpr_private_segment_wavefront_offset 1
		.amdhsa_system_sgpr_workgroup_id_x 1
		.amdhsa_system_sgpr_workgroup_id_y 0
		.amdhsa_system_sgpr_workgroup_id_z 1
		.amdhsa_system_sgpr_workgroup_info 0
		.amdhsa_system_vgpr_workitem_id 1
		.amdhsa_next_free_vgpr 233
		.amdhsa_next_free_sgpr 27
		.amdhsa_reserve_vcc 1
		.amdhsa_reserve_flat_scratch 0
		.amdhsa_float_round_mode_32 0
		.amdhsa_float_round_mode_16_64 0
		.amdhsa_float_denorm_mode_32 3
		.amdhsa_float_denorm_mode_16_64 3
		.amdhsa_dx10_clamp 1
		.amdhsa_ieee_mode 1
		.amdhsa_fp16_overflow 0
		.amdhsa_workgroup_processor_mode 1
		.amdhsa_memory_ordered 1
		.amdhsa_forward_progress 1
		.amdhsa_shared_vgpr_count 0
		.amdhsa_exception_fp_ieee_invalid_op 0
		.amdhsa_exception_fp_denorm_src 0
		.amdhsa_exception_fp_ieee_div_zero 0
		.amdhsa_exception_fp_ieee_overflow 0
		.amdhsa_exception_fp_ieee_underflow 0
		.amdhsa_exception_fp_ieee_inexact 0
		.amdhsa_exception_int_div_zero 0
	.end_amdhsa_kernel
	.section	.text._ZN12_GLOBAL__N_120geam_min_plus_kernelIdddLi4ELi64ELi128ELi128ELi4ELi4ELi64ELi4ELi64ELc84ELc78ELb1ELb0ELb0EdKddEEviiiT16_PT17_ilS4_ilS2_S4_ilPT18_ili26rocblas_geam_ex_operation_,"axG",@progbits,_ZN12_GLOBAL__N_120geam_min_plus_kernelIdddLi4ELi64ELi128ELi128ELi4ELi4ELi64ELi4ELi64ELc84ELc78ELb1ELb0ELb0EdKddEEviiiT16_PT17_ilS4_ilS2_S4_ilPT18_ili26rocblas_geam_ex_operation_,comdat
.Lfunc_end187:
	.size	_ZN12_GLOBAL__N_120geam_min_plus_kernelIdddLi4ELi64ELi128ELi128ELi4ELi4ELi64ELi4ELi64ELc84ELc78ELb1ELb0ELb0EdKddEEviiiT16_PT17_ilS4_ilS2_S4_ilPT18_ili26rocblas_geam_ex_operation_, .Lfunc_end187-_ZN12_GLOBAL__N_120geam_min_plus_kernelIdddLi4ELi64ELi128ELi128ELi4ELi4ELi64ELi4ELi64ELc84ELc78ELb1ELb0ELb0EdKddEEviiiT16_PT17_ilS4_ilS2_S4_ilPT18_ili26rocblas_geam_ex_operation_
                                        ; -- End function
	.set _ZN12_GLOBAL__N_120geam_min_plus_kernelIdddLi4ELi64ELi128ELi128ELi4ELi4ELi64ELi4ELi64ELc84ELc78ELb1ELb0ELb0EdKddEEviiiT16_PT17_ilS4_ilS2_S4_ilPT18_ili26rocblas_geam_ex_operation_.num_vgpr, 233
	.set _ZN12_GLOBAL__N_120geam_min_plus_kernelIdddLi4ELi64ELi128ELi128ELi4ELi4ELi64ELi4ELi64ELc84ELc78ELb1ELb0ELb0EdKddEEviiiT16_PT17_ilS4_ilS2_S4_ilPT18_ili26rocblas_geam_ex_operation_.num_agpr, 0
	.set _ZN12_GLOBAL__N_120geam_min_plus_kernelIdddLi4ELi64ELi128ELi128ELi4ELi4ELi64ELi4ELi64ELc84ELc78ELb1ELb0ELb0EdKddEEviiiT16_PT17_ilS4_ilS2_S4_ilPT18_ili26rocblas_geam_ex_operation_.numbered_sgpr, 27
	.set _ZN12_GLOBAL__N_120geam_min_plus_kernelIdddLi4ELi64ELi128ELi128ELi4ELi4ELi64ELi4ELi64ELc84ELc78ELb1ELb0ELb0EdKddEEviiiT16_PT17_ilS4_ilS2_S4_ilPT18_ili26rocblas_geam_ex_operation_.num_named_barrier, 0
	.set _ZN12_GLOBAL__N_120geam_min_plus_kernelIdddLi4ELi64ELi128ELi128ELi4ELi4ELi64ELi4ELi64ELc84ELc78ELb1ELb0ELb0EdKddEEviiiT16_PT17_ilS4_ilS2_S4_ilPT18_ili26rocblas_geam_ex_operation_.private_seg_size, 528
	.set _ZN12_GLOBAL__N_120geam_min_plus_kernelIdddLi4ELi64ELi128ELi128ELi4ELi4ELi64ELi4ELi64ELc84ELc78ELb1ELb0ELb0EdKddEEviiiT16_PT17_ilS4_ilS2_S4_ilPT18_ili26rocblas_geam_ex_operation_.uses_vcc, 1
	.set _ZN12_GLOBAL__N_120geam_min_plus_kernelIdddLi4ELi64ELi128ELi128ELi4ELi4ELi64ELi4ELi64ELc84ELc78ELb1ELb0ELb0EdKddEEviiiT16_PT17_ilS4_ilS2_S4_ilPT18_ili26rocblas_geam_ex_operation_.uses_flat_scratch, 0
	.set _ZN12_GLOBAL__N_120geam_min_plus_kernelIdddLi4ELi64ELi128ELi128ELi4ELi4ELi64ELi4ELi64ELc84ELc78ELb1ELb0ELb0EdKddEEviiiT16_PT17_ilS4_ilS2_S4_ilPT18_ili26rocblas_geam_ex_operation_.has_dyn_sized_stack, 0
	.set _ZN12_GLOBAL__N_120geam_min_plus_kernelIdddLi4ELi64ELi128ELi128ELi4ELi4ELi64ELi4ELi64ELc84ELc78ELb1ELb0ELb0EdKddEEviiiT16_PT17_ilS4_ilS2_S4_ilPT18_ili26rocblas_geam_ex_operation_.has_recursion, 0
	.set _ZN12_GLOBAL__N_120geam_min_plus_kernelIdddLi4ELi64ELi128ELi128ELi4ELi4ELi64ELi4ELi64ELc84ELc78ELb1ELb0ELb0EdKddEEviiiT16_PT17_ilS4_ilS2_S4_ilPT18_ili26rocblas_geam_ex_operation_.has_indirect_call, 0
	.section	.AMDGPU.csdata,"",@progbits
; Kernel info:
; codeLenInByte = 18620
; TotalNumSgprs: 29
; NumVgprs: 233
; ScratchSize: 528
; MemoryBound: 1
; FloatMode: 240
; IeeeMode: 1
; LDSByteSize: 16384 bytes/workgroup (compile time only)
; SGPRBlocks: 0
; VGPRBlocks: 29
; NumSGPRsForWavesPerEU: 29
; NumVGPRsForWavesPerEU: 233
; Occupancy: 4
; WaveLimiterHint : 1
; COMPUTE_PGM_RSRC2:SCRATCH_EN: 1
; COMPUTE_PGM_RSRC2:USER_SGPR: 6
; COMPUTE_PGM_RSRC2:TRAP_HANDLER: 0
; COMPUTE_PGM_RSRC2:TGID_X_EN: 1
; COMPUTE_PGM_RSRC2:TGID_Y_EN: 0
; COMPUTE_PGM_RSRC2:TGID_Z_EN: 1
; COMPUTE_PGM_RSRC2:TIDIG_COMP_CNT: 1
	.section	.text._ZN12_GLOBAL__N_120geam_min_plus_kernelIdddLi4ELi64ELi128ELi128ELi4ELi4ELi64ELi4ELi64ELc84ELc78ELb0ELb0ELb0EdKddEEviiiT16_PT17_ilS4_ilS2_S4_ilPT18_ili26rocblas_geam_ex_operation_,"axG",@progbits,_ZN12_GLOBAL__N_120geam_min_plus_kernelIdddLi4ELi64ELi128ELi128ELi4ELi4ELi64ELi4ELi64ELc84ELc78ELb0ELb0ELb0EdKddEEviiiT16_PT17_ilS4_ilS2_S4_ilPT18_ili26rocblas_geam_ex_operation_,comdat
	.globl	_ZN12_GLOBAL__N_120geam_min_plus_kernelIdddLi4ELi64ELi128ELi128ELi4ELi4ELi64ELi4ELi64ELc84ELc78ELb0ELb0ELb0EdKddEEviiiT16_PT17_ilS4_ilS2_S4_ilPT18_ili26rocblas_geam_ex_operation_ ; -- Begin function _ZN12_GLOBAL__N_120geam_min_plus_kernelIdddLi4ELi64ELi128ELi128ELi4ELi4ELi64ELi4ELi64ELc84ELc78ELb0ELb0ELb0EdKddEEviiiT16_PT17_ilS4_ilS2_S4_ilPT18_ili26rocblas_geam_ex_operation_
	.p2align	8
	.type	_ZN12_GLOBAL__N_120geam_min_plus_kernelIdddLi4ELi64ELi128ELi128ELi4ELi4ELi64ELi4ELi64ELc84ELc78ELb0ELb0ELb0EdKddEEviiiT16_PT17_ilS4_ilS2_S4_ilPT18_ili26rocblas_geam_ex_operation_,@function
_ZN12_GLOBAL__N_120geam_min_plus_kernelIdddLi4ELi64ELi128ELi128ELi4ELi4ELi64ELi4ELi64ELc84ELc78ELb0ELb0ELb0EdKddEEviiiT16_PT17_ilS4_ilS2_S4_ilPT18_ili26rocblas_geam_ex_operation_: ; @_ZN12_GLOBAL__N_120geam_min_plus_kernelIdddLi4ELi64ELi128ELi128ELi4ELi4ELi64ELi4ELi64ELc84ELc78ELb0ELb0ELb0EdKddEEviiiT16_PT17_ilS4_ilS2_S4_ilPT18_ili26rocblas_geam_ex_operation_
; %bb.0:
	s_clause 0x1
	s_load_dwordx4 s[16:19], s[4:5], 0x10
	s_load_dwordx4 s[12:15], s[4:5], 0x28
	s_add_u32 s0, s0, s8
	s_addc_u32 s1, s1, 0
	s_mov_b64 s[20:21], 0
	s_waitcnt lgkmcnt(0)
	v_cmp_eq_f64_e64 s22, s[16:17], 0
	s_and_b32 vcc_lo, exec_lo, s22
	s_cbranch_vccnz .LBB188_2
; %bb.1:
	s_mul_i32 s8, s13, s7
	s_mul_hi_u32 s9, s12, s7
	s_add_i32 s9, s9, s8
	s_mul_i32 s8, s12, s7
	s_lshl_b64 s[8:9], s[8:9], 3
	s_add_u32 s20, s18, s8
	s_addc_u32 s21, s19, s9
.LBB188_2:
	s_clause 0x1
	s_load_dwordx4 s[8:11], s[4:5], 0x40
	s_load_dwordx2 s[24:25], s[4:5], 0x50
	s_andn2_b32 vcc_lo, exec_lo, s22
	s_mov_b32 s12, -1
	s_cbranch_vccnz .LBB188_4
; %bb.3:
	s_mov_b32 s12, 0
.LBB188_4:
	s_mov_b64 s[18:19], 0
	s_andn2_b32 vcc_lo, exec_lo, s12
	s_mov_b64 s[22:23], 0
	s_cbranch_vccnz .LBB188_6
; %bb.5:
	s_waitcnt lgkmcnt(0)
	s_mul_i32 s9, s9, s7
	s_mul_hi_u32 s12, s8, s7
	s_mul_i32 s8, s8, s7
	s_add_i32 s9, s12, s9
	s_lshl_b64 s[8:9], s[8:9], 3
	s_add_u32 s22, s14, s8
	s_addc_u32 s23, s15, s9
.LBB188_6:
	s_waitcnt lgkmcnt(0)
	v_cmp_eq_f64_e64 s8, s[10:11], 0
	v_cmp_neq_f64_e64 s9, s[16:17], 0
	s_load_dwordx4 s[12:15], s[4:5], 0x60
	s_and_b32 vcc_lo, exec_lo, s8
	s_cbranch_vccnz .LBB188_8
; %bb.7:
	s_waitcnt lgkmcnt(0)
	s_mul_i32 s8, s13, s7
	s_mul_hi_u32 s13, s12, s7
	s_mul_i32 s12, s12, s7
	s_add_i32 s13, s13, s8
	s_lshl_b64 s[12:13], s[12:13], 3
	s_add_u32 s18, s24, s12
	s_addc_u32 s19, s25, s13
.LBB188_8:
	s_clause 0x1
	s_load_dword s8, s[4:5], 0x0
	s_load_dword s24, s[4:5], 0x20
	v_lshrrev_b32_e32 v2, 2, v0
	v_and_b32_e32 v90, 3, v0
	v_mov_b32_e32 v4, 0
	v_mov_b32_e32 v6, 0
	;; [unrolled: 1-line block ×3, first 2 shown]
	v_add_nc_u32_e32 v78, v2, v1
	v_lshlrev_b32_e32 v80, 3, v90
	buffer_store_dword v6, off, s[0:3], 0 offset:4
	buffer_store_dword v6, off, s[0:3], 0
	buffer_store_dword v6, off, s[0:3], 0 offset:12
	buffer_store_dword v6, off, s[0:3], 0 offset:8
	;; [unrolled: 1-line block ×35, first 2 shown]
	s_waitcnt lgkmcnt(0)
	s_add_i32 s8, s8, -1
	buffer_store_dword v6, off, s[0:3], 0 offset:144
	buffer_store_dword v6, off, s[0:3], 0 offset:156
	;; [unrolled: 1-line block ×4, first 2 shown]
	s_ashr_i32 s12, s8, 31
	buffer_store_dword v6, off, s[0:3], 0 offset:160
	buffer_store_dword v6, off, s[0:3], 0 offset:172
	s_lshr_b32 s12, s12, 25
	buffer_store_dword v6, off, s[0:3], 0 offset:168
	s_add_i32 s8, s8, s12
	buffer_store_dword v6, off, s[0:3], 0 offset:180
	s_ashr_i32 s8, s8, 7
	buffer_store_dword v6, off, s[0:3], 0 offset:176
	s_add_i32 s13, s8, 1
	s_not_b32 s8, s8
	v_cvt_f32_u32_e32 v2, s13
	buffer_store_dword v6, off, s[0:3], 0 offset:188
	buffer_store_dword v6, off, s[0:3], 0 offset:184
	;; [unrolled: 1-line block ×4, first 2 shown]
	v_rcp_iflag_f32_e32 v2, v2
	buffer_store_dword v6, off, s[0:3], 0 offset:204
	buffer_store_dword v6, off, s[0:3], 0 offset:200
	;; [unrolled: 1-line block ×78, first 2 shown]
	v_mul_f32_e32 v2, 0x4f7ffffe, v2
	v_cvt_u32_f32_e32 v2, v2
	v_readfirstlane_b32 s12, v2
	v_cndmask_b32_e64 v2, 0, 1, s9
	s_mul_i32 s8, s8, s12
	s_mul_hi_u32 s8, s12, s8
	s_add_i32 s12, s12, s8
	s_mul_hi_u32 s8, s6, s12
	s_mul_i32 s12, s8, s13
	s_add_i32 s25, s8, 1
	s_sub_i32 s12, s6, s12
	s_sub_i32 s26, s12, s13
	s_cmp_ge_u32 s12, s13
	s_cselect_b32 s8, s25, s8
	s_cselect_b32 s12, s26, s12
	s_add_i32 s25, s8, 1
	s_cmp_ge_u32 s12, s13
	s_cselect_b32 s12, s25, s8
	s_andn2_b32 vcc_lo, exec_lo, s9
	s_mul_i32 s8, s12, s13
	v_add_co_u32 v18, s13, s20, v80
	s_sub_i32 s6, s6, s8
	v_add_co_ci_u32_e64 v19, null, s21, 0, s13
	s_lshl_b32 s8, s6, 7
	v_cmp_ne_u32_e64 s6, 1, v2
	v_mov_b32_e32 v2, 0
	v_add_nc_u32_e32 v79, s8, v78
	v_mov_b32_e32 v3, 0
	s_cbranch_vccnz .LBB188_10
; %bb.9:
	v_mad_i64_i32 v[2:3], null, v79, s24, 0
	v_lshlrev_b64 v[2:3], 3, v[2:3]
	v_add_co_u32 v2, vcc_lo, v18, v2
	v_add_co_ci_u32_e64 v3, null, v19, v3, vcc_lo
	global_load_dwordx2 v[2:3], v[2:3], off
	s_waitcnt vmcnt(0)
	v_mul_f64 v[2:3], s[16:17], v[2:3]
.LBB188_10:
	s_load_dword s25, s[4:5], 0x38
	s_lshl_b32 s9, s12, 7
	v_mov_b32_e32 v14, 0
	v_add_nc_u32_e32 v81, s9, v78
	v_mov_b32_e32 v16, 0
	v_add_nc_u32_e32 v83, 64, v79
	v_mov_b32_e32 v15, 0
	v_mov_b32_e32 v17, 0
	v_add_nc_u32_e32 v82, 64, v81
	s_and_b32 vcc_lo, exec_lo, s6
	s_cbranch_vccnz .LBB188_12
; %bb.11:
	v_mad_i64_i32 v[4:5], null, v83, s24, 0
	s_waitcnt lgkmcnt(0)
	v_mad_i64_i32 v[6:7], null, v81, s25, 0
	v_mad_i64_i32 v[8:9], null, v82, s25, 0
	v_add_co_u32 v10, s12, s22, v80
	v_lshlrev_b64 v[4:5], 3, v[4:5]
	v_add_co_ci_u32_e64 v11, null, s23, 0, s12
	v_lshlrev_b64 v[6:7], 3, v[6:7]
	v_lshlrev_b64 v[8:9], 3, v[8:9]
	v_add_co_u32 v4, vcc_lo, v18, v4
	v_add_co_ci_u32_e64 v5, null, v19, v5, vcc_lo
	v_add_co_u32 v6, vcc_lo, v10, v6
	v_add_co_ci_u32_e64 v7, null, v11, v7, vcc_lo
	;; [unrolled: 2-line block ×3, first 2 shown]
	global_load_dwordx2 v[4:5], v[4:5], off
	s_clause 0x1
	global_load_dwordx2 v[6:7], v[6:7], off
	global_load_dwordx2 v[8:9], v[8:9], off
	s_waitcnt vmcnt(2)
	v_mul_f64 v[4:5], s[16:17], v[4:5]
	s_waitcnt vmcnt(1)
	v_mul_f64 v[14:15], s[16:17], v[6:7]
	;; [unrolled: 2-line block ×3, first 2 shown]
.LBB188_12:
	v_mov_b32_e32 v8, 0
	v_mov_b32_e32 v6, 0
	;; [unrolled: 1-line block ×4, first 2 shown]
	s_and_b32 vcc_lo, exec_lo, s6
	s_cbranch_vccnz .LBB188_14
; %bb.13:
	v_mad_i64_i32 v[6:7], null, v79, s24, 0
	v_lshlrev_b64 v[6:7], 3, v[6:7]
	v_add_co_u32 v6, vcc_lo, v18, v6
	v_add_co_ci_u32_e64 v7, null, v19, v7, vcc_lo
	global_load_dwordx2 v[6:7], v[6:7], off offset:32
	s_waitcnt vmcnt(0)
	v_mul_f64 v[6:7], s[16:17], v[6:7]
.LBB188_14:
	v_mov_b32_e32 v10, 0
	v_mov_b32_e32 v12, 0
	;; [unrolled: 1-line block ×4, first 2 shown]
	s_and_b32 vcc_lo, exec_lo, s6
	s_cbranch_vccnz .LBB188_16
; %bb.15:
	v_mad_i64_i32 v[8:9], null, v83, s24, 0
	s_waitcnt lgkmcnt(0)
	v_mad_i64_i32 v[10:11], null, v81, s25, 0
	v_mad_i64_i32 v[12:13], null, v82, s25, 0
	v_lshlrev_b64 v[8:9], 3, v[8:9]
	v_lshlrev_b64 v[10:11], 3, v[10:11]
	;; [unrolled: 1-line block ×3, first 2 shown]
	v_add_co_u32 v8, vcc_lo, v18, v8
	v_add_co_u32 v18, s12, s22, v80
	v_add_co_ci_u32_e64 v9, null, v19, v9, vcc_lo
	v_add_co_ci_u32_e64 v19, null, s23, 0, s12
	v_add_co_u32 v10, vcc_lo, v18, v10
	v_add_co_ci_u32_e64 v11, null, v19, v11, vcc_lo
	v_add_co_u32 v12, vcc_lo, v18, v12
	v_add_co_ci_u32_e64 v13, null, v19, v13, vcc_lo
	global_load_dwordx2 v[8:9], v[8:9], off offset:32
	s_clause 0x1
	global_load_dwordx2 v[10:11], v[10:11], off offset:32
	global_load_dwordx2 v[12:13], v[12:13], off offset:32
	s_waitcnt vmcnt(2)
	v_mul_f64 v[8:9], s[16:17], v[8:9]
	s_waitcnt vmcnt(1)
	v_mul_f64 v[10:11], s[16:17], v[10:11]
	;; [unrolled: 2-line block ×3, first 2 shown]
.LBB188_16:
	v_cmp_neq_f64_e64 s12, s[10:11], 0
	v_lshlrev_b32_e32 v18, 5, v78
	v_lshlrev_b32_e32 v93, 5, v0
	v_lshl_or_b32 v94, v1, 5, 0x2000
	s_mov_b32 s13, 0
	s_mov_b32 s26, 0
	v_lshl_or_b32 v91, v90, 3, v18
	s_addk_i32 s13, 0x100
	v_add_nc_u32_e32 v92, 0x2000, v91
	ds_write2st64_b64 v91, v[2:3], v[4:5] offset1:4
	ds_write2st64_b64 v91, v[14:15], v[16:17] offset0:16 offset1:20
	s_waitcnt lgkmcnt(0)
	s_waitcnt_vscnt null, 0x0
	s_barrier
	buffer_gl0_inv
.LBB188_17:                             ; =>This Loop Header: Depth=1
                                        ;     Child Loop BB188_18 Depth 2
	s_lshl_b32 s27, s26, 3
	s_mov_b32 s28, 0
	v_add_nc_u32_e32 v14, s27, v93
	v_add_nc_u32_e32 v84, s27, v94
	s_mov_b32 s27, -1
	ds_read2_b64 v[2:5], v14 offset1:16
	ds_read2_b64 v[18:21], v14 offset0:32 offset1:48
	ds_read2_b64 v[22:25], v14 offset0:64 offset1:80
	;; [unrolled: 1-line block ×4, first 2 shown]
	v_add_nc_u32_e32 v74, 0x800, v14
	ds_read2_b64 v[34:37], v14 offset0:160 offset1:176
	ds_read2_b64 v[38:41], v14 offset0:192 offset1:208
	;; [unrolled: 1-line block ×3, first 2 shown]
	ds_read2_b64 v[46:49], v74 offset1:16
	ds_read2_b64 v[50:53], v74 offset0:32 offset1:48
	ds_read2_b64 v[54:57], v74 offset0:64 offset1:80
	;; [unrolled: 1-line block ×6, first 2 shown]
	s_waitcnt lgkmcnt(9)
	v_max_f64 v[34:35], v[34:35], v[34:35]
	v_max_f64 v[36:37], v[36:37], v[36:37]
	;; [unrolled: 1-line block ×4, first 2 shown]
	ds_read2_b64 v[2:5], v74 offset0:224 offset1:240
	v_max_f64 v[18:19], v[18:19], v[18:19]
	v_max_f64 v[20:21], v[20:21], v[20:21]
	;; [unrolled: 1-line block ×8, first 2 shown]
	s_waitcnt lgkmcnt(9)
	v_max_f64 v[38:39], v[38:39], v[38:39]
	v_max_f64 v[40:41], v[40:41], v[40:41]
	s_waitcnt lgkmcnt(8)
	v_max_f64 v[42:43], v[42:43], v[42:43]
	v_max_f64 v[44:45], v[44:45], v[44:45]
	;; [unrolled: 3-line block ×10, first 2 shown]
	ds_read2st64_b64 v[2:5], v84 offset1:4
.LBB188_18:                             ;   Parent Loop BB188_17 Depth=1
                                        ; =>  This Inner Loop Header: Depth=2
	v_mov_b32_e32 v217, s28
	s_waitcnt lgkmcnt(0)
	v_max_f64 v[153:154], v[2:3], v[2:3]
	v_mov_b32_e32 v2, v4
	v_mov_b32_e32 v3, v5
	s_and_b32 vcc_lo, exec_lo, s27
	s_clause 0x3e
	buffer_load_dword v84, v217, s[0:3], 0 offen
	buffer_load_dword v85, v217, s[0:3], 0 offen offset:4
	buffer_load_dword v86, v217, s[0:3], 0 offen offset:8
	;; [unrolled: 1-line block ×63, first 2 shown]
	s_mov_b32 s27, 0
	s_mov_b32 s28, s13
	v_min_f64 v[155:156], v[14:15], v[153:154]
	v_min_f64 v[157:158], v[16:17], v[153:154]
	;; [unrolled: 1-line block ×32, first 2 shown]
	s_waitcnt vmcnt(62)
	v_add_f64 v[84:85], v[155:156], v[84:85]
	s_waitcnt vmcnt(60)
	v_add_f64 v[86:87], v[157:158], v[86:87]
	;; [unrolled: 2-line block ×32, first 2 shown]
	buffer_store_dword v84, v217, s[0:3], 0 offen
	buffer_store_dword v85, v217, s[0:3], 0 offen offset:4
	buffer_store_dword v86, v217, s[0:3], 0 offen offset:8
	buffer_store_dword v87, v217, s[0:3], 0 offen offset:12
	buffer_store_dword v88, v217, s[0:3], 0 offen offset:16
	buffer_store_dword v89, v217, s[0:3], 0 offen offset:20
	buffer_store_dword v95, v217, s[0:3], 0 offen offset:24
	buffer_store_dword v96, v217, s[0:3], 0 offen offset:28
	buffer_store_dword v97, v217, s[0:3], 0 offen offset:32
	buffer_store_dword v98, v217, s[0:3], 0 offen offset:36
	buffer_store_dword v99, v217, s[0:3], 0 offen offset:40
	buffer_store_dword v100, v217, s[0:3], 0 offen offset:44
	buffer_store_dword v101, v217, s[0:3], 0 offen offset:48
	buffer_store_dword v102, v217, s[0:3], 0 offen offset:52
	buffer_store_dword v103, v217, s[0:3], 0 offen offset:56
	buffer_store_dword v104, v217, s[0:3], 0 offen offset:60
	buffer_store_dword v112, v217, s[0:3], 0 offen offset:68
	buffer_store_dword v111, v217, s[0:3], 0 offen offset:64
	buffer_store_dword v106, v217, s[0:3], 0 offen offset:76
	buffer_store_dword v105, v217, s[0:3], 0 offen offset:72
	buffer_store_dword v108, v217, s[0:3], 0 offen offset:84
	buffer_store_dword v107, v217, s[0:3], 0 offen offset:80
	buffer_store_dword v110, v217, s[0:3], 0 offen offset:92
	buffer_store_dword v109, v217, s[0:3], 0 offen offset:88
	buffer_store_dword v114, v217, s[0:3], 0 offen offset:100
	buffer_store_dword v113, v217, s[0:3], 0 offen offset:96
	buffer_store_dword v116, v217, s[0:3], 0 offen offset:108
	buffer_store_dword v115, v217, s[0:3], 0 offen offset:104
	buffer_store_dword v118, v217, s[0:3], 0 offen offset:116
	buffer_store_dword v117, v217, s[0:3], 0 offen offset:112
	buffer_store_dword v120, v217, s[0:3], 0 offen offset:124
	buffer_store_dword v119, v217, s[0:3], 0 offen offset:120
	buffer_store_dword v122, v217, s[0:3], 0 offen offset:132
	buffer_store_dword v121, v217, s[0:3], 0 offen offset:128
	buffer_store_dword v124, v217, s[0:3], 0 offen offset:140
	buffer_store_dword v123, v217, s[0:3], 0 offen offset:136
	buffer_store_dword v126, v217, s[0:3], 0 offen offset:148
	buffer_store_dword v125, v217, s[0:3], 0 offen offset:144
	buffer_store_dword v128, v217, s[0:3], 0 offen offset:156
	buffer_store_dword v127, v217, s[0:3], 0 offen offset:152
	buffer_store_dword v130, v217, s[0:3], 0 offen offset:164
	buffer_store_dword v129, v217, s[0:3], 0 offen offset:160
	buffer_store_dword v132, v217, s[0:3], 0 offen offset:172
	buffer_store_dword v131, v217, s[0:3], 0 offen offset:168
	buffer_store_dword v134, v217, s[0:3], 0 offen offset:180
	buffer_store_dword v133, v217, s[0:3], 0 offen offset:176
	buffer_store_dword v136, v217, s[0:3], 0 offen offset:188
	buffer_store_dword v135, v217, s[0:3], 0 offen offset:184
	buffer_store_dword v138, v217, s[0:3], 0 offen offset:196
	buffer_store_dword v137, v217, s[0:3], 0 offen offset:192
	buffer_store_dword v140, v217, s[0:3], 0 offen offset:204
	buffer_store_dword v139, v217, s[0:3], 0 offen offset:200
	buffer_store_dword v142, v217, s[0:3], 0 offen offset:212
	buffer_store_dword v141, v217, s[0:3], 0 offen offset:208
	buffer_store_dword v144, v217, s[0:3], 0 offen offset:220
	buffer_store_dword v143, v217, s[0:3], 0 offen offset:216
	buffer_store_dword v146, v217, s[0:3], 0 offen offset:228
	buffer_store_dword v145, v217, s[0:3], 0 offen offset:224
	buffer_store_dword v148, v217, s[0:3], 0 offen offset:236
	buffer_store_dword v147, v217, s[0:3], 0 offen offset:232
	buffer_store_dword v150, v217, s[0:3], 0 offen offset:244
	buffer_store_dword v149, v217, s[0:3], 0 offen offset:240
	buffer_store_dword v152, v217, s[0:3], 0 offen offset:252
	buffer_store_dword v151, v217, s[0:3], 0 offen offset:248
	s_cbranch_vccnz .LBB188_18
; %bb.19:                               ;   in Loop: Header=BB188_17 Depth=1
	s_add_i32 s26, s26, 1
	s_cmp_eq_u32 s26, 4
	s_cbranch_scc0 .LBB188_17
; %bb.20:
	s_load_dword s26, s[4:5], 0x8
	v_lshl_or_b32 v2, v78, 5, v80
	v_lshl_add_u32 v95, v0, 5, 0x1000
	v_lshl_add_u32 v96, v1, 5, 0x3000
	ds_write2st64_b64 v2, v[6:7], v[8:9] offset0:8 offset1:12
	ds_write2st64_b64 v2, v[10:11], v[12:13] offset0:24 offset1:28
	s_waitcnt lgkmcnt(0)
	s_waitcnt_vscnt null, 0x0
	s_barrier
	buffer_gl0_inv
	s_cmp_lt_i32 s26, 9
	s_cbranch_scc1 .LBB188_39
; %bb.21:
	v_mad_i64_i32 v[3:4], null, v79, s24, 0
	v_mad_i64_i32 v[5:6], null, v83, s24, 0
	;; [unrolled: 1-line block ×4, first 2 shown]
	v_lshlrev_b64 v[70:71], 3, v[3:4]
	v_add_nc_u32_e32 v97, 0x1000, v2
	v_lshlrev_b64 v[72:73], 3, v[5:6]
	v_add_nc_u32_e32 v98, 0x3000, v2
	v_lshlrev_b64 v[74:75], 3, v[7:8]
	v_mov_b32_e32 v79, 0
	v_lshlrev_b64 v[76:77], 3, v[9:10]
	s_add_i32 s24, s26, -8
	s_mov_b32 s25, 8
	s_mov_b32 s26, 0
.LBB188_22:                             ; =>This Loop Header: Depth=1
                                        ;     Child Loop BB188_27 Depth 2
                                        ;       Child Loop BB188_28 Depth 3
                                        ;     Child Loop BB188_35 Depth 2
                                        ;       Child Loop BB188_36 Depth 3
	v_or_b32_e32 v78, s25, v90
	v_mov_b32_e32 v10, 0
	v_mov_b32_e32 v8, 0
	;; [unrolled: 1-line block ×4, first 2 shown]
	v_lshlrev_b64 v[6:7], 3, v[78:79]
	v_add_co_u32 v78, vcc_lo, s20, v6
	v_add_co_ci_u32_e64 v99, null, s21, v7, vcc_lo
	s_and_b32 vcc_lo, exec_lo, s6
	s_cbranch_vccnz .LBB188_24
; %bb.23:                               ;   in Loop: Header=BB188_22 Depth=1
	v_add_co_u32 v2, vcc_lo, v78, v70
	v_add_co_ci_u32_e64 v3, null, v99, v71, vcc_lo
	global_load_dwordx2 v[2:3], v[2:3], off
	s_waitcnt vmcnt(0)
	v_mul_f64 v[8:9], s[16:17], v[2:3]
.LBB188_24:                             ;   in Loop: Header=BB188_22 Depth=1
	v_mov_b32_e32 v12, 0
	v_mov_b32_e32 v14, 0
	;; [unrolled: 1-line block ×4, first 2 shown]
	s_and_b32 vcc_lo, exec_lo, s6
	s_cbranch_vccnz .LBB188_26
; %bb.25:                               ;   in Loop: Header=BB188_22 Depth=1
	v_add_co_u32 v10, vcc_lo, s22, v6
	v_add_co_ci_u32_e64 v11, null, s23, v7, vcc_lo
	v_add_co_u32 v2, vcc_lo, v78, v72
	v_add_co_ci_u32_e64 v3, null, v99, v73, vcc_lo
	;; [unrolled: 2-line block ×4, first 2 shown]
	global_load_dwordx2 v[2:3], v[2:3], off
	s_clause 0x1
	global_load_dwordx2 v[4:5], v[4:5], off
	global_load_dwordx2 v[14:15], v[10:11], off
	s_waitcnt vmcnt(2)
	v_mul_f64 v[10:11], s[16:17], v[2:3]
	s_waitcnt vmcnt(1)
	v_mul_f64 v[12:13], s[16:17], v[4:5]
	;; [unrolled: 2-line block ×3, first 2 shown]
.LBB188_26:                             ;   in Loop: Header=BB188_22 Depth=1
	s_mov_b32 s27, 0
.LBB188_27:                             ;   Parent Loop BB188_22 Depth=1
                                        ; =>  This Loop Header: Depth=2
                                        ;       Child Loop BB188_28 Depth 3
	s_lshl_b32 s28, s27, 3
	s_mov_b32 s29, 0
	v_add_nc_u32_e32 v16, s28, v95
	v_add_nc_u32_e32 v104, s28, v96
	s_mov_b32 s28, -1
	ds_read2_b64 v[2:5], v16 offset1:16
	ds_read2_b64 v[20:23], v16 offset0:32 offset1:48
	ds_read2_b64 v[24:27], v16 offset0:64 offset1:80
	v_add_nc_u32_e32 v17, 0x800, v16
	ds_read2_b64 v[28:31], v16 offset0:96 offset1:112
	ds_read2_b64 v[32:35], v16 offset0:128 offset1:144
	;; [unrolled: 1-line block ×5, first 2 shown]
	ds_read2_b64 v[48:51], v17 offset1:16
	ds_read2_b64 v[52:55], v17 offset0:32 offset1:48
	ds_read2_b64 v[56:59], v17 offset0:64 offset1:80
	;; [unrolled: 1-line block ×7, first 2 shown]
	s_waitcnt lgkmcnt(11)
	v_max_f64 v[32:33], v[32:33], v[32:33]
	v_max_f64 v[34:35], v[34:35], v[34:35]
	s_waitcnt lgkmcnt(10)
	v_max_f64 v[36:37], v[36:37], v[36:37]
	v_max_f64 v[38:39], v[38:39], v[38:39]
	;; [unrolled: 3-line block ×3, first 2 shown]
	v_max_f64 v[16:17], v[2:3], v[2:3]
	v_max_f64 v[18:19], v[4:5], v[4:5]
	;; [unrolled: 1-line block ×8, first 2 shown]
	s_waitcnt lgkmcnt(8)
	v_max_f64 v[44:45], v[44:45], v[44:45]
	v_max_f64 v[46:47], v[46:47], v[46:47]
	s_waitcnt lgkmcnt(7)
	v_max_f64 v[48:49], v[48:49], v[48:49]
	v_max_f64 v[50:51], v[50:51], v[50:51]
	;; [unrolled: 3-line block ×9, first 2 shown]
	ds_read2st64_b64 v[2:5], v104 offset1:4
.LBB188_28:                             ;   Parent Loop BB188_22 Depth=1
                                        ;     Parent Loop BB188_27 Depth=2
                                        ; =>    This Inner Loop Header: Depth=3
	v_mov_b32_e32 v228, s29
	s_waitcnt lgkmcnt(0)
	v_max_f64 v[164:165], v[2:3], v[2:3]
	v_mov_b32_e32 v2, v4
	v_mov_b32_e32 v3, v5
	s_and_b32 vcc_lo, exec_lo, s28
	s_clause 0x3e
	buffer_load_dword v100, v228, s[0:3], 0 offen
	buffer_load_dword v101, v228, s[0:3], 0 offen offset:4
	buffer_load_dword v102, v228, s[0:3], 0 offen offset:8
	;; [unrolled: 1-line block ×63, first 2 shown]
	s_mov_b32 s28, 0
	s_mov_b32 s29, s13
	v_min_f64 v[166:167], v[16:17], v[164:165]
	v_min_f64 v[168:169], v[18:19], v[164:165]
	;; [unrolled: 1-line block ×32, first 2 shown]
	s_waitcnt vmcnt(62)
	v_add_f64 v[100:101], v[166:167], v[100:101]
	s_waitcnt vmcnt(60)
	v_add_f64 v[102:103], v[168:169], v[102:103]
	;; [unrolled: 2-line block ×32, first 2 shown]
	buffer_store_dword v100, v228, s[0:3], 0 offen
	buffer_store_dword v101, v228, s[0:3], 0 offen offset:4
	buffer_store_dword v102, v228, s[0:3], 0 offen offset:8
	;; [unrolled: 1-line block ×63, first 2 shown]
	s_cbranch_vccnz .LBB188_28
; %bb.29:                               ;   in Loop: Header=BB188_27 Depth=2
	s_add_i32 s27, s27, 1
	s_cmp_eq_u32 s27, 4
	s_cbranch_scc0 .LBB188_27
; %bb.30:                               ;   in Loop: Header=BB188_22 Depth=1
	v_mov_b32_e32 v82, 0
	v_mov_b32_e32 v80, 0
	;; [unrolled: 1-line block ×4, first 2 shown]
	s_and_b32 vcc_lo, exec_lo, s6
	ds_write2st64_b64 v91, v[8:9], v[10:11] offset1:4
	ds_write2st64_b64 v92, v[12:13], v[14:15] offset1:4
	s_waitcnt lgkmcnt(0)
	s_waitcnt_vscnt null, 0x0
	s_barrier
	buffer_gl0_inv
	s_cbranch_vccnz .LBB188_32
; %bb.31:                               ;   in Loop: Header=BB188_22 Depth=1
	v_add_co_u32 v2, vcc_lo, v78, v70
	v_add_co_ci_u32_e64 v3, null, v99, v71, vcc_lo
	global_load_dwordx2 v[2:3], v[2:3], off offset:32
	s_waitcnt vmcnt(0)
	v_mul_f64 v[80:81], s[16:17], v[2:3]
.LBB188_32:                             ;   in Loop: Header=BB188_22 Depth=1
	v_mov_b32_e32 v84, 0
	v_mov_b32_e32 v86, 0
	;; [unrolled: 1-line block ×4, first 2 shown]
	s_and_b32 vcc_lo, exec_lo, s6
	s_cbranch_vccnz .LBB188_34
; %bb.33:                               ;   in Loop: Header=BB188_22 Depth=1
	v_add_co_u32 v6, vcc_lo, s22, v6
	v_add_co_ci_u32_e64 v7, null, s23, v7, vcc_lo
	v_add_co_u32 v2, vcc_lo, v78, v72
	v_add_co_ci_u32_e64 v3, null, v99, v73, vcc_lo
	;; [unrolled: 2-line block ×4, first 2 shown]
	global_load_dwordx2 v[2:3], v[2:3], off offset:32
	s_clause 0x1
	global_load_dwordx2 v[4:5], v[4:5], off offset:32
	global_load_dwordx2 v[6:7], v[6:7], off offset:32
	s_waitcnt vmcnt(2)
	v_mul_f64 v[82:83], s[16:17], v[2:3]
	s_waitcnt vmcnt(1)
	v_mul_f64 v[84:85], s[16:17], v[4:5]
	;; [unrolled: 2-line block ×3, first 2 shown]
.LBB188_34:                             ;   in Loop: Header=BB188_22 Depth=1
	s_mov_b32 s27, 0
.LBB188_35:                             ;   Parent Loop BB188_22 Depth=1
                                        ; =>  This Loop Header: Depth=2
                                        ;       Child Loop BB188_36 Depth 3
	s_lshl_b32 s28, s27, 3
	s_mov_b32 s29, 0
	v_add_nc_u32_e32 v30, s28, v93
	v_add_nc_u32_e32 v66, s28, v94
	s_mov_b32 s28, -1
	ds_read2_b64 v[2:5], v30 offset1:16
	ds_read2_b64 v[6:9], v30 offset0:32 offset1:48
	ds_read2_b64 v[10:13], v30 offset0:64 offset1:80
	;; [unrolled: 1-line block ×3, first 2 shown]
	v_add_nc_u32_e32 v62, 0x800, v30
	ds_read2_b64 v[18:21], v30 offset0:128 offset1:144
	ds_read2_b64 v[22:25], v30 offset0:160 offset1:176
	;; [unrolled: 1-line block ×4, first 2 shown]
	ds_read2_b64 v[34:37], v62 offset1:16
	ds_read2_b64 v[38:41], v62 offset0:32 offset1:48
	ds_read2_b64 v[42:45], v62 offset0:64 offset1:80
	;; [unrolled: 1-line block ×7, first 2 shown]
	ds_read2st64_b64 v[66:69], v66 offset1:4
.LBB188_36:                             ;   Parent Loop BB188_22 Depth=1
                                        ;     Parent Loop BB188_35 Depth=2
                                        ; =>    This Inner Loop Header: Depth=3
	v_mov_b32_e32 v78, s29
	s_waitcnt lgkmcnt(16)
	v_max_f64 v[161:162], v[2:3], v[2:3]
	s_waitcnt lgkmcnt(0)
	v_max_f64 v[163:164], v[66:67], v[66:67]
	v_max_f64 v[165:166], v[4:5], v[4:5]
	;; [unrolled: 1-line block ×3, first 2 shown]
	s_clause 0x3e
	buffer_load_dword v88, v78, s[0:3], 0 offen
	buffer_load_dword v89, v78, s[0:3], 0 offen offset:4
	buffer_load_dword v99, v78, s[0:3], 0 offen offset:8
	;; [unrolled: 1-line block ×63, first 2 shown]
	v_max_f64 v[169:170], v[8:9], v[8:9]
	v_max_f64 v[171:172], v[10:11], v[10:11]
	;; [unrolled: 1-line block ×29, first 2 shown]
	v_min_f64 v[161:162], v[161:162], v[163:164]
	v_min_f64 v[165:166], v[165:166], v[163:164]
	;; [unrolled: 1-line block ×32, first 2 shown]
	v_mov_b32_e32 v66, v68
	v_mov_b32_e32 v67, v69
	s_and_b32 vcc_lo, exec_lo, s28
	s_mov_b32 s28, 0
	s_mov_b32 s29, s13
	s_waitcnt vmcnt(62)
	v_add_f64 v[88:89], v[161:162], v[88:89]
	s_waitcnt vmcnt(60)
	v_add_f64 v[99:100], v[165:166], v[99:100]
	;; [unrolled: 2-line block ×32, first 2 shown]
	buffer_store_dword v88, v78, s[0:3], 0 offen
	buffer_store_dword v89, v78, s[0:3], 0 offen offset:4
	buffer_store_dword v99, v78, s[0:3], 0 offen offset:8
	;; [unrolled: 1-line block ×63, first 2 shown]
	s_cbranch_vccnz .LBB188_36
; %bb.37:                               ;   in Loop: Header=BB188_35 Depth=2
	s_add_i32 s27, s27, 1
	s_cmp_eq_u32 s27, 4
	s_cbranch_scc0 .LBB188_35
; %bb.38:                               ;   in Loop: Header=BB188_22 Depth=1
	s_add_i32 s26, s26, 8
	s_add_i32 s25, s25, 8
	s_cmp_ge_i32 s26, s24
	ds_write2st64_b64 v97, v[80:81], v[82:83] offset1:4
	ds_write2st64_b64 v98, v[84:85], v[86:87] offset1:4
	s_waitcnt lgkmcnt(0)
	s_waitcnt_vscnt null, 0x0
	s_barrier
	buffer_gl0_inv
	s_cbranch_scc0 .LBB188_22
.LBB188_39:
	s_mov_b32 s6, 0
.LBB188_40:                             ; =>This Loop Header: Depth=1
                                        ;     Child Loop BB188_41 Depth 2
	s_lshl_b32 s16, s6, 3
	s_mov_b32 s17, 0
	v_add_nc_u32_e32 v6, s16, v95
	v_add_nc_u32_e32 v70, s16, v96
	s_mov_b32 s16, -1
	ds_read2_b64 v[2:5], v6 offset1:16
	ds_read2_b64 v[10:13], v6 offset0:32 offset1:48
	ds_read2_b64 v[14:17], v6 offset0:64 offset1:80
	v_add_nc_u32_e32 v7, 0x800, v6
	ds_read2_b64 v[18:21], v6 offset0:96 offset1:112
	ds_read2_b64 v[22:25], v6 offset0:128 offset1:144
	;; [unrolled: 1-line block ×5, first 2 shown]
	ds_read2_b64 v[38:41], v7 offset1:16
	ds_read2_b64 v[42:45], v7 offset0:32 offset1:48
	ds_read2_b64 v[46:49], v7 offset0:64 offset1:80
	;; [unrolled: 1-line block ×7, first 2 shown]
	s_waitcnt lgkmcnt(11)
	v_max_f64 v[22:23], v[22:23], v[22:23]
	v_max_f64 v[24:25], v[24:25], v[24:25]
	s_waitcnt lgkmcnt(10)
	v_max_f64 v[26:27], v[26:27], v[26:27]
	v_max_f64 v[28:29], v[28:29], v[28:29]
	;; [unrolled: 3-line block ×3, first 2 shown]
	v_max_f64 v[6:7], v[2:3], v[2:3]
	v_max_f64 v[8:9], v[4:5], v[4:5]
	;; [unrolled: 1-line block ×8, first 2 shown]
	s_waitcnt lgkmcnt(8)
	v_max_f64 v[34:35], v[34:35], v[34:35]
	v_max_f64 v[36:37], v[36:37], v[36:37]
	s_waitcnt lgkmcnt(7)
	v_max_f64 v[38:39], v[38:39], v[38:39]
	v_max_f64 v[40:41], v[40:41], v[40:41]
	;; [unrolled: 3-line block ×9, first 2 shown]
	ds_read2st64_b64 v[2:5], v70 offset1:4
.LBB188_41:                             ;   Parent Loop BB188_40 Depth=1
                                        ; =>  This Inner Loop Header: Depth=2
	v_mov_b32_e32 v94, s17
	s_waitcnt lgkmcnt(0)
	v_max_f64 v[137:138], v[2:3], v[2:3]
	v_mov_b32_e32 v2, v4
	v_mov_b32_e32 v3, v5
	s_and_b32 vcc_lo, exec_lo, s16
	s_clause 0x3e
	buffer_load_dword v70, v94, s[0:3], 0 offen
	buffer_load_dword v71, v94, s[0:3], 0 offen offset:4
	buffer_load_dword v72, v94, s[0:3], 0 offen offset:8
	;; [unrolled: 1-line block ×63, first 2 shown]
	s_mov_b32 s16, 0
	s_mov_b32 s17, s13
	v_min_f64 v[139:140], v[6:7], v[137:138]
	v_min_f64 v[141:142], v[8:9], v[137:138]
	;; [unrolled: 1-line block ×32, first 2 shown]
	s_waitcnt vmcnt(62)
	v_add_f64 v[70:71], v[139:140], v[70:71]
	s_waitcnt vmcnt(60)
	v_add_f64 v[72:73], v[141:142], v[72:73]
	;; [unrolled: 2-line block ×32, first 2 shown]
	buffer_store_dword v70, v94, s[0:3], 0 offen
	buffer_store_dword v71, v94, s[0:3], 0 offen offset:4
	buffer_store_dword v72, v94, s[0:3], 0 offen offset:8
	;; [unrolled: 1-line block ×63, first 2 shown]
	s_cbranch_vccnz .LBB188_41
; %bb.42:                               ;   in Loop: Header=BB188_40 Depth=1
	s_add_i32 s6, s6, 1
	s_cmp_eq_u32 s6, 4
	s_cbranch_scc0 .LBB188_40
; %bb.43:
	s_clause 0x1
	buffer_load_dword v2, off, s[0:3], 0
	buffer_load_dword v3, off, s[0:3], 0 offset:4
	s_load_dword s13, s[4:5], 0x58
	v_add_nc_u32_e32 v71, s9, v1
	v_add_nc_u32_e32 v12, s8, v0
	v_cndmask_b32_e64 v0, 0, 1, s12
	v_mov_b32_e32 v8, 0
	v_mov_b32_e32 v9, 0
	v_ashrrev_i32_e32 v13, 31, v12
	v_cmp_ne_u32_e64 s6, 1, v0
	v_lshlrev_b64 v[0:1], 3, v[12:13]
	s_waitcnt lgkmcnt(0)
	v_mad_i64_i32 v[4:5], null, v71, s13, 0
	v_lshlrev_b64 v[6:7], 3, v[4:5]
	v_mov_b32_e32 v4, 0
	v_mov_b32_e32 v5, 0
	v_add_co_u32 v72, vcc_lo, s18, v6
	v_add_co_ci_u32_e64 v73, null, s19, v7, vcc_lo
	s_andn2_b32 vcc_lo, exec_lo, s12
	s_cbranch_vccnz .LBB188_45
; %bb.44:
	v_add_co_u32 v6, vcc_lo, v72, v0
	v_add_co_ci_u32_e64 v7, null, v73, v1, vcc_lo
	global_load_dwordx2 v[6:7], v[6:7], off
	s_waitcnt vmcnt(0)
	v_mul_f64 v[8:9], s[10:11], v[6:7]
.LBB188_45:
	s_clause 0x1
	buffer_load_dword v6, off, s[0:3], 0 offset:8
	buffer_load_dword v7, off, s[0:3], 0 offset:12
	s_clause 0x1
	s_load_dwordx2 s[8:9], s[4:5], 0x78
	s_load_dword s4, s[4:5], 0x70
	s_waitcnt vmcnt(2)
	v_add_f64 v[8:9], v[2:3], v[8:9]
	s_waitcnt lgkmcnt(0)
	s_mul_i32 s5, s9, s7
	v_mad_i64_i32 v[10:11], null, v71, s4, 0
	s_mul_hi_u32 s9, s8, s7
	s_mul_i32 s8, s8, s7
	s_add_i32 s9, s9, s5
	s_lshl_b64 s[8:9], s[8:9], 3
	v_lshlrev_b64 v[2:3], 3, v[10:11]
	v_add_nc_u32_e32 v10, 4, v12
	s_add_u32 s5, s14, s8
	s_addc_u32 s7, s15, s9
	v_ashrrev_i32_e32 v11, 31, v10
	v_add_co_u32 v74, vcc_lo, s5, v2
	v_add_co_ci_u32_e64 v75, null, s7, v3, vcc_lo
	v_lshlrev_b64 v[2:3], 3, v[10:11]
	v_add_co_u32 v13, vcc_lo, v74, v0
	v_add_co_ci_u32_e64 v14, null, v75, v1, vcc_lo
	s_and_b32 vcc_lo, exec_lo, s6
	global_store_dwordx2 v[13:14], v[8:9], off
	s_cbranch_vccnz .LBB188_47
; %bb.46:
	v_add_co_u32 v4, vcc_lo, v72, v2
	v_add_co_ci_u32_e64 v5, null, v73, v3, vcc_lo
	global_load_dwordx2 v[4:5], v[4:5], off
	s_waitcnt vmcnt(0)
	v_mul_f64 v[4:5], s[10:11], v[4:5]
.LBB188_47:
	s_clause 0x1
	buffer_load_dword v10, off, s[0:3], 0 offset:16
	buffer_load_dword v11, off, s[0:3], 0 offset:20
	s_waitcnt vmcnt(2)
	v_add_f64 v[13:14], v[6:7], v[4:5]
	v_add_nc_u32_e32 v4, 8, v12
	v_add_co_u32 v15, vcc_lo, v74, v2
	v_mov_b32_e32 v8, 0
	v_mov_b32_e32 v6, 0
	v_ashrrev_i32_e32 v5, 31, v4
	v_add_co_ci_u32_e64 v16, null, v75, v3, vcc_lo
	v_mov_b32_e32 v9, 0
	v_mov_b32_e32 v7, 0
	v_lshlrev_b64 v[4:5], 3, v[4:5]
	s_and_b32 vcc_lo, exec_lo, s6
	global_store_dwordx2 v[15:16], v[13:14], off
	s_cbranch_vccnz .LBB188_49
; %bb.48:
	v_add_co_u32 v6, vcc_lo, v72, v4
	v_add_co_ci_u32_e64 v7, null, v73, v5, vcc_lo
	global_load_dwordx2 v[6:7], v[6:7], off
	s_waitcnt vmcnt(0)
	v_mul_f64 v[6:7], s[10:11], v[6:7]
.LBB188_49:
	s_clause 0x1
	buffer_load_dword v13, off, s[0:3], 0 offset:24
	buffer_load_dword v14, off, s[0:3], 0 offset:28
	s_waitcnt vmcnt(2)
	v_add_f64 v[10:11], v[10:11], v[6:7]
	v_add_nc_u32_e32 v6, 12, v12
	v_add_co_u32 v15, vcc_lo, v74, v4
	v_add_co_ci_u32_e64 v16, null, v75, v5, vcc_lo
	v_ashrrev_i32_e32 v7, 31, v6
	s_and_b32 vcc_lo, exec_lo, s6
	v_lshlrev_b64 v[6:7], 3, v[6:7]
	global_store_dwordx2 v[15:16], v[10:11], off
	s_cbranch_vccnz .LBB188_51
; %bb.50:
	v_add_co_u32 v8, vcc_lo, v72, v6
	v_add_co_ci_u32_e64 v9, null, v73, v7, vcc_lo
	global_load_dwordx2 v[8:9], v[8:9], off
	s_waitcnt vmcnt(0)
	v_mul_f64 v[8:9], s[10:11], v[8:9]
.LBB188_51:
	s_clause 0x1
	buffer_load_dword v10, off, s[0:3], 0 offset:32
	buffer_load_dword v11, off, s[0:3], 0 offset:36
	s_waitcnt vmcnt(2)
	v_add_f64 v[17:18], v[13:14], v[8:9]
	v_add_nc_u32_e32 v8, 16, v12
	v_add_co_u32 v19, vcc_lo, v74, v6
	v_mov_b32_e32 v13, 0
	v_mov_b32_e32 v15, 0
	v_ashrrev_i32_e32 v9, 31, v8
	v_add_co_ci_u32_e64 v20, null, v75, v7, vcc_lo
	v_mov_b32_e32 v14, 0
	v_mov_b32_e32 v16, 0
	v_lshlrev_b64 v[8:9], 3, v[8:9]
	s_and_b32 vcc_lo, exec_lo, s6
	global_store_dwordx2 v[19:20], v[17:18], off
	s_cbranch_vccnz .LBB188_53
; %bb.52:
	v_add_co_u32 v15, vcc_lo, v72, v8
	v_add_co_ci_u32_e64 v16, null, v73, v9, vcc_lo
	global_load_dwordx2 v[15:16], v[15:16], off
	s_waitcnt vmcnt(0)
	v_mul_f64 v[15:16], s[10:11], v[15:16]
.LBB188_53:
	s_clause 0x1
	buffer_load_dword v17, off, s[0:3], 0 offset:40
	buffer_load_dword v18, off, s[0:3], 0 offset:44
	s_waitcnt vmcnt(2)
	v_add_f64 v[15:16], v[10:11], v[15:16]
	v_add_nc_u32_e32 v10, 20, v12
	v_add_co_u32 v19, vcc_lo, v74, v8
	v_add_co_ci_u32_e64 v20, null, v75, v9, vcc_lo
	v_ashrrev_i32_e32 v11, 31, v10
	s_and_b32 vcc_lo, exec_lo, s6
	v_lshlrev_b64 v[10:11], 3, v[10:11]
	;; [unrolled: 44-line block ×15, first 2 shown]
	global_store_dwordx2 v[76:77], v[67:68], off
	s_cbranch_vccnz .LBB188_107
; %bb.106:
	v_add_co_u32 v65, vcc_lo, v72, v63
	v_add_co_ci_u32_e64 v66, null, v73, v64, vcc_lo
	global_load_dwordx2 v[65:66], v[65:66], off
	s_waitcnt vmcnt(0)
	v_mul_f64 v[65:66], s[10:11], v[65:66]
.LBB188_107:
	s_clause 0x1
	buffer_load_dword v67, off, s[0:3], 0 offset:256
	buffer_load_dword v68, off, s[0:3], 0 offset:260
	v_add_nc_u32_e32 v76, 64, v71
	s_waitcnt vmcnt(2)
	v_add_f64 v[69:70], v[69:70], v[65:66]
	v_add_co_u32 v74, vcc_lo, v74, v63
	v_add_co_ci_u32_e64 v75, null, v75, v64, vcc_lo
	v_mad_i64_i32 v[65:66], null, v76, s13, 0
	v_mov_b32_e32 v71, 0
	v_mov_b32_e32 v72, 0
	v_lshlrev_b64 v[77:78], 3, v[65:66]
	v_mov_b32_e32 v65, 0
	v_mov_b32_e32 v66, 0
	v_add_co_u32 v12, vcc_lo, s18, v77
	v_add_co_ci_u32_e64 v73, null, s19, v78, vcc_lo
	s_and_b32 vcc_lo, exec_lo, s6
	global_store_dwordx2 v[74:75], v[69:70], off
	s_cbranch_vccnz .LBB188_109
; %bb.108:
	v_add_co_u32 v69, vcc_lo, v12, v0
	v_add_co_ci_u32_e64 v70, null, v73, v1, vcc_lo
	global_load_dwordx2 v[69:70], v[69:70], off
	s_waitcnt vmcnt(0)
	v_mul_f64 v[71:72], s[10:11], v[69:70]
.LBB188_109:
	s_clause 0x1
	buffer_load_dword v69, off, s[0:3], 0 offset:264
	buffer_load_dword v70, off, s[0:3], 0 offset:268
	v_mad_i64_i32 v[74:75], null, v76, s4, 0
	s_waitcnt vmcnt(2)
	v_add_f64 v[67:68], v[67:68], v[71:72]
	v_lshlrev_b64 v[71:72], 3, v[74:75]
	v_add_co_u32 v71, vcc_lo, s5, v71
	v_add_co_ci_u32_e64 v72, null, s7, v72, vcc_lo
	v_add_co_u32 v0, vcc_lo, v71, v0
	v_add_co_ci_u32_e64 v1, null, v72, v1, vcc_lo
	s_and_b32 vcc_lo, exec_lo, s6
	global_store_dwordx2 v[0:1], v[67:68], off
	s_cbranch_vccnz .LBB188_111
; %bb.110:
	v_add_co_u32 v0, vcc_lo, v12, v2
	v_add_co_ci_u32_e64 v1, null, v73, v3, vcc_lo
	global_load_dwordx2 v[0:1], v[0:1], off
	s_waitcnt vmcnt(0)
	v_mul_f64 v[65:66], s[10:11], v[0:1]
.LBB188_111:
	s_clause 0x1
	buffer_load_dword v67, off, s[0:3], 0 offset:272
	buffer_load_dword v68, off, s[0:3], 0 offset:276
	s_waitcnt vmcnt(2)
	v_add_f64 v[65:66], v[69:70], v[65:66]
	v_add_co_u32 v69, vcc_lo, v71, v2
	v_add_co_ci_u32_e64 v70, null, v72, v3, vcc_lo
	v_mov_b32_e32 v0, 0
	v_mov_b32_e32 v2, 0
	;; [unrolled: 1-line block ×4, first 2 shown]
	s_and_b32 vcc_lo, exec_lo, s6
	global_store_dwordx2 v[69:70], v[65:66], off
	s_cbranch_vccnz .LBB188_113
; %bb.112:
	v_add_co_u32 v2, vcc_lo, v12, v4
	v_add_co_ci_u32_e64 v3, null, v73, v5, vcc_lo
	global_load_dwordx2 v[2:3], v[2:3], off
	s_waitcnt vmcnt(0)
	v_mul_f64 v[2:3], s[10:11], v[2:3]
.LBB188_113:
	s_clause 0x1
	buffer_load_dword v65, off, s[0:3], 0 offset:280
	buffer_load_dword v66, off, s[0:3], 0 offset:284
	s_waitcnt vmcnt(2)
	v_add_f64 v[2:3], v[67:68], v[2:3]
	v_add_co_u32 v4, vcc_lo, v71, v4
	v_add_co_ci_u32_e64 v5, null, v72, v5, vcc_lo
	s_and_b32 vcc_lo, exec_lo, s6
	global_store_dwordx2 v[4:5], v[2:3], off
	s_cbranch_vccnz .LBB188_115
; %bb.114:
	v_add_co_u32 v0, vcc_lo, v12, v6
	v_add_co_ci_u32_e64 v1, null, v73, v7, vcc_lo
	global_load_dwordx2 v[0:1], v[0:1], off
	s_waitcnt vmcnt(0)
	v_mul_f64 v[0:1], s[10:11], v[0:1]
.LBB188_115:
	s_clause 0x1
	buffer_load_dword v2, off, s[0:3], 0 offset:288
	buffer_load_dword v3, off, s[0:3], 0 offset:292
	s_waitcnt vmcnt(2)
	v_add_f64 v[4:5], v[65:66], v[0:1]
	v_add_co_u32 v65, vcc_lo, v71, v6
	v_add_co_ci_u32_e64 v66, null, v72, v7, vcc_lo
	v_mov_b32_e32 v0, 0
	v_mov_b32_e32 v6, 0
	;; [unrolled: 1-line block ×4, first 2 shown]
	s_and_b32 vcc_lo, exec_lo, s6
	global_store_dwordx2 v[65:66], v[4:5], off
	s_cbranch_vccnz .LBB188_117
; %bb.116:
	v_add_co_u32 v4, vcc_lo, v12, v8
	v_add_co_ci_u32_e64 v5, null, v73, v9, vcc_lo
	global_load_dwordx2 v[4:5], v[4:5], off
	s_waitcnt vmcnt(0)
	v_mul_f64 v[6:7], s[10:11], v[4:5]
.LBB188_117:
	s_clause 0x1
	buffer_load_dword v4, off, s[0:3], 0 offset:296
	buffer_load_dword v5, off, s[0:3], 0 offset:300
	s_waitcnt vmcnt(2)
	v_add_f64 v[2:3], v[2:3], v[6:7]
	v_add_co_u32 v6, vcc_lo, v71, v8
	v_add_co_ci_u32_e64 v7, null, v72, v9, vcc_lo
	s_and_b32 vcc_lo, exec_lo, s6
	global_store_dwordx2 v[6:7], v[2:3], off
	s_cbranch_vccnz .LBB188_119
; %bb.118:
	v_add_co_u32 v0, vcc_lo, v12, v10
	v_add_co_ci_u32_e64 v1, null, v73, v11, vcc_lo
	global_load_dwordx2 v[0:1], v[0:1], off
	s_waitcnt vmcnt(0)
	v_mul_f64 v[0:1], s[10:11], v[0:1]
.LBB188_119:
	s_clause 0x1
	buffer_load_dword v2, off, s[0:3], 0 offset:304
	buffer_load_dword v3, off, s[0:3], 0 offset:308
	s_waitcnt vmcnt(2)
	v_add_f64 v[4:5], v[4:5], v[0:1]
	v_add_co_u32 v8, vcc_lo, v71, v10
	v_mov_b32_e32 v0, 0
	v_mov_b32_e32 v6, 0
	v_add_co_ci_u32_e64 v9, null, v72, v11, vcc_lo
	v_mov_b32_e32 v1, 0
	v_mov_b32_e32 v7, 0
	s_and_b32 vcc_lo, exec_lo, s6
	global_store_dwordx2 v[8:9], v[4:5], off
	s_cbranch_vccnz .LBB188_121
; %bb.120:
	v_add_co_u32 v4, vcc_lo, v12, v13
	v_add_co_ci_u32_e64 v5, null, v73, v14, vcc_lo
	global_load_dwordx2 v[4:5], v[4:5], off
	s_waitcnt vmcnt(0)
	v_mul_f64 v[6:7], s[10:11], v[4:5]
.LBB188_121:
	s_clause 0x1
	buffer_load_dword v4, off, s[0:3], 0 offset:312
	buffer_load_dword v5, off, s[0:3], 0 offset:316
	s_waitcnt vmcnt(2)
	v_add_f64 v[2:3], v[2:3], v[6:7]
	v_add_co_u32 v6, vcc_lo, v71, v13
	v_add_co_ci_u32_e64 v7, null, v72, v14, vcc_lo
	s_and_b32 vcc_lo, exec_lo, s6
	global_store_dwordx2 v[6:7], v[2:3], off
	s_cbranch_vccnz .LBB188_123
; %bb.122:
	v_add_co_u32 v0, vcc_lo, v12, v15
	v_add_co_ci_u32_e64 v1, null, v73, v16, vcc_lo
	global_load_dwordx2 v[0:1], v[0:1], off
	s_waitcnt vmcnt(0)
	v_mul_f64 v[0:1], s[10:11], v[0:1]
.LBB188_123:
	s_clause 0x1
	buffer_load_dword v2, off, s[0:3], 0 offset:320
	buffer_load_dword v3, off, s[0:3], 0 offset:324
	s_waitcnt vmcnt(2)
	v_add_f64 v[4:5], v[4:5], v[0:1]
	v_add_co_u32 v8, vcc_lo, v71, v15
	v_mov_b32_e32 v0, 0
	v_mov_b32_e32 v6, 0
	v_add_co_ci_u32_e64 v9, null, v72, v16, vcc_lo
	v_mov_b32_e32 v1, 0
	v_mov_b32_e32 v7, 0
	;; [unrolled: 38-line block ×13, first 2 shown]
	s_and_b32 vcc_lo, exec_lo, s6
	global_store_dwordx2 v[8:9], v[4:5], off
	s_cbranch_vccnz .LBB188_169
; %bb.168:
	v_add_co_u32 v4, vcc_lo, v12, v61
	v_add_co_ci_u32_e64 v5, null, v73, v62, vcc_lo
	global_load_dwordx2 v[4:5], v[4:5], off
	s_waitcnt vmcnt(0)
	v_mul_f64 v[6:7], s[10:11], v[4:5]
.LBB188_169:
	s_clause 0x1
	buffer_load_dword v4, off, s[0:3], 0 offset:504
	buffer_load_dword v5, off, s[0:3], 0 offset:508
	s_waitcnt vmcnt(2)
	v_add_f64 v[2:3], v[2:3], v[6:7]
	v_add_co_u32 v6, vcc_lo, v71, v61
	v_add_co_ci_u32_e64 v7, null, v72, v62, vcc_lo
	s_and_b32 vcc_lo, exec_lo, s6
	global_store_dwordx2 v[6:7], v[2:3], off
	s_cbranch_vccnz .LBB188_171
; %bb.170:
	v_add_co_u32 v0, vcc_lo, v12, v63
	v_add_co_ci_u32_e64 v1, null, v73, v64, vcc_lo
	global_load_dwordx2 v[0:1], v[0:1], off
	s_waitcnt vmcnt(0)
	v_mul_f64 v[0:1], s[10:11], v[0:1]
.LBB188_171:
	s_waitcnt vmcnt(0)
	v_add_f64 v[0:1], v[4:5], v[0:1]
	v_add_co_u32 v2, vcc_lo, v71, v63
	v_add_co_ci_u32_e64 v3, null, v72, v64, vcc_lo
	global_store_dwordx2 v[2:3], v[0:1], off
	s_endpgm
	.section	.rodata,"a",@progbits
	.p2align	6, 0x0
	.amdhsa_kernel _ZN12_GLOBAL__N_120geam_min_plus_kernelIdddLi4ELi64ELi128ELi128ELi4ELi4ELi64ELi4ELi64ELc84ELc78ELb0ELb0ELb0EdKddEEviiiT16_PT17_ilS4_ilS2_S4_ilPT18_ili26rocblas_geam_ex_operation_
		.amdhsa_group_segment_fixed_size 16384
		.amdhsa_private_segment_fixed_size 528
		.amdhsa_kernarg_size 136
		.amdhsa_user_sgpr_count 6
		.amdhsa_user_sgpr_private_segment_buffer 1
		.amdhsa_user_sgpr_dispatch_ptr 0
		.amdhsa_user_sgpr_queue_ptr 0
		.amdhsa_user_sgpr_kernarg_segment_ptr 1
		.amdhsa_user_sgpr_dispatch_id 0
		.amdhsa_user_sgpr_flat_scratch_init 0
		.amdhsa_user_sgpr_private_segment_size 0
		.amdhsa_wavefront_size32 1
		.amdhsa_uses_dynamic_stack 0
		.amdhsa_system_sgpr_private_segment_wavefront_offset 1
		.amdhsa_system_sgpr_workgroup_id_x 1
		.amdhsa_system_sgpr_workgroup_id_y 0
		.amdhsa_system_sgpr_workgroup_id_z 1
		.amdhsa_system_sgpr_workgroup_info 0
		.amdhsa_system_vgpr_workitem_id 1
		.amdhsa_next_free_vgpr 229
		.amdhsa_next_free_sgpr 30
		.amdhsa_reserve_vcc 1
		.amdhsa_reserve_flat_scratch 0
		.amdhsa_float_round_mode_32 0
		.amdhsa_float_round_mode_16_64 0
		.amdhsa_float_denorm_mode_32 3
		.amdhsa_float_denorm_mode_16_64 3
		.amdhsa_dx10_clamp 1
		.amdhsa_ieee_mode 1
		.amdhsa_fp16_overflow 0
		.amdhsa_workgroup_processor_mode 1
		.amdhsa_memory_ordered 1
		.amdhsa_forward_progress 1
		.amdhsa_shared_vgpr_count 0
		.amdhsa_exception_fp_ieee_invalid_op 0
		.amdhsa_exception_fp_denorm_src 0
		.amdhsa_exception_fp_ieee_div_zero 0
		.amdhsa_exception_fp_ieee_overflow 0
		.amdhsa_exception_fp_ieee_underflow 0
		.amdhsa_exception_fp_ieee_inexact 0
		.amdhsa_exception_int_div_zero 0
	.end_amdhsa_kernel
	.section	.text._ZN12_GLOBAL__N_120geam_min_plus_kernelIdddLi4ELi64ELi128ELi128ELi4ELi4ELi64ELi4ELi64ELc84ELc78ELb0ELb0ELb0EdKddEEviiiT16_PT17_ilS4_ilS2_S4_ilPT18_ili26rocblas_geam_ex_operation_,"axG",@progbits,_ZN12_GLOBAL__N_120geam_min_plus_kernelIdddLi4ELi64ELi128ELi128ELi4ELi4ELi64ELi4ELi64ELc84ELc78ELb0ELb0ELb0EdKddEEviiiT16_PT17_ilS4_ilS2_S4_ilPT18_ili26rocblas_geam_ex_operation_,comdat
.Lfunc_end188:
	.size	_ZN12_GLOBAL__N_120geam_min_plus_kernelIdddLi4ELi64ELi128ELi128ELi4ELi4ELi64ELi4ELi64ELc84ELc78ELb0ELb0ELb0EdKddEEviiiT16_PT17_ilS4_ilS2_S4_ilPT18_ili26rocblas_geam_ex_operation_, .Lfunc_end188-_ZN12_GLOBAL__N_120geam_min_plus_kernelIdddLi4ELi64ELi128ELi128ELi4ELi4ELi64ELi4ELi64ELc84ELc78ELb0ELb0ELb0EdKddEEviiiT16_PT17_ilS4_ilS2_S4_ilPT18_ili26rocblas_geam_ex_operation_
                                        ; -- End function
	.set _ZN12_GLOBAL__N_120geam_min_plus_kernelIdddLi4ELi64ELi128ELi128ELi4ELi4ELi64ELi4ELi64ELc84ELc78ELb0ELb0ELb0EdKddEEviiiT16_PT17_ilS4_ilS2_S4_ilPT18_ili26rocblas_geam_ex_operation_.num_vgpr, 229
	.set _ZN12_GLOBAL__N_120geam_min_plus_kernelIdddLi4ELi64ELi128ELi128ELi4ELi4ELi64ELi4ELi64ELc84ELc78ELb0ELb0ELb0EdKddEEviiiT16_PT17_ilS4_ilS2_S4_ilPT18_ili26rocblas_geam_ex_operation_.num_agpr, 0
	.set _ZN12_GLOBAL__N_120geam_min_plus_kernelIdddLi4ELi64ELi128ELi128ELi4ELi4ELi64ELi4ELi64ELc84ELc78ELb0ELb0ELb0EdKddEEviiiT16_PT17_ilS4_ilS2_S4_ilPT18_ili26rocblas_geam_ex_operation_.numbered_sgpr, 30
	.set _ZN12_GLOBAL__N_120geam_min_plus_kernelIdddLi4ELi64ELi128ELi128ELi4ELi4ELi64ELi4ELi64ELc84ELc78ELb0ELb0ELb0EdKddEEviiiT16_PT17_ilS4_ilS2_S4_ilPT18_ili26rocblas_geam_ex_operation_.num_named_barrier, 0
	.set _ZN12_GLOBAL__N_120geam_min_plus_kernelIdddLi4ELi64ELi128ELi128ELi4ELi4ELi64ELi4ELi64ELc84ELc78ELb0ELb0ELb0EdKddEEviiiT16_PT17_ilS4_ilS2_S4_ilPT18_ili26rocblas_geam_ex_operation_.private_seg_size, 528
	.set _ZN12_GLOBAL__N_120geam_min_plus_kernelIdddLi4ELi64ELi128ELi128ELi4ELi4ELi64ELi4ELi64ELc84ELc78ELb0ELb0ELb0EdKddEEviiiT16_PT17_ilS4_ilS2_S4_ilPT18_ili26rocblas_geam_ex_operation_.uses_vcc, 1
	.set _ZN12_GLOBAL__N_120geam_min_plus_kernelIdddLi4ELi64ELi128ELi128ELi4ELi4ELi64ELi4ELi64ELc84ELc78ELb0ELb0ELb0EdKddEEviiiT16_PT17_ilS4_ilS2_S4_ilPT18_ili26rocblas_geam_ex_operation_.uses_flat_scratch, 0
	.set _ZN12_GLOBAL__N_120geam_min_plus_kernelIdddLi4ELi64ELi128ELi128ELi4ELi4ELi64ELi4ELi64ELc84ELc78ELb0ELb0ELb0EdKddEEviiiT16_PT17_ilS4_ilS2_S4_ilPT18_ili26rocblas_geam_ex_operation_.has_dyn_sized_stack, 0
	.set _ZN12_GLOBAL__N_120geam_min_plus_kernelIdddLi4ELi64ELi128ELi128ELi4ELi4ELi64ELi4ELi64ELc84ELc78ELb0ELb0ELb0EdKddEEviiiT16_PT17_ilS4_ilS2_S4_ilPT18_ili26rocblas_geam_ex_operation_.has_recursion, 0
	.set _ZN12_GLOBAL__N_120geam_min_plus_kernelIdddLi4ELi64ELi128ELi128ELi4ELi4ELi64ELi4ELi64ELc84ELc78ELb0ELb0ELb0EdKddEEviiiT16_PT17_ilS4_ilS2_S4_ilPT18_ili26rocblas_geam_ex_operation_.has_indirect_call, 0
	.section	.AMDGPU.csdata,"",@progbits
; Kernel info:
; codeLenInByte = 19272
; TotalNumSgprs: 32
; NumVgprs: 229
; ScratchSize: 528
; MemoryBound: 1
; FloatMode: 240
; IeeeMode: 1
; LDSByteSize: 16384 bytes/workgroup (compile time only)
; SGPRBlocks: 0
; VGPRBlocks: 28
; NumSGPRsForWavesPerEU: 32
; NumVGPRsForWavesPerEU: 229
; Occupancy: 4
; WaveLimiterHint : 1
; COMPUTE_PGM_RSRC2:SCRATCH_EN: 1
; COMPUTE_PGM_RSRC2:USER_SGPR: 6
; COMPUTE_PGM_RSRC2:TRAP_HANDLER: 0
; COMPUTE_PGM_RSRC2:TGID_X_EN: 1
; COMPUTE_PGM_RSRC2:TGID_Y_EN: 0
; COMPUTE_PGM_RSRC2:TGID_Z_EN: 1
; COMPUTE_PGM_RSRC2:TIDIG_COMP_CNT: 1
	.section	.text._ZN12_GLOBAL__N_120geam_min_plus_kernelIdddLi4ELi64ELi128ELi128ELi4ELi4ELi64ELi4ELi64ELc84ELc78ELb0ELb1ELb0EPKdS1_dEEviiiT16_PT17_ilS5_ilS3_S5_ilPT18_ili26rocblas_geam_ex_operation_,"axG",@progbits,_ZN12_GLOBAL__N_120geam_min_plus_kernelIdddLi4ELi64ELi128ELi128ELi4ELi4ELi64ELi4ELi64ELc84ELc78ELb0ELb1ELb0EPKdS1_dEEviiiT16_PT17_ilS5_ilS3_S5_ilPT18_ili26rocblas_geam_ex_operation_,comdat
	.globl	_ZN12_GLOBAL__N_120geam_min_plus_kernelIdddLi4ELi64ELi128ELi128ELi4ELi4ELi64ELi4ELi64ELc84ELc78ELb0ELb1ELb0EPKdS1_dEEviiiT16_PT17_ilS5_ilS3_S5_ilPT18_ili26rocblas_geam_ex_operation_ ; -- Begin function _ZN12_GLOBAL__N_120geam_min_plus_kernelIdddLi4ELi64ELi128ELi128ELi4ELi4ELi64ELi4ELi64ELc84ELc78ELb0ELb1ELb0EPKdS1_dEEviiiT16_PT17_ilS5_ilS3_S5_ilPT18_ili26rocblas_geam_ex_operation_
	.p2align	8
	.type	_ZN12_GLOBAL__N_120geam_min_plus_kernelIdddLi4ELi64ELi128ELi128ELi4ELi4ELi64ELi4ELi64ELc84ELc78ELb0ELb1ELb0EPKdS1_dEEviiiT16_PT17_ilS5_ilS3_S5_ilPT18_ili26rocblas_geam_ex_operation_,@function
_ZN12_GLOBAL__N_120geam_min_plus_kernelIdddLi4ELi64ELi128ELi128ELi4ELi4ELi64ELi4ELi64ELc84ELc78ELb0ELb1ELb0EPKdS1_dEEviiiT16_PT17_ilS5_ilS3_S5_ilPT18_ili26rocblas_geam_ex_operation_: ; @_ZN12_GLOBAL__N_120geam_min_plus_kernelIdddLi4ELi64ELi128ELi128ELi4ELi4ELi64ELi4ELi64ELc84ELc78ELb0ELb1ELb0EPKdS1_dEEviiiT16_PT17_ilS5_ilS3_S5_ilPT18_ili26rocblas_geam_ex_operation_
; %bb.0:
	s_load_dwordx4 s[16:19], s[4:5], 0x10
	s_mov_b32 s20, s7
	s_mov_b32 s21, 0
	s_add_u32 s0, s0, s8
	s_addc_u32 s1, s1, 0
	s_lshl_b64 s[22:23], s[20:21], 3
	s_clause 0x1
	s_load_dwordx4 s[8:11], s[4:5], 0x28
	s_load_dwordx2 s[26:27], s[4:5], 0x50
	s_mov_b64 s[24:25], 0
	s_waitcnt lgkmcnt(0)
	s_add_u32 s12, s16, s22
	s_addc_u32 s13, s17, s23
	s_load_dwordx2 s[16:17], s[12:13], 0x0
	s_load_dwordx4 s[12:15], s[4:5], 0x40
	s_waitcnt lgkmcnt(0)
	v_cmp_eq_f64_e64 s21, s[16:17], 0
	v_cmp_neq_f64_e64 s7, s[16:17], 0
	s_add_u32 s14, s14, s22
	s_addc_u32 s15, s15, s23
	s_mov_b64 s[22:23], 0
	s_and_b32 vcc_lo, exec_lo, s21
	s_cbranch_vccnz .LBB189_2
; %bb.1:
	s_mul_i32 s9, s9, s20
	s_mul_hi_u32 s21, s8, s20
	s_mul_i32 s8, s8, s20
	s_add_i32 s9, s21, s9
	s_lshl_b64 s[8:9], s[8:9], 3
	s_add_u32 s24, s18, s8
	s_addc_u32 s25, s19, s9
.LBB189_2:
	s_load_dwordx2 s[38:39], s[14:15], 0x0
	s_andn2_b32 vcc_lo, exec_lo, s7
	s_cbranch_vccnz .LBB189_4
; %bb.3:
	s_mul_i32 s7, s13, s20
	s_mul_hi_u32 s8, s12, s20
	s_add_i32 s9, s8, s7
	s_mul_i32 s8, s12, s20
	s_lshl_b64 s[8:9], s[8:9], 3
	s_add_u32 s22, s10, s8
	s_addc_u32 s23, s11, s9
.LBB189_4:
	s_waitcnt lgkmcnt(0)
	v_cmp_eq_f64_e64 s7, s[38:39], 0
	v_cmp_neq_f64_e64 s46, s[38:39], 0
	s_load_dwordx4 s[12:15], s[4:5], 0x60
	s_mov_b64 s[44:45], 0
	s_and_b32 vcc_lo, exec_lo, s7
	s_cbranch_vccnz .LBB189_6
; %bb.5:
	s_waitcnt lgkmcnt(0)
	s_mul_i32 s7, s13, s20
	s_mul_hi_u32 s8, s12, s20
	s_add_i32 s9, s8, s7
	s_mul_i32 s8, s12, s20
	s_lshl_b64 s[8:9], s[8:9], 3
	s_add_u32 s44, s26, s8
	s_addc_u32 s45, s27, s9
.LBB189_6:
	s_clause 0x1
	s_load_dwordx4 s[40:43], s[4:5], 0x0
	s_load_dword s18, s[4:5], 0x20
	v_lshrrev_b32_e32 v2, 2, v0
	v_and_b32_e32 v86, 3, v0
	v_cmp_eq_f64_e64 s21, s[16:17], 0
	v_mov_b32_e32 v4, 0
	v_mov_b32_e32 v10, 0
	v_add_nc_u32_e32 v78, v2, v1
	v_mov_b32_e32 v5, 0
	buffer_store_dword v10, off, s[0:3], 0 offset:4
	buffer_store_dword v10, off, s[0:3], 0
	buffer_store_dword v10, off, s[0:3], 0 offset:12
	buffer_store_dword v10, off, s[0:3], 0 offset:8
	;; [unrolled: 1-line block ×31, first 2 shown]
	s_waitcnt lgkmcnt(0)
	s_add_i32 s7, s40, -1
	v_cmp_le_i32_e32 vcc_lo, s42, v86
	s_ashr_i32 s8, s7, 31
	buffer_store_dword v10, off, s[0:3], 0 offset:128
	buffer_store_dword v10, off, s[0:3], 0 offset:140
	;; [unrolled: 1-line block ×4, first 2 shown]
	s_lshr_b32 s8, s8, 25
	buffer_store_dword v10, off, s[0:3], 0 offset:144
	buffer_store_dword v10, off, s[0:3], 0 offset:156
	;; [unrolled: 1-line block ×4, first 2 shown]
	s_add_i32 s7, s7, s8
	buffer_store_dword v10, off, s[0:3], 0 offset:160
	buffer_store_dword v10, off, s[0:3], 0 offset:172
	s_ashr_i32 s7, s7, 7
	buffer_store_dword v10, off, s[0:3], 0 offset:168
	s_add_i32 s8, s7, 1
	s_not_b32 s7, s7
	v_cvt_f32_u32_e32 v2, s8
	buffer_store_dword v10, off, s[0:3], 0 offset:180
	buffer_store_dword v10, off, s[0:3], 0 offset:176
	buffer_store_dword v10, off, s[0:3], 0 offset:188
	buffer_store_dword v10, off, s[0:3], 0 offset:184
	v_rcp_iflag_f32_e32 v2, v2
	buffer_store_dword v10, off, s[0:3], 0 offset:196
	buffer_store_dword v10, off, s[0:3], 0 offset:192
	;; [unrolled: 1-line block ×77, first 2 shown]
	v_mul_f32_e32 v2, 0x4f7ffffe, v2
	buffer_store_dword v10, off, s[0:3], 0 offset:496
	buffer_store_dword v10, off, s[0:3], 0 offset:508
	;; [unrolled: 1-line block ×3, first 2 shown]
	v_cvt_u32_f32_e32 v2, v2
	v_readfirstlane_b32 s9, v2
	s_mul_i32 s7, s7, s9
	s_mul_hi_u32 s7, s9, s7
	s_add_i32 s9, s9, s7
	s_mul_hi_u32 s7, s6, s9
	s_mul_i32 s9, s7, s8
	s_add_i32 s10, s7, 1
	s_sub_i32 s9, s6, s9
	s_sub_i32 s11, s9, s8
	s_cmp_ge_u32 s9, s8
	s_cselect_b32 s7, s10, s7
	s_cselect_b32 s9, s11, s9
	s_add_i32 s10, s7, 1
	s_cmp_ge_u32 s9, s8
	s_cselect_b32 s9, s10, s7
	s_add_i32 s13, s42, -1
	s_mul_i32 s7, s9, s8
	v_min_i32_e32 v2, s13, v86
	s_sub_i32 s6, s6, s7
	s_lshl_b32 s11, s6, 7
	v_ashrrev_i32_e32 v3, 31, v2
	v_add_nc_u32_e32 v79, s11, v78
	v_lshlrev_b64 v[6:7], 3, v[2:3]
	v_cmp_le_i32_e64 s6, s40, v79
	v_mov_b32_e32 v2, 0
	v_mov_b32_e32 v3, 0
	v_add_co_u32 v8, s7, s24, v6
	v_add_co_ci_u32_e64 v9, null, s25, v7, s7
	s_or_b32 s7, vcc_lo, s6
	s_nor_b32 s7, s21, s7
	s_and_saveexec_b32 s8, s7
	s_cbranch_execz .LBB189_8
; %bb.7:
	v_mad_i64_i32 v[4:5], null, v79, s18, 0
	v_lshlrev_b64 v[4:5], 3, v[4:5]
	v_add_co_u32 v4, s7, v8, v4
	v_add_co_ci_u32_e64 v5, null, v9, v5, s7
	global_load_dwordx2 v[4:5], v[4:5], off
	s_waitcnt vmcnt(0)
	v_mul_f64 v[4:5], s[16:17], v[4:5]
.LBB189_8:
	s_or_b32 exec_lo, exec_lo, s8
	v_add_nc_u32_e32 v80, 64, v79
	v_cmp_le_i32_e64 s7, s40, v80
	s_or_b32 s8, vcc_lo, s7
	s_nor_b32 s8, s21, s8
	s_and_saveexec_b32 s10, s8
	s_cbranch_execz .LBB189_10
; %bb.9:
	v_mad_i64_i32 v[2:3], null, v80, s18, 0
	v_lshlrev_b64 v[2:3], 3, v[2:3]
	v_add_co_u32 v2, s8, v8, v2
	v_add_co_ci_u32_e64 v3, null, v9, v3, s8
	global_load_dwordx2 v[2:3], v[2:3], off
	s_waitcnt vmcnt(0)
	v_mul_f64 v[2:3], s[16:17], v[2:3]
.LBB189_10:
	s_or_b32 exec_lo, exec_lo, s10
	s_load_dword s19, s[4:5], 0x38
	s_lshl_b32 s12, s9, 7
	v_add_co_u32 v6, s9, s22, v6
	v_add_nc_u32_e32 v81, s12, v78
	v_mov_b32_e32 v14, 0
	v_mov_b32_e32 v16, 0
	;; [unrolled: 1-line block ×4, first 2 shown]
	v_cmp_le_i32_e64 s8, s41, v81
	v_add_co_ci_u32_e64 v7, null, s23, v7, s9
	s_or_b32 s9, vcc_lo, s8
	s_nor_b32 s9, s21, s9
	s_and_saveexec_b32 s10, s9
	s_cbranch_execz .LBB189_12
; %bb.11:
	s_waitcnt lgkmcnt(0)
	v_mad_i64_i32 v[8:9], null, v81, s19, 0
	v_lshlrev_b64 v[8:9], 3, v[8:9]
	v_add_co_u32 v8, s9, v6, v8
	v_add_co_ci_u32_e64 v9, null, v7, v9, s9
	global_load_dwordx2 v[8:9], v[8:9], off
	s_waitcnt vmcnt(0)
	v_mul_f64 v[16:17], s[16:17], v[8:9]
.LBB189_12:
	s_or_b32 exec_lo, exec_lo, s10
	v_add_nc_u32_e32 v82, 64, v81
	v_cmp_le_i32_e64 s9, s41, v82
	s_or_b32 s10, vcc_lo, s9
	s_nor_b32 s26, s21, s10
	s_and_saveexec_b32 s10, s26
	s_cbranch_execz .LBB189_14
; %bb.13:
	s_waitcnt lgkmcnt(0)
	v_mad_i64_i32 v[8:9], null, v82, s19, 0
	v_lshlrev_b64 v[8:9], 3, v[8:9]
	v_add_co_u32 v6, vcc_lo, v6, v8
	v_add_co_ci_u32_e64 v7, null, v7, v9, vcc_lo
	global_load_dwordx2 v[6:7], v[6:7], off
	s_waitcnt vmcnt(0)
	v_mul_f64 v[14:15], s[16:17], v[6:7]
.LBB189_14:
	s_or_b32 exec_lo, exec_lo, s10
	v_or_b32_e32 v10, 4, v86
	v_mov_b32_e32 v8, 0
	v_mov_b32_e32 v9, 0
	v_min_i32_e32 v6, s13, v10
	v_cmp_le_i32_e32 vcc_lo, s42, v10
	v_ashrrev_i32_e32 v7, 31, v6
	v_lshlrev_b64 v[18:19], 3, v[6:7]
	v_mov_b32_e32 v6, 0
	v_mov_b32_e32 v7, 0
	v_add_co_u32 v10, s10, s24, v18
	v_add_co_ci_u32_e64 v11, null, s25, v19, s10
	s_or_b32 s10, vcc_lo, s6
	s_nor_b32 s10, s21, s10
	s_and_saveexec_b32 s26, s10
	s_cbranch_execz .LBB189_16
; %bb.15:
	v_mad_i64_i32 v[8:9], null, v79, s18, 0
	v_lshlrev_b64 v[8:9], 3, v[8:9]
	v_add_co_u32 v8, s10, v10, v8
	v_add_co_ci_u32_e64 v9, null, v11, v9, s10
	global_load_dwordx2 v[8:9], v[8:9], off
	s_waitcnt vmcnt(0)
	v_mul_f64 v[8:9], s[16:17], v[8:9]
.LBB189_16:
	s_or_b32 exec_lo, exec_lo, s26
	s_or_b32 s10, vcc_lo, s7
	s_nor_b32 s10, s21, s10
	s_and_saveexec_b32 s26, s10
	s_cbranch_execz .LBB189_18
; %bb.17:
	v_mad_i64_i32 v[6:7], null, v80, s18, 0
	v_lshlrev_b64 v[6:7], 3, v[6:7]
	v_add_co_u32 v6, s10, v10, v6
	v_add_co_ci_u32_e64 v7, null, v11, v7, s10
	global_load_dwordx2 v[6:7], v[6:7], off
	s_waitcnt vmcnt(0)
	v_mul_f64 v[6:7], s[16:17], v[6:7]
.LBB189_18:
	s_or_b32 exec_lo, exec_lo, s26
	v_add_co_u32 v18, s10, s22, v18
	v_mov_b32_e32 v10, 0
	v_mov_b32_e32 v12, 0
	;; [unrolled: 1-line block ×4, first 2 shown]
	v_add_co_ci_u32_e64 v19, null, s23, v19, s10
	s_or_b32 s10, vcc_lo, s8
	s_nor_b32 s10, s21, s10
	s_and_saveexec_b32 s26, s10
	s_cbranch_execz .LBB189_20
; %bb.19:
	s_waitcnt lgkmcnt(0)
	v_mad_i64_i32 v[12:13], null, v81, s19, 0
	v_lshlrev_b64 v[12:13], 3, v[12:13]
	v_add_co_u32 v12, s10, v18, v12
	v_add_co_ci_u32_e64 v13, null, v19, v13, s10
	global_load_dwordx2 v[12:13], v[12:13], off
	s_waitcnt vmcnt(0)
	v_mul_f64 v[12:13], s[16:17], v[12:13]
.LBB189_20:
	s_or_b32 exec_lo, exec_lo, s26
	s_or_b32 s10, vcc_lo, s9
	s_nor_b32 s26, s21, s10
	s_and_saveexec_b32 s10, s26
	s_cbranch_execz .LBB189_22
; %bb.21:
	s_waitcnt lgkmcnt(0)
	v_mad_i64_i32 v[10:11], null, v82, s19, 0
	v_lshlrev_b64 v[10:11], 3, v[10:11]
	v_add_co_u32 v10, vcc_lo, v18, v10
	v_add_co_ci_u32_e64 v11, null, v19, v11, vcc_lo
	global_load_dwordx2 v[10:11], v[10:11], off
	s_waitcnt vmcnt(0)
	v_mul_f64 v[10:11], s[16:17], v[10:11]
.LBB189_22:
	s_or_b32 exec_lo, exec_lo, s10
	v_lshlrev_b32_e32 v18, 5, v78
	v_lshlrev_b32_e32 v88, 5, v0
	v_lshl_or_b32 v90, v1, 5, 0x2000
	s_mov_b32 s10, 0
	s_mov_b32 s26, 0
	v_lshl_or_b32 v87, v86, 3, v18
	s_addk_i32 s10, 0x100
	v_add_nc_u32_e32 v89, 0x2000, v87
	ds_write2st64_b64 v87, v[4:5], v[2:3] offset1:4
	ds_write2st64_b64 v87, v[16:17], v[14:15] offset0:16 offset1:20
	s_waitcnt lgkmcnt(0)
	s_waitcnt_vscnt null, 0x0
	s_barrier
	buffer_gl0_inv
.LBB189_23:                             ; =>This Loop Header: Depth=1
                                        ;     Child Loop BB189_24 Depth 2
	s_lshl_b32 s27, s26, 3
	s_mov_b32 s28, 0
	v_add_nc_u32_e32 v14, s27, v88
	v_add_nc_u32_e32 v83, s27, v90
	s_mov_b32 s27, -1
	ds_read2_b64 v[2:5], v14 offset1:16
	ds_read2_b64 v[18:21], v14 offset0:32 offset1:48
	ds_read2_b64 v[22:25], v14 offset0:64 offset1:80
	;; [unrolled: 1-line block ×4, first 2 shown]
	v_add_nc_u32_e32 v74, 0x800, v14
	ds_read2_b64 v[34:37], v14 offset0:160 offset1:176
	ds_read2_b64 v[38:41], v14 offset0:192 offset1:208
	;; [unrolled: 1-line block ×3, first 2 shown]
	ds_read2_b64 v[46:49], v74 offset1:16
	ds_read2_b64 v[50:53], v74 offset0:32 offset1:48
	ds_read2_b64 v[54:57], v74 offset0:64 offset1:80
	;; [unrolled: 1-line block ×6, first 2 shown]
	s_waitcnt lgkmcnt(9)
	v_max_f64 v[34:35], v[34:35], v[34:35]
	v_max_f64 v[36:37], v[36:37], v[36:37]
	;; [unrolled: 1-line block ×4, first 2 shown]
	ds_read2_b64 v[2:5], v74 offset0:224 offset1:240
	v_max_f64 v[18:19], v[18:19], v[18:19]
	v_max_f64 v[20:21], v[20:21], v[20:21]
	;; [unrolled: 1-line block ×8, first 2 shown]
	s_waitcnt lgkmcnt(9)
	v_max_f64 v[38:39], v[38:39], v[38:39]
	v_max_f64 v[40:41], v[40:41], v[40:41]
	s_waitcnt lgkmcnt(8)
	v_max_f64 v[42:43], v[42:43], v[42:43]
	v_max_f64 v[44:45], v[44:45], v[44:45]
	;; [unrolled: 3-line block ×10, first 2 shown]
	ds_read2st64_b64 v[2:5], v83 offset1:4
.LBB189_24:                             ;   Parent Loop BB189_23 Depth=1
                                        ; =>  This Inner Loop Header: Depth=2
	v_mov_b32_e32 v83, s28
	s_waitcnt lgkmcnt(0)
	v_max_f64 v[2:3], v[2:3], v[2:3]
	s_and_b32 vcc_lo, exec_lo, s27
	s_mov_b32 s27, 0
	s_mov_b32 s28, s10
	s_clause 0xf
	buffer_load_dword v91, v83, s[0:3], 0 offen
	buffer_load_dword v92, v83, s[0:3], 0 offen offset:4
	buffer_load_dword v93, v83, s[0:3], 0 offen offset:8
	;; [unrolled: 1-line block ×15, first 2 shown]
	v_min_f64 v[84:85], v[14:15], v[2:3]
	s_waitcnt vmcnt(14)
	v_add_f64 v[84:85], v[84:85], v[91:92]
	buffer_store_dword v84, v83, s[0:3], 0 offen
	buffer_store_dword v85, v83, s[0:3], 0 offen offset:4
	v_min_f64 v[84:85], v[16:17], v[2:3]
	s_waitcnt vmcnt(12)
	v_add_f64 v[84:85], v[84:85], v[93:94]
	buffer_store_dword v84, v83, s[0:3], 0 offen offset:8
	buffer_store_dword v85, v83, s[0:3], 0 offen offset:12
	v_min_f64 v[84:85], v[18:19], v[2:3]
	s_waitcnt vmcnt(10)
	v_add_f64 v[84:85], v[84:85], v[95:96]
	buffer_store_dword v84, v83, s[0:3], 0 offen offset:16
	;; [unrolled: 5-line block ×7, first 2 shown]
	buffer_store_dword v85, v83, s[0:3], 0 offen offset:60
	s_clause 0x1
	buffer_load_dword v92, v83, s[0:3], 0 offen offset:68
	buffer_load_dword v91, v83, s[0:3], 0 offen offset:64
	v_min_f64 v[84:85], v[30:31], v[2:3]
	s_waitcnt vmcnt(0)
	v_add_f64 v[84:85], v[84:85], v[91:92]
	buffer_store_dword v85, v83, s[0:3], 0 offen offset:68
	buffer_store_dword v84, v83, s[0:3], 0 offen offset:64
	s_clause 0x1
	buffer_load_dword v91, v83, s[0:3], 0 offen offset:72
	buffer_load_dword v92, v83, s[0:3], 0 offen offset:76
	v_min_f64 v[84:85], v[32:33], v[2:3]
	s_waitcnt vmcnt(0)
	v_add_f64 v[84:85], v[84:85], v[91:92]
	buffer_store_dword v85, v83, s[0:3], 0 offen offset:76
	;; [unrolled: 8-line block ×22, first 2 shown]
	buffer_store_dword v84, v83, s[0:3], 0 offen offset:232
	s_clause 0x1
	buffer_load_dword v91, v83, s[0:3], 0 offen offset:240
	buffer_load_dword v92, v83, s[0:3], 0 offen offset:244
	v_min_f64 v[84:85], v[74:75], v[2:3]
	v_min_f64 v[2:3], v[76:77], v[2:3]
	s_waitcnt vmcnt(0)
	v_add_f64 v[84:85], v[84:85], v[91:92]
	buffer_store_dword v85, v83, s[0:3], 0 offen offset:244
	buffer_store_dword v84, v83, s[0:3], 0 offen offset:240
	s_clause 0x1
	buffer_load_dword v84, v83, s[0:3], 0 offen offset:248
	buffer_load_dword v85, v83, s[0:3], 0 offen offset:252
	s_waitcnt vmcnt(0)
	v_add_f64 v[2:3], v[2:3], v[84:85]
	buffer_store_dword v3, v83, s[0:3], 0 offen offset:252
	buffer_store_dword v2, v83, s[0:3], 0 offen offset:248
	v_mov_b32_e32 v2, v4
	v_mov_b32_e32 v3, v5
	s_cbranch_vccnz .LBB189_24
; %bb.25:                               ;   in Loop: Header=BB189_23 Depth=1
	s_add_i32 s26, s26, 1
	s_cmp_eq_u32 s26, 4
	s_cbranch_scc0 .LBB189_23
; %bb.26:
	v_lshlrev_b32_e32 v2, 3, v86
	v_lshl_add_u32 v91, v0, 5, 0x1000
	v_lshl_add_u32 v92, v1, 5, 0x3000
	s_cmp_lt_i32 s42, 9
	v_lshl_or_b32 v2, v78, 5, v2
	ds_write2st64_b64 v2, v[8:9], v[6:7] offset0:8 offset1:12
	ds_write2st64_b64 v2, v[12:13], v[10:11] offset0:24 offset1:28
	s_waitcnt lgkmcnt(0)
	s_waitcnt_vscnt null, 0x0
	s_barrier
	buffer_gl0_inv
	s_cbranch_scc1 .LBB189_53
; %bb.27:
	v_mad_i64_i32 v[3:4], null, v79, s18, 0
	v_mad_i64_i32 v[5:6], null, v80, s18, 0
	;; [unrolled: 1-line block ×4, first 2 shown]
	v_lshlrev_b64 v[70:71], 3, v[3:4]
	v_add_nc_u32_e32 v93, 0x1000, v2
	v_lshlrev_b64 v[72:73], 3, v[5:6]
	v_add_nc_u32_e32 v94, 0x3000, v2
	v_lshlrev_b64 v[74:75], 3, v[7:8]
	s_add_i32 s18, s42, -8
	v_lshlrev_b64 v[76:77], 3, v[9:10]
	s_or_b32 s19, s6, s21
	s_or_b32 s7, s7, s21
	;; [unrolled: 1-line block ×4, first 2 shown]
	s_mov_b32 s21, 8
	s_mov_b32 s26, 0
.LBB189_28:                             ; =>This Loop Header: Depth=1
                                        ;     Child Loop BB189_37 Depth 2
                                        ;       Child Loop BB189_38 Depth 3
                                        ;     Child Loop BB189_49 Depth 2
                                        ;       Child Loop BB189_50 Depth 3
	v_or_b32_e32 v95, s21, v86
	v_mov_b32_e32 v6, 0
	v_mov_b32_e32 v8, 0
	;; [unrolled: 1-line block ×4, first 2 shown]
	v_min_i32_e32 v2, s13, v95
	v_cmp_le_i32_e32 vcc_lo, s42, v95
	v_ashrrev_i32_e32 v3, 31, v2
	v_lshlrev_b64 v[2:3], 3, v[2:3]
	v_add_co_u32 v4, s6, s24, v2
	v_add_co_ci_u32_e64 v5, null, s25, v3, s6
	s_nor_b32 s6, vcc_lo, s19
	s_and_saveexec_b32 s27, s6
	s_cbranch_execz .LBB189_30
; %bb.29:                               ;   in Loop: Header=BB189_28 Depth=1
	v_add_co_u32 v8, s6, v4, v70
	v_add_co_ci_u32_e64 v9, null, v5, v71, s6
	global_load_dwordx2 v[8:9], v[8:9], off
	s_waitcnt vmcnt(0)
	v_mul_f64 v[8:9], s[16:17], v[8:9]
.LBB189_30:                             ;   in Loop: Header=BB189_28 Depth=1
	s_or_b32 exec_lo, exec_lo, s27
	s_nor_b32 s6, vcc_lo, s7
	s_and_saveexec_b32 s27, s6
	s_cbranch_execz .LBB189_32
; %bb.31:                               ;   in Loop: Header=BB189_28 Depth=1
	v_add_co_u32 v4, s6, v4, v72
	v_add_co_ci_u32_e64 v5, null, v5, v73, s6
	global_load_dwordx2 v[4:5], v[4:5], off
	s_waitcnt vmcnt(0)
	v_mul_f64 v[6:7], s[16:17], v[4:5]
.LBB189_32:                             ;   in Loop: Header=BB189_28 Depth=1
	s_or_b32 exec_lo, exec_lo, s27
	v_add_co_u32 v2, s6, s22, v2
	v_mov_b32_e32 v10, 0
	v_mov_b32_e32 v12, 0
	;; [unrolled: 1-line block ×4, first 2 shown]
	v_add_co_ci_u32_e64 v3, null, s23, v3, s6
	s_nor_b32 s6, vcc_lo, s8
	s_and_saveexec_b32 s27, s6
	s_cbranch_execz .LBB189_34
; %bb.33:                               ;   in Loop: Header=BB189_28 Depth=1
	v_add_co_u32 v4, s6, v2, v74
	v_add_co_ci_u32_e64 v5, null, v3, v75, s6
	global_load_dwordx2 v[4:5], v[4:5], off
	s_waitcnt vmcnt(0)
	v_mul_f64 v[12:13], s[16:17], v[4:5]
.LBB189_34:                             ;   in Loop: Header=BB189_28 Depth=1
	s_or_b32 exec_lo, exec_lo, s27
	s_nor_b32 s27, vcc_lo, s9
	s_and_saveexec_b32 s6, s27
	s_cbranch_execz .LBB189_36
; %bb.35:                               ;   in Loop: Header=BB189_28 Depth=1
	v_add_co_u32 v2, vcc_lo, v2, v76
	v_add_co_ci_u32_e64 v3, null, v3, v77, vcc_lo
	global_load_dwordx2 v[2:3], v[2:3], off
	s_waitcnt vmcnt(0)
	v_mul_f64 v[10:11], s[16:17], v[2:3]
.LBB189_36:                             ;   in Loop: Header=BB189_28 Depth=1
	s_or_b32 exec_lo, exec_lo, s6
	s_mov_b32 s6, 0
.LBB189_37:                             ;   Parent Loop BB189_28 Depth=1
                                        ; =>  This Loop Header: Depth=2
                                        ;       Child Loop BB189_38 Depth 3
	s_lshl_b32 s27, s6, 3
	s_mov_b32 s28, 0
	v_add_nc_u32_e32 v14, s27, v91
	v_add_nc_u32_e32 v96, s27, v92
	s_mov_b32 s27, -1
	ds_read2_b64 v[2:5], v14 offset1:16
	ds_read2_b64 v[18:21], v14 offset0:32 offset1:48
	ds_read2_b64 v[22:25], v14 offset0:64 offset1:80
	v_add_nc_u32_e32 v15, 0x800, v14
	ds_read2_b64 v[26:29], v14 offset0:96 offset1:112
	ds_read2_b64 v[30:33], v14 offset0:128 offset1:144
	;; [unrolled: 1-line block ×5, first 2 shown]
	ds_read2_b64 v[46:49], v15 offset1:16
	ds_read2_b64 v[50:53], v15 offset0:32 offset1:48
	ds_read2_b64 v[54:57], v15 offset0:64 offset1:80
	;; [unrolled: 1-line block ×7, first 2 shown]
	s_waitcnt lgkmcnt(11)
	v_max_f64 v[30:31], v[30:31], v[30:31]
	v_max_f64 v[32:33], v[32:33], v[32:33]
	s_waitcnt lgkmcnt(10)
	v_max_f64 v[34:35], v[34:35], v[34:35]
	v_max_f64 v[36:37], v[36:37], v[36:37]
	;; [unrolled: 3-line block ×3, first 2 shown]
	v_max_f64 v[14:15], v[2:3], v[2:3]
	v_max_f64 v[16:17], v[4:5], v[4:5]
	v_max_f64 v[18:19], v[18:19], v[18:19]
	v_max_f64 v[20:21], v[20:21], v[20:21]
	v_max_f64 v[22:23], v[22:23], v[22:23]
	v_max_f64 v[24:25], v[24:25], v[24:25]
	v_max_f64 v[26:27], v[26:27], v[26:27]
	v_max_f64 v[28:29], v[28:29], v[28:29]
	s_waitcnt lgkmcnt(8)
	v_max_f64 v[42:43], v[42:43], v[42:43]
	v_max_f64 v[44:45], v[44:45], v[44:45]
	s_waitcnt lgkmcnt(7)
	v_max_f64 v[46:47], v[46:47], v[46:47]
	v_max_f64 v[48:49], v[48:49], v[48:49]
	;; [unrolled: 3-line block ×9, first 2 shown]
	ds_read2st64_b64 v[2:5], v96 offset1:4
.LBB189_38:                             ;   Parent Loop BB189_28 Depth=1
                                        ;     Parent Loop BB189_37 Depth=2
                                        ; =>    This Inner Loop Header: Depth=3
	v_mov_b32_e32 v96, s28
	s_waitcnt lgkmcnt(0)
	v_max_f64 v[2:3], v[2:3], v[2:3]
	s_and_b32 vcc_lo, exec_lo, s27
	s_mov_b32 s27, 0
	s_mov_b32 s28, s10
	s_clause 0xf
	buffer_load_dword v99, v96, s[0:3], 0 offen
	buffer_load_dword v100, v96, s[0:3], 0 offen offset:4
	buffer_load_dword v101, v96, s[0:3], 0 offen offset:8
	;; [unrolled: 1-line block ×15, first 2 shown]
	v_min_f64 v[97:98], v[14:15], v[2:3]
	s_waitcnt vmcnt(14)
	v_add_f64 v[97:98], v[97:98], v[99:100]
	buffer_store_dword v97, v96, s[0:3], 0 offen
	buffer_store_dword v98, v96, s[0:3], 0 offen offset:4
	v_min_f64 v[97:98], v[16:17], v[2:3]
	s_waitcnt vmcnt(12)
	v_add_f64 v[97:98], v[97:98], v[101:102]
	buffer_store_dword v97, v96, s[0:3], 0 offen offset:8
	buffer_store_dword v98, v96, s[0:3], 0 offen offset:12
	v_min_f64 v[97:98], v[18:19], v[2:3]
	s_waitcnt vmcnt(10)
	v_add_f64 v[97:98], v[97:98], v[103:104]
	buffer_store_dword v97, v96, s[0:3], 0 offen offset:16
	;; [unrolled: 5-line block ×7, first 2 shown]
	buffer_store_dword v98, v96, s[0:3], 0 offen offset:60
	s_clause 0x1
	buffer_load_dword v100, v96, s[0:3], 0 offen offset:68
	buffer_load_dword v99, v96, s[0:3], 0 offen offset:64
	v_min_f64 v[97:98], v[30:31], v[2:3]
	s_waitcnt vmcnt(0)
	v_add_f64 v[97:98], v[97:98], v[99:100]
	buffer_store_dword v98, v96, s[0:3], 0 offen offset:68
	buffer_store_dword v97, v96, s[0:3], 0 offen offset:64
	s_clause 0x1
	buffer_load_dword v99, v96, s[0:3], 0 offen offset:72
	buffer_load_dword v100, v96, s[0:3], 0 offen offset:76
	v_min_f64 v[97:98], v[32:33], v[2:3]
	s_waitcnt vmcnt(0)
	v_add_f64 v[97:98], v[97:98], v[99:100]
	buffer_store_dword v98, v96, s[0:3], 0 offen offset:76
	;; [unrolled: 8-line block ×22, first 2 shown]
	buffer_store_dword v97, v96, s[0:3], 0 offen offset:232
	s_clause 0x1
	buffer_load_dword v99, v96, s[0:3], 0 offen offset:240
	buffer_load_dword v100, v96, s[0:3], 0 offen offset:244
	v_min_f64 v[97:98], v[82:83], v[2:3]
	v_min_f64 v[2:3], v[84:85], v[2:3]
	s_waitcnt vmcnt(0)
	v_add_f64 v[97:98], v[97:98], v[99:100]
	buffer_store_dword v98, v96, s[0:3], 0 offen offset:244
	buffer_store_dword v97, v96, s[0:3], 0 offen offset:240
	s_clause 0x1
	buffer_load_dword v97, v96, s[0:3], 0 offen offset:248
	buffer_load_dword v98, v96, s[0:3], 0 offen offset:252
	s_waitcnt vmcnt(0)
	v_add_f64 v[2:3], v[2:3], v[97:98]
	buffer_store_dword v3, v96, s[0:3], 0 offen offset:252
	buffer_store_dword v2, v96, s[0:3], 0 offen offset:248
	v_mov_b32_e32 v2, v4
	v_mov_b32_e32 v3, v5
	s_cbranch_vccnz .LBB189_38
; %bb.39:                               ;   in Loop: Header=BB189_37 Depth=2
	s_add_i32 s6, s6, 1
	s_cmp_eq_u32 s6, 4
	s_cbranch_scc0 .LBB189_37
; %bb.40:                               ;   in Loop: Header=BB189_28 Depth=1
	v_or_b32_e32 v4, 4, v95
	v_mov_b32_e32 v78, 0
	v_mov_b32_e32 v80, 0
	;; [unrolled: 1-line block ×4, first 2 shown]
	v_min_i32_e32 v2, s13, v4
	v_cmp_le_i32_e32 vcc_lo, s42, v4
	ds_write2st64_b64 v87, v[8:9], v[6:7] offset1:4
	ds_write2st64_b64 v89, v[12:13], v[10:11] offset1:4
	s_waitcnt lgkmcnt(0)
	s_waitcnt_vscnt null, 0x0
	v_ashrrev_i32_e32 v3, 31, v2
	s_barrier
	buffer_gl0_inv
	v_lshlrev_b64 v[2:3], 3, v[2:3]
	v_add_co_u32 v4, s6, s24, v2
	v_add_co_ci_u32_e64 v5, null, s25, v3, s6
	s_nor_b32 s6, vcc_lo, s19
	s_and_saveexec_b32 s27, s6
	s_cbranch_execz .LBB189_42
; %bb.41:                               ;   in Loop: Header=BB189_28 Depth=1
	v_add_co_u32 v6, s6, v4, v70
	v_add_co_ci_u32_e64 v7, null, v5, v71, s6
	global_load_dwordx2 v[6:7], v[6:7], off
	s_waitcnt vmcnt(0)
	v_mul_f64 v[80:81], s[16:17], v[6:7]
.LBB189_42:                             ;   in Loop: Header=BB189_28 Depth=1
	s_or_b32 exec_lo, exec_lo, s27
	s_nor_b32 s6, vcc_lo, s7
	s_and_saveexec_b32 s27, s6
	s_cbranch_execz .LBB189_44
; %bb.43:                               ;   in Loop: Header=BB189_28 Depth=1
	v_add_co_u32 v4, s6, v4, v72
	v_add_co_ci_u32_e64 v5, null, v5, v73, s6
	global_load_dwordx2 v[4:5], v[4:5], off
	s_waitcnt vmcnt(0)
	v_mul_f64 v[78:79], s[16:17], v[4:5]
.LBB189_44:                             ;   in Loop: Header=BB189_28 Depth=1
	s_or_b32 exec_lo, exec_lo, s27
	v_add_co_u32 v2, s6, s22, v2
	v_mov_b32_e32 v82, 0
	v_mov_b32_e32 v84, 0
	;; [unrolled: 1-line block ×4, first 2 shown]
	v_add_co_ci_u32_e64 v3, null, s23, v3, s6
	s_nor_b32 s6, vcc_lo, s8
	s_and_saveexec_b32 s27, s6
	s_cbranch_execz .LBB189_46
; %bb.45:                               ;   in Loop: Header=BB189_28 Depth=1
	v_add_co_u32 v4, s6, v2, v74
	v_add_co_ci_u32_e64 v5, null, v3, v75, s6
	global_load_dwordx2 v[4:5], v[4:5], off
	s_waitcnt vmcnt(0)
	v_mul_f64 v[84:85], s[16:17], v[4:5]
.LBB189_46:                             ;   in Loop: Header=BB189_28 Depth=1
	s_or_b32 exec_lo, exec_lo, s27
	s_nor_b32 s27, vcc_lo, s9
	s_and_saveexec_b32 s6, s27
	s_cbranch_execz .LBB189_48
; %bb.47:                               ;   in Loop: Header=BB189_28 Depth=1
	v_add_co_u32 v2, vcc_lo, v2, v76
	v_add_co_ci_u32_e64 v3, null, v3, v77, vcc_lo
	global_load_dwordx2 v[2:3], v[2:3], off
	s_waitcnt vmcnt(0)
	v_mul_f64 v[82:83], s[16:17], v[2:3]
.LBB189_48:                             ;   in Loop: Header=BB189_28 Depth=1
	s_or_b32 exec_lo, exec_lo, s6
	s_mov_b32 s6, 0
.LBB189_49:                             ;   Parent Loop BB189_28 Depth=1
                                        ; =>  This Loop Header: Depth=2
                                        ;       Child Loop BB189_50 Depth 3
	s_lshl_b32 s27, s6, 3
	s_mov_b32 s28, 0
	v_add_nc_u32_e32 v30, s27, v88
	v_add_nc_u32_e32 v66, s27, v90
	s_mov_b32 s27, -1
	ds_read2_b64 v[2:5], v30 offset1:16
	ds_read2_b64 v[6:9], v30 offset0:32 offset1:48
	ds_read2_b64 v[10:13], v30 offset0:64 offset1:80
	;; [unrolled: 1-line block ×3, first 2 shown]
	v_add_nc_u32_e32 v62, 0x800, v30
	ds_read2_b64 v[18:21], v30 offset0:128 offset1:144
	ds_read2_b64 v[22:25], v30 offset0:160 offset1:176
	;; [unrolled: 1-line block ×4, first 2 shown]
	ds_read2_b64 v[34:37], v62 offset1:16
	ds_read2_b64 v[38:41], v62 offset0:32 offset1:48
	ds_read2_b64 v[42:45], v62 offset0:64 offset1:80
	;; [unrolled: 1-line block ×7, first 2 shown]
	ds_read2st64_b64 v[66:69], v66 offset1:4
.LBB189_50:                             ;   Parent Loop BB189_28 Depth=1
                                        ;     Parent Loop BB189_49 Depth=2
                                        ; =>    This Inner Loop Header: Depth=3
	s_waitcnt lgkmcnt(16)
	v_max_f64 v[95:96], v[2:3], v[2:3]
	s_waitcnt lgkmcnt(0)
	v_max_f64 v[66:67], v[66:67], v[66:67]
	s_and_b32 vcc_lo, exec_lo, s27
	s_mov_b32 s27, 0
	v_min_f64 v[96:97], v[95:96], v[66:67]
	v_mov_b32_e32 v95, s28
	s_mov_b32 s28, s10
	s_clause 0xf
	buffer_load_dword v98, v95, s[0:3], 0 offen
	buffer_load_dword v99, v95, s[0:3], 0 offen offset:4
	buffer_load_dword v100, v95, s[0:3], 0 offen offset:8
	;; [unrolled: 1-line block ×15, first 2 shown]
	s_waitcnt vmcnt(14)
	v_add_f64 v[96:97], v[96:97], v[98:99]
	buffer_store_dword v96, v95, s[0:3], 0 offen
	buffer_store_dword v97, v95, s[0:3], 0 offen offset:4
	v_max_f64 v[96:97], v[4:5], v[4:5]
	v_min_f64 v[96:97], v[96:97], v[66:67]
	s_waitcnt vmcnt(12)
	v_add_f64 v[96:97], v[96:97], v[100:101]
	buffer_store_dword v96, v95, s[0:3], 0 offen offset:8
	buffer_store_dword v97, v95, s[0:3], 0 offen offset:12
	v_max_f64 v[96:97], v[6:7], v[6:7]
	v_min_f64 v[96:97], v[96:97], v[66:67]
	s_waitcnt vmcnt(10)
	v_add_f64 v[96:97], v[96:97], v[102:103]
	buffer_store_dword v96, v95, s[0:3], 0 offen offset:16
	buffer_store_dword v97, v95, s[0:3], 0 offen offset:20
	v_max_f64 v[96:97], v[8:9], v[8:9]
	v_min_f64 v[96:97], v[96:97], v[66:67]
	s_waitcnt vmcnt(8)
	v_add_f64 v[96:97], v[96:97], v[104:105]
	buffer_store_dword v96, v95, s[0:3], 0 offen offset:24
	buffer_store_dword v97, v95, s[0:3], 0 offen offset:28
	v_max_f64 v[96:97], v[10:11], v[10:11]
	v_min_f64 v[96:97], v[96:97], v[66:67]
	s_waitcnt vmcnt(6)
	v_add_f64 v[96:97], v[96:97], v[106:107]
	buffer_store_dword v96, v95, s[0:3], 0 offen offset:32
	buffer_store_dword v97, v95, s[0:3], 0 offen offset:36
	v_max_f64 v[96:97], v[12:13], v[12:13]
	v_min_f64 v[96:97], v[96:97], v[66:67]
	s_waitcnt vmcnt(4)
	v_add_f64 v[96:97], v[96:97], v[108:109]
	buffer_store_dword v96, v95, s[0:3], 0 offen offset:40
	buffer_store_dword v97, v95, s[0:3], 0 offen offset:44
	v_max_f64 v[96:97], v[14:15], v[14:15]
	v_min_f64 v[96:97], v[96:97], v[66:67]
	s_waitcnt vmcnt(2)
	v_add_f64 v[96:97], v[96:97], v[110:111]
	buffer_store_dword v96, v95, s[0:3], 0 offen offset:48
	buffer_store_dword v97, v95, s[0:3], 0 offen offset:52
	v_max_f64 v[96:97], v[16:17], v[16:17]
	v_min_f64 v[96:97], v[96:97], v[66:67]
	s_waitcnt vmcnt(0)
	v_add_f64 v[96:97], v[96:97], v[112:113]
	buffer_store_dword v96, v95, s[0:3], 0 offen offset:56
	buffer_store_dword v97, v95, s[0:3], 0 offen offset:60
	s_clause 0x1
	buffer_load_dword v99, v95, s[0:3], 0 offen offset:68
	buffer_load_dword v98, v95, s[0:3], 0 offen offset:64
	v_max_f64 v[96:97], v[18:19], v[18:19]
	v_min_f64 v[96:97], v[96:97], v[66:67]
	s_waitcnt vmcnt(0)
	v_add_f64 v[96:97], v[96:97], v[98:99]
	buffer_store_dword v97, v95, s[0:3], 0 offen offset:68
	buffer_store_dword v96, v95, s[0:3], 0 offen offset:64
	s_clause 0x1
	buffer_load_dword v98, v95, s[0:3], 0 offen offset:72
	buffer_load_dword v99, v95, s[0:3], 0 offen offset:76
	v_max_f64 v[96:97], v[20:21], v[20:21]
	v_min_f64 v[96:97], v[96:97], v[66:67]
	s_waitcnt vmcnt(0)
	v_add_f64 v[96:97], v[96:97], v[98:99]
	buffer_store_dword v97, v95, s[0:3], 0 offen offset:76
	;; [unrolled: 9-line block ×23, first 2 shown]
	buffer_store_dword v96, v95, s[0:3], 0 offen offset:240
	v_max_f64 v[96:97], v[64:65], v[64:65]
	v_min_f64 v[66:67], v[96:97], v[66:67]
	s_clause 0x1
	buffer_load_dword v96, v95, s[0:3], 0 offen offset:248
	buffer_load_dword v97, v95, s[0:3], 0 offen offset:252
	s_waitcnt vmcnt(0)
	v_add_f64 v[66:67], v[66:67], v[96:97]
	buffer_store_dword v67, v95, s[0:3], 0 offen offset:252
	buffer_store_dword v66, v95, s[0:3], 0 offen offset:248
	v_mov_b32_e32 v66, v68
	v_mov_b32_e32 v67, v69
	s_cbranch_vccnz .LBB189_50
; %bb.51:                               ;   in Loop: Header=BB189_49 Depth=2
	s_add_i32 s6, s6, 1
	s_cmp_eq_u32 s6, 4
	s_cbranch_scc0 .LBB189_49
; %bb.52:                               ;   in Loop: Header=BB189_28 Depth=1
	s_add_i32 s26, s26, 8
	s_add_i32 s21, s21, 8
	s_cmp_ge_i32 s26, s18
	ds_write2st64_b64 v93, v[80:81], v[78:79] offset1:4
	ds_write2st64_b64 v94, v[84:85], v[82:83] offset1:4
	s_waitcnt lgkmcnt(0)
	s_waitcnt_vscnt null, 0x0
	s_barrier
	buffer_gl0_inv
	s_cbranch_scc0 .LBB189_28
.LBB189_53:
	s_mov_b32 s6, 0
.LBB189_54:                             ; =>This Loop Header: Depth=1
                                        ;     Child Loop BB189_55 Depth 2
	s_lshl_b32 s7, s6, 3
	s_mov_b32 s8, 0
	v_add_nc_u32_e32 v6, s7, v91
	v_add_nc_u32_e32 v70, s7, v92
	s_mov_b32 s7, -1
	ds_read2_b64 v[2:5], v6 offset1:16
	ds_read2_b64 v[10:13], v6 offset0:32 offset1:48
	ds_read2_b64 v[14:17], v6 offset0:64 offset1:80
	v_add_nc_u32_e32 v7, 0x800, v6
	ds_read2_b64 v[18:21], v6 offset0:96 offset1:112
	ds_read2_b64 v[22:25], v6 offset0:128 offset1:144
	;; [unrolled: 1-line block ×5, first 2 shown]
	ds_read2_b64 v[38:41], v7 offset1:16
	ds_read2_b64 v[42:45], v7 offset0:32 offset1:48
	ds_read2_b64 v[46:49], v7 offset0:64 offset1:80
	;; [unrolled: 1-line block ×7, first 2 shown]
	s_waitcnt lgkmcnt(11)
	v_max_f64 v[22:23], v[22:23], v[22:23]
	v_max_f64 v[24:25], v[24:25], v[24:25]
	s_waitcnt lgkmcnt(10)
	v_max_f64 v[26:27], v[26:27], v[26:27]
	v_max_f64 v[28:29], v[28:29], v[28:29]
	;; [unrolled: 3-line block ×3, first 2 shown]
	v_max_f64 v[6:7], v[2:3], v[2:3]
	v_max_f64 v[8:9], v[4:5], v[4:5]
	;; [unrolled: 1-line block ×8, first 2 shown]
	s_waitcnt lgkmcnt(8)
	v_max_f64 v[34:35], v[34:35], v[34:35]
	v_max_f64 v[36:37], v[36:37], v[36:37]
	s_waitcnt lgkmcnt(7)
	v_max_f64 v[38:39], v[38:39], v[38:39]
	v_max_f64 v[40:41], v[40:41], v[40:41]
	;; [unrolled: 3-line block ×9, first 2 shown]
	ds_read2st64_b64 v[2:5], v70 offset1:4
.LBB189_55:                             ;   Parent Loop BB189_54 Depth=1
                                        ; =>  This Inner Loop Header: Depth=2
	v_mov_b32_e32 v70, s8
	s_waitcnt lgkmcnt(0)
	v_max_f64 v[2:3], v[2:3], v[2:3]
	s_and_b32 vcc_lo, exec_lo, s7
	s_mov_b32 s7, 0
	s_mov_b32 s8, s10
	s_clause 0xf
	buffer_load_dword v73, v70, s[0:3], 0 offen
	buffer_load_dword v74, v70, s[0:3], 0 offen offset:4
	buffer_load_dword v75, v70, s[0:3], 0 offen offset:8
	;; [unrolled: 1-line block ×15, first 2 shown]
	v_min_f64 v[71:72], v[6:7], v[2:3]
	s_waitcnt vmcnt(14)
	v_add_f64 v[71:72], v[71:72], v[73:74]
	buffer_store_dword v71, v70, s[0:3], 0 offen
	buffer_store_dword v72, v70, s[0:3], 0 offen offset:4
	v_min_f64 v[71:72], v[8:9], v[2:3]
	s_waitcnt vmcnt(12)
	v_add_f64 v[71:72], v[71:72], v[75:76]
	buffer_store_dword v71, v70, s[0:3], 0 offen offset:8
	buffer_store_dword v72, v70, s[0:3], 0 offen offset:12
	v_min_f64 v[71:72], v[10:11], v[2:3]
	s_waitcnt vmcnt(10)
	v_add_f64 v[71:72], v[71:72], v[77:78]
	buffer_store_dword v71, v70, s[0:3], 0 offen offset:16
	;; [unrolled: 5-line block ×7, first 2 shown]
	buffer_store_dword v72, v70, s[0:3], 0 offen offset:60
	s_clause 0x1
	buffer_load_dword v74, v70, s[0:3], 0 offen offset:68
	buffer_load_dword v73, v70, s[0:3], 0 offen offset:64
	v_min_f64 v[71:72], v[22:23], v[2:3]
	s_waitcnt vmcnt(0)
	v_add_f64 v[71:72], v[71:72], v[73:74]
	buffer_store_dword v72, v70, s[0:3], 0 offen offset:68
	buffer_store_dword v71, v70, s[0:3], 0 offen offset:64
	s_clause 0x1
	buffer_load_dword v73, v70, s[0:3], 0 offen offset:72
	buffer_load_dword v74, v70, s[0:3], 0 offen offset:76
	v_min_f64 v[71:72], v[24:25], v[2:3]
	s_waitcnt vmcnt(0)
	v_add_f64 v[71:72], v[71:72], v[73:74]
	buffer_store_dword v72, v70, s[0:3], 0 offen offset:76
	;; [unrolled: 8-line block ×22, first 2 shown]
	buffer_store_dword v71, v70, s[0:3], 0 offen offset:232
	s_clause 0x1
	buffer_load_dword v73, v70, s[0:3], 0 offen offset:240
	buffer_load_dword v74, v70, s[0:3], 0 offen offset:244
	v_min_f64 v[71:72], v[66:67], v[2:3]
	v_min_f64 v[2:3], v[68:69], v[2:3]
	s_waitcnt vmcnt(0)
	v_add_f64 v[71:72], v[71:72], v[73:74]
	buffer_store_dword v72, v70, s[0:3], 0 offen offset:244
	buffer_store_dword v71, v70, s[0:3], 0 offen offset:240
	s_clause 0x1
	buffer_load_dword v71, v70, s[0:3], 0 offen offset:248
	buffer_load_dword v72, v70, s[0:3], 0 offen offset:252
	s_waitcnt vmcnt(0)
	v_add_f64 v[2:3], v[2:3], v[71:72]
	buffer_store_dword v3, v70, s[0:3], 0 offen offset:252
	buffer_store_dword v2, v70, s[0:3], 0 offen offset:248
	v_mov_b32_e32 v2, v4
	v_mov_b32_e32 v3, v5
	s_cbranch_vccnz .LBB189_55
; %bb.56:                               ;   in Loop: Header=BB189_54 Depth=1
	s_add_i32 s6, s6, 1
	s_cmp_eq_u32 s6, 4
	s_cbranch_scc0 .LBB189_54
; %bb.57:
	s_clause 0x2
	s_load_dwordx2 s[6:7], s[4:5], 0x78
	s_load_dword s43, s[4:5], 0x58
	s_load_dword s42, s[4:5], 0x70
	v_add_nc_u32_e32 v71, s12, v1
	v_add_nc_u32_e32 v0, s11, v0
	v_cndmask_b32_e64 v70, 0, 1, s46
	v_cmp_gt_i32_e64 s13, s41, v71
	s_waitcnt lgkmcnt(0)
	s_mul_i32 s4, s7, s20
	v_mad_i64_i32 v[1:2], null, v71, s43, 0
	v_mad_i64_i32 v[3:4], null, v71, s42, 0
	s_mul_hi_u32 s5, s6, s20
	s_mul_i32 s6, s6, s20
	s_add_i32 s7, s5, s4
	v_cmp_gt_i32_e64 s4, s40, v0
	v_lshlrev_b64 v[5:6], 3, v[1:2]
	s_lshl_b64 s[6:7], s[6:7], 3
	v_lshlrev_b64 v[2:3], 3, v[3:4]
	s_add_u32 s47, s14, s6
	s_addc_u32 s48, s15, s7
	v_ashrrev_i32_e32 v1, 31, v0
	v_add_co_u32 v68, vcc_lo, s44, v5
	v_add_co_ci_u32_e64 v69, null, s45, v6, vcc_lo
	v_add_co_u32 v72, vcc_lo, s47, v2
	v_add_co_ci_u32_e64 v73, null, s48, v3, vcc_lo
	s_and_b32 s6, s13, s4
	s_and_saveexec_b32 s5, s6
	s_cbranch_execz .LBB189_62
; %bb.58:
	s_clause 0x1
	buffer_load_dword v2, off, s[0:3], 0
	buffer_load_dword v3, off, s[0:3], 0 offset:4
	v_lshlrev_b64 v[4:5], 3, v[0:1]
	s_andn2_b32 vcc_lo, exec_lo, s46
	s_cbranch_vccnz .LBB189_60
; %bb.59:
	v_add_co_u32 v6, vcc_lo, v68, v4
	v_add_co_ci_u32_e64 v7, null, v69, v5, vcc_lo
	global_load_dwordx2 v[6:7], v[6:7], off
	s_waitcnt vmcnt(0)
	v_mul_f64 v[6:7], s[38:39], v[6:7]
	s_branch .LBB189_61
.LBB189_60:
	v_mov_b32_e32 v6, 0
	v_mov_b32_e32 v7, 0
.LBB189_61:
	s_waitcnt vmcnt(0)
	v_add_f64 v[2:3], v[2:3], v[6:7]
	v_add_co_u32 v4, vcc_lo, v72, v4
	v_add_co_ci_u32_e64 v5, null, v73, v5, vcc_lo
	global_store_dwordx2 v[4:5], v[2:3], off
.LBB189_62:
	s_or_b32 exec_lo, exec_lo, s5
	v_add_nc_u32_e32 v2, 4, v0
	v_cmp_gt_i32_e64 s5, s40, v2
	v_ashrrev_i32_e32 v3, 31, v2
	s_and_b32 s7, s13, s5
	s_and_saveexec_b32 s6, s7
	s_cbranch_execz .LBB189_67
; %bb.63:
	s_clause 0x1
	buffer_load_dword v4, off, s[0:3], 0 offset:8
	buffer_load_dword v5, off, s[0:3], 0 offset:12
	v_lshlrev_b64 v[6:7], 3, v[2:3]
	s_andn2_b32 vcc_lo, exec_lo, s46
	s_cbranch_vccnz .LBB189_65
; %bb.64:
	v_add_co_u32 v8, vcc_lo, v68, v6
	v_add_co_ci_u32_e64 v9, null, v69, v7, vcc_lo
	global_load_dwordx2 v[8:9], v[8:9], off
	s_waitcnt vmcnt(0)
	v_mul_f64 v[8:9], s[38:39], v[8:9]
	s_branch .LBB189_66
.LBB189_65:
	v_mov_b32_e32 v8, 0
	v_mov_b32_e32 v9, 0
.LBB189_66:
	s_waitcnt vmcnt(0)
	v_add_f64 v[4:5], v[4:5], v[8:9]
	v_add_co_u32 v6, vcc_lo, v72, v6
	v_add_co_ci_u32_e64 v7, null, v73, v7, vcc_lo
	global_store_dwordx2 v[6:7], v[4:5], off
.LBB189_67:
	s_or_b32 exec_lo, exec_lo, s6
	v_add_nc_u32_e32 v4, 8, v0
	v_cmp_gt_i32_e64 s6, s40, v4
	v_ashrrev_i32_e32 v5, 31, v4
	s_and_b32 s8, s13, s6
	s_and_saveexec_b32 s7, s8
	s_cbranch_execz .LBB189_72
; %bb.68:
	s_clause 0x1
	buffer_load_dword v6, off, s[0:3], 0 offset:16
	buffer_load_dword v7, off, s[0:3], 0 offset:20
	v_lshlrev_b64 v[8:9], 3, v[4:5]
	s_andn2_b32 vcc_lo, exec_lo, s46
	s_cbranch_vccnz .LBB189_70
; %bb.69:
	v_add_co_u32 v10, vcc_lo, v68, v8
	v_add_co_ci_u32_e64 v11, null, v69, v9, vcc_lo
	global_load_dwordx2 v[10:11], v[10:11], off
	s_waitcnt vmcnt(0)
	v_mul_f64 v[10:11], s[38:39], v[10:11]
	s_branch .LBB189_71
.LBB189_70:
	v_mov_b32_e32 v10, 0
	v_mov_b32_e32 v11, 0
.LBB189_71:
	s_waitcnt vmcnt(0)
	v_add_f64 v[6:7], v[6:7], v[10:11]
	v_add_co_u32 v8, vcc_lo, v72, v8
	v_add_co_ci_u32_e64 v9, null, v73, v9, vcc_lo
	global_store_dwordx2 v[8:9], v[6:7], off
.LBB189_72:
	;; [unrolled: 31-line block ×31, first 2 shown]
	s_or_b32 exec_lo, exec_lo, s13
	v_add_nc_u32_e32 v68, 64, v71
	v_mad_i64_i32 v[64:65], null, v68, s43, 0
	v_mad_i64_i32 v[66:67], null, v68, s42, 0
	v_cmp_gt_i32_e64 s13, s41, v68
	v_lshlrev_b64 v[64:65], 3, v[64:65]
	s_and_b32 s4, s13, s4
	v_lshlrev_b64 v[66:67], 3, v[66:67]
	v_add_co_u32 v71, vcc_lo, s44, v64
	v_add_co_ci_u32_e64 v72, null, s45, v65, vcc_lo
	v_add_co_u32 v68, vcc_lo, s47, v66
	v_add_co_ci_u32_e64 v69, null, s48, v67, vcc_lo
	s_and_saveexec_b32 s40, s4
	s_xor_b32 s4, exec_lo, s40
	s_cbranch_execnz .LBB189_250
; %bb.218:
	s_or_b32 exec_lo, exec_lo, s4
	s_and_b32 s5, s13, s5
	s_and_saveexec_b32 s4, s5
	s_cbranch_execnz .LBB189_254
.LBB189_219:
	s_or_b32 exec_lo, exec_lo, s4
	s_and_b32 s5, s13, s6
	s_and_saveexec_b32 s4, s5
	s_cbranch_execnz .LBB189_258
.LBB189_220:
	s_or_b32 exec_lo, exec_lo, s4
	s_and_b32 s5, s13, s7
	s_and_saveexec_b32 s4, s5
	s_cbranch_execnz .LBB189_262
.LBB189_221:
	s_or_b32 exec_lo, exec_lo, s4
	s_and_b32 s5, s13, s8
	s_and_saveexec_b32 s4, s5
	s_cbranch_execnz .LBB189_266
.LBB189_222:
	s_or_b32 exec_lo, exec_lo, s4
	s_and_b32 s5, s13, s9
	s_and_saveexec_b32 s4, s5
	s_cbranch_execnz .LBB189_270
.LBB189_223:
	s_or_b32 exec_lo, exec_lo, s4
	s_and_b32 s5, s13, s10
	s_and_saveexec_b32 s4, s5
	s_cbranch_execnz .LBB189_274
.LBB189_224:
	s_or_b32 exec_lo, exec_lo, s4
	s_and_b32 s5, s13, s11
	s_and_saveexec_b32 s4, s5
	s_cbranch_execnz .LBB189_278
.LBB189_225:
	s_or_b32 exec_lo, exec_lo, s4
	s_and_b32 s5, s13, s12
	s_and_saveexec_b32 s4, s5
	s_cbranch_execnz .LBB189_282
.LBB189_226:
	s_or_b32 exec_lo, exec_lo, s4
	s_and_b32 s5, s13, s14
	s_and_saveexec_b32 s4, s5
	s_cbranch_execnz .LBB189_286
.LBB189_227:
	s_or_b32 exec_lo, exec_lo, s4
	s_and_b32 s5, s13, s15
	s_and_saveexec_b32 s4, s5
	s_cbranch_execnz .LBB189_290
.LBB189_228:
	s_or_b32 exec_lo, exec_lo, s4
	s_and_b32 s5, s13, s16
	s_and_saveexec_b32 s4, s5
	s_cbranch_execnz .LBB189_294
.LBB189_229:
	s_or_b32 exec_lo, exec_lo, s4
	s_and_b32 s5, s13, s17
	s_and_saveexec_b32 s4, s5
	s_cbranch_execnz .LBB189_298
.LBB189_230:
	s_or_b32 exec_lo, exec_lo, s4
	s_and_b32 s5, s13, s18
	s_and_saveexec_b32 s4, s5
	s_cbranch_execnz .LBB189_302
.LBB189_231:
	s_or_b32 exec_lo, exec_lo, s4
	s_and_b32 s5, s13, s19
	s_and_saveexec_b32 s4, s5
	s_cbranch_execnz .LBB189_306
.LBB189_232:
	s_or_b32 exec_lo, exec_lo, s4
	s_and_b32 s5, s13, s20
	s_and_saveexec_b32 s4, s5
	s_cbranch_execnz .LBB189_310
.LBB189_233:
	s_or_b32 exec_lo, exec_lo, s4
	s_and_b32 s5, s13, s21
	s_and_saveexec_b32 s4, s5
	s_cbranch_execnz .LBB189_314
.LBB189_234:
	s_or_b32 exec_lo, exec_lo, s4
	s_and_b32 s5, s13, s22
	s_and_saveexec_b32 s4, s5
	s_cbranch_execnz .LBB189_318
.LBB189_235:
	s_or_b32 exec_lo, exec_lo, s4
	s_and_b32 s5, s13, s23
	s_and_saveexec_b32 s4, s5
	s_cbranch_execnz .LBB189_322
.LBB189_236:
	s_or_b32 exec_lo, exec_lo, s4
	s_and_b32 s5, s13, s24
	s_and_saveexec_b32 s4, s5
	s_cbranch_execnz .LBB189_326
.LBB189_237:
	s_or_b32 exec_lo, exec_lo, s4
	s_and_b32 s5, s13, s25
	s_and_saveexec_b32 s4, s5
	s_cbranch_execnz .LBB189_330
.LBB189_238:
	s_or_b32 exec_lo, exec_lo, s4
	s_and_b32 s5, s13, s26
	s_and_saveexec_b32 s4, s5
	s_cbranch_execnz .LBB189_334
.LBB189_239:
	s_or_b32 exec_lo, exec_lo, s4
	s_and_b32 s5, s13, s27
	s_and_saveexec_b32 s4, s5
	s_cbranch_execnz .LBB189_338
.LBB189_240:
	s_or_b32 exec_lo, exec_lo, s4
	s_and_b32 s5, s13, s28
	s_and_saveexec_b32 s4, s5
	s_cbranch_execnz .LBB189_342
.LBB189_241:
	s_or_b32 exec_lo, exec_lo, s4
	s_and_b32 s5, s13, s29
	s_and_saveexec_b32 s4, s5
	s_cbranch_execnz .LBB189_346
.LBB189_242:
	s_or_b32 exec_lo, exec_lo, s4
	s_and_b32 s5, s13, s30
	s_and_saveexec_b32 s4, s5
	s_cbranch_execnz .LBB189_350
.LBB189_243:
	s_or_b32 exec_lo, exec_lo, s4
	s_and_b32 s5, s13, s31
	s_and_saveexec_b32 s4, s5
	s_cbranch_execnz .LBB189_354
.LBB189_244:
	s_or_b32 exec_lo, exec_lo, s4
	s_and_b32 s5, s13, s33
	s_and_saveexec_b32 s4, s5
	s_cbranch_execnz .LBB189_358
.LBB189_245:
	s_or_b32 exec_lo, exec_lo, s4
	s_and_b32 s5, s13, s34
	s_and_saveexec_b32 s4, s5
	s_cbranch_execnz .LBB189_362
.LBB189_246:
	s_or_b32 exec_lo, exec_lo, s4
	s_and_b32 s5, s13, s35
	s_and_saveexec_b32 s4, s5
	s_cbranch_execnz .LBB189_366
.LBB189_247:
	s_or_b32 exec_lo, exec_lo, s4
	s_and_b32 s5, s13, s36
	s_and_saveexec_b32 s4, s5
	s_cbranch_execnz .LBB189_370
.LBB189_248:
	s_or_b32 exec_lo, exec_lo, s4
	s_and_b32 s4, s13, s37
	s_and_saveexec_b32 s5, s4
	s_cbranch_execnz .LBB189_374
.LBB189_249:
	s_endpgm
.LBB189_250:
	s_clause 0x1
	buffer_load_dword v64, off, s[0:3], 0 offset:256
	buffer_load_dword v65, off, s[0:3], 0 offset:260
	v_lshlrev_b64 v[0:1], 3, v[0:1]
	s_andn2_b32 vcc_lo, exec_lo, s46
	s_cbranch_vccnz .LBB189_252
; %bb.251:
	v_add_co_u32 v66, vcc_lo, v71, v0
	v_add_co_ci_u32_e64 v67, null, v72, v1, vcc_lo
	global_load_dwordx2 v[66:67], v[66:67], off
	s_waitcnt vmcnt(0)
	v_mul_f64 v[66:67], s[38:39], v[66:67]
	s_branch .LBB189_253
.LBB189_252:
	v_mov_b32_e32 v66, 0
	v_mov_b32_e32 v67, 0
.LBB189_253:
	s_waitcnt vmcnt(0)
	v_add_f64 v[64:65], v[64:65], v[66:67]
	v_add_co_u32 v0, vcc_lo, v68, v0
	v_add_co_ci_u32_e64 v1, null, v69, v1, vcc_lo
	global_store_dwordx2 v[0:1], v[64:65], off
	s_or_b32 exec_lo, exec_lo, s4
	s_and_b32 s5, s13, s5
	s_and_saveexec_b32 s4, s5
	s_cbranch_execz .LBB189_219
.LBB189_254:
	s_clause 0x1
	buffer_load_dword v0, off, s[0:3], 0 offset:264
	buffer_load_dword v1, off, s[0:3], 0 offset:268
	v_cmp_ne_u32_e32 vcc_lo, 1, v70
	v_lshlrev_b64 v[2:3], 3, v[2:3]
	s_cbranch_vccnz .LBB189_256
; %bb.255:
	v_add_co_u32 v64, vcc_lo, v71, v2
	v_add_co_ci_u32_e64 v65, null, v72, v3, vcc_lo
	global_load_dwordx2 v[64:65], v[64:65], off
	s_waitcnt vmcnt(0)
	v_mul_f64 v[64:65], s[38:39], v[64:65]
	s_branch .LBB189_257
.LBB189_256:
	v_mov_b32_e32 v64, 0
	v_mov_b32_e32 v65, 0
.LBB189_257:
	s_waitcnt vmcnt(0)
	v_add_f64 v[0:1], v[0:1], v[64:65]
	v_add_co_u32 v2, vcc_lo, v68, v2
	v_add_co_ci_u32_e64 v3, null, v69, v3, vcc_lo
	global_store_dwordx2 v[2:3], v[0:1], off
	s_or_b32 exec_lo, exec_lo, s4
	s_and_b32 s5, s13, s6
	s_and_saveexec_b32 s4, s5
	s_cbranch_execz .LBB189_220
.LBB189_258:
	s_clause 0x1
	buffer_load_dword v0, off, s[0:3], 0 offset:272
	buffer_load_dword v1, off, s[0:3], 0 offset:276
	v_cmp_ne_u32_e32 vcc_lo, 1, v70
	v_lshlrev_b64 v[2:3], 3, v[4:5]
	s_cbranch_vccnz .LBB189_260
; %bb.259:
	v_add_co_u32 v4, vcc_lo, v71, v2
	v_add_co_ci_u32_e64 v5, null, v72, v3, vcc_lo
	global_load_dwordx2 v[4:5], v[4:5], off
	s_waitcnt vmcnt(0)
	v_mul_f64 v[4:5], s[38:39], v[4:5]
	s_branch .LBB189_261
.LBB189_260:
	v_mov_b32_e32 v4, 0
	v_mov_b32_e32 v5, 0
.LBB189_261:
	s_waitcnt vmcnt(0)
	v_add_f64 v[0:1], v[0:1], v[4:5]
	v_add_co_u32 v2, vcc_lo, v68, v2
	v_add_co_ci_u32_e64 v3, null, v69, v3, vcc_lo
	global_store_dwordx2 v[2:3], v[0:1], off
	s_or_b32 exec_lo, exec_lo, s4
	s_and_b32 s5, s13, s7
	s_and_saveexec_b32 s4, s5
	s_cbranch_execz .LBB189_221
.LBB189_262:
	s_clause 0x1
	buffer_load_dword v0, off, s[0:3], 0 offset:280
	buffer_load_dword v1, off, s[0:3], 0 offset:284
	v_cmp_ne_u32_e32 vcc_lo, 1, v70
	v_lshlrev_b64 v[2:3], 3, v[6:7]
	s_cbranch_vccnz .LBB189_264
; %bb.263:
	v_add_co_u32 v4, vcc_lo, v71, v2
	v_add_co_ci_u32_e64 v5, null, v72, v3, vcc_lo
	global_load_dwordx2 v[4:5], v[4:5], off
	s_waitcnt vmcnt(0)
	v_mul_f64 v[4:5], s[38:39], v[4:5]
	s_branch .LBB189_265
.LBB189_264:
	v_mov_b32_e32 v4, 0
	v_mov_b32_e32 v5, 0
.LBB189_265:
	s_waitcnt vmcnt(0)
	v_add_f64 v[0:1], v[0:1], v[4:5]
	v_add_co_u32 v2, vcc_lo, v68, v2
	v_add_co_ci_u32_e64 v3, null, v69, v3, vcc_lo
	global_store_dwordx2 v[2:3], v[0:1], off
	s_or_b32 exec_lo, exec_lo, s4
	s_and_b32 s5, s13, s8
	s_and_saveexec_b32 s4, s5
	s_cbranch_execz .LBB189_222
.LBB189_266:
	s_clause 0x1
	buffer_load_dword v0, off, s[0:3], 0 offset:288
	buffer_load_dword v1, off, s[0:3], 0 offset:292
	v_cmp_ne_u32_e32 vcc_lo, 1, v70
	v_lshlrev_b64 v[2:3], 3, v[8:9]
	s_cbranch_vccnz .LBB189_268
; %bb.267:
	v_add_co_u32 v4, vcc_lo, v71, v2
	v_add_co_ci_u32_e64 v5, null, v72, v3, vcc_lo
	global_load_dwordx2 v[4:5], v[4:5], off
	s_waitcnt vmcnt(0)
	v_mul_f64 v[4:5], s[38:39], v[4:5]
	s_branch .LBB189_269
.LBB189_268:
	v_mov_b32_e32 v4, 0
	v_mov_b32_e32 v5, 0
.LBB189_269:
	s_waitcnt vmcnt(0)
	v_add_f64 v[0:1], v[0:1], v[4:5]
	v_add_co_u32 v2, vcc_lo, v68, v2
	v_add_co_ci_u32_e64 v3, null, v69, v3, vcc_lo
	global_store_dwordx2 v[2:3], v[0:1], off
	s_or_b32 exec_lo, exec_lo, s4
	s_and_b32 s5, s13, s9
	s_and_saveexec_b32 s4, s5
	s_cbranch_execz .LBB189_223
.LBB189_270:
	s_clause 0x1
	buffer_load_dword v0, off, s[0:3], 0 offset:296
	buffer_load_dword v1, off, s[0:3], 0 offset:300
	v_cmp_ne_u32_e32 vcc_lo, 1, v70
	v_lshlrev_b64 v[2:3], 3, v[10:11]
	s_cbranch_vccnz .LBB189_272
; %bb.271:
	v_add_co_u32 v4, vcc_lo, v71, v2
	v_add_co_ci_u32_e64 v5, null, v72, v3, vcc_lo
	global_load_dwordx2 v[4:5], v[4:5], off
	s_waitcnt vmcnt(0)
	v_mul_f64 v[4:5], s[38:39], v[4:5]
	s_branch .LBB189_273
.LBB189_272:
	v_mov_b32_e32 v4, 0
	v_mov_b32_e32 v5, 0
.LBB189_273:
	s_waitcnt vmcnt(0)
	v_add_f64 v[0:1], v[0:1], v[4:5]
	v_add_co_u32 v2, vcc_lo, v68, v2
	v_add_co_ci_u32_e64 v3, null, v69, v3, vcc_lo
	global_store_dwordx2 v[2:3], v[0:1], off
	s_or_b32 exec_lo, exec_lo, s4
	s_and_b32 s5, s13, s10
	s_and_saveexec_b32 s4, s5
	s_cbranch_execz .LBB189_224
.LBB189_274:
	s_clause 0x1
	buffer_load_dword v0, off, s[0:3], 0 offset:304
	buffer_load_dword v1, off, s[0:3], 0 offset:308
	v_cmp_ne_u32_e32 vcc_lo, 1, v70
	v_lshlrev_b64 v[2:3], 3, v[12:13]
	s_cbranch_vccnz .LBB189_276
; %bb.275:
	v_add_co_u32 v4, vcc_lo, v71, v2
	v_add_co_ci_u32_e64 v5, null, v72, v3, vcc_lo
	global_load_dwordx2 v[4:5], v[4:5], off
	s_waitcnt vmcnt(0)
	v_mul_f64 v[4:5], s[38:39], v[4:5]
	s_branch .LBB189_277
.LBB189_276:
	v_mov_b32_e32 v4, 0
	v_mov_b32_e32 v5, 0
.LBB189_277:
	s_waitcnt vmcnt(0)
	v_add_f64 v[0:1], v[0:1], v[4:5]
	v_add_co_u32 v2, vcc_lo, v68, v2
	v_add_co_ci_u32_e64 v3, null, v69, v3, vcc_lo
	global_store_dwordx2 v[2:3], v[0:1], off
	s_or_b32 exec_lo, exec_lo, s4
	s_and_b32 s5, s13, s11
	s_and_saveexec_b32 s4, s5
	s_cbranch_execz .LBB189_225
.LBB189_278:
	s_clause 0x1
	buffer_load_dword v0, off, s[0:3], 0 offset:312
	buffer_load_dword v1, off, s[0:3], 0 offset:316
	v_cmp_ne_u32_e32 vcc_lo, 1, v70
	v_lshlrev_b64 v[2:3], 3, v[14:15]
	s_cbranch_vccnz .LBB189_280
; %bb.279:
	v_add_co_u32 v4, vcc_lo, v71, v2
	v_add_co_ci_u32_e64 v5, null, v72, v3, vcc_lo
	global_load_dwordx2 v[4:5], v[4:5], off
	s_waitcnt vmcnt(0)
	v_mul_f64 v[4:5], s[38:39], v[4:5]
	s_branch .LBB189_281
.LBB189_280:
	v_mov_b32_e32 v4, 0
	v_mov_b32_e32 v5, 0
.LBB189_281:
	s_waitcnt vmcnt(0)
	v_add_f64 v[0:1], v[0:1], v[4:5]
	v_add_co_u32 v2, vcc_lo, v68, v2
	v_add_co_ci_u32_e64 v3, null, v69, v3, vcc_lo
	global_store_dwordx2 v[2:3], v[0:1], off
	s_or_b32 exec_lo, exec_lo, s4
	s_and_b32 s5, s13, s12
	s_and_saveexec_b32 s4, s5
	s_cbranch_execz .LBB189_226
.LBB189_282:
	s_clause 0x1
	buffer_load_dword v0, off, s[0:3], 0 offset:320
	buffer_load_dword v1, off, s[0:3], 0 offset:324
	v_cmp_ne_u32_e32 vcc_lo, 1, v70
	v_lshlrev_b64 v[2:3], 3, v[16:17]
	s_cbranch_vccnz .LBB189_284
; %bb.283:
	v_add_co_u32 v4, vcc_lo, v71, v2
	v_add_co_ci_u32_e64 v5, null, v72, v3, vcc_lo
	global_load_dwordx2 v[4:5], v[4:5], off
	s_waitcnt vmcnt(0)
	v_mul_f64 v[4:5], s[38:39], v[4:5]
	s_branch .LBB189_285
.LBB189_284:
	v_mov_b32_e32 v4, 0
	v_mov_b32_e32 v5, 0
.LBB189_285:
	s_waitcnt vmcnt(0)
	v_add_f64 v[0:1], v[0:1], v[4:5]
	v_add_co_u32 v2, vcc_lo, v68, v2
	v_add_co_ci_u32_e64 v3, null, v69, v3, vcc_lo
	global_store_dwordx2 v[2:3], v[0:1], off
	s_or_b32 exec_lo, exec_lo, s4
	s_and_b32 s5, s13, s14
	s_and_saveexec_b32 s4, s5
	s_cbranch_execz .LBB189_227
.LBB189_286:
	s_clause 0x1
	buffer_load_dword v0, off, s[0:3], 0 offset:328
	buffer_load_dword v1, off, s[0:3], 0 offset:332
	v_cmp_ne_u32_e32 vcc_lo, 1, v70
	v_lshlrev_b64 v[2:3], 3, v[18:19]
	s_cbranch_vccnz .LBB189_288
; %bb.287:
	v_add_co_u32 v4, vcc_lo, v71, v2
	v_add_co_ci_u32_e64 v5, null, v72, v3, vcc_lo
	global_load_dwordx2 v[4:5], v[4:5], off
	s_waitcnt vmcnt(0)
	v_mul_f64 v[4:5], s[38:39], v[4:5]
	s_branch .LBB189_289
.LBB189_288:
	v_mov_b32_e32 v4, 0
	v_mov_b32_e32 v5, 0
.LBB189_289:
	s_waitcnt vmcnt(0)
	v_add_f64 v[0:1], v[0:1], v[4:5]
	v_add_co_u32 v2, vcc_lo, v68, v2
	v_add_co_ci_u32_e64 v3, null, v69, v3, vcc_lo
	global_store_dwordx2 v[2:3], v[0:1], off
	s_or_b32 exec_lo, exec_lo, s4
	s_and_b32 s5, s13, s15
	s_and_saveexec_b32 s4, s5
	s_cbranch_execz .LBB189_228
.LBB189_290:
	s_clause 0x1
	buffer_load_dword v0, off, s[0:3], 0 offset:336
	buffer_load_dword v1, off, s[0:3], 0 offset:340
	v_cmp_ne_u32_e32 vcc_lo, 1, v70
	v_lshlrev_b64 v[2:3], 3, v[20:21]
	s_cbranch_vccnz .LBB189_292
; %bb.291:
	v_add_co_u32 v4, vcc_lo, v71, v2
	v_add_co_ci_u32_e64 v5, null, v72, v3, vcc_lo
	global_load_dwordx2 v[4:5], v[4:5], off
	s_waitcnt vmcnt(0)
	v_mul_f64 v[4:5], s[38:39], v[4:5]
	s_branch .LBB189_293
.LBB189_292:
	v_mov_b32_e32 v4, 0
	v_mov_b32_e32 v5, 0
.LBB189_293:
	s_waitcnt vmcnt(0)
	v_add_f64 v[0:1], v[0:1], v[4:5]
	v_add_co_u32 v2, vcc_lo, v68, v2
	v_add_co_ci_u32_e64 v3, null, v69, v3, vcc_lo
	global_store_dwordx2 v[2:3], v[0:1], off
	s_or_b32 exec_lo, exec_lo, s4
	s_and_b32 s5, s13, s16
	s_and_saveexec_b32 s4, s5
	s_cbranch_execz .LBB189_229
.LBB189_294:
	s_clause 0x1
	buffer_load_dword v0, off, s[0:3], 0 offset:344
	buffer_load_dword v1, off, s[0:3], 0 offset:348
	v_cmp_ne_u32_e32 vcc_lo, 1, v70
	v_lshlrev_b64 v[2:3], 3, v[22:23]
	s_cbranch_vccnz .LBB189_296
; %bb.295:
	v_add_co_u32 v4, vcc_lo, v71, v2
	v_add_co_ci_u32_e64 v5, null, v72, v3, vcc_lo
	global_load_dwordx2 v[4:5], v[4:5], off
	s_waitcnt vmcnt(0)
	v_mul_f64 v[4:5], s[38:39], v[4:5]
	s_branch .LBB189_297
.LBB189_296:
	v_mov_b32_e32 v4, 0
	v_mov_b32_e32 v5, 0
.LBB189_297:
	s_waitcnt vmcnt(0)
	v_add_f64 v[0:1], v[0:1], v[4:5]
	v_add_co_u32 v2, vcc_lo, v68, v2
	v_add_co_ci_u32_e64 v3, null, v69, v3, vcc_lo
	global_store_dwordx2 v[2:3], v[0:1], off
	s_or_b32 exec_lo, exec_lo, s4
	s_and_b32 s5, s13, s17
	s_and_saveexec_b32 s4, s5
	s_cbranch_execz .LBB189_230
.LBB189_298:
	s_clause 0x1
	buffer_load_dword v0, off, s[0:3], 0 offset:352
	buffer_load_dword v1, off, s[0:3], 0 offset:356
	v_cmp_ne_u32_e32 vcc_lo, 1, v70
	v_lshlrev_b64 v[2:3], 3, v[24:25]
	s_cbranch_vccnz .LBB189_300
; %bb.299:
	v_add_co_u32 v4, vcc_lo, v71, v2
	v_add_co_ci_u32_e64 v5, null, v72, v3, vcc_lo
	global_load_dwordx2 v[4:5], v[4:5], off
	s_waitcnt vmcnt(0)
	v_mul_f64 v[4:5], s[38:39], v[4:5]
	s_branch .LBB189_301
.LBB189_300:
	v_mov_b32_e32 v4, 0
	v_mov_b32_e32 v5, 0
.LBB189_301:
	s_waitcnt vmcnt(0)
	v_add_f64 v[0:1], v[0:1], v[4:5]
	v_add_co_u32 v2, vcc_lo, v68, v2
	v_add_co_ci_u32_e64 v3, null, v69, v3, vcc_lo
	global_store_dwordx2 v[2:3], v[0:1], off
	s_or_b32 exec_lo, exec_lo, s4
	s_and_b32 s5, s13, s18
	s_and_saveexec_b32 s4, s5
	s_cbranch_execz .LBB189_231
.LBB189_302:
	s_clause 0x1
	buffer_load_dword v0, off, s[0:3], 0 offset:360
	buffer_load_dword v1, off, s[0:3], 0 offset:364
	v_cmp_ne_u32_e32 vcc_lo, 1, v70
	v_lshlrev_b64 v[2:3], 3, v[26:27]
	s_cbranch_vccnz .LBB189_304
; %bb.303:
	v_add_co_u32 v4, vcc_lo, v71, v2
	v_add_co_ci_u32_e64 v5, null, v72, v3, vcc_lo
	global_load_dwordx2 v[4:5], v[4:5], off
	s_waitcnt vmcnt(0)
	v_mul_f64 v[4:5], s[38:39], v[4:5]
	s_branch .LBB189_305
.LBB189_304:
	v_mov_b32_e32 v4, 0
	v_mov_b32_e32 v5, 0
.LBB189_305:
	s_waitcnt vmcnt(0)
	v_add_f64 v[0:1], v[0:1], v[4:5]
	v_add_co_u32 v2, vcc_lo, v68, v2
	v_add_co_ci_u32_e64 v3, null, v69, v3, vcc_lo
	global_store_dwordx2 v[2:3], v[0:1], off
	s_or_b32 exec_lo, exec_lo, s4
	s_and_b32 s5, s13, s19
	s_and_saveexec_b32 s4, s5
	s_cbranch_execz .LBB189_232
.LBB189_306:
	s_clause 0x1
	buffer_load_dword v0, off, s[0:3], 0 offset:368
	buffer_load_dword v1, off, s[0:3], 0 offset:372
	v_cmp_ne_u32_e32 vcc_lo, 1, v70
	v_lshlrev_b64 v[2:3], 3, v[28:29]
	s_cbranch_vccnz .LBB189_308
; %bb.307:
	v_add_co_u32 v4, vcc_lo, v71, v2
	v_add_co_ci_u32_e64 v5, null, v72, v3, vcc_lo
	global_load_dwordx2 v[4:5], v[4:5], off
	s_waitcnt vmcnt(0)
	v_mul_f64 v[4:5], s[38:39], v[4:5]
	s_branch .LBB189_309
.LBB189_308:
	v_mov_b32_e32 v4, 0
	v_mov_b32_e32 v5, 0
.LBB189_309:
	s_waitcnt vmcnt(0)
	v_add_f64 v[0:1], v[0:1], v[4:5]
	v_add_co_u32 v2, vcc_lo, v68, v2
	v_add_co_ci_u32_e64 v3, null, v69, v3, vcc_lo
	global_store_dwordx2 v[2:3], v[0:1], off
	s_or_b32 exec_lo, exec_lo, s4
	s_and_b32 s5, s13, s20
	s_and_saveexec_b32 s4, s5
	s_cbranch_execz .LBB189_233
.LBB189_310:
	s_clause 0x1
	buffer_load_dword v0, off, s[0:3], 0 offset:376
	buffer_load_dword v1, off, s[0:3], 0 offset:380
	v_cmp_ne_u32_e32 vcc_lo, 1, v70
	v_lshlrev_b64 v[2:3], 3, v[30:31]
	s_cbranch_vccnz .LBB189_312
; %bb.311:
	v_add_co_u32 v4, vcc_lo, v71, v2
	v_add_co_ci_u32_e64 v5, null, v72, v3, vcc_lo
	global_load_dwordx2 v[4:5], v[4:5], off
	s_waitcnt vmcnt(0)
	v_mul_f64 v[4:5], s[38:39], v[4:5]
	s_branch .LBB189_313
.LBB189_312:
	v_mov_b32_e32 v4, 0
	v_mov_b32_e32 v5, 0
.LBB189_313:
	s_waitcnt vmcnt(0)
	v_add_f64 v[0:1], v[0:1], v[4:5]
	v_add_co_u32 v2, vcc_lo, v68, v2
	v_add_co_ci_u32_e64 v3, null, v69, v3, vcc_lo
	global_store_dwordx2 v[2:3], v[0:1], off
	s_or_b32 exec_lo, exec_lo, s4
	s_and_b32 s5, s13, s21
	s_and_saveexec_b32 s4, s5
	s_cbranch_execz .LBB189_234
.LBB189_314:
	s_clause 0x1
	buffer_load_dword v0, off, s[0:3], 0 offset:384
	buffer_load_dword v1, off, s[0:3], 0 offset:388
	v_cmp_ne_u32_e32 vcc_lo, 1, v70
	v_lshlrev_b64 v[2:3], 3, v[32:33]
	s_cbranch_vccnz .LBB189_316
; %bb.315:
	v_add_co_u32 v4, vcc_lo, v71, v2
	v_add_co_ci_u32_e64 v5, null, v72, v3, vcc_lo
	global_load_dwordx2 v[4:5], v[4:5], off
	s_waitcnt vmcnt(0)
	v_mul_f64 v[4:5], s[38:39], v[4:5]
	s_branch .LBB189_317
.LBB189_316:
	v_mov_b32_e32 v4, 0
	v_mov_b32_e32 v5, 0
.LBB189_317:
	s_waitcnt vmcnt(0)
	v_add_f64 v[0:1], v[0:1], v[4:5]
	v_add_co_u32 v2, vcc_lo, v68, v2
	v_add_co_ci_u32_e64 v3, null, v69, v3, vcc_lo
	global_store_dwordx2 v[2:3], v[0:1], off
	s_or_b32 exec_lo, exec_lo, s4
	s_and_b32 s5, s13, s22
	s_and_saveexec_b32 s4, s5
	s_cbranch_execz .LBB189_235
.LBB189_318:
	s_clause 0x1
	buffer_load_dword v0, off, s[0:3], 0 offset:392
	buffer_load_dword v1, off, s[0:3], 0 offset:396
	v_cmp_ne_u32_e32 vcc_lo, 1, v70
	v_lshlrev_b64 v[2:3], 3, v[34:35]
	s_cbranch_vccnz .LBB189_320
; %bb.319:
	v_add_co_u32 v4, vcc_lo, v71, v2
	v_add_co_ci_u32_e64 v5, null, v72, v3, vcc_lo
	global_load_dwordx2 v[4:5], v[4:5], off
	s_waitcnt vmcnt(0)
	v_mul_f64 v[4:5], s[38:39], v[4:5]
	s_branch .LBB189_321
.LBB189_320:
	v_mov_b32_e32 v4, 0
	v_mov_b32_e32 v5, 0
.LBB189_321:
	s_waitcnt vmcnt(0)
	v_add_f64 v[0:1], v[0:1], v[4:5]
	v_add_co_u32 v2, vcc_lo, v68, v2
	v_add_co_ci_u32_e64 v3, null, v69, v3, vcc_lo
	global_store_dwordx2 v[2:3], v[0:1], off
	s_or_b32 exec_lo, exec_lo, s4
	s_and_b32 s5, s13, s23
	s_and_saveexec_b32 s4, s5
	s_cbranch_execz .LBB189_236
.LBB189_322:
	s_clause 0x1
	buffer_load_dword v0, off, s[0:3], 0 offset:400
	buffer_load_dword v1, off, s[0:3], 0 offset:404
	v_cmp_ne_u32_e32 vcc_lo, 1, v70
	v_lshlrev_b64 v[2:3], 3, v[36:37]
	s_cbranch_vccnz .LBB189_324
; %bb.323:
	v_add_co_u32 v4, vcc_lo, v71, v2
	v_add_co_ci_u32_e64 v5, null, v72, v3, vcc_lo
	global_load_dwordx2 v[4:5], v[4:5], off
	s_waitcnt vmcnt(0)
	v_mul_f64 v[4:5], s[38:39], v[4:5]
	s_branch .LBB189_325
.LBB189_324:
	v_mov_b32_e32 v4, 0
	v_mov_b32_e32 v5, 0
.LBB189_325:
	s_waitcnt vmcnt(0)
	v_add_f64 v[0:1], v[0:1], v[4:5]
	v_add_co_u32 v2, vcc_lo, v68, v2
	v_add_co_ci_u32_e64 v3, null, v69, v3, vcc_lo
	global_store_dwordx2 v[2:3], v[0:1], off
	s_or_b32 exec_lo, exec_lo, s4
	s_and_b32 s5, s13, s24
	s_and_saveexec_b32 s4, s5
	s_cbranch_execz .LBB189_237
.LBB189_326:
	s_clause 0x1
	buffer_load_dword v0, off, s[0:3], 0 offset:408
	buffer_load_dword v1, off, s[0:3], 0 offset:412
	v_cmp_ne_u32_e32 vcc_lo, 1, v70
	v_lshlrev_b64 v[2:3], 3, v[38:39]
	s_cbranch_vccnz .LBB189_328
; %bb.327:
	v_add_co_u32 v4, vcc_lo, v71, v2
	v_add_co_ci_u32_e64 v5, null, v72, v3, vcc_lo
	global_load_dwordx2 v[4:5], v[4:5], off
	s_waitcnt vmcnt(0)
	v_mul_f64 v[4:5], s[38:39], v[4:5]
	s_branch .LBB189_329
.LBB189_328:
	v_mov_b32_e32 v4, 0
	v_mov_b32_e32 v5, 0
.LBB189_329:
	s_waitcnt vmcnt(0)
	v_add_f64 v[0:1], v[0:1], v[4:5]
	v_add_co_u32 v2, vcc_lo, v68, v2
	v_add_co_ci_u32_e64 v3, null, v69, v3, vcc_lo
	global_store_dwordx2 v[2:3], v[0:1], off
	s_or_b32 exec_lo, exec_lo, s4
	s_and_b32 s5, s13, s25
	s_and_saveexec_b32 s4, s5
	s_cbranch_execz .LBB189_238
.LBB189_330:
	s_clause 0x1
	buffer_load_dword v0, off, s[0:3], 0 offset:416
	buffer_load_dword v1, off, s[0:3], 0 offset:420
	v_cmp_ne_u32_e32 vcc_lo, 1, v70
	v_lshlrev_b64 v[2:3], 3, v[40:41]
	s_cbranch_vccnz .LBB189_332
; %bb.331:
	v_add_co_u32 v4, vcc_lo, v71, v2
	v_add_co_ci_u32_e64 v5, null, v72, v3, vcc_lo
	global_load_dwordx2 v[4:5], v[4:5], off
	s_waitcnt vmcnt(0)
	v_mul_f64 v[4:5], s[38:39], v[4:5]
	s_branch .LBB189_333
.LBB189_332:
	v_mov_b32_e32 v4, 0
	v_mov_b32_e32 v5, 0
.LBB189_333:
	s_waitcnt vmcnt(0)
	v_add_f64 v[0:1], v[0:1], v[4:5]
	v_add_co_u32 v2, vcc_lo, v68, v2
	v_add_co_ci_u32_e64 v3, null, v69, v3, vcc_lo
	global_store_dwordx2 v[2:3], v[0:1], off
	s_or_b32 exec_lo, exec_lo, s4
	s_and_b32 s5, s13, s26
	s_and_saveexec_b32 s4, s5
	s_cbranch_execz .LBB189_239
.LBB189_334:
	s_clause 0x1
	buffer_load_dword v0, off, s[0:3], 0 offset:424
	buffer_load_dword v1, off, s[0:3], 0 offset:428
	v_cmp_ne_u32_e32 vcc_lo, 1, v70
	v_lshlrev_b64 v[2:3], 3, v[42:43]
	s_cbranch_vccnz .LBB189_336
; %bb.335:
	v_add_co_u32 v4, vcc_lo, v71, v2
	v_add_co_ci_u32_e64 v5, null, v72, v3, vcc_lo
	global_load_dwordx2 v[4:5], v[4:5], off
	s_waitcnt vmcnt(0)
	v_mul_f64 v[4:5], s[38:39], v[4:5]
	s_branch .LBB189_337
.LBB189_336:
	v_mov_b32_e32 v4, 0
	v_mov_b32_e32 v5, 0
.LBB189_337:
	s_waitcnt vmcnt(0)
	v_add_f64 v[0:1], v[0:1], v[4:5]
	v_add_co_u32 v2, vcc_lo, v68, v2
	v_add_co_ci_u32_e64 v3, null, v69, v3, vcc_lo
	global_store_dwordx2 v[2:3], v[0:1], off
	s_or_b32 exec_lo, exec_lo, s4
	s_and_b32 s5, s13, s27
	s_and_saveexec_b32 s4, s5
	s_cbranch_execz .LBB189_240
.LBB189_338:
	s_clause 0x1
	buffer_load_dword v0, off, s[0:3], 0 offset:432
	buffer_load_dword v1, off, s[0:3], 0 offset:436
	v_cmp_ne_u32_e32 vcc_lo, 1, v70
	v_lshlrev_b64 v[2:3], 3, v[44:45]
	s_cbranch_vccnz .LBB189_340
; %bb.339:
	v_add_co_u32 v4, vcc_lo, v71, v2
	v_add_co_ci_u32_e64 v5, null, v72, v3, vcc_lo
	global_load_dwordx2 v[4:5], v[4:5], off
	s_waitcnt vmcnt(0)
	v_mul_f64 v[4:5], s[38:39], v[4:5]
	s_branch .LBB189_341
.LBB189_340:
	v_mov_b32_e32 v4, 0
	v_mov_b32_e32 v5, 0
.LBB189_341:
	s_waitcnt vmcnt(0)
	v_add_f64 v[0:1], v[0:1], v[4:5]
	v_add_co_u32 v2, vcc_lo, v68, v2
	v_add_co_ci_u32_e64 v3, null, v69, v3, vcc_lo
	global_store_dwordx2 v[2:3], v[0:1], off
	s_or_b32 exec_lo, exec_lo, s4
	s_and_b32 s5, s13, s28
	s_and_saveexec_b32 s4, s5
	s_cbranch_execz .LBB189_241
.LBB189_342:
	s_clause 0x1
	buffer_load_dword v0, off, s[0:3], 0 offset:440
	buffer_load_dword v1, off, s[0:3], 0 offset:444
	v_cmp_ne_u32_e32 vcc_lo, 1, v70
	v_lshlrev_b64 v[2:3], 3, v[46:47]
	s_cbranch_vccnz .LBB189_344
; %bb.343:
	v_add_co_u32 v4, vcc_lo, v71, v2
	v_add_co_ci_u32_e64 v5, null, v72, v3, vcc_lo
	global_load_dwordx2 v[4:5], v[4:5], off
	s_waitcnt vmcnt(0)
	v_mul_f64 v[4:5], s[38:39], v[4:5]
	s_branch .LBB189_345
.LBB189_344:
	v_mov_b32_e32 v4, 0
	v_mov_b32_e32 v5, 0
.LBB189_345:
	s_waitcnt vmcnt(0)
	v_add_f64 v[0:1], v[0:1], v[4:5]
	v_add_co_u32 v2, vcc_lo, v68, v2
	v_add_co_ci_u32_e64 v3, null, v69, v3, vcc_lo
	global_store_dwordx2 v[2:3], v[0:1], off
	s_or_b32 exec_lo, exec_lo, s4
	s_and_b32 s5, s13, s29
	s_and_saveexec_b32 s4, s5
	s_cbranch_execz .LBB189_242
.LBB189_346:
	s_clause 0x1
	buffer_load_dword v0, off, s[0:3], 0 offset:448
	buffer_load_dword v1, off, s[0:3], 0 offset:452
	v_cmp_ne_u32_e32 vcc_lo, 1, v70
	v_lshlrev_b64 v[2:3], 3, v[48:49]
	s_cbranch_vccnz .LBB189_348
; %bb.347:
	v_add_co_u32 v4, vcc_lo, v71, v2
	v_add_co_ci_u32_e64 v5, null, v72, v3, vcc_lo
	global_load_dwordx2 v[4:5], v[4:5], off
	s_waitcnt vmcnt(0)
	v_mul_f64 v[4:5], s[38:39], v[4:5]
	s_branch .LBB189_349
.LBB189_348:
	v_mov_b32_e32 v4, 0
	v_mov_b32_e32 v5, 0
.LBB189_349:
	s_waitcnt vmcnt(0)
	v_add_f64 v[0:1], v[0:1], v[4:5]
	v_add_co_u32 v2, vcc_lo, v68, v2
	v_add_co_ci_u32_e64 v3, null, v69, v3, vcc_lo
	global_store_dwordx2 v[2:3], v[0:1], off
	s_or_b32 exec_lo, exec_lo, s4
	s_and_b32 s5, s13, s30
	s_and_saveexec_b32 s4, s5
	s_cbranch_execz .LBB189_243
.LBB189_350:
	s_clause 0x1
	buffer_load_dword v0, off, s[0:3], 0 offset:456
	buffer_load_dword v1, off, s[0:3], 0 offset:460
	v_cmp_ne_u32_e32 vcc_lo, 1, v70
	v_lshlrev_b64 v[2:3], 3, v[50:51]
	s_cbranch_vccnz .LBB189_352
; %bb.351:
	v_add_co_u32 v4, vcc_lo, v71, v2
	v_add_co_ci_u32_e64 v5, null, v72, v3, vcc_lo
	global_load_dwordx2 v[4:5], v[4:5], off
	s_waitcnt vmcnt(0)
	v_mul_f64 v[4:5], s[38:39], v[4:5]
	s_branch .LBB189_353
.LBB189_352:
	v_mov_b32_e32 v4, 0
	v_mov_b32_e32 v5, 0
.LBB189_353:
	s_waitcnt vmcnt(0)
	v_add_f64 v[0:1], v[0:1], v[4:5]
	v_add_co_u32 v2, vcc_lo, v68, v2
	v_add_co_ci_u32_e64 v3, null, v69, v3, vcc_lo
	global_store_dwordx2 v[2:3], v[0:1], off
	s_or_b32 exec_lo, exec_lo, s4
	s_and_b32 s5, s13, s31
	s_and_saveexec_b32 s4, s5
	s_cbranch_execz .LBB189_244
.LBB189_354:
	s_clause 0x1
	buffer_load_dword v0, off, s[0:3], 0 offset:464
	buffer_load_dword v1, off, s[0:3], 0 offset:468
	v_cmp_ne_u32_e32 vcc_lo, 1, v70
	v_lshlrev_b64 v[2:3], 3, v[52:53]
	s_cbranch_vccnz .LBB189_356
; %bb.355:
	v_add_co_u32 v4, vcc_lo, v71, v2
	v_add_co_ci_u32_e64 v5, null, v72, v3, vcc_lo
	global_load_dwordx2 v[4:5], v[4:5], off
	s_waitcnt vmcnt(0)
	v_mul_f64 v[4:5], s[38:39], v[4:5]
	s_branch .LBB189_357
.LBB189_356:
	v_mov_b32_e32 v4, 0
	v_mov_b32_e32 v5, 0
.LBB189_357:
	s_waitcnt vmcnt(0)
	v_add_f64 v[0:1], v[0:1], v[4:5]
	v_add_co_u32 v2, vcc_lo, v68, v2
	v_add_co_ci_u32_e64 v3, null, v69, v3, vcc_lo
	global_store_dwordx2 v[2:3], v[0:1], off
	s_or_b32 exec_lo, exec_lo, s4
	s_and_b32 s5, s13, s33
	s_and_saveexec_b32 s4, s5
	s_cbranch_execz .LBB189_245
.LBB189_358:
	s_clause 0x1
	buffer_load_dword v0, off, s[0:3], 0 offset:472
	buffer_load_dword v1, off, s[0:3], 0 offset:476
	v_cmp_ne_u32_e32 vcc_lo, 1, v70
	v_lshlrev_b64 v[2:3], 3, v[54:55]
	s_cbranch_vccnz .LBB189_360
; %bb.359:
	v_add_co_u32 v4, vcc_lo, v71, v2
	v_add_co_ci_u32_e64 v5, null, v72, v3, vcc_lo
	global_load_dwordx2 v[4:5], v[4:5], off
	s_waitcnt vmcnt(0)
	v_mul_f64 v[4:5], s[38:39], v[4:5]
	s_branch .LBB189_361
.LBB189_360:
	v_mov_b32_e32 v4, 0
	v_mov_b32_e32 v5, 0
.LBB189_361:
	s_waitcnt vmcnt(0)
	v_add_f64 v[0:1], v[0:1], v[4:5]
	v_add_co_u32 v2, vcc_lo, v68, v2
	v_add_co_ci_u32_e64 v3, null, v69, v3, vcc_lo
	global_store_dwordx2 v[2:3], v[0:1], off
	s_or_b32 exec_lo, exec_lo, s4
	s_and_b32 s5, s13, s34
	s_and_saveexec_b32 s4, s5
	s_cbranch_execz .LBB189_246
.LBB189_362:
	s_clause 0x1
	buffer_load_dword v0, off, s[0:3], 0 offset:480
	buffer_load_dword v1, off, s[0:3], 0 offset:484
	v_cmp_ne_u32_e32 vcc_lo, 1, v70
	v_lshlrev_b64 v[2:3], 3, v[56:57]
	s_cbranch_vccnz .LBB189_364
; %bb.363:
	v_add_co_u32 v4, vcc_lo, v71, v2
	v_add_co_ci_u32_e64 v5, null, v72, v3, vcc_lo
	global_load_dwordx2 v[4:5], v[4:5], off
	s_waitcnt vmcnt(0)
	v_mul_f64 v[4:5], s[38:39], v[4:5]
	s_branch .LBB189_365
.LBB189_364:
	v_mov_b32_e32 v4, 0
	v_mov_b32_e32 v5, 0
.LBB189_365:
	s_waitcnt vmcnt(0)
	v_add_f64 v[0:1], v[0:1], v[4:5]
	v_add_co_u32 v2, vcc_lo, v68, v2
	v_add_co_ci_u32_e64 v3, null, v69, v3, vcc_lo
	global_store_dwordx2 v[2:3], v[0:1], off
	s_or_b32 exec_lo, exec_lo, s4
	s_and_b32 s5, s13, s35
	s_and_saveexec_b32 s4, s5
	s_cbranch_execz .LBB189_247
.LBB189_366:
	s_clause 0x1
	buffer_load_dword v0, off, s[0:3], 0 offset:488
	buffer_load_dword v1, off, s[0:3], 0 offset:492
	v_cmp_ne_u32_e32 vcc_lo, 1, v70
	v_lshlrev_b64 v[2:3], 3, v[58:59]
	s_cbranch_vccnz .LBB189_368
; %bb.367:
	v_add_co_u32 v4, vcc_lo, v71, v2
	v_add_co_ci_u32_e64 v5, null, v72, v3, vcc_lo
	global_load_dwordx2 v[4:5], v[4:5], off
	s_waitcnt vmcnt(0)
	v_mul_f64 v[4:5], s[38:39], v[4:5]
	s_branch .LBB189_369
.LBB189_368:
	v_mov_b32_e32 v4, 0
	v_mov_b32_e32 v5, 0
.LBB189_369:
	s_waitcnt vmcnt(0)
	v_add_f64 v[0:1], v[0:1], v[4:5]
	v_add_co_u32 v2, vcc_lo, v68, v2
	v_add_co_ci_u32_e64 v3, null, v69, v3, vcc_lo
	global_store_dwordx2 v[2:3], v[0:1], off
	s_or_b32 exec_lo, exec_lo, s4
	s_and_b32 s5, s13, s36
	s_and_saveexec_b32 s4, s5
	s_cbranch_execz .LBB189_248
.LBB189_370:
	s_clause 0x1
	buffer_load_dword v0, off, s[0:3], 0 offset:496
	buffer_load_dword v1, off, s[0:3], 0 offset:500
	v_cmp_ne_u32_e32 vcc_lo, 1, v70
	v_lshlrev_b64 v[2:3], 3, v[60:61]
	s_cbranch_vccnz .LBB189_372
; %bb.371:
	v_add_co_u32 v4, vcc_lo, v71, v2
	v_add_co_ci_u32_e64 v5, null, v72, v3, vcc_lo
	global_load_dwordx2 v[4:5], v[4:5], off
	s_waitcnt vmcnt(0)
	v_mul_f64 v[4:5], s[38:39], v[4:5]
	s_branch .LBB189_373
.LBB189_372:
	v_mov_b32_e32 v4, 0
	v_mov_b32_e32 v5, 0
.LBB189_373:
	s_waitcnt vmcnt(0)
	v_add_f64 v[0:1], v[0:1], v[4:5]
	v_add_co_u32 v2, vcc_lo, v68, v2
	v_add_co_ci_u32_e64 v3, null, v69, v3, vcc_lo
	global_store_dwordx2 v[2:3], v[0:1], off
	s_or_b32 exec_lo, exec_lo, s4
	s_and_b32 s4, s13, s37
	s_and_saveexec_b32 s5, s4
	s_cbranch_execz .LBB189_249
.LBB189_374:
	s_clause 0x1
	buffer_load_dword v0, off, s[0:3], 0 offset:504
	buffer_load_dword v1, off, s[0:3], 0 offset:508
	v_cmp_ne_u32_e32 vcc_lo, 1, v70
	v_lshlrev_b64 v[2:3], 3, v[62:63]
	s_cbranch_vccnz .LBB189_376
; %bb.375:
	v_add_co_u32 v4, vcc_lo, v71, v2
	v_add_co_ci_u32_e64 v5, null, v72, v3, vcc_lo
	global_load_dwordx2 v[4:5], v[4:5], off
	s_waitcnt vmcnt(0)
	v_mul_f64 v[4:5], s[38:39], v[4:5]
	s_branch .LBB189_377
.LBB189_376:
	v_mov_b32_e32 v4, 0
	v_mov_b32_e32 v5, 0
.LBB189_377:
	s_waitcnt vmcnt(0)
	v_add_f64 v[0:1], v[0:1], v[4:5]
	v_add_co_u32 v2, vcc_lo, v68, v2
	v_add_co_ci_u32_e64 v3, null, v69, v3, vcc_lo
	global_store_dwordx2 v[2:3], v[0:1], off
	s_endpgm
	.section	.rodata,"a",@progbits
	.p2align	6, 0x0
	.amdhsa_kernel _ZN12_GLOBAL__N_120geam_min_plus_kernelIdddLi4ELi64ELi128ELi128ELi4ELi4ELi64ELi4ELi64ELc84ELc78ELb0ELb1ELb0EPKdS1_dEEviiiT16_PT17_ilS5_ilS3_S5_ilPT18_ili26rocblas_geam_ex_operation_
		.amdhsa_group_segment_fixed_size 16384
		.amdhsa_private_segment_fixed_size 528
		.amdhsa_kernarg_size 136
		.amdhsa_user_sgpr_count 6
		.amdhsa_user_sgpr_private_segment_buffer 1
		.amdhsa_user_sgpr_dispatch_ptr 0
		.amdhsa_user_sgpr_queue_ptr 0
		.amdhsa_user_sgpr_kernarg_segment_ptr 1
		.amdhsa_user_sgpr_dispatch_id 0
		.amdhsa_user_sgpr_flat_scratch_init 0
		.amdhsa_user_sgpr_private_segment_size 0
		.amdhsa_wavefront_size32 1
		.amdhsa_uses_dynamic_stack 0
		.amdhsa_system_sgpr_private_segment_wavefront_offset 1
		.amdhsa_system_sgpr_workgroup_id_x 1
		.amdhsa_system_sgpr_workgroup_id_y 0
		.amdhsa_system_sgpr_workgroup_id_z 1
		.amdhsa_system_sgpr_workgroup_info 0
		.amdhsa_system_vgpr_workitem_id 1
		.amdhsa_next_free_vgpr 115
		.amdhsa_next_free_sgpr 50
		.amdhsa_reserve_vcc 1
		.amdhsa_reserve_flat_scratch 0
		.amdhsa_float_round_mode_32 0
		.amdhsa_float_round_mode_16_64 0
		.amdhsa_float_denorm_mode_32 3
		.amdhsa_float_denorm_mode_16_64 3
		.amdhsa_dx10_clamp 1
		.amdhsa_ieee_mode 1
		.amdhsa_fp16_overflow 0
		.amdhsa_workgroup_processor_mode 1
		.amdhsa_memory_ordered 1
		.amdhsa_forward_progress 1
		.amdhsa_shared_vgpr_count 0
		.amdhsa_exception_fp_ieee_invalid_op 0
		.amdhsa_exception_fp_denorm_src 0
		.amdhsa_exception_fp_ieee_div_zero 0
		.amdhsa_exception_fp_ieee_overflow 0
		.amdhsa_exception_fp_ieee_underflow 0
		.amdhsa_exception_fp_ieee_inexact 0
		.amdhsa_exception_int_div_zero 0
	.end_amdhsa_kernel
	.section	.text._ZN12_GLOBAL__N_120geam_min_plus_kernelIdddLi4ELi64ELi128ELi128ELi4ELi4ELi64ELi4ELi64ELc84ELc78ELb0ELb1ELb0EPKdS1_dEEviiiT16_PT17_ilS5_ilS3_S5_ilPT18_ili26rocblas_geam_ex_operation_,"axG",@progbits,_ZN12_GLOBAL__N_120geam_min_plus_kernelIdddLi4ELi64ELi128ELi128ELi4ELi4ELi64ELi4ELi64ELc84ELc78ELb0ELb1ELb0EPKdS1_dEEviiiT16_PT17_ilS5_ilS3_S5_ilPT18_ili26rocblas_geam_ex_operation_,comdat
.Lfunc_end189:
	.size	_ZN12_GLOBAL__N_120geam_min_plus_kernelIdddLi4ELi64ELi128ELi128ELi4ELi4ELi64ELi4ELi64ELc84ELc78ELb0ELb1ELb0EPKdS1_dEEviiiT16_PT17_ilS5_ilS3_S5_ilPT18_ili26rocblas_geam_ex_operation_, .Lfunc_end189-_ZN12_GLOBAL__N_120geam_min_plus_kernelIdddLi4ELi64ELi128ELi128ELi4ELi4ELi64ELi4ELi64ELc84ELc78ELb0ELb1ELb0EPKdS1_dEEviiiT16_PT17_ilS5_ilS3_S5_ilPT18_ili26rocblas_geam_ex_operation_
                                        ; -- End function
	.set _ZN12_GLOBAL__N_120geam_min_plus_kernelIdddLi4ELi64ELi128ELi128ELi4ELi4ELi64ELi4ELi64ELc84ELc78ELb0ELb1ELb0EPKdS1_dEEviiiT16_PT17_ilS5_ilS3_S5_ilPT18_ili26rocblas_geam_ex_operation_.num_vgpr, 115
	.set _ZN12_GLOBAL__N_120geam_min_plus_kernelIdddLi4ELi64ELi128ELi128ELi4ELi4ELi64ELi4ELi64ELc84ELc78ELb0ELb1ELb0EPKdS1_dEEviiiT16_PT17_ilS5_ilS3_S5_ilPT18_ili26rocblas_geam_ex_operation_.num_agpr, 0
	.set _ZN12_GLOBAL__N_120geam_min_plus_kernelIdddLi4ELi64ELi128ELi128ELi4ELi4ELi64ELi4ELi64ELc84ELc78ELb0ELb1ELb0EPKdS1_dEEviiiT16_PT17_ilS5_ilS3_S5_ilPT18_ili26rocblas_geam_ex_operation_.numbered_sgpr, 50
	.set _ZN12_GLOBAL__N_120geam_min_plus_kernelIdddLi4ELi64ELi128ELi128ELi4ELi4ELi64ELi4ELi64ELc84ELc78ELb0ELb1ELb0EPKdS1_dEEviiiT16_PT17_ilS5_ilS3_S5_ilPT18_ili26rocblas_geam_ex_operation_.num_named_barrier, 0
	.set _ZN12_GLOBAL__N_120geam_min_plus_kernelIdddLi4ELi64ELi128ELi128ELi4ELi4ELi64ELi4ELi64ELc84ELc78ELb0ELb1ELb0EPKdS1_dEEviiiT16_PT17_ilS5_ilS3_S5_ilPT18_ili26rocblas_geam_ex_operation_.private_seg_size, 528
	.set _ZN12_GLOBAL__N_120geam_min_plus_kernelIdddLi4ELi64ELi128ELi128ELi4ELi4ELi64ELi4ELi64ELc84ELc78ELb0ELb1ELb0EPKdS1_dEEviiiT16_PT17_ilS5_ilS3_S5_ilPT18_ili26rocblas_geam_ex_operation_.uses_vcc, 1
	.set _ZN12_GLOBAL__N_120geam_min_plus_kernelIdddLi4ELi64ELi128ELi128ELi4ELi4ELi64ELi4ELi64ELc84ELc78ELb0ELb1ELb0EPKdS1_dEEviiiT16_PT17_ilS5_ilS3_S5_ilPT18_ili26rocblas_geam_ex_operation_.uses_flat_scratch, 0
	.set _ZN12_GLOBAL__N_120geam_min_plus_kernelIdddLi4ELi64ELi128ELi128ELi4ELi4ELi64ELi4ELi64ELc84ELc78ELb0ELb1ELb0EPKdS1_dEEviiiT16_PT17_ilS5_ilS3_S5_ilPT18_ili26rocblas_geam_ex_operation_.has_dyn_sized_stack, 0
	.set _ZN12_GLOBAL__N_120geam_min_plus_kernelIdddLi4ELi64ELi128ELi128ELi4ELi4ELi64ELi4ELi64ELc84ELc78ELb0ELb1ELb0EPKdS1_dEEviiiT16_PT17_ilS5_ilS3_S5_ilPT18_ili26rocblas_geam_ex_operation_.has_recursion, 0
	.set _ZN12_GLOBAL__N_120geam_min_plus_kernelIdddLi4ELi64ELi128ELi128ELi4ELi4ELi64ELi4ELi64ELc84ELc78ELb0ELb1ELb0EPKdS1_dEEviiiT16_PT17_ilS5_ilS3_S5_ilPT18_ili26rocblas_geam_ex_operation_.has_indirect_call, 0
	.section	.AMDGPU.csdata,"",@progbits
; Kernel info:
; codeLenInByte = 22336
; TotalNumSgprs: 52
; NumVgprs: 115
; ScratchSize: 528
; MemoryBound: 0
; FloatMode: 240
; IeeeMode: 1
; LDSByteSize: 16384 bytes/workgroup (compile time only)
; SGPRBlocks: 0
; VGPRBlocks: 14
; NumSGPRsForWavesPerEU: 52
; NumVGPRsForWavesPerEU: 115
; Occupancy: 8
; WaveLimiterHint : 0
; COMPUTE_PGM_RSRC2:SCRATCH_EN: 1
; COMPUTE_PGM_RSRC2:USER_SGPR: 6
; COMPUTE_PGM_RSRC2:TRAP_HANDLER: 0
; COMPUTE_PGM_RSRC2:TGID_X_EN: 1
; COMPUTE_PGM_RSRC2:TGID_Y_EN: 0
; COMPUTE_PGM_RSRC2:TGID_Z_EN: 1
; COMPUTE_PGM_RSRC2:TIDIG_COMP_CNT: 1
	.section	.text._ZN12_GLOBAL__N_120geam_min_plus_kernelIdddLi4ELi64ELi128ELi128ELi4ELi4ELi64ELi4ELi64ELc84ELc78ELb1ELb1ELb0EdKddEEviiiT16_PT17_ilS4_ilS2_S4_ilPT18_ili26rocblas_geam_ex_operation_,"axG",@progbits,_ZN12_GLOBAL__N_120geam_min_plus_kernelIdddLi4ELi64ELi128ELi128ELi4ELi4ELi64ELi4ELi64ELc84ELc78ELb1ELb1ELb0EdKddEEviiiT16_PT17_ilS4_ilS2_S4_ilPT18_ili26rocblas_geam_ex_operation_,comdat
	.globl	_ZN12_GLOBAL__N_120geam_min_plus_kernelIdddLi4ELi64ELi128ELi128ELi4ELi4ELi64ELi4ELi64ELc84ELc78ELb1ELb1ELb0EdKddEEviiiT16_PT17_ilS4_ilS2_S4_ilPT18_ili26rocblas_geam_ex_operation_ ; -- Begin function _ZN12_GLOBAL__N_120geam_min_plus_kernelIdddLi4ELi64ELi128ELi128ELi4ELi4ELi64ELi4ELi64ELc84ELc78ELb1ELb1ELb0EdKddEEviiiT16_PT17_ilS4_ilS2_S4_ilPT18_ili26rocblas_geam_ex_operation_
	.p2align	8
	.type	_ZN12_GLOBAL__N_120geam_min_plus_kernelIdddLi4ELi64ELi128ELi128ELi4ELi4ELi64ELi4ELi64ELc84ELc78ELb1ELb1ELb0EdKddEEviiiT16_PT17_ilS4_ilS2_S4_ilPT18_ili26rocblas_geam_ex_operation_,@function
_ZN12_GLOBAL__N_120geam_min_plus_kernelIdddLi4ELi64ELi128ELi128ELi4ELi4ELi64ELi4ELi64ELc84ELc78ELb1ELb1ELb0EdKddEEviiiT16_PT17_ilS4_ilS2_S4_ilPT18_ili26rocblas_geam_ex_operation_: ; @_ZN12_GLOBAL__N_120geam_min_plus_kernelIdddLi4ELi64ELi128ELi128ELi4ELi4ELi64ELi4ELi64ELc84ELc78ELb1ELb1ELb0EdKddEEviiiT16_PT17_ilS4_ilS2_S4_ilPT18_ili26rocblas_geam_ex_operation_
; %bb.0:
	s_add_u32 s0, s0, s8
	s_clause 0x1
	s_load_dwordx4 s[12:15], s[4:5], 0x10
	s_load_dwordx4 s[8:11], s[4:5], 0x28
	s_addc_u32 s1, s1, 0
	s_mov_b64 s[16:17], 0
	s_waitcnt lgkmcnt(0)
	v_cmp_eq_f64_e64 s12, s[12:13], 0
	s_and_b32 vcc_lo, exec_lo, s12
	s_cbranch_vccnz .LBB190_2
; %bb.1:
	s_mul_i32 s9, s9, s7
	s_mul_hi_u32 s13, s8, s7
	s_mul_i32 s8, s8, s7
	s_add_i32 s9, s13, s9
	s_lshl_b64 s[8:9], s[8:9], 3
	s_add_u32 s16, s14, s8
	s_addc_u32 s17, s15, s9
.LBB190_2:
	s_clause 0x1
	s_load_dwordx4 s[36:39], s[4:5], 0x40
	s_load_dwordx2 s[8:9], s[4:5], 0x50
	s_andn2_b32 vcc_lo, exec_lo, s12
	s_mov_b32 s12, -1
	s_cbranch_vccnz .LBB190_4
; %bb.3:
	s_mov_b32 s12, 0
.LBB190_4:
	s_mov_b64 s[44:45], 0
	s_andn2_b32 vcc_lo, exec_lo, s12
	s_mov_b64 s[18:19], 0
	s_cbranch_vccnz .LBB190_6
; %bb.5:
	s_waitcnt lgkmcnt(0)
	s_mul_i32 s12, s37, s7
	s_mul_hi_u32 s13, s36, s7
	s_add_i32 s13, s13, s12
	s_mul_i32 s12, s36, s7
	s_lshl_b64 s[12:13], s[12:13], 3
	s_add_u32 s18, s10, s12
	s_addc_u32 s19, s11, s13
.LBB190_6:
	s_waitcnt lgkmcnt(0)
	v_cmp_eq_f64_e64 s10, s[38:39], 0
	v_cmp_neq_f64_e64 s46, s[38:39], 0
	s_load_dwordx4 s[12:15], s[4:5], 0x60
	s_and_b32 vcc_lo, exec_lo, s10
	s_cbranch_vccnz .LBB190_8
; %bb.7:
	s_waitcnt lgkmcnt(0)
	s_mul_i32 s10, s13, s7
	s_mul_hi_u32 s11, s12, s7
	s_add_i32 s11, s11, s10
	s_mul_i32 s10, s12, s7
	s_lshl_b64 s[10:11], s[10:11], 3
	s_add_u32 s44, s8, s10
	s_addc_u32 s45, s9, s11
.LBB190_8:
	s_clause 0x1
	s_load_dwordx4 s[40:43], s[4:5], 0x0
	s_load_dword s21, s[4:5], 0x20
	v_lshrrev_b32_e32 v2, 2, v0
	v_and_b32_e32 v88, 3, v0
	v_mov_b32_e32 v4, 0
	v_mov_b32_e32 v6, 0
	;; [unrolled: 1-line block ×3, first 2 shown]
	v_add_nc_u32_e32 v78, v2, v1
	v_lshlrev_b32_e32 v80, 3, v88
	buffer_store_dword v6, off, s[0:3], 0 offset:4
	buffer_store_dword v6, off, s[0:3], 0
	buffer_store_dword v6, off, s[0:3], 0 offset:12
	buffer_store_dword v6, off, s[0:3], 0 offset:8
	;; [unrolled: 1-line block ×35, first 2 shown]
	s_waitcnt lgkmcnt(0)
	s_add_i32 s8, s40, -1
	v_cmp_le_i32_e32 vcc_lo, s42, v88
	s_ashr_i32 s9, s8, 31
	buffer_store_dword v6, off, s[0:3], 0 offset:144
	buffer_store_dword v6, off, s[0:3], 0 offset:156
	;; [unrolled: 1-line block ×4, first 2 shown]
	s_lshr_b32 s9, s9, 25
	buffer_store_dword v6, off, s[0:3], 0 offset:160
	buffer_store_dword v6, off, s[0:3], 0 offset:172
	s_add_i32 s8, s8, s9
	buffer_store_dword v6, off, s[0:3], 0 offset:168
	s_ashr_i32 s8, s8, 7
	buffer_store_dword v6, off, s[0:3], 0 offset:180
	s_add_i32 s9, s8, 1
	s_not_b32 s8, s8
	v_cvt_f32_u32_e32 v2, s9
	buffer_store_dword v6, off, s[0:3], 0 offset:176
	buffer_store_dword v6, off, s[0:3], 0 offset:188
	;; [unrolled: 1-line block ×4, first 2 shown]
	v_rcp_iflag_f32_e32 v2, v2
	buffer_store_dword v6, off, s[0:3], 0 offset:192
	buffer_store_dword v6, off, s[0:3], 0 offset:204
	buffer_store_dword v6, off, s[0:3], 0 offset:200
	buffer_store_dword v6, off, s[0:3], 0 offset:212
	buffer_store_dword v6, off, s[0:3], 0 offset:208
	buffer_store_dword v6, off, s[0:3], 0 offset:220
	buffer_store_dword v6, off, s[0:3], 0 offset:216
	buffer_store_dword v6, off, s[0:3], 0 offset:228
	buffer_store_dword v6, off, s[0:3], 0 offset:224
	buffer_store_dword v6, off, s[0:3], 0 offset:236
	buffer_store_dword v6, off, s[0:3], 0 offset:232
	buffer_store_dword v6, off, s[0:3], 0 offset:244
	buffer_store_dword v6, off, s[0:3], 0 offset:240
	buffer_store_dword v6, off, s[0:3], 0 offset:252
	buffer_store_dword v6, off, s[0:3], 0 offset:248
	buffer_store_dword v6, off, s[0:3], 0 offset:260
	buffer_store_dword v6, off, s[0:3], 0 offset:256
	buffer_store_dword v6, off, s[0:3], 0 offset:268
	buffer_store_dword v6, off, s[0:3], 0 offset:264
	buffer_store_dword v6, off, s[0:3], 0 offset:276
	buffer_store_dword v6, off, s[0:3], 0 offset:272
	buffer_store_dword v6, off, s[0:3], 0 offset:284
	buffer_store_dword v6, off, s[0:3], 0 offset:280
	buffer_store_dword v6, off, s[0:3], 0 offset:292
	buffer_store_dword v6, off, s[0:3], 0 offset:288
	buffer_store_dword v6, off, s[0:3], 0 offset:300
	buffer_store_dword v6, off, s[0:3], 0 offset:296
	buffer_store_dword v6, off, s[0:3], 0 offset:308
	buffer_store_dword v6, off, s[0:3], 0 offset:304
	buffer_store_dword v6, off, s[0:3], 0 offset:316
	buffer_store_dword v6, off, s[0:3], 0 offset:312
	buffer_store_dword v6, off, s[0:3], 0 offset:324
	buffer_store_dword v6, off, s[0:3], 0 offset:320
	buffer_store_dword v6, off, s[0:3], 0 offset:332
	buffer_store_dword v6, off, s[0:3], 0 offset:328
	buffer_store_dword v6, off, s[0:3], 0 offset:340
	buffer_store_dword v6, off, s[0:3], 0 offset:336
	buffer_store_dword v6, off, s[0:3], 0 offset:348
	buffer_store_dword v6, off, s[0:3], 0 offset:344
	buffer_store_dword v6, off, s[0:3], 0 offset:356
	buffer_store_dword v6, off, s[0:3], 0 offset:352
	buffer_store_dword v6, off, s[0:3], 0 offset:364
	buffer_store_dword v6, off, s[0:3], 0 offset:360
	buffer_store_dword v6, off, s[0:3], 0 offset:372
	buffer_store_dword v6, off, s[0:3], 0 offset:368
	buffer_store_dword v6, off, s[0:3], 0 offset:380
	buffer_store_dword v6, off, s[0:3], 0 offset:376
	buffer_store_dword v6, off, s[0:3], 0 offset:388
	buffer_store_dword v6, off, s[0:3], 0 offset:384
	buffer_store_dword v6, off, s[0:3], 0 offset:396
	buffer_store_dword v6, off, s[0:3], 0 offset:392
	buffer_store_dword v6, off, s[0:3], 0 offset:404
	buffer_store_dword v6, off, s[0:3], 0 offset:400
	buffer_store_dword v6, off, s[0:3], 0 offset:412
	buffer_store_dword v6, off, s[0:3], 0 offset:408
	buffer_store_dword v6, off, s[0:3], 0 offset:420
	buffer_store_dword v6, off, s[0:3], 0 offset:416
	buffer_store_dword v6, off, s[0:3], 0 offset:428
	buffer_store_dword v6, off, s[0:3], 0 offset:424
	buffer_store_dword v6, off, s[0:3], 0 offset:436
	buffer_store_dword v6, off, s[0:3], 0 offset:432
	buffer_store_dword v6, off, s[0:3], 0 offset:444
	buffer_store_dword v6, off, s[0:3], 0 offset:440
	buffer_store_dword v6, off, s[0:3], 0 offset:452
	buffer_store_dword v6, off, s[0:3], 0 offset:448
	buffer_store_dword v6, off, s[0:3], 0 offset:460
	buffer_store_dword v6, off, s[0:3], 0 offset:456
	buffer_store_dword v6, off, s[0:3], 0 offset:468
	buffer_store_dword v6, off, s[0:3], 0 offset:464
	buffer_store_dword v6, off, s[0:3], 0 offset:476
	buffer_store_dword v6, off, s[0:3], 0 offset:472
	buffer_store_dword v6, off, s[0:3], 0 offset:484
	buffer_store_dword v6, off, s[0:3], 0 offset:480
	buffer_store_dword v6, off, s[0:3], 0 offset:492
	buffer_store_dword v6, off, s[0:3], 0 offset:488
	buffer_store_dword v6, off, s[0:3], 0 offset:500
	buffer_store_dword v6, off, s[0:3], 0 offset:496
	buffer_store_dword v6, off, s[0:3], 0 offset:508
	buffer_store_dword v6, off, s[0:3], 0 offset:504
	v_mul_f32_e32 v2, 0x4f7ffffe, v2
	v_cvt_u32_f32_e32 v2, v2
	v_readfirstlane_b32 s10, v2
	v_mov_b32_e32 v2, 0
	v_mov_b32_e32 v3, 0
	s_mul_i32 s8, s8, s10
	s_mul_hi_u32 s8, s10, s8
	s_add_i32 s10, s10, s8
	s_mul_hi_u32 s8, s6, s10
	s_mul_i32 s10, s8, s9
	s_add_i32 s11, s8, 1
	s_sub_i32 s10, s6, s10
	s_sub_i32 s12, s10, s9
	s_cmp_ge_u32 s10, s9
	s_cselect_b32 s8, s11, s8
	s_cselect_b32 s10, s12, s10
	s_add_i32 s11, s8, 1
	s_cmp_ge_u32 s10, s9
	s_cselect_b32 s10, s11, s8
	s_mul_i32 s8, s10, s9
	s_sub_i32 s6, s6, s8
	v_add_co_u32 v10, s8, s16, v80
	s_lshl_b32 s12, s6, 7
	v_add_co_ci_u32_e64 v11, null, s17, 0, s8
	v_add_nc_u32_e32 v79, s12, v78
	v_cmp_le_i32_e64 s6, s40, v79
	s_nor_b32 s8, vcc_lo, s6
	s_and_saveexec_b32 s9, s8
	s_cbranch_execz .LBB190_10
; %bb.9:
	v_mad_i64_i32 v[4:5], null, v79, s21, 0
	v_lshlrev_b64 v[4:5], 3, v[4:5]
	v_add_co_u32 v4, s8, v10, v4
	v_add_co_ci_u32_e64 v5, null, v11, v5, s8
	global_load_dwordx2 v[4:5], v[4:5], off
.LBB190_10:
	s_or_b32 exec_lo, exec_lo, s9
	v_add_nc_u32_e32 v81, 64, v79
	v_cmp_le_i32_e64 s8, s40, v81
	s_nor_b32 s9, vcc_lo, s8
	s_and_saveexec_b32 s11, s9
	s_cbranch_execz .LBB190_12
; %bb.11:
	v_mad_i64_i32 v[2:3], null, v81, s21, 0
	v_lshlrev_b64 v[2:3], 3, v[2:3]
	v_add_co_u32 v2, s9, v10, v2
	v_add_co_ci_u32_e64 v3, null, v11, v3, s9
	global_load_dwordx2 v[2:3], v[2:3], off
.LBB190_12:
	s_or_b32 exec_lo, exec_lo, s11
	s_load_dword s22, s[4:5], 0x38
	s_lshl_b32 s13, s10, 7
	v_add_co_u32 v18, s10, s18, v80
	v_add_nc_u32_e32 v82, s13, v78
	v_mov_b32_e32 v14, 0
	v_mov_b32_e32 v16, 0
	;; [unrolled: 1-line block ×4, first 2 shown]
	v_cmp_le_i32_e64 s9, s41, v82
	v_add_co_ci_u32_e64 v19, null, s19, 0, s10
	s_nor_b32 s10, vcc_lo, s9
	s_and_saveexec_b32 s11, s10
	s_cbranch_execz .LBB190_14
; %bb.13:
	s_waitcnt lgkmcnt(0)
	v_mad_i64_i32 v[6:7], null, v82, s22, 0
	v_lshlrev_b64 v[6:7], 3, v[6:7]
	v_add_co_u32 v6, s10, v18, v6
	v_add_co_ci_u32_e64 v7, null, v19, v7, s10
	global_load_dwordx2 v[16:17], v[6:7], off
.LBB190_14:
	s_or_b32 exec_lo, exec_lo, s11
	v_add_nc_u32_e32 v83, 64, v82
	v_cmp_le_i32_e64 s10, s41, v83
	s_nor_b32 s20, vcc_lo, s10
	s_and_saveexec_b32 s11, s20
	s_cbranch_execz .LBB190_16
; %bb.15:
	s_waitcnt lgkmcnt(0)
	v_mad_i64_i32 v[6:7], null, v83, s22, 0
	v_lshlrev_b64 v[6:7], 3, v[6:7]
	v_add_co_u32 v6, vcc_lo, v18, v6
	v_add_co_ci_u32_e64 v7, null, v19, v7, vcc_lo
	global_load_dwordx2 v[14:15], v[6:7], off
.LBB190_16:
	s_or_b32 exec_lo, exec_lo, s11
	v_or_b32_e32 v6, 4, v88
	v_mov_b32_e32 v8, 0
	v_mov_b32_e32 v9, 0
	v_cmp_le_i32_e32 vcc_lo, s42, v6
	v_mov_b32_e32 v6, 0
	v_mov_b32_e32 v7, 0
	s_nor_b32 s11, vcc_lo, s6
	s_and_saveexec_b32 s20, s11
	s_cbranch_execz .LBB190_18
; %bb.17:
	v_mad_i64_i32 v[8:9], null, v79, s21, 0
	v_lshlrev_b64 v[8:9], 3, v[8:9]
	v_add_co_u32 v8, s11, v10, v8
	v_add_co_ci_u32_e64 v9, null, v11, v9, s11
	global_load_dwordx2 v[8:9], v[8:9], off offset:32
.LBB190_18:
	s_or_b32 exec_lo, exec_lo, s20
	s_nor_b32 s11, vcc_lo, s8
	s_and_saveexec_b32 s20, s11
	s_cbranch_execz .LBB190_20
; %bb.19:
	v_mad_i64_i32 v[6:7], null, v81, s21, 0
	v_lshlrev_b64 v[6:7], 3, v[6:7]
	v_add_co_u32 v6, s11, v10, v6
	v_add_co_ci_u32_e64 v7, null, v11, v7, s11
	global_load_dwordx2 v[6:7], v[6:7], off offset:32
.LBB190_20:
	s_or_b32 exec_lo, exec_lo, s20
	v_mov_b32_e32 v10, 0
	v_mov_b32_e32 v12, 0
	;; [unrolled: 1-line block ×4, first 2 shown]
	s_nor_b32 s11, vcc_lo, s9
	s_and_saveexec_b32 s20, s11
	s_cbranch_execz .LBB190_22
; %bb.21:
	s_waitcnt lgkmcnt(0)
	v_mad_i64_i32 v[12:13], null, v82, s22, 0
	v_lshlrev_b64 v[12:13], 3, v[12:13]
	v_add_co_u32 v12, s11, v18, v12
	v_add_co_ci_u32_e64 v13, null, v19, v13, s11
	global_load_dwordx2 v[12:13], v[12:13], off offset:32
.LBB190_22:
	s_or_b32 exec_lo, exec_lo, s20
	s_nor_b32 s20, vcc_lo, s10
	s_and_saveexec_b32 s11, s20
	s_cbranch_execz .LBB190_24
; %bb.23:
	s_waitcnt lgkmcnt(0)
	v_mad_i64_i32 v[10:11], null, v83, s22, 0
	v_lshlrev_b64 v[10:11], 3, v[10:11]
	v_add_co_u32 v10, vcc_lo, v18, v10
	v_add_co_ci_u32_e64 v11, null, v19, v11, vcc_lo
	global_load_dwordx2 v[10:11], v[10:11], off offset:32
.LBB190_24:
	s_or_b32 exec_lo, exec_lo, s11
	v_lshlrev_b32_e32 v18, 5, v78
	v_lshlrev_b32_e32 v90, 5, v0
	v_lshl_or_b32 v92, v1, 5, 0x2000
	s_mov_b32 s20, 0
	s_mov_b32 s11, 0
	v_lshl_or_b32 v89, v88, 3, v18
	s_addk_i32 s20, 0x100
	v_add_nc_u32_e32 v91, 0x2000, v89
	s_waitcnt vmcnt(0)
	ds_write2st64_b64 v89, v[4:5], v[2:3] offset1:4
	ds_write2st64_b64 v89, v[16:17], v[14:15] offset0:16 offset1:20
	s_waitcnt lgkmcnt(0)
	s_waitcnt_vscnt null, 0x0
	s_barrier
	buffer_gl0_inv
.LBB190_25:                             ; =>This Loop Header: Depth=1
                                        ;     Child Loop BB190_26 Depth 2
	s_lshl_b32 s23, s11, 3
	s_mov_b32 s24, 0
	v_add_nc_u32_e32 v14, s23, v90
	v_add_nc_u32_e32 v84, s23, v92
	s_mov_b32 s23, -1
	ds_read2_b64 v[2:5], v14 offset1:16
	ds_read2_b64 v[18:21], v14 offset0:32 offset1:48
	ds_read2_b64 v[22:25], v14 offset0:64 offset1:80
	;; [unrolled: 1-line block ×4, first 2 shown]
	v_add_nc_u32_e32 v74, 0x800, v14
	ds_read2_b64 v[34:37], v14 offset0:160 offset1:176
	ds_read2_b64 v[38:41], v14 offset0:192 offset1:208
	;; [unrolled: 1-line block ×3, first 2 shown]
	ds_read2_b64 v[46:49], v74 offset1:16
	ds_read2_b64 v[50:53], v74 offset0:32 offset1:48
	ds_read2_b64 v[54:57], v74 offset0:64 offset1:80
	;; [unrolled: 1-line block ×6, first 2 shown]
	s_waitcnt lgkmcnt(9)
	v_max_f64 v[34:35], v[34:35], v[34:35]
	v_max_f64 v[36:37], v[36:37], v[36:37]
	;; [unrolled: 1-line block ×4, first 2 shown]
	ds_read2_b64 v[2:5], v74 offset0:224 offset1:240
	v_max_f64 v[18:19], v[18:19], v[18:19]
	v_max_f64 v[20:21], v[20:21], v[20:21]
	;; [unrolled: 1-line block ×8, first 2 shown]
	s_waitcnt lgkmcnt(9)
	v_max_f64 v[38:39], v[38:39], v[38:39]
	v_max_f64 v[40:41], v[40:41], v[40:41]
	s_waitcnt lgkmcnt(8)
	v_max_f64 v[42:43], v[42:43], v[42:43]
	v_max_f64 v[44:45], v[44:45], v[44:45]
	;; [unrolled: 3-line block ×10, first 2 shown]
	ds_read2st64_b64 v[2:5], v84 offset1:4
.LBB190_26:                             ;   Parent Loop BB190_25 Depth=1
                                        ; =>  This Inner Loop Header: Depth=2
	v_mov_b32_e32 v84, s24
	s_waitcnt lgkmcnt(0)
	v_max_f64 v[2:3], v[2:3], v[2:3]
	s_and_b32 vcc_lo, exec_lo, s23
	s_mov_b32 s23, 0
	s_mov_b32 s24, s20
	s_clause 0xf
	buffer_load_dword v93, v84, s[0:3], 0 offen
	buffer_load_dword v94, v84, s[0:3], 0 offen offset:4
	buffer_load_dword v95, v84, s[0:3], 0 offen offset:8
	;; [unrolled: 1-line block ×15, first 2 shown]
	v_min_f64 v[85:86], v[14:15], v[2:3]
	s_waitcnt vmcnt(14)
	v_add_f64 v[85:86], v[85:86], v[93:94]
	buffer_store_dword v85, v84, s[0:3], 0 offen
	buffer_store_dword v86, v84, s[0:3], 0 offen offset:4
	v_min_f64 v[85:86], v[16:17], v[2:3]
	s_waitcnt vmcnt(12)
	v_add_f64 v[85:86], v[85:86], v[95:96]
	buffer_store_dword v85, v84, s[0:3], 0 offen offset:8
	buffer_store_dword v86, v84, s[0:3], 0 offen offset:12
	v_min_f64 v[85:86], v[18:19], v[2:3]
	s_waitcnt vmcnt(10)
	v_add_f64 v[85:86], v[85:86], v[97:98]
	buffer_store_dword v85, v84, s[0:3], 0 offen offset:16
	;; [unrolled: 5-line block ×7, first 2 shown]
	buffer_store_dword v86, v84, s[0:3], 0 offen offset:60
	s_clause 0x1
	buffer_load_dword v94, v84, s[0:3], 0 offen offset:68
	buffer_load_dword v93, v84, s[0:3], 0 offen offset:64
	v_min_f64 v[85:86], v[30:31], v[2:3]
	s_waitcnt vmcnt(0)
	v_add_f64 v[85:86], v[85:86], v[93:94]
	buffer_store_dword v86, v84, s[0:3], 0 offen offset:68
	buffer_store_dword v85, v84, s[0:3], 0 offen offset:64
	s_clause 0x1
	buffer_load_dword v93, v84, s[0:3], 0 offen offset:72
	buffer_load_dword v94, v84, s[0:3], 0 offen offset:76
	v_min_f64 v[85:86], v[32:33], v[2:3]
	s_waitcnt vmcnt(0)
	v_add_f64 v[85:86], v[85:86], v[93:94]
	buffer_store_dword v86, v84, s[0:3], 0 offen offset:76
	buffer_store_dword v85, v84, s[0:3], 0 offen offset:72
	s_clause 0x1
	buffer_load_dword v93, v84, s[0:3], 0 offen offset:80
	buffer_load_dword v94, v84, s[0:3], 0 offen offset:84
	v_min_f64 v[85:86], v[34:35], v[2:3]
	s_waitcnt vmcnt(0)
	v_add_f64 v[85:86], v[85:86], v[93:94]
	buffer_store_dword v86, v84, s[0:3], 0 offen offset:84
	buffer_store_dword v85, v84, s[0:3], 0 offen offset:80
	s_clause 0x1
	buffer_load_dword v93, v84, s[0:3], 0 offen offset:88
	buffer_load_dword v94, v84, s[0:3], 0 offen offset:92
	v_min_f64 v[85:86], v[36:37], v[2:3]
	s_waitcnt vmcnt(0)
	v_add_f64 v[85:86], v[85:86], v[93:94]
	buffer_store_dword v86, v84, s[0:3], 0 offen offset:92
	buffer_store_dword v85, v84, s[0:3], 0 offen offset:88
	s_clause 0x1
	buffer_load_dword v93, v84, s[0:3], 0 offen offset:96
	buffer_load_dword v94, v84, s[0:3], 0 offen offset:100
	v_min_f64 v[85:86], v[38:39], v[2:3]
	s_waitcnt vmcnt(0)
	v_add_f64 v[85:86], v[85:86], v[93:94]
	buffer_store_dword v86, v84, s[0:3], 0 offen offset:100
	buffer_store_dword v85, v84, s[0:3], 0 offen offset:96
	s_clause 0x1
	buffer_load_dword v93, v84, s[0:3], 0 offen offset:104
	buffer_load_dword v94, v84, s[0:3], 0 offen offset:108
	v_min_f64 v[85:86], v[40:41], v[2:3]
	s_waitcnt vmcnt(0)
	v_add_f64 v[85:86], v[85:86], v[93:94]
	buffer_store_dword v86, v84, s[0:3], 0 offen offset:108
	buffer_store_dword v85, v84, s[0:3], 0 offen offset:104
	s_clause 0x1
	buffer_load_dword v93, v84, s[0:3], 0 offen offset:112
	buffer_load_dword v94, v84, s[0:3], 0 offen offset:116
	v_min_f64 v[85:86], v[42:43], v[2:3]
	s_waitcnt vmcnt(0)
	v_add_f64 v[85:86], v[85:86], v[93:94]
	buffer_store_dword v86, v84, s[0:3], 0 offen offset:116
	buffer_store_dword v85, v84, s[0:3], 0 offen offset:112
	s_clause 0x1
	buffer_load_dword v93, v84, s[0:3], 0 offen offset:120
	buffer_load_dword v94, v84, s[0:3], 0 offen offset:124
	v_min_f64 v[85:86], v[44:45], v[2:3]
	s_waitcnt vmcnt(0)
	v_add_f64 v[85:86], v[85:86], v[93:94]
	buffer_store_dword v86, v84, s[0:3], 0 offen offset:124
	buffer_store_dword v85, v84, s[0:3], 0 offen offset:120
	s_clause 0x1
	buffer_load_dword v93, v84, s[0:3], 0 offen offset:128
	buffer_load_dword v94, v84, s[0:3], 0 offen offset:132
	v_min_f64 v[85:86], v[46:47], v[2:3]
	s_waitcnt vmcnt(0)
	v_add_f64 v[85:86], v[85:86], v[93:94]
	buffer_store_dword v86, v84, s[0:3], 0 offen offset:132
	buffer_store_dword v85, v84, s[0:3], 0 offen offset:128
	s_clause 0x1
	buffer_load_dword v93, v84, s[0:3], 0 offen offset:136
	buffer_load_dword v94, v84, s[0:3], 0 offen offset:140
	v_min_f64 v[85:86], v[48:49], v[2:3]
	s_waitcnt vmcnt(0)
	v_add_f64 v[85:86], v[85:86], v[93:94]
	buffer_store_dword v86, v84, s[0:3], 0 offen offset:140
	buffer_store_dword v85, v84, s[0:3], 0 offen offset:136
	s_clause 0x1
	buffer_load_dword v93, v84, s[0:3], 0 offen offset:144
	buffer_load_dword v94, v84, s[0:3], 0 offen offset:148
	v_min_f64 v[85:86], v[50:51], v[2:3]
	s_waitcnt vmcnt(0)
	v_add_f64 v[85:86], v[85:86], v[93:94]
	buffer_store_dword v86, v84, s[0:3], 0 offen offset:148
	buffer_store_dword v85, v84, s[0:3], 0 offen offset:144
	s_clause 0x1
	buffer_load_dword v93, v84, s[0:3], 0 offen offset:152
	buffer_load_dword v94, v84, s[0:3], 0 offen offset:156
	v_min_f64 v[85:86], v[52:53], v[2:3]
	s_waitcnt vmcnt(0)
	v_add_f64 v[85:86], v[85:86], v[93:94]
	buffer_store_dword v86, v84, s[0:3], 0 offen offset:156
	buffer_store_dword v85, v84, s[0:3], 0 offen offset:152
	s_clause 0x1
	buffer_load_dword v93, v84, s[0:3], 0 offen offset:160
	buffer_load_dword v94, v84, s[0:3], 0 offen offset:164
	v_min_f64 v[85:86], v[54:55], v[2:3]
	s_waitcnt vmcnt(0)
	v_add_f64 v[85:86], v[85:86], v[93:94]
	buffer_store_dword v86, v84, s[0:3], 0 offen offset:164
	buffer_store_dword v85, v84, s[0:3], 0 offen offset:160
	s_clause 0x1
	buffer_load_dword v93, v84, s[0:3], 0 offen offset:168
	buffer_load_dword v94, v84, s[0:3], 0 offen offset:172
	v_min_f64 v[85:86], v[56:57], v[2:3]
	s_waitcnt vmcnt(0)
	v_add_f64 v[85:86], v[85:86], v[93:94]
	buffer_store_dword v86, v84, s[0:3], 0 offen offset:172
	buffer_store_dword v85, v84, s[0:3], 0 offen offset:168
	s_clause 0x1
	buffer_load_dword v93, v84, s[0:3], 0 offen offset:176
	buffer_load_dword v94, v84, s[0:3], 0 offen offset:180
	v_min_f64 v[85:86], v[58:59], v[2:3]
	s_waitcnt vmcnt(0)
	v_add_f64 v[85:86], v[85:86], v[93:94]
	buffer_store_dword v86, v84, s[0:3], 0 offen offset:180
	buffer_store_dword v85, v84, s[0:3], 0 offen offset:176
	s_clause 0x1
	buffer_load_dword v93, v84, s[0:3], 0 offen offset:184
	buffer_load_dword v94, v84, s[0:3], 0 offen offset:188
	v_min_f64 v[85:86], v[60:61], v[2:3]
	s_waitcnt vmcnt(0)
	v_add_f64 v[85:86], v[85:86], v[93:94]
	buffer_store_dword v86, v84, s[0:3], 0 offen offset:188
	buffer_store_dword v85, v84, s[0:3], 0 offen offset:184
	s_clause 0x1
	buffer_load_dword v93, v84, s[0:3], 0 offen offset:192
	buffer_load_dword v94, v84, s[0:3], 0 offen offset:196
	v_min_f64 v[85:86], v[62:63], v[2:3]
	s_waitcnt vmcnt(0)
	v_add_f64 v[85:86], v[85:86], v[93:94]
	buffer_store_dword v86, v84, s[0:3], 0 offen offset:196
	buffer_store_dword v85, v84, s[0:3], 0 offen offset:192
	s_clause 0x1
	buffer_load_dword v93, v84, s[0:3], 0 offen offset:200
	buffer_load_dword v94, v84, s[0:3], 0 offen offset:204
	v_min_f64 v[85:86], v[64:65], v[2:3]
	s_waitcnt vmcnt(0)
	v_add_f64 v[85:86], v[85:86], v[93:94]
	buffer_store_dword v86, v84, s[0:3], 0 offen offset:204
	buffer_store_dword v85, v84, s[0:3], 0 offen offset:200
	s_clause 0x1
	buffer_load_dword v93, v84, s[0:3], 0 offen offset:208
	buffer_load_dword v94, v84, s[0:3], 0 offen offset:212
	v_min_f64 v[85:86], v[66:67], v[2:3]
	s_waitcnt vmcnt(0)
	v_add_f64 v[85:86], v[85:86], v[93:94]
	buffer_store_dword v86, v84, s[0:3], 0 offen offset:212
	buffer_store_dword v85, v84, s[0:3], 0 offen offset:208
	s_clause 0x1
	buffer_load_dword v93, v84, s[0:3], 0 offen offset:216
	buffer_load_dword v94, v84, s[0:3], 0 offen offset:220
	v_min_f64 v[85:86], v[68:69], v[2:3]
	s_waitcnt vmcnt(0)
	v_add_f64 v[85:86], v[85:86], v[93:94]
	buffer_store_dword v86, v84, s[0:3], 0 offen offset:220
	buffer_store_dword v85, v84, s[0:3], 0 offen offset:216
	s_clause 0x1
	buffer_load_dword v93, v84, s[0:3], 0 offen offset:224
	buffer_load_dword v94, v84, s[0:3], 0 offen offset:228
	v_min_f64 v[85:86], v[70:71], v[2:3]
	s_waitcnt vmcnt(0)
	v_add_f64 v[85:86], v[85:86], v[93:94]
	buffer_store_dword v86, v84, s[0:3], 0 offen offset:228
	buffer_store_dword v85, v84, s[0:3], 0 offen offset:224
	s_clause 0x1
	buffer_load_dword v93, v84, s[0:3], 0 offen offset:232
	buffer_load_dword v94, v84, s[0:3], 0 offen offset:236
	v_min_f64 v[85:86], v[72:73], v[2:3]
	s_waitcnt vmcnt(0)
	v_add_f64 v[85:86], v[85:86], v[93:94]
	buffer_store_dword v86, v84, s[0:3], 0 offen offset:236
	buffer_store_dword v85, v84, s[0:3], 0 offen offset:232
	s_clause 0x1
	buffer_load_dword v93, v84, s[0:3], 0 offen offset:240
	buffer_load_dword v94, v84, s[0:3], 0 offen offset:244
	v_min_f64 v[85:86], v[74:75], v[2:3]
	v_min_f64 v[2:3], v[76:77], v[2:3]
	s_waitcnt vmcnt(0)
	v_add_f64 v[85:86], v[85:86], v[93:94]
	buffer_store_dword v86, v84, s[0:3], 0 offen offset:244
	buffer_store_dword v85, v84, s[0:3], 0 offen offset:240
	s_clause 0x1
	buffer_load_dword v85, v84, s[0:3], 0 offen offset:248
	buffer_load_dword v86, v84, s[0:3], 0 offen offset:252
	s_waitcnt vmcnt(0)
	v_add_f64 v[2:3], v[2:3], v[85:86]
	buffer_store_dword v3, v84, s[0:3], 0 offen offset:252
	buffer_store_dword v2, v84, s[0:3], 0 offen offset:248
	v_mov_b32_e32 v2, v4
	v_mov_b32_e32 v3, v5
	s_cbranch_vccnz .LBB190_26
; %bb.27:                               ;   in Loop: Header=BB190_25 Depth=1
	s_add_i32 s11, s11, 1
	s_cmp_eq_u32 s11, 4
	s_cbranch_scc0 .LBB190_25
; %bb.28:
	v_lshl_or_b32 v2, v78, 5, v80
	v_lshl_add_u32 v93, v0, 5, 0x1000
	v_lshl_add_u32 v94, v1, 5, 0x3000
	s_cmp_lt_i32 s42, 9
	ds_write2st64_b64 v2, v[8:9], v[6:7] offset0:8 offset1:12
	ds_write2st64_b64 v2, v[12:13], v[10:11] offset0:24 offset1:28
	s_waitcnt lgkmcnt(0)
	s_waitcnt_vscnt null, 0x0
	s_barrier
	buffer_gl0_inv
	s_cbranch_scc1 .LBB190_55
; %bb.29:
	v_mad_i64_i32 v[3:4], null, v79, s21, 0
	v_mad_i64_i32 v[5:6], null, v81, s21, 0
	;; [unrolled: 1-line block ×4, first 2 shown]
	v_lshlrev_b64 v[70:71], 3, v[3:4]
	v_add_nc_u32_e32 v95, 0x1000, v2
	v_lshlrev_b64 v[72:73], 3, v[5:6]
	v_add_nc_u32_e32 v96, 0x3000, v2
	v_lshlrev_b64 v[74:75], 3, v[7:8]
	v_mov_b32_e32 v79, 0
	v_lshlrev_b64 v[76:77], 3, v[9:10]
	s_add_i32 s21, s42, -8
	s_mov_b32 s22, 8
.LBB190_30:                             ; =>This Loop Header: Depth=1
                                        ;     Child Loop BB190_39 Depth 2
                                        ;       Child Loop BB190_40 Depth 3
                                        ;     Child Loop BB190_51 Depth 2
                                        ;       Child Loop BB190_52 Depth 3
	v_or_b32_e32 v78, s22, v88
	v_mov_b32_e32 v6, 0
	v_mov_b32_e32 v8, 0
	;; [unrolled: 1-line block ×4, first 2 shown]
	v_lshlrev_b64 v[2:3], 3, v[78:79]
	v_cmp_le_i32_e32 vcc_lo, s42, v78
	v_add_co_u32 v97, s11, s16, v2
	v_add_co_ci_u32_e64 v98, null, s17, v3, s11
	s_nor_b32 s11, s6, vcc_lo
	s_and_saveexec_b32 s24, s11
	s_cbranch_execz .LBB190_32
; %bb.31:                               ;   in Loop: Header=BB190_30 Depth=1
	v_add_co_u32 v4, s11, v97, v70
	v_add_co_ci_u32_e64 v5, null, v98, v71, s11
	global_load_dwordx2 v[8:9], v[4:5], off
.LBB190_32:                             ;   in Loop: Header=BB190_30 Depth=1
	s_or_b32 exec_lo, exec_lo, s24
	s_nor_b32 s11, s8, vcc_lo
	s_and_saveexec_b32 s24, s11
	s_cbranch_execz .LBB190_34
; %bb.33:                               ;   in Loop: Header=BB190_30 Depth=1
	v_add_co_u32 v4, s11, v97, v72
	v_add_co_ci_u32_e64 v5, null, v98, v73, s11
	global_load_dwordx2 v[6:7], v[4:5], off
.LBB190_34:                             ;   in Loop: Header=BB190_30 Depth=1
	s_or_b32 exec_lo, exec_lo, s24
	v_add_co_u32 v99, s11, s18, v2
	v_mov_b32_e32 v10, 0
	v_mov_b32_e32 v12, 0
	;; [unrolled: 1-line block ×4, first 2 shown]
	v_add_co_ci_u32_e64 v100, null, s19, v3, s11
	s_nor_b32 s11, s9, vcc_lo
	s_and_saveexec_b32 s24, s11
	s_cbranch_execz .LBB190_36
; %bb.35:                               ;   in Loop: Header=BB190_30 Depth=1
	v_add_co_u32 v2, s11, v99, v74
	v_add_co_ci_u32_e64 v3, null, v100, v75, s11
	global_load_dwordx2 v[12:13], v[2:3], off
.LBB190_36:                             ;   in Loop: Header=BB190_30 Depth=1
	s_or_b32 exec_lo, exec_lo, s24
	s_nor_b32 s24, s10, vcc_lo
	s_and_saveexec_b32 s11, s24
	s_cbranch_execz .LBB190_38
; %bb.37:                               ;   in Loop: Header=BB190_30 Depth=1
	v_add_co_u32 v2, vcc_lo, v99, v76
	v_add_co_ci_u32_e64 v3, null, v100, v77, vcc_lo
	global_load_dwordx2 v[10:11], v[2:3], off
.LBB190_38:                             ;   in Loop: Header=BB190_30 Depth=1
	s_or_b32 exec_lo, exec_lo, s11
	s_mov_b32 s11, 0
.LBB190_39:                             ;   Parent Loop BB190_30 Depth=1
                                        ; =>  This Loop Header: Depth=2
                                        ;       Child Loop BB190_40 Depth 3
	s_lshl_b32 s24, s11, 3
	s_mov_b32 s25, 0
	v_add_nc_u32_e32 v14, s24, v93
	v_add_nc_u32_e32 v101, s24, v94
	s_mov_b32 s24, -1
	ds_read2_b64 v[2:5], v14 offset1:16
	ds_read2_b64 v[18:21], v14 offset0:32 offset1:48
	ds_read2_b64 v[22:25], v14 offset0:64 offset1:80
	v_add_nc_u32_e32 v15, 0x800, v14
	ds_read2_b64 v[26:29], v14 offset0:96 offset1:112
	ds_read2_b64 v[30:33], v14 offset0:128 offset1:144
	;; [unrolled: 1-line block ×5, first 2 shown]
	ds_read2_b64 v[46:49], v15 offset1:16
	ds_read2_b64 v[50:53], v15 offset0:32 offset1:48
	ds_read2_b64 v[54:57], v15 offset0:64 offset1:80
	;; [unrolled: 1-line block ×7, first 2 shown]
	s_waitcnt lgkmcnt(11)
	v_max_f64 v[30:31], v[30:31], v[30:31]
	v_max_f64 v[32:33], v[32:33], v[32:33]
	s_waitcnt lgkmcnt(10)
	v_max_f64 v[34:35], v[34:35], v[34:35]
	v_max_f64 v[36:37], v[36:37], v[36:37]
	;; [unrolled: 3-line block ×3, first 2 shown]
	v_max_f64 v[14:15], v[2:3], v[2:3]
	v_max_f64 v[16:17], v[4:5], v[4:5]
	;; [unrolled: 1-line block ×8, first 2 shown]
	s_waitcnt lgkmcnt(8)
	v_max_f64 v[42:43], v[42:43], v[42:43]
	v_max_f64 v[44:45], v[44:45], v[44:45]
	s_waitcnt lgkmcnt(7)
	v_max_f64 v[46:47], v[46:47], v[46:47]
	v_max_f64 v[48:49], v[48:49], v[48:49]
	;; [unrolled: 3-line block ×9, first 2 shown]
	ds_read2st64_b64 v[2:5], v101 offset1:4
.LBB190_40:                             ;   Parent Loop BB190_30 Depth=1
                                        ;     Parent Loop BB190_39 Depth=2
                                        ; =>    This Inner Loop Header: Depth=3
	v_mov_b32_e32 v101, s25
	s_waitcnt lgkmcnt(0)
	v_max_f64 v[2:3], v[2:3], v[2:3]
	s_and_b32 vcc_lo, exec_lo, s24
	s_mov_b32 s24, 0
	s_mov_b32 s25, s20
	s_clause 0xf
	buffer_load_dword v104, v101, s[0:3], 0 offen
	buffer_load_dword v105, v101, s[0:3], 0 offen offset:4
	buffer_load_dword v106, v101, s[0:3], 0 offen offset:8
	;; [unrolled: 1-line block ×15, first 2 shown]
	v_min_f64 v[102:103], v[14:15], v[2:3]
	s_waitcnt vmcnt(14)
	v_add_f64 v[102:103], v[102:103], v[104:105]
	buffer_store_dword v102, v101, s[0:3], 0 offen
	buffer_store_dword v103, v101, s[0:3], 0 offen offset:4
	v_min_f64 v[102:103], v[16:17], v[2:3]
	s_waitcnt vmcnt(12)
	v_add_f64 v[102:103], v[102:103], v[106:107]
	buffer_store_dword v102, v101, s[0:3], 0 offen offset:8
	buffer_store_dword v103, v101, s[0:3], 0 offen offset:12
	v_min_f64 v[102:103], v[18:19], v[2:3]
	s_waitcnt vmcnt(10)
	v_add_f64 v[102:103], v[102:103], v[108:109]
	buffer_store_dword v102, v101, s[0:3], 0 offen offset:16
	;; [unrolled: 5-line block ×7, first 2 shown]
	buffer_store_dword v103, v101, s[0:3], 0 offen offset:60
	s_clause 0x1
	buffer_load_dword v105, v101, s[0:3], 0 offen offset:68
	buffer_load_dword v104, v101, s[0:3], 0 offen offset:64
	v_min_f64 v[102:103], v[30:31], v[2:3]
	s_waitcnt vmcnt(0)
	v_add_f64 v[102:103], v[102:103], v[104:105]
	buffer_store_dword v103, v101, s[0:3], 0 offen offset:68
	buffer_store_dword v102, v101, s[0:3], 0 offen offset:64
	s_clause 0x1
	buffer_load_dword v104, v101, s[0:3], 0 offen offset:72
	buffer_load_dword v105, v101, s[0:3], 0 offen offset:76
	v_min_f64 v[102:103], v[32:33], v[2:3]
	s_waitcnt vmcnt(0)
	v_add_f64 v[102:103], v[102:103], v[104:105]
	buffer_store_dword v103, v101, s[0:3], 0 offen offset:76
	;; [unrolled: 8-line block ×22, first 2 shown]
	buffer_store_dword v102, v101, s[0:3], 0 offen offset:232
	s_clause 0x1
	buffer_load_dword v104, v101, s[0:3], 0 offen offset:240
	buffer_load_dword v105, v101, s[0:3], 0 offen offset:244
	v_min_f64 v[102:103], v[84:85], v[2:3]
	v_min_f64 v[2:3], v[86:87], v[2:3]
	s_waitcnt vmcnt(0)
	v_add_f64 v[102:103], v[102:103], v[104:105]
	buffer_store_dword v103, v101, s[0:3], 0 offen offset:244
	buffer_store_dword v102, v101, s[0:3], 0 offen offset:240
	s_clause 0x1
	buffer_load_dword v102, v101, s[0:3], 0 offen offset:248
	buffer_load_dword v103, v101, s[0:3], 0 offen offset:252
	s_waitcnt vmcnt(0)
	v_add_f64 v[2:3], v[2:3], v[102:103]
	buffer_store_dword v3, v101, s[0:3], 0 offen offset:252
	buffer_store_dword v2, v101, s[0:3], 0 offen offset:248
	v_mov_b32_e32 v2, v4
	v_mov_b32_e32 v3, v5
	s_cbranch_vccnz .LBB190_40
; %bb.41:                               ;   in Loop: Header=BB190_39 Depth=2
	s_add_i32 s11, s11, 1
	s_cmp_eq_u32 s11, 4
	s_cbranch_scc0 .LBB190_39
; %bb.42:                               ;   in Loop: Header=BB190_30 Depth=1
	v_or_b32_e32 v2, 4, v78
	v_mov_b32_e32 v80, 0
	v_mov_b32_e32 v82, 0
	v_mov_b32_e32 v81, 0
	v_mov_b32_e32 v83, 0
	v_cmp_le_i32_e32 vcc_lo, s42, v2
	ds_write2st64_b64 v89, v[8:9], v[6:7] offset1:4
	ds_write2st64_b64 v91, v[12:13], v[10:11] offset1:4
	s_waitcnt lgkmcnt(0)
	s_waitcnt_vscnt null, 0x0
	s_barrier
	s_nor_b32 s11, s6, vcc_lo
	buffer_gl0_inv
	s_and_saveexec_b32 s24, s11
	s_cbranch_execz .LBB190_44
; %bb.43:                               ;   in Loop: Header=BB190_30 Depth=1
	v_add_co_u32 v2, s11, v97, v70
	v_add_co_ci_u32_e64 v3, null, v98, v71, s11
	global_load_dwordx2 v[82:83], v[2:3], off offset:32
.LBB190_44:                             ;   in Loop: Header=BB190_30 Depth=1
	s_or_b32 exec_lo, exec_lo, s24
	s_nor_b32 s11, s8, vcc_lo
	s_and_saveexec_b32 s24, s11
	s_cbranch_execz .LBB190_46
; %bb.45:                               ;   in Loop: Header=BB190_30 Depth=1
	v_add_co_u32 v2, s11, v97, v72
	v_add_co_ci_u32_e64 v3, null, v98, v73, s11
	global_load_dwordx2 v[80:81], v[2:3], off offset:32
.LBB190_46:                             ;   in Loop: Header=BB190_30 Depth=1
	s_or_b32 exec_lo, exec_lo, s24
	v_mov_b32_e32 v84, 0
	v_mov_b32_e32 v86, 0
	;; [unrolled: 1-line block ×4, first 2 shown]
	s_nor_b32 s11, s9, vcc_lo
	s_and_saveexec_b32 s24, s11
	s_cbranch_execz .LBB190_48
; %bb.47:                               ;   in Loop: Header=BB190_30 Depth=1
	v_add_co_u32 v2, s11, v99, v74
	v_add_co_ci_u32_e64 v3, null, v100, v75, s11
	global_load_dwordx2 v[86:87], v[2:3], off offset:32
.LBB190_48:                             ;   in Loop: Header=BB190_30 Depth=1
	s_or_b32 exec_lo, exec_lo, s24
	s_nor_b32 s24, s10, vcc_lo
	s_and_saveexec_b32 s11, s24
	s_cbranch_execz .LBB190_50
; %bb.49:                               ;   in Loop: Header=BB190_30 Depth=1
	v_add_co_u32 v2, vcc_lo, v99, v76
	v_add_co_ci_u32_e64 v3, null, v100, v77, vcc_lo
	global_load_dwordx2 v[84:85], v[2:3], off offset:32
.LBB190_50:                             ;   in Loop: Header=BB190_30 Depth=1
	s_or_b32 exec_lo, exec_lo, s11
	s_mov_b32 s11, 0
.LBB190_51:                             ;   Parent Loop BB190_30 Depth=1
                                        ; =>  This Loop Header: Depth=2
                                        ;       Child Loop BB190_52 Depth 3
	s_lshl_b32 s24, s11, 3
	s_mov_b32 s25, 0
	v_add_nc_u32_e32 v30, s24, v90
	v_add_nc_u32_e32 v66, s24, v92
	s_mov_b32 s24, -1
	ds_read2_b64 v[2:5], v30 offset1:16
	ds_read2_b64 v[6:9], v30 offset0:32 offset1:48
	ds_read2_b64 v[10:13], v30 offset0:64 offset1:80
	;; [unrolled: 1-line block ×3, first 2 shown]
	v_add_nc_u32_e32 v62, 0x800, v30
	ds_read2_b64 v[18:21], v30 offset0:128 offset1:144
	ds_read2_b64 v[22:25], v30 offset0:160 offset1:176
	;; [unrolled: 1-line block ×4, first 2 shown]
	ds_read2_b64 v[34:37], v62 offset1:16
	ds_read2_b64 v[38:41], v62 offset0:32 offset1:48
	ds_read2_b64 v[42:45], v62 offset0:64 offset1:80
	;; [unrolled: 1-line block ×7, first 2 shown]
	ds_read2st64_b64 v[66:69], v66 offset1:4
.LBB190_52:                             ;   Parent Loop BB190_30 Depth=1
                                        ;     Parent Loop BB190_51 Depth=2
                                        ; =>    This Inner Loop Header: Depth=3
	v_mov_b32_e32 v78, s25
	s_waitcnt lgkmcnt(16)
	v_max_f64 v[97:98], v[2:3], v[2:3]
	s_waitcnt lgkmcnt(0)
	v_max_f64 v[66:67], v[66:67], v[66:67]
	s_and_b32 vcc_lo, exec_lo, s24
	s_mov_b32 s24, 0
	s_clause 0xf
	buffer_load_dword v99, v78, s[0:3], 0 offen
	buffer_load_dword v100, v78, s[0:3], 0 offen offset:4
	buffer_load_dword v101, v78, s[0:3], 0 offen offset:8
	;; [unrolled: 1-line block ×15, first 2 shown]
	s_mov_b32 s25, s20
	v_min_f64 v[97:98], v[97:98], v[66:67]
	s_waitcnt vmcnt(14)
	v_add_f64 v[97:98], v[97:98], v[99:100]
	buffer_store_dword v97, v78, s[0:3], 0 offen
	buffer_store_dword v98, v78, s[0:3], 0 offen offset:4
	v_max_f64 v[97:98], v[4:5], v[4:5]
	v_min_f64 v[97:98], v[97:98], v[66:67]
	s_waitcnt vmcnt(12)
	v_add_f64 v[97:98], v[97:98], v[101:102]
	buffer_store_dword v97, v78, s[0:3], 0 offen offset:8
	buffer_store_dword v98, v78, s[0:3], 0 offen offset:12
	v_max_f64 v[97:98], v[6:7], v[6:7]
	v_min_f64 v[97:98], v[97:98], v[66:67]
	s_waitcnt vmcnt(10)
	v_add_f64 v[97:98], v[97:98], v[103:104]
	buffer_store_dword v97, v78, s[0:3], 0 offen offset:16
	buffer_store_dword v98, v78, s[0:3], 0 offen offset:20
	v_max_f64 v[97:98], v[8:9], v[8:9]
	v_min_f64 v[97:98], v[97:98], v[66:67]
	s_waitcnt vmcnt(8)
	v_add_f64 v[97:98], v[97:98], v[105:106]
	buffer_store_dword v97, v78, s[0:3], 0 offen offset:24
	buffer_store_dword v98, v78, s[0:3], 0 offen offset:28
	v_max_f64 v[97:98], v[10:11], v[10:11]
	v_min_f64 v[97:98], v[97:98], v[66:67]
	s_waitcnt vmcnt(6)
	v_add_f64 v[97:98], v[97:98], v[107:108]
	buffer_store_dword v97, v78, s[0:3], 0 offen offset:32
	buffer_store_dword v98, v78, s[0:3], 0 offen offset:36
	v_max_f64 v[97:98], v[12:13], v[12:13]
	v_min_f64 v[97:98], v[97:98], v[66:67]
	s_waitcnt vmcnt(4)
	v_add_f64 v[97:98], v[97:98], v[109:110]
	buffer_store_dword v97, v78, s[0:3], 0 offen offset:40
	buffer_store_dword v98, v78, s[0:3], 0 offen offset:44
	v_max_f64 v[97:98], v[14:15], v[14:15]
	v_min_f64 v[97:98], v[97:98], v[66:67]
	s_waitcnt vmcnt(2)
	v_add_f64 v[97:98], v[97:98], v[111:112]
	buffer_store_dword v97, v78, s[0:3], 0 offen offset:48
	buffer_store_dword v98, v78, s[0:3], 0 offen offset:52
	v_max_f64 v[97:98], v[16:17], v[16:17]
	v_min_f64 v[97:98], v[97:98], v[66:67]
	s_waitcnt vmcnt(0)
	v_add_f64 v[97:98], v[97:98], v[113:114]
	buffer_store_dword v97, v78, s[0:3], 0 offen offset:56
	buffer_store_dword v98, v78, s[0:3], 0 offen offset:60
	s_clause 0x1
	buffer_load_dword v100, v78, s[0:3], 0 offen offset:68
	buffer_load_dword v99, v78, s[0:3], 0 offen offset:64
	v_max_f64 v[97:98], v[18:19], v[18:19]
	v_min_f64 v[97:98], v[97:98], v[66:67]
	s_waitcnt vmcnt(0)
	v_add_f64 v[97:98], v[97:98], v[99:100]
	buffer_store_dword v98, v78, s[0:3], 0 offen offset:68
	buffer_store_dword v97, v78, s[0:3], 0 offen offset:64
	s_clause 0x1
	buffer_load_dword v99, v78, s[0:3], 0 offen offset:72
	buffer_load_dword v100, v78, s[0:3], 0 offen offset:76
	v_max_f64 v[97:98], v[20:21], v[20:21]
	v_min_f64 v[97:98], v[97:98], v[66:67]
	s_waitcnt vmcnt(0)
	v_add_f64 v[97:98], v[97:98], v[99:100]
	buffer_store_dword v98, v78, s[0:3], 0 offen offset:76
	;; [unrolled: 9-line block ×23, first 2 shown]
	buffer_store_dword v97, v78, s[0:3], 0 offen offset:240
	v_max_f64 v[97:98], v[64:65], v[64:65]
	v_min_f64 v[66:67], v[97:98], v[66:67]
	s_clause 0x1
	buffer_load_dword v97, v78, s[0:3], 0 offen offset:248
	buffer_load_dword v98, v78, s[0:3], 0 offen offset:252
	s_waitcnt vmcnt(0)
	v_add_f64 v[66:67], v[66:67], v[97:98]
	buffer_store_dword v67, v78, s[0:3], 0 offen offset:252
	buffer_store_dword v66, v78, s[0:3], 0 offen offset:248
	v_mov_b32_e32 v66, v68
	v_mov_b32_e32 v67, v69
	s_cbranch_vccnz .LBB190_52
; %bb.53:                               ;   in Loop: Header=BB190_51 Depth=2
	s_add_i32 s11, s11, 1
	s_cmp_eq_u32 s11, 4
	s_cbranch_scc0 .LBB190_51
; %bb.54:                               ;   in Loop: Header=BB190_30 Depth=1
	s_add_i32 s23, s23, 8
	s_add_i32 s22, s22, 8
	s_cmp_ge_i32 s23, s21
	ds_write2st64_b64 v95, v[82:83], v[80:81] offset1:4
	ds_write2st64_b64 v96, v[86:87], v[84:85] offset1:4
	s_waitcnt lgkmcnt(0)
	s_waitcnt_vscnt null, 0x0
	s_barrier
	buffer_gl0_inv
	s_cbranch_scc0 .LBB190_30
.LBB190_55:
	s_mov_b32 s6, 0
.LBB190_56:                             ; =>This Loop Header: Depth=1
                                        ;     Child Loop BB190_57 Depth 2
	s_lshl_b32 s8, s6, 3
	s_mov_b32 s9, 0
	v_add_nc_u32_e32 v6, s8, v93
	v_add_nc_u32_e32 v70, s8, v94
	s_mov_b32 s8, -1
	ds_read2_b64 v[2:5], v6 offset1:16
	ds_read2_b64 v[10:13], v6 offset0:32 offset1:48
	ds_read2_b64 v[14:17], v6 offset0:64 offset1:80
	v_add_nc_u32_e32 v7, 0x800, v6
	ds_read2_b64 v[18:21], v6 offset0:96 offset1:112
	ds_read2_b64 v[22:25], v6 offset0:128 offset1:144
	;; [unrolled: 1-line block ×5, first 2 shown]
	ds_read2_b64 v[38:41], v7 offset1:16
	ds_read2_b64 v[42:45], v7 offset0:32 offset1:48
	ds_read2_b64 v[46:49], v7 offset0:64 offset1:80
	;; [unrolled: 1-line block ×7, first 2 shown]
	s_waitcnt lgkmcnt(11)
	v_max_f64 v[22:23], v[22:23], v[22:23]
	v_max_f64 v[24:25], v[24:25], v[24:25]
	s_waitcnt lgkmcnt(10)
	v_max_f64 v[26:27], v[26:27], v[26:27]
	v_max_f64 v[28:29], v[28:29], v[28:29]
	;; [unrolled: 3-line block ×3, first 2 shown]
	v_max_f64 v[6:7], v[2:3], v[2:3]
	v_max_f64 v[8:9], v[4:5], v[4:5]
	;; [unrolled: 1-line block ×8, first 2 shown]
	s_waitcnt lgkmcnt(8)
	v_max_f64 v[34:35], v[34:35], v[34:35]
	v_max_f64 v[36:37], v[36:37], v[36:37]
	s_waitcnt lgkmcnt(7)
	v_max_f64 v[38:39], v[38:39], v[38:39]
	v_max_f64 v[40:41], v[40:41], v[40:41]
	;; [unrolled: 3-line block ×9, first 2 shown]
	ds_read2st64_b64 v[2:5], v70 offset1:4
.LBB190_57:                             ;   Parent Loop BB190_56 Depth=1
                                        ; =>  This Inner Loop Header: Depth=2
	v_mov_b32_e32 v70, s9
	s_waitcnt lgkmcnt(0)
	v_max_f64 v[2:3], v[2:3], v[2:3]
	s_and_b32 vcc_lo, exec_lo, s8
	s_mov_b32 s8, 0
	s_mov_b32 s9, s20
	s_clause 0xf
	buffer_load_dword v73, v70, s[0:3], 0 offen
	buffer_load_dword v74, v70, s[0:3], 0 offen offset:4
	buffer_load_dword v75, v70, s[0:3], 0 offen offset:8
	;; [unrolled: 1-line block ×15, first 2 shown]
	v_min_f64 v[71:72], v[6:7], v[2:3]
	s_waitcnt vmcnt(14)
	v_add_f64 v[71:72], v[71:72], v[73:74]
	buffer_store_dword v71, v70, s[0:3], 0 offen
	buffer_store_dword v72, v70, s[0:3], 0 offen offset:4
	v_min_f64 v[71:72], v[8:9], v[2:3]
	s_waitcnt vmcnt(12)
	v_add_f64 v[71:72], v[71:72], v[75:76]
	buffer_store_dword v71, v70, s[0:3], 0 offen offset:8
	buffer_store_dword v72, v70, s[0:3], 0 offen offset:12
	v_min_f64 v[71:72], v[10:11], v[2:3]
	s_waitcnt vmcnt(10)
	v_add_f64 v[71:72], v[71:72], v[77:78]
	buffer_store_dword v71, v70, s[0:3], 0 offen offset:16
	;; [unrolled: 5-line block ×7, first 2 shown]
	buffer_store_dword v72, v70, s[0:3], 0 offen offset:60
	s_clause 0x1
	buffer_load_dword v74, v70, s[0:3], 0 offen offset:68
	buffer_load_dword v73, v70, s[0:3], 0 offen offset:64
	v_min_f64 v[71:72], v[22:23], v[2:3]
	s_waitcnt vmcnt(0)
	v_add_f64 v[71:72], v[71:72], v[73:74]
	buffer_store_dword v72, v70, s[0:3], 0 offen offset:68
	buffer_store_dword v71, v70, s[0:3], 0 offen offset:64
	s_clause 0x1
	buffer_load_dword v73, v70, s[0:3], 0 offen offset:72
	buffer_load_dword v74, v70, s[0:3], 0 offen offset:76
	v_min_f64 v[71:72], v[24:25], v[2:3]
	s_waitcnt vmcnt(0)
	v_add_f64 v[71:72], v[71:72], v[73:74]
	buffer_store_dword v72, v70, s[0:3], 0 offen offset:76
	;; [unrolled: 8-line block ×22, first 2 shown]
	buffer_store_dword v71, v70, s[0:3], 0 offen offset:232
	s_clause 0x1
	buffer_load_dword v73, v70, s[0:3], 0 offen offset:240
	buffer_load_dword v74, v70, s[0:3], 0 offen offset:244
	v_min_f64 v[71:72], v[66:67], v[2:3]
	v_min_f64 v[2:3], v[68:69], v[2:3]
	s_waitcnt vmcnt(0)
	v_add_f64 v[71:72], v[71:72], v[73:74]
	buffer_store_dword v72, v70, s[0:3], 0 offen offset:244
	buffer_store_dword v71, v70, s[0:3], 0 offen offset:240
	s_clause 0x1
	buffer_load_dword v71, v70, s[0:3], 0 offen offset:248
	buffer_load_dword v72, v70, s[0:3], 0 offen offset:252
	s_waitcnt vmcnt(0)
	v_add_f64 v[2:3], v[2:3], v[71:72]
	buffer_store_dword v3, v70, s[0:3], 0 offen offset:252
	buffer_store_dword v2, v70, s[0:3], 0 offen offset:248
	v_mov_b32_e32 v2, v4
	v_mov_b32_e32 v3, v5
	s_cbranch_vccnz .LBB190_57
; %bb.58:                               ;   in Loop: Header=BB190_56 Depth=1
	s_add_i32 s6, s6, 1
	s_cmp_eq_u32 s6, 4
	s_cbranch_scc0 .LBB190_56
; %bb.59:
	s_clause 0x2
	s_load_dwordx2 s[8:9], s[4:5], 0x78
	s_load_dword s43, s[4:5], 0x58
	s_load_dword s42, s[4:5], 0x70
	v_add_nc_u32_e32 v71, s13, v1
	v_add_nc_u32_e32 v0, s12, v0
	v_cndmask_b32_e64 v70, 0, 1, s46
	v_cmp_gt_i32_e64 s13, s41, v71
	s_waitcnt lgkmcnt(0)
	s_mul_i32 s4, s9, s7
	v_mad_i64_i32 v[1:2], null, v71, s43, 0
	v_mad_i64_i32 v[3:4], null, v71, s42, 0
	s_mul_hi_u32 s5, s8, s7
	s_mul_i32 s6, s8, s7
	s_add_i32 s7, s5, s4
	v_cmp_gt_i32_e64 s4, s40, v0
	v_lshlrev_b64 v[5:6], 3, v[1:2]
	s_lshl_b64 s[6:7], s[6:7], 3
	v_lshlrev_b64 v[2:3], 3, v[3:4]
	s_add_u32 s47, s14, s6
	s_addc_u32 s48, s15, s7
	v_ashrrev_i32_e32 v1, 31, v0
	v_add_co_u32 v68, vcc_lo, s44, v5
	v_add_co_ci_u32_e64 v69, null, s45, v6, vcc_lo
	v_add_co_u32 v72, vcc_lo, s47, v2
	v_add_co_ci_u32_e64 v73, null, s48, v3, vcc_lo
	s_and_b32 s6, s13, s4
	s_and_saveexec_b32 s5, s6
	s_cbranch_execz .LBB190_64
; %bb.60:
	s_clause 0x1
	buffer_load_dword v2, off, s[0:3], 0
	buffer_load_dword v3, off, s[0:3], 0 offset:4
	v_lshlrev_b64 v[4:5], 3, v[0:1]
	s_andn2_b32 vcc_lo, exec_lo, s46
	s_cbranch_vccnz .LBB190_62
; %bb.61:
	v_add_co_u32 v6, vcc_lo, v68, v4
	v_add_co_ci_u32_e64 v7, null, v69, v5, vcc_lo
	global_load_dwordx2 v[6:7], v[6:7], off
	s_waitcnt vmcnt(0)
	v_mul_f64 v[6:7], s[38:39], v[6:7]
	s_branch .LBB190_63
.LBB190_62:
	v_mov_b32_e32 v6, 0
	v_mov_b32_e32 v7, 0
.LBB190_63:
	s_waitcnt vmcnt(0)
	v_add_f64 v[2:3], v[2:3], v[6:7]
	v_add_co_u32 v4, vcc_lo, v72, v4
	v_add_co_ci_u32_e64 v5, null, v73, v5, vcc_lo
	global_store_dwordx2 v[4:5], v[2:3], off
.LBB190_64:
	s_or_b32 exec_lo, exec_lo, s5
	v_add_nc_u32_e32 v2, 4, v0
	v_cmp_gt_i32_e64 s5, s40, v2
	v_ashrrev_i32_e32 v3, 31, v2
	s_and_b32 s7, s13, s5
	s_and_saveexec_b32 s6, s7
	s_cbranch_execz .LBB190_69
; %bb.65:
	s_clause 0x1
	buffer_load_dword v4, off, s[0:3], 0 offset:8
	buffer_load_dword v5, off, s[0:3], 0 offset:12
	v_lshlrev_b64 v[6:7], 3, v[2:3]
	s_andn2_b32 vcc_lo, exec_lo, s46
	s_cbranch_vccnz .LBB190_67
; %bb.66:
	v_add_co_u32 v8, vcc_lo, v68, v6
	v_add_co_ci_u32_e64 v9, null, v69, v7, vcc_lo
	global_load_dwordx2 v[8:9], v[8:9], off
	s_waitcnt vmcnt(0)
	v_mul_f64 v[8:9], s[38:39], v[8:9]
	s_branch .LBB190_68
.LBB190_67:
	v_mov_b32_e32 v8, 0
	v_mov_b32_e32 v9, 0
.LBB190_68:
	s_waitcnt vmcnt(0)
	v_add_f64 v[4:5], v[4:5], v[8:9]
	v_add_co_u32 v6, vcc_lo, v72, v6
	v_add_co_ci_u32_e64 v7, null, v73, v7, vcc_lo
	global_store_dwordx2 v[6:7], v[4:5], off
.LBB190_69:
	s_or_b32 exec_lo, exec_lo, s6
	v_add_nc_u32_e32 v4, 8, v0
	v_cmp_gt_i32_e64 s6, s40, v4
	v_ashrrev_i32_e32 v5, 31, v4
	s_and_b32 s8, s13, s6
	s_and_saveexec_b32 s7, s8
	s_cbranch_execz .LBB190_74
; %bb.70:
	s_clause 0x1
	buffer_load_dword v6, off, s[0:3], 0 offset:16
	buffer_load_dword v7, off, s[0:3], 0 offset:20
	v_lshlrev_b64 v[8:9], 3, v[4:5]
	s_andn2_b32 vcc_lo, exec_lo, s46
	s_cbranch_vccnz .LBB190_72
; %bb.71:
	v_add_co_u32 v10, vcc_lo, v68, v8
	v_add_co_ci_u32_e64 v11, null, v69, v9, vcc_lo
	global_load_dwordx2 v[10:11], v[10:11], off
	s_waitcnt vmcnt(0)
	v_mul_f64 v[10:11], s[38:39], v[10:11]
	s_branch .LBB190_73
.LBB190_72:
	v_mov_b32_e32 v10, 0
	v_mov_b32_e32 v11, 0
.LBB190_73:
	s_waitcnt vmcnt(0)
	v_add_f64 v[6:7], v[6:7], v[10:11]
	v_add_co_u32 v8, vcc_lo, v72, v8
	v_add_co_ci_u32_e64 v9, null, v73, v9, vcc_lo
	global_store_dwordx2 v[8:9], v[6:7], off
.LBB190_74:
	;; [unrolled: 31-line block ×31, first 2 shown]
	s_or_b32 exec_lo, exec_lo, s13
	v_add_nc_u32_e32 v68, 64, v71
	v_mad_i64_i32 v[64:65], null, v68, s43, 0
	v_mad_i64_i32 v[66:67], null, v68, s42, 0
	v_cmp_gt_i32_e64 s13, s41, v68
	v_lshlrev_b64 v[64:65], 3, v[64:65]
	s_and_b32 s4, s13, s4
	v_lshlrev_b64 v[66:67], 3, v[66:67]
	v_add_co_u32 v71, vcc_lo, s44, v64
	v_add_co_ci_u32_e64 v72, null, s45, v65, vcc_lo
	v_add_co_u32 v68, vcc_lo, s47, v66
	v_add_co_ci_u32_e64 v69, null, s48, v67, vcc_lo
	s_and_saveexec_b32 s40, s4
	s_xor_b32 s4, exec_lo, s40
	s_cbranch_execnz .LBB190_252
; %bb.220:
	s_or_b32 exec_lo, exec_lo, s4
	s_and_b32 s5, s13, s5
	s_and_saveexec_b32 s4, s5
	s_cbranch_execnz .LBB190_256
.LBB190_221:
	s_or_b32 exec_lo, exec_lo, s4
	s_and_b32 s5, s13, s6
	s_and_saveexec_b32 s4, s5
	s_cbranch_execnz .LBB190_260
.LBB190_222:
	s_or_b32 exec_lo, exec_lo, s4
	s_and_b32 s5, s13, s7
	s_and_saveexec_b32 s4, s5
	s_cbranch_execnz .LBB190_264
.LBB190_223:
	s_or_b32 exec_lo, exec_lo, s4
	s_and_b32 s5, s13, s8
	s_and_saveexec_b32 s4, s5
	s_cbranch_execnz .LBB190_268
.LBB190_224:
	s_or_b32 exec_lo, exec_lo, s4
	s_and_b32 s5, s13, s9
	s_and_saveexec_b32 s4, s5
	s_cbranch_execnz .LBB190_272
.LBB190_225:
	s_or_b32 exec_lo, exec_lo, s4
	s_and_b32 s5, s13, s10
	s_and_saveexec_b32 s4, s5
	s_cbranch_execnz .LBB190_276
.LBB190_226:
	s_or_b32 exec_lo, exec_lo, s4
	s_and_b32 s5, s13, s11
	s_and_saveexec_b32 s4, s5
	s_cbranch_execnz .LBB190_280
.LBB190_227:
	s_or_b32 exec_lo, exec_lo, s4
	s_and_b32 s5, s13, s12
	s_and_saveexec_b32 s4, s5
	s_cbranch_execnz .LBB190_284
.LBB190_228:
	s_or_b32 exec_lo, exec_lo, s4
	s_and_b32 s5, s13, s14
	s_and_saveexec_b32 s4, s5
	s_cbranch_execnz .LBB190_288
.LBB190_229:
	s_or_b32 exec_lo, exec_lo, s4
	s_and_b32 s5, s13, s15
	s_and_saveexec_b32 s4, s5
	s_cbranch_execnz .LBB190_292
.LBB190_230:
	s_or_b32 exec_lo, exec_lo, s4
	s_and_b32 s5, s13, s16
	s_and_saveexec_b32 s4, s5
	s_cbranch_execnz .LBB190_296
.LBB190_231:
	s_or_b32 exec_lo, exec_lo, s4
	s_and_b32 s5, s13, s17
	s_and_saveexec_b32 s4, s5
	s_cbranch_execnz .LBB190_300
.LBB190_232:
	s_or_b32 exec_lo, exec_lo, s4
	s_and_b32 s5, s13, s18
	s_and_saveexec_b32 s4, s5
	s_cbranch_execnz .LBB190_304
.LBB190_233:
	s_or_b32 exec_lo, exec_lo, s4
	s_and_b32 s5, s13, s19
	s_and_saveexec_b32 s4, s5
	s_cbranch_execnz .LBB190_308
.LBB190_234:
	s_or_b32 exec_lo, exec_lo, s4
	s_and_b32 s5, s13, s20
	s_and_saveexec_b32 s4, s5
	s_cbranch_execnz .LBB190_312
.LBB190_235:
	s_or_b32 exec_lo, exec_lo, s4
	s_and_b32 s5, s13, s21
	s_and_saveexec_b32 s4, s5
	s_cbranch_execnz .LBB190_316
.LBB190_236:
	s_or_b32 exec_lo, exec_lo, s4
	s_and_b32 s5, s13, s22
	s_and_saveexec_b32 s4, s5
	s_cbranch_execnz .LBB190_320
.LBB190_237:
	s_or_b32 exec_lo, exec_lo, s4
	s_and_b32 s5, s13, s23
	s_and_saveexec_b32 s4, s5
	s_cbranch_execnz .LBB190_324
.LBB190_238:
	s_or_b32 exec_lo, exec_lo, s4
	s_and_b32 s5, s13, s24
	s_and_saveexec_b32 s4, s5
	s_cbranch_execnz .LBB190_328
.LBB190_239:
	s_or_b32 exec_lo, exec_lo, s4
	s_and_b32 s5, s13, s25
	s_and_saveexec_b32 s4, s5
	s_cbranch_execnz .LBB190_332
.LBB190_240:
	s_or_b32 exec_lo, exec_lo, s4
	s_and_b32 s5, s13, s26
	s_and_saveexec_b32 s4, s5
	s_cbranch_execnz .LBB190_336
.LBB190_241:
	s_or_b32 exec_lo, exec_lo, s4
	s_and_b32 s5, s13, s27
	s_and_saveexec_b32 s4, s5
	s_cbranch_execnz .LBB190_340
.LBB190_242:
	s_or_b32 exec_lo, exec_lo, s4
	s_and_b32 s5, s13, s28
	s_and_saveexec_b32 s4, s5
	s_cbranch_execnz .LBB190_344
.LBB190_243:
	s_or_b32 exec_lo, exec_lo, s4
	s_and_b32 s5, s13, s29
	s_and_saveexec_b32 s4, s5
	s_cbranch_execnz .LBB190_348
.LBB190_244:
	s_or_b32 exec_lo, exec_lo, s4
	s_and_b32 s5, s13, s30
	s_and_saveexec_b32 s4, s5
	s_cbranch_execnz .LBB190_352
.LBB190_245:
	s_or_b32 exec_lo, exec_lo, s4
	s_and_b32 s5, s13, s31
	s_and_saveexec_b32 s4, s5
	s_cbranch_execnz .LBB190_356
.LBB190_246:
	s_or_b32 exec_lo, exec_lo, s4
	s_and_b32 s5, s13, s33
	s_and_saveexec_b32 s4, s5
	s_cbranch_execnz .LBB190_360
.LBB190_247:
	s_or_b32 exec_lo, exec_lo, s4
	s_and_b32 s5, s13, s34
	s_and_saveexec_b32 s4, s5
	s_cbranch_execnz .LBB190_364
.LBB190_248:
	s_or_b32 exec_lo, exec_lo, s4
	s_and_b32 s5, s13, s35
	s_and_saveexec_b32 s4, s5
	s_cbranch_execnz .LBB190_368
.LBB190_249:
	s_or_b32 exec_lo, exec_lo, s4
	s_and_b32 s5, s13, s36
	s_and_saveexec_b32 s4, s5
	s_cbranch_execnz .LBB190_372
.LBB190_250:
	s_or_b32 exec_lo, exec_lo, s4
	s_and_b32 s4, s13, s37
	s_and_saveexec_b32 s5, s4
	s_cbranch_execnz .LBB190_376
.LBB190_251:
	s_endpgm
.LBB190_252:
	s_clause 0x1
	buffer_load_dword v64, off, s[0:3], 0 offset:256
	buffer_load_dword v65, off, s[0:3], 0 offset:260
	v_lshlrev_b64 v[0:1], 3, v[0:1]
	s_andn2_b32 vcc_lo, exec_lo, s46
	s_cbranch_vccnz .LBB190_254
; %bb.253:
	v_add_co_u32 v66, vcc_lo, v71, v0
	v_add_co_ci_u32_e64 v67, null, v72, v1, vcc_lo
	global_load_dwordx2 v[66:67], v[66:67], off
	s_waitcnt vmcnt(0)
	v_mul_f64 v[66:67], s[38:39], v[66:67]
	s_branch .LBB190_255
.LBB190_254:
	v_mov_b32_e32 v66, 0
	v_mov_b32_e32 v67, 0
.LBB190_255:
	s_waitcnt vmcnt(0)
	v_add_f64 v[64:65], v[64:65], v[66:67]
	v_add_co_u32 v0, vcc_lo, v68, v0
	v_add_co_ci_u32_e64 v1, null, v69, v1, vcc_lo
	global_store_dwordx2 v[0:1], v[64:65], off
	s_or_b32 exec_lo, exec_lo, s4
	s_and_b32 s5, s13, s5
	s_and_saveexec_b32 s4, s5
	s_cbranch_execz .LBB190_221
.LBB190_256:
	s_clause 0x1
	buffer_load_dword v0, off, s[0:3], 0 offset:264
	buffer_load_dword v1, off, s[0:3], 0 offset:268
	v_cmp_ne_u32_e32 vcc_lo, 1, v70
	v_lshlrev_b64 v[2:3], 3, v[2:3]
	s_cbranch_vccnz .LBB190_258
; %bb.257:
	v_add_co_u32 v64, vcc_lo, v71, v2
	v_add_co_ci_u32_e64 v65, null, v72, v3, vcc_lo
	global_load_dwordx2 v[64:65], v[64:65], off
	s_waitcnt vmcnt(0)
	v_mul_f64 v[64:65], s[38:39], v[64:65]
	s_branch .LBB190_259
.LBB190_258:
	v_mov_b32_e32 v64, 0
	v_mov_b32_e32 v65, 0
.LBB190_259:
	s_waitcnt vmcnt(0)
	v_add_f64 v[0:1], v[0:1], v[64:65]
	v_add_co_u32 v2, vcc_lo, v68, v2
	v_add_co_ci_u32_e64 v3, null, v69, v3, vcc_lo
	global_store_dwordx2 v[2:3], v[0:1], off
	s_or_b32 exec_lo, exec_lo, s4
	s_and_b32 s5, s13, s6
	s_and_saveexec_b32 s4, s5
	s_cbranch_execz .LBB190_222
.LBB190_260:
	s_clause 0x1
	buffer_load_dword v0, off, s[0:3], 0 offset:272
	buffer_load_dword v1, off, s[0:3], 0 offset:276
	v_cmp_ne_u32_e32 vcc_lo, 1, v70
	v_lshlrev_b64 v[2:3], 3, v[4:5]
	s_cbranch_vccnz .LBB190_262
; %bb.261:
	v_add_co_u32 v4, vcc_lo, v71, v2
	v_add_co_ci_u32_e64 v5, null, v72, v3, vcc_lo
	global_load_dwordx2 v[4:5], v[4:5], off
	s_waitcnt vmcnt(0)
	v_mul_f64 v[4:5], s[38:39], v[4:5]
	s_branch .LBB190_263
.LBB190_262:
	v_mov_b32_e32 v4, 0
	v_mov_b32_e32 v5, 0
.LBB190_263:
	s_waitcnt vmcnt(0)
	v_add_f64 v[0:1], v[0:1], v[4:5]
	v_add_co_u32 v2, vcc_lo, v68, v2
	v_add_co_ci_u32_e64 v3, null, v69, v3, vcc_lo
	global_store_dwordx2 v[2:3], v[0:1], off
	s_or_b32 exec_lo, exec_lo, s4
	s_and_b32 s5, s13, s7
	s_and_saveexec_b32 s4, s5
	s_cbranch_execz .LBB190_223
.LBB190_264:
	s_clause 0x1
	buffer_load_dword v0, off, s[0:3], 0 offset:280
	buffer_load_dword v1, off, s[0:3], 0 offset:284
	v_cmp_ne_u32_e32 vcc_lo, 1, v70
	v_lshlrev_b64 v[2:3], 3, v[6:7]
	s_cbranch_vccnz .LBB190_266
; %bb.265:
	v_add_co_u32 v4, vcc_lo, v71, v2
	v_add_co_ci_u32_e64 v5, null, v72, v3, vcc_lo
	global_load_dwordx2 v[4:5], v[4:5], off
	s_waitcnt vmcnt(0)
	v_mul_f64 v[4:5], s[38:39], v[4:5]
	s_branch .LBB190_267
.LBB190_266:
	v_mov_b32_e32 v4, 0
	v_mov_b32_e32 v5, 0
.LBB190_267:
	s_waitcnt vmcnt(0)
	v_add_f64 v[0:1], v[0:1], v[4:5]
	v_add_co_u32 v2, vcc_lo, v68, v2
	v_add_co_ci_u32_e64 v3, null, v69, v3, vcc_lo
	global_store_dwordx2 v[2:3], v[0:1], off
	s_or_b32 exec_lo, exec_lo, s4
	s_and_b32 s5, s13, s8
	s_and_saveexec_b32 s4, s5
	s_cbranch_execz .LBB190_224
.LBB190_268:
	s_clause 0x1
	buffer_load_dword v0, off, s[0:3], 0 offset:288
	buffer_load_dword v1, off, s[0:3], 0 offset:292
	v_cmp_ne_u32_e32 vcc_lo, 1, v70
	v_lshlrev_b64 v[2:3], 3, v[8:9]
	s_cbranch_vccnz .LBB190_270
; %bb.269:
	v_add_co_u32 v4, vcc_lo, v71, v2
	v_add_co_ci_u32_e64 v5, null, v72, v3, vcc_lo
	global_load_dwordx2 v[4:5], v[4:5], off
	s_waitcnt vmcnt(0)
	v_mul_f64 v[4:5], s[38:39], v[4:5]
	s_branch .LBB190_271
.LBB190_270:
	v_mov_b32_e32 v4, 0
	v_mov_b32_e32 v5, 0
.LBB190_271:
	s_waitcnt vmcnt(0)
	v_add_f64 v[0:1], v[0:1], v[4:5]
	v_add_co_u32 v2, vcc_lo, v68, v2
	v_add_co_ci_u32_e64 v3, null, v69, v3, vcc_lo
	global_store_dwordx2 v[2:3], v[0:1], off
	s_or_b32 exec_lo, exec_lo, s4
	s_and_b32 s5, s13, s9
	s_and_saveexec_b32 s4, s5
	s_cbranch_execz .LBB190_225
.LBB190_272:
	s_clause 0x1
	buffer_load_dword v0, off, s[0:3], 0 offset:296
	buffer_load_dword v1, off, s[0:3], 0 offset:300
	v_cmp_ne_u32_e32 vcc_lo, 1, v70
	v_lshlrev_b64 v[2:3], 3, v[10:11]
	s_cbranch_vccnz .LBB190_274
; %bb.273:
	v_add_co_u32 v4, vcc_lo, v71, v2
	v_add_co_ci_u32_e64 v5, null, v72, v3, vcc_lo
	global_load_dwordx2 v[4:5], v[4:5], off
	s_waitcnt vmcnt(0)
	v_mul_f64 v[4:5], s[38:39], v[4:5]
	s_branch .LBB190_275
.LBB190_274:
	v_mov_b32_e32 v4, 0
	v_mov_b32_e32 v5, 0
.LBB190_275:
	s_waitcnt vmcnt(0)
	v_add_f64 v[0:1], v[0:1], v[4:5]
	v_add_co_u32 v2, vcc_lo, v68, v2
	v_add_co_ci_u32_e64 v3, null, v69, v3, vcc_lo
	global_store_dwordx2 v[2:3], v[0:1], off
	s_or_b32 exec_lo, exec_lo, s4
	s_and_b32 s5, s13, s10
	s_and_saveexec_b32 s4, s5
	s_cbranch_execz .LBB190_226
.LBB190_276:
	s_clause 0x1
	buffer_load_dword v0, off, s[0:3], 0 offset:304
	buffer_load_dword v1, off, s[0:3], 0 offset:308
	v_cmp_ne_u32_e32 vcc_lo, 1, v70
	v_lshlrev_b64 v[2:3], 3, v[12:13]
	s_cbranch_vccnz .LBB190_278
; %bb.277:
	v_add_co_u32 v4, vcc_lo, v71, v2
	v_add_co_ci_u32_e64 v5, null, v72, v3, vcc_lo
	global_load_dwordx2 v[4:5], v[4:5], off
	s_waitcnt vmcnt(0)
	v_mul_f64 v[4:5], s[38:39], v[4:5]
	s_branch .LBB190_279
.LBB190_278:
	v_mov_b32_e32 v4, 0
	v_mov_b32_e32 v5, 0
.LBB190_279:
	s_waitcnt vmcnt(0)
	v_add_f64 v[0:1], v[0:1], v[4:5]
	v_add_co_u32 v2, vcc_lo, v68, v2
	v_add_co_ci_u32_e64 v3, null, v69, v3, vcc_lo
	global_store_dwordx2 v[2:3], v[0:1], off
	s_or_b32 exec_lo, exec_lo, s4
	s_and_b32 s5, s13, s11
	s_and_saveexec_b32 s4, s5
	s_cbranch_execz .LBB190_227
.LBB190_280:
	s_clause 0x1
	buffer_load_dword v0, off, s[0:3], 0 offset:312
	buffer_load_dword v1, off, s[0:3], 0 offset:316
	v_cmp_ne_u32_e32 vcc_lo, 1, v70
	v_lshlrev_b64 v[2:3], 3, v[14:15]
	s_cbranch_vccnz .LBB190_282
; %bb.281:
	v_add_co_u32 v4, vcc_lo, v71, v2
	v_add_co_ci_u32_e64 v5, null, v72, v3, vcc_lo
	global_load_dwordx2 v[4:5], v[4:5], off
	s_waitcnt vmcnt(0)
	v_mul_f64 v[4:5], s[38:39], v[4:5]
	s_branch .LBB190_283
.LBB190_282:
	v_mov_b32_e32 v4, 0
	v_mov_b32_e32 v5, 0
.LBB190_283:
	s_waitcnt vmcnt(0)
	v_add_f64 v[0:1], v[0:1], v[4:5]
	v_add_co_u32 v2, vcc_lo, v68, v2
	v_add_co_ci_u32_e64 v3, null, v69, v3, vcc_lo
	global_store_dwordx2 v[2:3], v[0:1], off
	s_or_b32 exec_lo, exec_lo, s4
	s_and_b32 s5, s13, s12
	s_and_saveexec_b32 s4, s5
	s_cbranch_execz .LBB190_228
.LBB190_284:
	s_clause 0x1
	buffer_load_dword v0, off, s[0:3], 0 offset:320
	buffer_load_dword v1, off, s[0:3], 0 offset:324
	v_cmp_ne_u32_e32 vcc_lo, 1, v70
	v_lshlrev_b64 v[2:3], 3, v[16:17]
	s_cbranch_vccnz .LBB190_286
; %bb.285:
	v_add_co_u32 v4, vcc_lo, v71, v2
	v_add_co_ci_u32_e64 v5, null, v72, v3, vcc_lo
	global_load_dwordx2 v[4:5], v[4:5], off
	s_waitcnt vmcnt(0)
	v_mul_f64 v[4:5], s[38:39], v[4:5]
	s_branch .LBB190_287
.LBB190_286:
	v_mov_b32_e32 v4, 0
	v_mov_b32_e32 v5, 0
.LBB190_287:
	s_waitcnt vmcnt(0)
	v_add_f64 v[0:1], v[0:1], v[4:5]
	v_add_co_u32 v2, vcc_lo, v68, v2
	v_add_co_ci_u32_e64 v3, null, v69, v3, vcc_lo
	global_store_dwordx2 v[2:3], v[0:1], off
	s_or_b32 exec_lo, exec_lo, s4
	s_and_b32 s5, s13, s14
	s_and_saveexec_b32 s4, s5
	s_cbranch_execz .LBB190_229
.LBB190_288:
	s_clause 0x1
	buffer_load_dword v0, off, s[0:3], 0 offset:328
	buffer_load_dword v1, off, s[0:3], 0 offset:332
	v_cmp_ne_u32_e32 vcc_lo, 1, v70
	v_lshlrev_b64 v[2:3], 3, v[18:19]
	s_cbranch_vccnz .LBB190_290
; %bb.289:
	v_add_co_u32 v4, vcc_lo, v71, v2
	v_add_co_ci_u32_e64 v5, null, v72, v3, vcc_lo
	global_load_dwordx2 v[4:5], v[4:5], off
	s_waitcnt vmcnt(0)
	v_mul_f64 v[4:5], s[38:39], v[4:5]
	s_branch .LBB190_291
.LBB190_290:
	v_mov_b32_e32 v4, 0
	v_mov_b32_e32 v5, 0
.LBB190_291:
	s_waitcnt vmcnt(0)
	v_add_f64 v[0:1], v[0:1], v[4:5]
	v_add_co_u32 v2, vcc_lo, v68, v2
	v_add_co_ci_u32_e64 v3, null, v69, v3, vcc_lo
	global_store_dwordx2 v[2:3], v[0:1], off
	s_or_b32 exec_lo, exec_lo, s4
	s_and_b32 s5, s13, s15
	s_and_saveexec_b32 s4, s5
	s_cbranch_execz .LBB190_230
.LBB190_292:
	s_clause 0x1
	buffer_load_dword v0, off, s[0:3], 0 offset:336
	buffer_load_dword v1, off, s[0:3], 0 offset:340
	v_cmp_ne_u32_e32 vcc_lo, 1, v70
	v_lshlrev_b64 v[2:3], 3, v[20:21]
	s_cbranch_vccnz .LBB190_294
; %bb.293:
	v_add_co_u32 v4, vcc_lo, v71, v2
	v_add_co_ci_u32_e64 v5, null, v72, v3, vcc_lo
	global_load_dwordx2 v[4:5], v[4:5], off
	s_waitcnt vmcnt(0)
	v_mul_f64 v[4:5], s[38:39], v[4:5]
	s_branch .LBB190_295
.LBB190_294:
	v_mov_b32_e32 v4, 0
	v_mov_b32_e32 v5, 0
.LBB190_295:
	s_waitcnt vmcnt(0)
	v_add_f64 v[0:1], v[0:1], v[4:5]
	v_add_co_u32 v2, vcc_lo, v68, v2
	v_add_co_ci_u32_e64 v3, null, v69, v3, vcc_lo
	global_store_dwordx2 v[2:3], v[0:1], off
	s_or_b32 exec_lo, exec_lo, s4
	s_and_b32 s5, s13, s16
	s_and_saveexec_b32 s4, s5
	s_cbranch_execz .LBB190_231
.LBB190_296:
	s_clause 0x1
	buffer_load_dword v0, off, s[0:3], 0 offset:344
	buffer_load_dword v1, off, s[0:3], 0 offset:348
	v_cmp_ne_u32_e32 vcc_lo, 1, v70
	v_lshlrev_b64 v[2:3], 3, v[22:23]
	s_cbranch_vccnz .LBB190_298
; %bb.297:
	v_add_co_u32 v4, vcc_lo, v71, v2
	v_add_co_ci_u32_e64 v5, null, v72, v3, vcc_lo
	global_load_dwordx2 v[4:5], v[4:5], off
	s_waitcnt vmcnt(0)
	v_mul_f64 v[4:5], s[38:39], v[4:5]
	s_branch .LBB190_299
.LBB190_298:
	v_mov_b32_e32 v4, 0
	v_mov_b32_e32 v5, 0
.LBB190_299:
	s_waitcnt vmcnt(0)
	v_add_f64 v[0:1], v[0:1], v[4:5]
	v_add_co_u32 v2, vcc_lo, v68, v2
	v_add_co_ci_u32_e64 v3, null, v69, v3, vcc_lo
	global_store_dwordx2 v[2:3], v[0:1], off
	s_or_b32 exec_lo, exec_lo, s4
	s_and_b32 s5, s13, s17
	s_and_saveexec_b32 s4, s5
	s_cbranch_execz .LBB190_232
.LBB190_300:
	s_clause 0x1
	buffer_load_dword v0, off, s[0:3], 0 offset:352
	buffer_load_dword v1, off, s[0:3], 0 offset:356
	v_cmp_ne_u32_e32 vcc_lo, 1, v70
	v_lshlrev_b64 v[2:3], 3, v[24:25]
	s_cbranch_vccnz .LBB190_302
; %bb.301:
	v_add_co_u32 v4, vcc_lo, v71, v2
	v_add_co_ci_u32_e64 v5, null, v72, v3, vcc_lo
	global_load_dwordx2 v[4:5], v[4:5], off
	s_waitcnt vmcnt(0)
	v_mul_f64 v[4:5], s[38:39], v[4:5]
	s_branch .LBB190_303
.LBB190_302:
	v_mov_b32_e32 v4, 0
	v_mov_b32_e32 v5, 0
.LBB190_303:
	s_waitcnt vmcnt(0)
	v_add_f64 v[0:1], v[0:1], v[4:5]
	v_add_co_u32 v2, vcc_lo, v68, v2
	v_add_co_ci_u32_e64 v3, null, v69, v3, vcc_lo
	global_store_dwordx2 v[2:3], v[0:1], off
	s_or_b32 exec_lo, exec_lo, s4
	s_and_b32 s5, s13, s18
	s_and_saveexec_b32 s4, s5
	s_cbranch_execz .LBB190_233
.LBB190_304:
	s_clause 0x1
	buffer_load_dword v0, off, s[0:3], 0 offset:360
	buffer_load_dword v1, off, s[0:3], 0 offset:364
	v_cmp_ne_u32_e32 vcc_lo, 1, v70
	v_lshlrev_b64 v[2:3], 3, v[26:27]
	s_cbranch_vccnz .LBB190_306
; %bb.305:
	v_add_co_u32 v4, vcc_lo, v71, v2
	v_add_co_ci_u32_e64 v5, null, v72, v3, vcc_lo
	global_load_dwordx2 v[4:5], v[4:5], off
	s_waitcnt vmcnt(0)
	v_mul_f64 v[4:5], s[38:39], v[4:5]
	s_branch .LBB190_307
.LBB190_306:
	v_mov_b32_e32 v4, 0
	v_mov_b32_e32 v5, 0
.LBB190_307:
	s_waitcnt vmcnt(0)
	v_add_f64 v[0:1], v[0:1], v[4:5]
	v_add_co_u32 v2, vcc_lo, v68, v2
	v_add_co_ci_u32_e64 v3, null, v69, v3, vcc_lo
	global_store_dwordx2 v[2:3], v[0:1], off
	s_or_b32 exec_lo, exec_lo, s4
	s_and_b32 s5, s13, s19
	s_and_saveexec_b32 s4, s5
	s_cbranch_execz .LBB190_234
.LBB190_308:
	s_clause 0x1
	buffer_load_dword v0, off, s[0:3], 0 offset:368
	buffer_load_dword v1, off, s[0:3], 0 offset:372
	v_cmp_ne_u32_e32 vcc_lo, 1, v70
	v_lshlrev_b64 v[2:3], 3, v[28:29]
	s_cbranch_vccnz .LBB190_310
; %bb.309:
	v_add_co_u32 v4, vcc_lo, v71, v2
	v_add_co_ci_u32_e64 v5, null, v72, v3, vcc_lo
	global_load_dwordx2 v[4:5], v[4:5], off
	s_waitcnt vmcnt(0)
	v_mul_f64 v[4:5], s[38:39], v[4:5]
	s_branch .LBB190_311
.LBB190_310:
	v_mov_b32_e32 v4, 0
	v_mov_b32_e32 v5, 0
.LBB190_311:
	s_waitcnt vmcnt(0)
	v_add_f64 v[0:1], v[0:1], v[4:5]
	v_add_co_u32 v2, vcc_lo, v68, v2
	v_add_co_ci_u32_e64 v3, null, v69, v3, vcc_lo
	global_store_dwordx2 v[2:3], v[0:1], off
	s_or_b32 exec_lo, exec_lo, s4
	s_and_b32 s5, s13, s20
	s_and_saveexec_b32 s4, s5
	s_cbranch_execz .LBB190_235
.LBB190_312:
	s_clause 0x1
	buffer_load_dword v0, off, s[0:3], 0 offset:376
	buffer_load_dword v1, off, s[0:3], 0 offset:380
	v_cmp_ne_u32_e32 vcc_lo, 1, v70
	v_lshlrev_b64 v[2:3], 3, v[30:31]
	s_cbranch_vccnz .LBB190_314
; %bb.313:
	v_add_co_u32 v4, vcc_lo, v71, v2
	v_add_co_ci_u32_e64 v5, null, v72, v3, vcc_lo
	global_load_dwordx2 v[4:5], v[4:5], off
	s_waitcnt vmcnt(0)
	v_mul_f64 v[4:5], s[38:39], v[4:5]
	s_branch .LBB190_315
.LBB190_314:
	v_mov_b32_e32 v4, 0
	v_mov_b32_e32 v5, 0
.LBB190_315:
	s_waitcnt vmcnt(0)
	v_add_f64 v[0:1], v[0:1], v[4:5]
	v_add_co_u32 v2, vcc_lo, v68, v2
	v_add_co_ci_u32_e64 v3, null, v69, v3, vcc_lo
	global_store_dwordx2 v[2:3], v[0:1], off
	s_or_b32 exec_lo, exec_lo, s4
	s_and_b32 s5, s13, s21
	s_and_saveexec_b32 s4, s5
	s_cbranch_execz .LBB190_236
.LBB190_316:
	s_clause 0x1
	buffer_load_dword v0, off, s[0:3], 0 offset:384
	buffer_load_dword v1, off, s[0:3], 0 offset:388
	v_cmp_ne_u32_e32 vcc_lo, 1, v70
	v_lshlrev_b64 v[2:3], 3, v[32:33]
	s_cbranch_vccnz .LBB190_318
; %bb.317:
	v_add_co_u32 v4, vcc_lo, v71, v2
	v_add_co_ci_u32_e64 v5, null, v72, v3, vcc_lo
	global_load_dwordx2 v[4:5], v[4:5], off
	s_waitcnt vmcnt(0)
	v_mul_f64 v[4:5], s[38:39], v[4:5]
	s_branch .LBB190_319
.LBB190_318:
	v_mov_b32_e32 v4, 0
	v_mov_b32_e32 v5, 0
.LBB190_319:
	s_waitcnt vmcnt(0)
	v_add_f64 v[0:1], v[0:1], v[4:5]
	v_add_co_u32 v2, vcc_lo, v68, v2
	v_add_co_ci_u32_e64 v3, null, v69, v3, vcc_lo
	global_store_dwordx2 v[2:3], v[0:1], off
	s_or_b32 exec_lo, exec_lo, s4
	s_and_b32 s5, s13, s22
	s_and_saveexec_b32 s4, s5
	s_cbranch_execz .LBB190_237
.LBB190_320:
	s_clause 0x1
	buffer_load_dword v0, off, s[0:3], 0 offset:392
	buffer_load_dword v1, off, s[0:3], 0 offset:396
	v_cmp_ne_u32_e32 vcc_lo, 1, v70
	v_lshlrev_b64 v[2:3], 3, v[34:35]
	s_cbranch_vccnz .LBB190_322
; %bb.321:
	v_add_co_u32 v4, vcc_lo, v71, v2
	v_add_co_ci_u32_e64 v5, null, v72, v3, vcc_lo
	global_load_dwordx2 v[4:5], v[4:5], off
	s_waitcnt vmcnt(0)
	v_mul_f64 v[4:5], s[38:39], v[4:5]
	s_branch .LBB190_323
.LBB190_322:
	v_mov_b32_e32 v4, 0
	v_mov_b32_e32 v5, 0
.LBB190_323:
	s_waitcnt vmcnt(0)
	v_add_f64 v[0:1], v[0:1], v[4:5]
	v_add_co_u32 v2, vcc_lo, v68, v2
	v_add_co_ci_u32_e64 v3, null, v69, v3, vcc_lo
	global_store_dwordx2 v[2:3], v[0:1], off
	s_or_b32 exec_lo, exec_lo, s4
	s_and_b32 s5, s13, s23
	s_and_saveexec_b32 s4, s5
	s_cbranch_execz .LBB190_238
.LBB190_324:
	s_clause 0x1
	buffer_load_dword v0, off, s[0:3], 0 offset:400
	buffer_load_dword v1, off, s[0:3], 0 offset:404
	v_cmp_ne_u32_e32 vcc_lo, 1, v70
	v_lshlrev_b64 v[2:3], 3, v[36:37]
	s_cbranch_vccnz .LBB190_326
; %bb.325:
	v_add_co_u32 v4, vcc_lo, v71, v2
	v_add_co_ci_u32_e64 v5, null, v72, v3, vcc_lo
	global_load_dwordx2 v[4:5], v[4:5], off
	s_waitcnt vmcnt(0)
	v_mul_f64 v[4:5], s[38:39], v[4:5]
	s_branch .LBB190_327
.LBB190_326:
	v_mov_b32_e32 v4, 0
	v_mov_b32_e32 v5, 0
.LBB190_327:
	s_waitcnt vmcnt(0)
	v_add_f64 v[0:1], v[0:1], v[4:5]
	v_add_co_u32 v2, vcc_lo, v68, v2
	v_add_co_ci_u32_e64 v3, null, v69, v3, vcc_lo
	global_store_dwordx2 v[2:3], v[0:1], off
	s_or_b32 exec_lo, exec_lo, s4
	s_and_b32 s5, s13, s24
	s_and_saveexec_b32 s4, s5
	s_cbranch_execz .LBB190_239
.LBB190_328:
	s_clause 0x1
	buffer_load_dword v0, off, s[0:3], 0 offset:408
	buffer_load_dword v1, off, s[0:3], 0 offset:412
	v_cmp_ne_u32_e32 vcc_lo, 1, v70
	v_lshlrev_b64 v[2:3], 3, v[38:39]
	s_cbranch_vccnz .LBB190_330
; %bb.329:
	v_add_co_u32 v4, vcc_lo, v71, v2
	v_add_co_ci_u32_e64 v5, null, v72, v3, vcc_lo
	global_load_dwordx2 v[4:5], v[4:5], off
	s_waitcnt vmcnt(0)
	v_mul_f64 v[4:5], s[38:39], v[4:5]
	s_branch .LBB190_331
.LBB190_330:
	v_mov_b32_e32 v4, 0
	v_mov_b32_e32 v5, 0
.LBB190_331:
	s_waitcnt vmcnt(0)
	v_add_f64 v[0:1], v[0:1], v[4:5]
	v_add_co_u32 v2, vcc_lo, v68, v2
	v_add_co_ci_u32_e64 v3, null, v69, v3, vcc_lo
	global_store_dwordx2 v[2:3], v[0:1], off
	s_or_b32 exec_lo, exec_lo, s4
	s_and_b32 s5, s13, s25
	s_and_saveexec_b32 s4, s5
	s_cbranch_execz .LBB190_240
.LBB190_332:
	s_clause 0x1
	buffer_load_dword v0, off, s[0:3], 0 offset:416
	buffer_load_dword v1, off, s[0:3], 0 offset:420
	v_cmp_ne_u32_e32 vcc_lo, 1, v70
	v_lshlrev_b64 v[2:3], 3, v[40:41]
	s_cbranch_vccnz .LBB190_334
; %bb.333:
	v_add_co_u32 v4, vcc_lo, v71, v2
	v_add_co_ci_u32_e64 v5, null, v72, v3, vcc_lo
	global_load_dwordx2 v[4:5], v[4:5], off
	s_waitcnt vmcnt(0)
	v_mul_f64 v[4:5], s[38:39], v[4:5]
	s_branch .LBB190_335
.LBB190_334:
	v_mov_b32_e32 v4, 0
	v_mov_b32_e32 v5, 0
.LBB190_335:
	s_waitcnt vmcnt(0)
	v_add_f64 v[0:1], v[0:1], v[4:5]
	v_add_co_u32 v2, vcc_lo, v68, v2
	v_add_co_ci_u32_e64 v3, null, v69, v3, vcc_lo
	global_store_dwordx2 v[2:3], v[0:1], off
	s_or_b32 exec_lo, exec_lo, s4
	s_and_b32 s5, s13, s26
	s_and_saveexec_b32 s4, s5
	s_cbranch_execz .LBB190_241
.LBB190_336:
	s_clause 0x1
	buffer_load_dword v0, off, s[0:3], 0 offset:424
	buffer_load_dword v1, off, s[0:3], 0 offset:428
	v_cmp_ne_u32_e32 vcc_lo, 1, v70
	v_lshlrev_b64 v[2:3], 3, v[42:43]
	s_cbranch_vccnz .LBB190_338
; %bb.337:
	v_add_co_u32 v4, vcc_lo, v71, v2
	v_add_co_ci_u32_e64 v5, null, v72, v3, vcc_lo
	global_load_dwordx2 v[4:5], v[4:5], off
	s_waitcnt vmcnt(0)
	v_mul_f64 v[4:5], s[38:39], v[4:5]
	s_branch .LBB190_339
.LBB190_338:
	v_mov_b32_e32 v4, 0
	v_mov_b32_e32 v5, 0
.LBB190_339:
	s_waitcnt vmcnt(0)
	v_add_f64 v[0:1], v[0:1], v[4:5]
	v_add_co_u32 v2, vcc_lo, v68, v2
	v_add_co_ci_u32_e64 v3, null, v69, v3, vcc_lo
	global_store_dwordx2 v[2:3], v[0:1], off
	s_or_b32 exec_lo, exec_lo, s4
	s_and_b32 s5, s13, s27
	s_and_saveexec_b32 s4, s5
	s_cbranch_execz .LBB190_242
.LBB190_340:
	s_clause 0x1
	buffer_load_dword v0, off, s[0:3], 0 offset:432
	buffer_load_dword v1, off, s[0:3], 0 offset:436
	v_cmp_ne_u32_e32 vcc_lo, 1, v70
	v_lshlrev_b64 v[2:3], 3, v[44:45]
	s_cbranch_vccnz .LBB190_342
; %bb.341:
	v_add_co_u32 v4, vcc_lo, v71, v2
	v_add_co_ci_u32_e64 v5, null, v72, v3, vcc_lo
	global_load_dwordx2 v[4:5], v[4:5], off
	s_waitcnt vmcnt(0)
	v_mul_f64 v[4:5], s[38:39], v[4:5]
	s_branch .LBB190_343
.LBB190_342:
	v_mov_b32_e32 v4, 0
	v_mov_b32_e32 v5, 0
.LBB190_343:
	s_waitcnt vmcnt(0)
	v_add_f64 v[0:1], v[0:1], v[4:5]
	v_add_co_u32 v2, vcc_lo, v68, v2
	v_add_co_ci_u32_e64 v3, null, v69, v3, vcc_lo
	global_store_dwordx2 v[2:3], v[0:1], off
	s_or_b32 exec_lo, exec_lo, s4
	s_and_b32 s5, s13, s28
	s_and_saveexec_b32 s4, s5
	s_cbranch_execz .LBB190_243
.LBB190_344:
	s_clause 0x1
	buffer_load_dword v0, off, s[0:3], 0 offset:440
	buffer_load_dword v1, off, s[0:3], 0 offset:444
	v_cmp_ne_u32_e32 vcc_lo, 1, v70
	v_lshlrev_b64 v[2:3], 3, v[46:47]
	s_cbranch_vccnz .LBB190_346
; %bb.345:
	v_add_co_u32 v4, vcc_lo, v71, v2
	v_add_co_ci_u32_e64 v5, null, v72, v3, vcc_lo
	global_load_dwordx2 v[4:5], v[4:5], off
	s_waitcnt vmcnt(0)
	v_mul_f64 v[4:5], s[38:39], v[4:5]
	s_branch .LBB190_347
.LBB190_346:
	v_mov_b32_e32 v4, 0
	v_mov_b32_e32 v5, 0
.LBB190_347:
	s_waitcnt vmcnt(0)
	v_add_f64 v[0:1], v[0:1], v[4:5]
	v_add_co_u32 v2, vcc_lo, v68, v2
	v_add_co_ci_u32_e64 v3, null, v69, v3, vcc_lo
	global_store_dwordx2 v[2:3], v[0:1], off
	s_or_b32 exec_lo, exec_lo, s4
	s_and_b32 s5, s13, s29
	s_and_saveexec_b32 s4, s5
	s_cbranch_execz .LBB190_244
.LBB190_348:
	s_clause 0x1
	buffer_load_dword v0, off, s[0:3], 0 offset:448
	buffer_load_dword v1, off, s[0:3], 0 offset:452
	v_cmp_ne_u32_e32 vcc_lo, 1, v70
	v_lshlrev_b64 v[2:3], 3, v[48:49]
	s_cbranch_vccnz .LBB190_350
; %bb.349:
	v_add_co_u32 v4, vcc_lo, v71, v2
	v_add_co_ci_u32_e64 v5, null, v72, v3, vcc_lo
	global_load_dwordx2 v[4:5], v[4:5], off
	s_waitcnt vmcnt(0)
	v_mul_f64 v[4:5], s[38:39], v[4:5]
	s_branch .LBB190_351
.LBB190_350:
	v_mov_b32_e32 v4, 0
	v_mov_b32_e32 v5, 0
.LBB190_351:
	s_waitcnt vmcnt(0)
	v_add_f64 v[0:1], v[0:1], v[4:5]
	v_add_co_u32 v2, vcc_lo, v68, v2
	v_add_co_ci_u32_e64 v3, null, v69, v3, vcc_lo
	global_store_dwordx2 v[2:3], v[0:1], off
	s_or_b32 exec_lo, exec_lo, s4
	s_and_b32 s5, s13, s30
	s_and_saveexec_b32 s4, s5
	s_cbranch_execz .LBB190_245
.LBB190_352:
	s_clause 0x1
	buffer_load_dword v0, off, s[0:3], 0 offset:456
	buffer_load_dword v1, off, s[0:3], 0 offset:460
	v_cmp_ne_u32_e32 vcc_lo, 1, v70
	v_lshlrev_b64 v[2:3], 3, v[50:51]
	s_cbranch_vccnz .LBB190_354
; %bb.353:
	v_add_co_u32 v4, vcc_lo, v71, v2
	v_add_co_ci_u32_e64 v5, null, v72, v3, vcc_lo
	global_load_dwordx2 v[4:5], v[4:5], off
	s_waitcnt vmcnt(0)
	v_mul_f64 v[4:5], s[38:39], v[4:5]
	s_branch .LBB190_355
.LBB190_354:
	v_mov_b32_e32 v4, 0
	v_mov_b32_e32 v5, 0
.LBB190_355:
	s_waitcnt vmcnt(0)
	v_add_f64 v[0:1], v[0:1], v[4:5]
	v_add_co_u32 v2, vcc_lo, v68, v2
	v_add_co_ci_u32_e64 v3, null, v69, v3, vcc_lo
	global_store_dwordx2 v[2:3], v[0:1], off
	s_or_b32 exec_lo, exec_lo, s4
	s_and_b32 s5, s13, s31
	s_and_saveexec_b32 s4, s5
	s_cbranch_execz .LBB190_246
.LBB190_356:
	s_clause 0x1
	buffer_load_dword v0, off, s[0:3], 0 offset:464
	buffer_load_dword v1, off, s[0:3], 0 offset:468
	v_cmp_ne_u32_e32 vcc_lo, 1, v70
	v_lshlrev_b64 v[2:3], 3, v[52:53]
	s_cbranch_vccnz .LBB190_358
; %bb.357:
	v_add_co_u32 v4, vcc_lo, v71, v2
	v_add_co_ci_u32_e64 v5, null, v72, v3, vcc_lo
	global_load_dwordx2 v[4:5], v[4:5], off
	s_waitcnt vmcnt(0)
	v_mul_f64 v[4:5], s[38:39], v[4:5]
	s_branch .LBB190_359
.LBB190_358:
	v_mov_b32_e32 v4, 0
	v_mov_b32_e32 v5, 0
.LBB190_359:
	s_waitcnt vmcnt(0)
	v_add_f64 v[0:1], v[0:1], v[4:5]
	v_add_co_u32 v2, vcc_lo, v68, v2
	v_add_co_ci_u32_e64 v3, null, v69, v3, vcc_lo
	global_store_dwordx2 v[2:3], v[0:1], off
	s_or_b32 exec_lo, exec_lo, s4
	s_and_b32 s5, s13, s33
	s_and_saveexec_b32 s4, s5
	s_cbranch_execz .LBB190_247
.LBB190_360:
	s_clause 0x1
	buffer_load_dword v0, off, s[0:3], 0 offset:472
	buffer_load_dword v1, off, s[0:3], 0 offset:476
	v_cmp_ne_u32_e32 vcc_lo, 1, v70
	v_lshlrev_b64 v[2:3], 3, v[54:55]
	s_cbranch_vccnz .LBB190_362
; %bb.361:
	v_add_co_u32 v4, vcc_lo, v71, v2
	v_add_co_ci_u32_e64 v5, null, v72, v3, vcc_lo
	global_load_dwordx2 v[4:5], v[4:5], off
	s_waitcnt vmcnt(0)
	v_mul_f64 v[4:5], s[38:39], v[4:5]
	s_branch .LBB190_363
.LBB190_362:
	v_mov_b32_e32 v4, 0
	v_mov_b32_e32 v5, 0
.LBB190_363:
	s_waitcnt vmcnt(0)
	v_add_f64 v[0:1], v[0:1], v[4:5]
	v_add_co_u32 v2, vcc_lo, v68, v2
	v_add_co_ci_u32_e64 v3, null, v69, v3, vcc_lo
	global_store_dwordx2 v[2:3], v[0:1], off
	s_or_b32 exec_lo, exec_lo, s4
	s_and_b32 s5, s13, s34
	s_and_saveexec_b32 s4, s5
	s_cbranch_execz .LBB190_248
.LBB190_364:
	s_clause 0x1
	buffer_load_dword v0, off, s[0:3], 0 offset:480
	buffer_load_dword v1, off, s[0:3], 0 offset:484
	v_cmp_ne_u32_e32 vcc_lo, 1, v70
	v_lshlrev_b64 v[2:3], 3, v[56:57]
	s_cbranch_vccnz .LBB190_366
; %bb.365:
	v_add_co_u32 v4, vcc_lo, v71, v2
	v_add_co_ci_u32_e64 v5, null, v72, v3, vcc_lo
	global_load_dwordx2 v[4:5], v[4:5], off
	s_waitcnt vmcnt(0)
	v_mul_f64 v[4:5], s[38:39], v[4:5]
	s_branch .LBB190_367
.LBB190_366:
	v_mov_b32_e32 v4, 0
	v_mov_b32_e32 v5, 0
.LBB190_367:
	s_waitcnt vmcnt(0)
	v_add_f64 v[0:1], v[0:1], v[4:5]
	v_add_co_u32 v2, vcc_lo, v68, v2
	v_add_co_ci_u32_e64 v3, null, v69, v3, vcc_lo
	global_store_dwordx2 v[2:3], v[0:1], off
	s_or_b32 exec_lo, exec_lo, s4
	s_and_b32 s5, s13, s35
	s_and_saveexec_b32 s4, s5
	s_cbranch_execz .LBB190_249
.LBB190_368:
	s_clause 0x1
	buffer_load_dword v0, off, s[0:3], 0 offset:488
	buffer_load_dword v1, off, s[0:3], 0 offset:492
	v_cmp_ne_u32_e32 vcc_lo, 1, v70
	v_lshlrev_b64 v[2:3], 3, v[58:59]
	s_cbranch_vccnz .LBB190_370
; %bb.369:
	v_add_co_u32 v4, vcc_lo, v71, v2
	v_add_co_ci_u32_e64 v5, null, v72, v3, vcc_lo
	global_load_dwordx2 v[4:5], v[4:5], off
	s_waitcnt vmcnt(0)
	v_mul_f64 v[4:5], s[38:39], v[4:5]
	s_branch .LBB190_371
.LBB190_370:
	v_mov_b32_e32 v4, 0
	v_mov_b32_e32 v5, 0
.LBB190_371:
	s_waitcnt vmcnt(0)
	v_add_f64 v[0:1], v[0:1], v[4:5]
	v_add_co_u32 v2, vcc_lo, v68, v2
	v_add_co_ci_u32_e64 v3, null, v69, v3, vcc_lo
	global_store_dwordx2 v[2:3], v[0:1], off
	s_or_b32 exec_lo, exec_lo, s4
	s_and_b32 s5, s13, s36
	s_and_saveexec_b32 s4, s5
	s_cbranch_execz .LBB190_250
.LBB190_372:
	s_clause 0x1
	buffer_load_dword v0, off, s[0:3], 0 offset:496
	buffer_load_dword v1, off, s[0:3], 0 offset:500
	v_cmp_ne_u32_e32 vcc_lo, 1, v70
	v_lshlrev_b64 v[2:3], 3, v[60:61]
	s_cbranch_vccnz .LBB190_374
; %bb.373:
	v_add_co_u32 v4, vcc_lo, v71, v2
	v_add_co_ci_u32_e64 v5, null, v72, v3, vcc_lo
	global_load_dwordx2 v[4:5], v[4:5], off
	s_waitcnt vmcnt(0)
	v_mul_f64 v[4:5], s[38:39], v[4:5]
	s_branch .LBB190_375
.LBB190_374:
	v_mov_b32_e32 v4, 0
	v_mov_b32_e32 v5, 0
.LBB190_375:
	s_waitcnt vmcnt(0)
	v_add_f64 v[0:1], v[0:1], v[4:5]
	v_add_co_u32 v2, vcc_lo, v68, v2
	v_add_co_ci_u32_e64 v3, null, v69, v3, vcc_lo
	global_store_dwordx2 v[2:3], v[0:1], off
	s_or_b32 exec_lo, exec_lo, s4
	s_and_b32 s4, s13, s37
	s_and_saveexec_b32 s5, s4
	s_cbranch_execz .LBB190_251
.LBB190_376:
	s_clause 0x1
	buffer_load_dword v0, off, s[0:3], 0 offset:504
	buffer_load_dword v1, off, s[0:3], 0 offset:508
	v_cmp_ne_u32_e32 vcc_lo, 1, v70
	v_lshlrev_b64 v[2:3], 3, v[62:63]
	s_cbranch_vccnz .LBB190_378
; %bb.377:
	v_add_co_u32 v4, vcc_lo, v71, v2
	v_add_co_ci_u32_e64 v5, null, v72, v3, vcc_lo
	global_load_dwordx2 v[4:5], v[4:5], off
	s_waitcnt vmcnt(0)
	v_mul_f64 v[4:5], s[38:39], v[4:5]
	s_branch .LBB190_379
.LBB190_378:
	v_mov_b32_e32 v4, 0
	v_mov_b32_e32 v5, 0
.LBB190_379:
	s_waitcnt vmcnt(0)
	v_add_f64 v[0:1], v[0:1], v[4:5]
	v_add_co_u32 v2, vcc_lo, v68, v2
	v_add_co_ci_u32_e64 v3, null, v69, v3, vcc_lo
	global_store_dwordx2 v[2:3], v[0:1], off
	s_endpgm
	.section	.rodata,"a",@progbits
	.p2align	6, 0x0
	.amdhsa_kernel _ZN12_GLOBAL__N_120geam_min_plus_kernelIdddLi4ELi64ELi128ELi128ELi4ELi4ELi64ELi4ELi64ELc84ELc78ELb1ELb1ELb0EdKddEEviiiT16_PT17_ilS4_ilS2_S4_ilPT18_ili26rocblas_geam_ex_operation_
		.amdhsa_group_segment_fixed_size 16384
		.amdhsa_private_segment_fixed_size 528
		.amdhsa_kernarg_size 136
		.amdhsa_user_sgpr_count 6
		.amdhsa_user_sgpr_private_segment_buffer 1
		.amdhsa_user_sgpr_dispatch_ptr 0
		.amdhsa_user_sgpr_queue_ptr 0
		.amdhsa_user_sgpr_kernarg_segment_ptr 1
		.amdhsa_user_sgpr_dispatch_id 0
		.amdhsa_user_sgpr_flat_scratch_init 0
		.amdhsa_user_sgpr_private_segment_size 0
		.amdhsa_wavefront_size32 1
		.amdhsa_uses_dynamic_stack 0
		.amdhsa_system_sgpr_private_segment_wavefront_offset 1
		.amdhsa_system_sgpr_workgroup_id_x 1
		.amdhsa_system_sgpr_workgroup_id_y 0
		.amdhsa_system_sgpr_workgroup_id_z 1
		.amdhsa_system_sgpr_workgroup_info 0
		.amdhsa_system_vgpr_workitem_id 1
		.amdhsa_next_free_vgpr 120
		.amdhsa_next_free_sgpr 50
		.amdhsa_reserve_vcc 1
		.amdhsa_reserve_flat_scratch 0
		.amdhsa_float_round_mode_32 0
		.amdhsa_float_round_mode_16_64 0
		.amdhsa_float_denorm_mode_32 3
		.amdhsa_float_denorm_mode_16_64 3
		.amdhsa_dx10_clamp 1
		.amdhsa_ieee_mode 1
		.amdhsa_fp16_overflow 0
		.amdhsa_workgroup_processor_mode 1
		.amdhsa_memory_ordered 1
		.amdhsa_forward_progress 1
		.amdhsa_shared_vgpr_count 0
		.amdhsa_exception_fp_ieee_invalid_op 0
		.amdhsa_exception_fp_denorm_src 0
		.amdhsa_exception_fp_ieee_div_zero 0
		.amdhsa_exception_fp_ieee_overflow 0
		.amdhsa_exception_fp_ieee_underflow 0
		.amdhsa_exception_fp_ieee_inexact 0
		.amdhsa_exception_int_div_zero 0
	.end_amdhsa_kernel
	.section	.text._ZN12_GLOBAL__N_120geam_min_plus_kernelIdddLi4ELi64ELi128ELi128ELi4ELi4ELi64ELi4ELi64ELc84ELc78ELb1ELb1ELb0EdKddEEviiiT16_PT17_ilS4_ilS2_S4_ilPT18_ili26rocblas_geam_ex_operation_,"axG",@progbits,_ZN12_GLOBAL__N_120geam_min_plus_kernelIdddLi4ELi64ELi128ELi128ELi4ELi4ELi64ELi4ELi64ELc84ELc78ELb1ELb1ELb0EdKddEEviiiT16_PT17_ilS4_ilS2_S4_ilPT18_ili26rocblas_geam_ex_operation_,comdat
.Lfunc_end190:
	.size	_ZN12_GLOBAL__N_120geam_min_plus_kernelIdddLi4ELi64ELi128ELi128ELi4ELi4ELi64ELi4ELi64ELc84ELc78ELb1ELb1ELb0EdKddEEviiiT16_PT17_ilS4_ilS2_S4_ilPT18_ili26rocblas_geam_ex_operation_, .Lfunc_end190-_ZN12_GLOBAL__N_120geam_min_plus_kernelIdddLi4ELi64ELi128ELi128ELi4ELi4ELi64ELi4ELi64ELc84ELc78ELb1ELb1ELb0EdKddEEviiiT16_PT17_ilS4_ilS2_S4_ilPT18_ili26rocblas_geam_ex_operation_
                                        ; -- End function
	.set _ZN12_GLOBAL__N_120geam_min_plus_kernelIdddLi4ELi64ELi128ELi128ELi4ELi4ELi64ELi4ELi64ELc84ELc78ELb1ELb1ELb0EdKddEEviiiT16_PT17_ilS4_ilS2_S4_ilPT18_ili26rocblas_geam_ex_operation_.num_vgpr, 120
	.set _ZN12_GLOBAL__N_120geam_min_plus_kernelIdddLi4ELi64ELi128ELi128ELi4ELi4ELi64ELi4ELi64ELc84ELc78ELb1ELb1ELb0EdKddEEviiiT16_PT17_ilS4_ilS2_S4_ilPT18_ili26rocblas_geam_ex_operation_.num_agpr, 0
	.set _ZN12_GLOBAL__N_120geam_min_plus_kernelIdddLi4ELi64ELi128ELi128ELi4ELi4ELi64ELi4ELi64ELc84ELc78ELb1ELb1ELb0EdKddEEviiiT16_PT17_ilS4_ilS2_S4_ilPT18_ili26rocblas_geam_ex_operation_.numbered_sgpr, 50
	.set _ZN12_GLOBAL__N_120geam_min_plus_kernelIdddLi4ELi64ELi128ELi128ELi4ELi4ELi64ELi4ELi64ELc84ELc78ELb1ELb1ELb0EdKddEEviiiT16_PT17_ilS4_ilS2_S4_ilPT18_ili26rocblas_geam_ex_operation_.num_named_barrier, 0
	.set _ZN12_GLOBAL__N_120geam_min_plus_kernelIdddLi4ELi64ELi128ELi128ELi4ELi4ELi64ELi4ELi64ELc84ELc78ELb1ELb1ELb0EdKddEEviiiT16_PT17_ilS4_ilS2_S4_ilPT18_ili26rocblas_geam_ex_operation_.private_seg_size, 528
	.set _ZN12_GLOBAL__N_120geam_min_plus_kernelIdddLi4ELi64ELi128ELi128ELi4ELi4ELi64ELi4ELi64ELc84ELc78ELb1ELb1ELb0EdKddEEviiiT16_PT17_ilS4_ilS2_S4_ilPT18_ili26rocblas_geam_ex_operation_.uses_vcc, 1
	.set _ZN12_GLOBAL__N_120geam_min_plus_kernelIdddLi4ELi64ELi128ELi128ELi4ELi4ELi64ELi4ELi64ELc84ELc78ELb1ELb1ELb0EdKddEEviiiT16_PT17_ilS4_ilS2_S4_ilPT18_ili26rocblas_geam_ex_operation_.uses_flat_scratch, 0
	.set _ZN12_GLOBAL__N_120geam_min_plus_kernelIdddLi4ELi64ELi128ELi128ELi4ELi4ELi64ELi4ELi64ELc84ELc78ELb1ELb1ELb0EdKddEEviiiT16_PT17_ilS4_ilS2_S4_ilPT18_ili26rocblas_geam_ex_operation_.has_dyn_sized_stack, 0
	.set _ZN12_GLOBAL__N_120geam_min_plus_kernelIdddLi4ELi64ELi128ELi128ELi4ELi4ELi64ELi4ELi64ELc84ELc78ELb1ELb1ELb0EdKddEEviiiT16_PT17_ilS4_ilS2_S4_ilPT18_ili26rocblas_geam_ex_operation_.has_recursion, 0
	.set _ZN12_GLOBAL__N_120geam_min_plus_kernelIdddLi4ELi64ELi128ELi128ELi4ELi4ELi64ELi4ELi64ELc84ELc78ELb1ELb1ELb0EdKddEEviiiT16_PT17_ilS4_ilS2_S4_ilPT18_ili26rocblas_geam_ex_operation_.has_indirect_call, 0
	.section	.AMDGPU.csdata,"",@progbits
; Kernel info:
; codeLenInByte = 21936
; TotalNumSgprs: 52
; NumVgprs: 120
; ScratchSize: 528
; MemoryBound: 0
; FloatMode: 240
; IeeeMode: 1
; LDSByteSize: 16384 bytes/workgroup (compile time only)
; SGPRBlocks: 0
; VGPRBlocks: 14
; NumSGPRsForWavesPerEU: 52
; NumVGPRsForWavesPerEU: 120
; Occupancy: 8
; WaveLimiterHint : 0
; COMPUTE_PGM_RSRC2:SCRATCH_EN: 1
; COMPUTE_PGM_RSRC2:USER_SGPR: 6
; COMPUTE_PGM_RSRC2:TRAP_HANDLER: 0
; COMPUTE_PGM_RSRC2:TGID_X_EN: 1
; COMPUTE_PGM_RSRC2:TGID_Y_EN: 0
; COMPUTE_PGM_RSRC2:TGID_Z_EN: 1
; COMPUTE_PGM_RSRC2:TIDIG_COMP_CNT: 1
	.section	.text._ZN12_GLOBAL__N_120geam_min_plus_kernelIdddLi4ELi64ELi128ELi128ELi4ELi4ELi64ELi4ELi64ELc84ELc78ELb0ELb1ELb0EdKddEEviiiT16_PT17_ilS4_ilS2_S4_ilPT18_ili26rocblas_geam_ex_operation_,"axG",@progbits,_ZN12_GLOBAL__N_120geam_min_plus_kernelIdddLi4ELi64ELi128ELi128ELi4ELi4ELi64ELi4ELi64ELc84ELc78ELb0ELb1ELb0EdKddEEviiiT16_PT17_ilS4_ilS2_S4_ilPT18_ili26rocblas_geam_ex_operation_,comdat
	.globl	_ZN12_GLOBAL__N_120geam_min_plus_kernelIdddLi4ELi64ELi128ELi128ELi4ELi4ELi64ELi4ELi64ELc84ELc78ELb0ELb1ELb0EdKddEEviiiT16_PT17_ilS4_ilS2_S4_ilPT18_ili26rocblas_geam_ex_operation_ ; -- Begin function _ZN12_GLOBAL__N_120geam_min_plus_kernelIdddLi4ELi64ELi128ELi128ELi4ELi4ELi64ELi4ELi64ELc84ELc78ELb0ELb1ELb0EdKddEEviiiT16_PT17_ilS4_ilS2_S4_ilPT18_ili26rocblas_geam_ex_operation_
	.p2align	8
	.type	_ZN12_GLOBAL__N_120geam_min_plus_kernelIdddLi4ELi64ELi128ELi128ELi4ELi4ELi64ELi4ELi64ELc84ELc78ELb0ELb1ELb0EdKddEEviiiT16_PT17_ilS4_ilS2_S4_ilPT18_ili26rocblas_geam_ex_operation_,@function
_ZN12_GLOBAL__N_120geam_min_plus_kernelIdddLi4ELi64ELi128ELi128ELi4ELi4ELi64ELi4ELi64ELc84ELc78ELb0ELb1ELb0EdKddEEviiiT16_PT17_ilS4_ilS2_S4_ilPT18_ili26rocblas_geam_ex_operation_: ; @_ZN12_GLOBAL__N_120geam_min_plus_kernelIdddLi4ELi64ELi128ELi128ELi4ELi4ELi64ELi4ELi64ELc84ELc78ELb0ELb1ELb0EdKddEEviiiT16_PT17_ilS4_ilS2_S4_ilPT18_ili26rocblas_geam_ex_operation_
; %bb.0:
	s_add_u32 s0, s0, s8
	s_clause 0x1
	s_load_dwordx4 s[16:19], s[4:5], 0x10
	s_load_dwordx4 s[8:11], s[4:5], 0x28
	s_addc_u32 s1, s1, 0
	s_mov_b64 s[20:21], 0
	s_waitcnt lgkmcnt(0)
	v_cmp_eq_f64_e64 s12, s[16:17], 0
	s_and_b32 vcc_lo, exec_lo, s12
	s_cbranch_vccnz .LBB191_2
; %bb.1:
	s_mul_i32 s9, s9, s7
	s_mul_hi_u32 s13, s8, s7
	s_mul_i32 s8, s8, s7
	s_add_i32 s9, s13, s9
	s_lshl_b64 s[8:9], s[8:9], 3
	s_add_u32 s20, s18, s8
	s_addc_u32 s21, s19, s9
.LBB191_2:
	s_clause 0x1
	s_load_dwordx4 s[36:39], s[4:5], 0x40
	s_load_dwordx2 s[8:9], s[4:5], 0x50
	s_andn2_b32 vcc_lo, exec_lo, s12
	s_mov_b32 s12, -1
	s_cbranch_vccnz .LBB191_4
; %bb.3:
	s_mov_b32 s12, 0
.LBB191_4:
	s_mov_b64 s[44:45], 0
	s_andn2_b32 vcc_lo, exec_lo, s12
	s_mov_b64 s[18:19], 0
	s_cbranch_vccnz .LBB191_6
; %bb.5:
	s_waitcnt lgkmcnt(0)
	s_mul_i32 s12, s37, s7
	s_mul_hi_u32 s13, s36, s7
	s_add_i32 s13, s13, s12
	s_mul_i32 s12, s36, s7
	s_lshl_b64 s[12:13], s[12:13], 3
	s_add_u32 s18, s10, s12
	s_addc_u32 s19, s11, s13
.LBB191_6:
	s_waitcnt lgkmcnt(0)
	v_cmp_eq_f64_e64 s10, s[38:39], 0
	v_cmp_neq_f64_e64 s46, s[38:39], 0
	s_load_dwordx4 s[12:15], s[4:5], 0x60
	s_and_b32 vcc_lo, exec_lo, s10
	s_cbranch_vccnz .LBB191_8
; %bb.7:
	s_waitcnt lgkmcnt(0)
	s_mul_i32 s10, s13, s7
	s_mul_hi_u32 s11, s12, s7
	s_add_i32 s11, s11, s10
	s_mul_i32 s10, s12, s7
	s_lshl_b64 s[10:11], s[10:11], 3
	s_add_u32 s44, s8, s10
	s_addc_u32 s45, s9, s11
.LBB191_8:
	s_clause 0x1
	s_load_dwordx4 s[40:43], s[4:5], 0x0
	s_load_dword s23, s[4:5], 0x20
	v_lshrrev_b32_e32 v2, 2, v0
	v_and_b32_e32 v86, 3, v0
	v_cmp_eq_f64_e64 s25, s[16:17], 0
	v_mov_b32_e32 v4, 0
	v_mov_b32_e32 v10, 0
	v_add_nc_u32_e32 v78, v2, v1
	v_mov_b32_e32 v5, 0
	buffer_store_dword v10, off, s[0:3], 0 offset:4
	buffer_store_dword v10, off, s[0:3], 0
	buffer_store_dword v10, off, s[0:3], 0 offset:12
	buffer_store_dword v10, off, s[0:3], 0 offset:8
	;; [unrolled: 1-line block ×31, first 2 shown]
	s_waitcnt lgkmcnt(0)
	s_add_i32 s8, s40, -1
	v_cmp_le_i32_e32 vcc_lo, s42, v86
	s_ashr_i32 s9, s8, 31
	buffer_store_dword v10, off, s[0:3], 0 offset:128
	buffer_store_dword v10, off, s[0:3], 0 offset:140
	buffer_store_dword v10, off, s[0:3], 0 offset:136
	buffer_store_dword v10, off, s[0:3], 0 offset:148
	s_lshr_b32 s9, s9, 25
	buffer_store_dword v10, off, s[0:3], 0 offset:144
	buffer_store_dword v10, off, s[0:3], 0 offset:156
	;; [unrolled: 1-line block ×4, first 2 shown]
	s_add_i32 s8, s8, s9
	buffer_store_dword v10, off, s[0:3], 0 offset:160
	buffer_store_dword v10, off, s[0:3], 0 offset:172
	s_ashr_i32 s8, s8, 7
	buffer_store_dword v10, off, s[0:3], 0 offset:168
	s_add_i32 s9, s8, 1
	s_not_b32 s8, s8
	v_cvt_f32_u32_e32 v2, s9
	buffer_store_dword v10, off, s[0:3], 0 offset:180
	buffer_store_dword v10, off, s[0:3], 0 offset:176
	;; [unrolled: 1-line block ×4, first 2 shown]
	v_rcp_iflag_f32_e32 v2, v2
	buffer_store_dword v10, off, s[0:3], 0 offset:196
	buffer_store_dword v10, off, s[0:3], 0 offset:192
	;; [unrolled: 1-line block ×77, first 2 shown]
	v_mul_f32_e32 v2, 0x4f7ffffe, v2
	buffer_store_dword v10, off, s[0:3], 0 offset:496
	buffer_store_dword v10, off, s[0:3], 0 offset:508
	;; [unrolled: 1-line block ×3, first 2 shown]
	v_cvt_u32_f32_e32 v2, v2
	v_readfirstlane_b32 s10, v2
	s_mul_i32 s8, s8, s10
	s_mul_hi_u32 s8, s10, s8
	s_add_i32 s10, s10, s8
	s_mul_hi_u32 s8, s6, s10
	s_mul_i32 s10, s8, s9
	s_add_i32 s11, s8, 1
	s_sub_i32 s10, s6, s10
	s_sub_i32 s12, s10, s9
	s_cmp_ge_u32 s10, s9
	s_cselect_b32 s8, s11, s8
	s_cselect_b32 s10, s12, s10
	s_add_i32 s11, s8, 1
	s_cmp_ge_u32 s10, s9
	s_cselect_b32 s10, s11, s8
	s_add_i32 s22, s42, -1
	s_mul_i32 s8, s10, s9
	v_min_i32_e32 v2, s22, v86
	s_sub_i32 s6, s6, s8
	s_lshl_b32 s12, s6, 7
	v_ashrrev_i32_e32 v3, 31, v2
	v_add_nc_u32_e32 v79, s12, v78
	v_lshlrev_b64 v[6:7], 3, v[2:3]
	v_cmp_le_i32_e64 s6, s40, v79
	v_mov_b32_e32 v2, 0
	v_mov_b32_e32 v3, 0
	v_add_co_u32 v8, s8, s20, v6
	v_add_co_ci_u32_e64 v9, null, s21, v7, s8
	s_or_b32 s8, vcc_lo, s6
	s_nor_b32 s8, s25, s8
	s_and_saveexec_b32 s9, s8
	s_cbranch_execz .LBB191_10
; %bb.9:
	v_mad_i64_i32 v[4:5], null, v79, s23, 0
	v_lshlrev_b64 v[4:5], 3, v[4:5]
	v_add_co_u32 v4, s8, v8, v4
	v_add_co_ci_u32_e64 v5, null, v9, v5, s8
	global_load_dwordx2 v[4:5], v[4:5], off
	s_waitcnt vmcnt(0)
	v_mul_f64 v[4:5], s[16:17], v[4:5]
.LBB191_10:
	s_or_b32 exec_lo, exec_lo, s9
	v_add_nc_u32_e32 v80, 64, v79
	v_cmp_le_i32_e64 s8, s40, v80
	s_or_b32 s9, vcc_lo, s8
	s_nor_b32 s9, s25, s9
	s_and_saveexec_b32 s11, s9
	s_cbranch_execz .LBB191_12
; %bb.11:
	v_mad_i64_i32 v[2:3], null, v80, s23, 0
	v_lshlrev_b64 v[2:3], 3, v[2:3]
	v_add_co_u32 v2, s9, v8, v2
	v_add_co_ci_u32_e64 v3, null, v9, v3, s9
	global_load_dwordx2 v[2:3], v[2:3], off
	s_waitcnt vmcnt(0)
	v_mul_f64 v[2:3], s[16:17], v[2:3]
.LBB191_12:
	s_or_b32 exec_lo, exec_lo, s11
	s_load_dword s24, s[4:5], 0x38
	s_lshl_b32 s13, s10, 7
	v_add_co_u32 v6, s10, s18, v6
	v_add_nc_u32_e32 v81, s13, v78
	v_mov_b32_e32 v14, 0
	v_mov_b32_e32 v16, 0
	;; [unrolled: 1-line block ×4, first 2 shown]
	v_cmp_le_i32_e64 s9, s41, v81
	v_add_co_ci_u32_e64 v7, null, s19, v7, s10
	s_or_b32 s10, vcc_lo, s9
	s_nor_b32 s10, s25, s10
	s_and_saveexec_b32 s11, s10
	s_cbranch_execz .LBB191_14
; %bb.13:
	s_waitcnt lgkmcnt(0)
	v_mad_i64_i32 v[8:9], null, v81, s24, 0
	v_lshlrev_b64 v[8:9], 3, v[8:9]
	v_add_co_u32 v8, s10, v6, v8
	v_add_co_ci_u32_e64 v9, null, v7, v9, s10
	global_load_dwordx2 v[8:9], v[8:9], off
	s_waitcnt vmcnt(0)
	v_mul_f64 v[16:17], s[16:17], v[8:9]
.LBB191_14:
	s_or_b32 exec_lo, exec_lo, s11
	v_add_nc_u32_e32 v82, 64, v81
	v_cmp_le_i32_e64 s10, s41, v82
	s_or_b32 s11, vcc_lo, s10
	s_nor_b32 s26, s25, s11
	s_and_saveexec_b32 s11, s26
	s_cbranch_execz .LBB191_16
; %bb.15:
	s_waitcnt lgkmcnt(0)
	v_mad_i64_i32 v[8:9], null, v82, s24, 0
	v_lshlrev_b64 v[8:9], 3, v[8:9]
	v_add_co_u32 v6, vcc_lo, v6, v8
	v_add_co_ci_u32_e64 v7, null, v7, v9, vcc_lo
	global_load_dwordx2 v[6:7], v[6:7], off
	s_waitcnt vmcnt(0)
	v_mul_f64 v[14:15], s[16:17], v[6:7]
.LBB191_16:
	s_or_b32 exec_lo, exec_lo, s11
	v_or_b32_e32 v10, 4, v86
	v_mov_b32_e32 v8, 0
	v_mov_b32_e32 v9, 0
	v_min_i32_e32 v6, s22, v10
	v_cmp_le_i32_e32 vcc_lo, s42, v10
	v_ashrrev_i32_e32 v7, 31, v6
	v_lshlrev_b64 v[18:19], 3, v[6:7]
	v_mov_b32_e32 v6, 0
	v_mov_b32_e32 v7, 0
	v_add_co_u32 v10, s11, s20, v18
	v_add_co_ci_u32_e64 v11, null, s21, v19, s11
	s_or_b32 s11, vcc_lo, s6
	s_nor_b32 s11, s25, s11
	s_and_saveexec_b32 s26, s11
	s_cbranch_execz .LBB191_18
; %bb.17:
	v_mad_i64_i32 v[8:9], null, v79, s23, 0
	v_lshlrev_b64 v[8:9], 3, v[8:9]
	v_add_co_u32 v8, s11, v10, v8
	v_add_co_ci_u32_e64 v9, null, v11, v9, s11
	global_load_dwordx2 v[8:9], v[8:9], off
	s_waitcnt vmcnt(0)
	v_mul_f64 v[8:9], s[16:17], v[8:9]
.LBB191_18:
	s_or_b32 exec_lo, exec_lo, s26
	s_or_b32 s11, vcc_lo, s8
	s_nor_b32 s11, s25, s11
	s_and_saveexec_b32 s26, s11
	s_cbranch_execz .LBB191_20
; %bb.19:
	v_mad_i64_i32 v[6:7], null, v80, s23, 0
	v_lshlrev_b64 v[6:7], 3, v[6:7]
	v_add_co_u32 v6, s11, v10, v6
	v_add_co_ci_u32_e64 v7, null, v11, v7, s11
	global_load_dwordx2 v[6:7], v[6:7], off
	s_waitcnt vmcnt(0)
	v_mul_f64 v[6:7], s[16:17], v[6:7]
.LBB191_20:
	s_or_b32 exec_lo, exec_lo, s26
	v_add_co_u32 v18, s11, s18, v18
	v_mov_b32_e32 v10, 0
	v_mov_b32_e32 v12, 0
	;; [unrolled: 1-line block ×4, first 2 shown]
	v_add_co_ci_u32_e64 v19, null, s19, v19, s11
	s_or_b32 s11, vcc_lo, s9
	s_nor_b32 s11, s25, s11
	s_and_saveexec_b32 s26, s11
	s_cbranch_execz .LBB191_22
; %bb.21:
	s_waitcnt lgkmcnt(0)
	v_mad_i64_i32 v[12:13], null, v81, s24, 0
	v_lshlrev_b64 v[12:13], 3, v[12:13]
	v_add_co_u32 v12, s11, v18, v12
	v_add_co_ci_u32_e64 v13, null, v19, v13, s11
	global_load_dwordx2 v[12:13], v[12:13], off
	s_waitcnt vmcnt(0)
	v_mul_f64 v[12:13], s[16:17], v[12:13]
.LBB191_22:
	s_or_b32 exec_lo, exec_lo, s26
	s_or_b32 s11, vcc_lo, s10
	s_nor_b32 s26, s25, s11
	s_and_saveexec_b32 s11, s26
	s_cbranch_execz .LBB191_24
; %bb.23:
	s_waitcnt lgkmcnt(0)
	v_mad_i64_i32 v[10:11], null, v82, s24, 0
	v_lshlrev_b64 v[10:11], 3, v[10:11]
	v_add_co_u32 v10, vcc_lo, v18, v10
	v_add_co_ci_u32_e64 v11, null, v19, v11, vcc_lo
	global_load_dwordx2 v[10:11], v[10:11], off
	s_waitcnt vmcnt(0)
	v_mul_f64 v[10:11], s[16:17], v[10:11]
.LBB191_24:
	s_or_b32 exec_lo, exec_lo, s11
	v_lshlrev_b32_e32 v18, 5, v78
	v_lshlrev_b32_e32 v88, 5, v0
	v_lshl_or_b32 v90, v1, 5, 0x2000
	s_mov_b32 s11, 0
	s_mov_b32 s26, 0
	v_lshl_or_b32 v87, v86, 3, v18
	s_addk_i32 s11, 0x100
	v_add_nc_u32_e32 v89, 0x2000, v87
	ds_write2st64_b64 v87, v[4:5], v[2:3] offset1:4
	ds_write2st64_b64 v87, v[16:17], v[14:15] offset0:16 offset1:20
	s_waitcnt lgkmcnt(0)
	s_waitcnt_vscnt null, 0x0
	s_barrier
	buffer_gl0_inv
.LBB191_25:                             ; =>This Loop Header: Depth=1
                                        ;     Child Loop BB191_26 Depth 2
	s_lshl_b32 s27, s26, 3
	s_mov_b32 s28, 0
	v_add_nc_u32_e32 v14, s27, v88
	v_add_nc_u32_e32 v83, s27, v90
	s_mov_b32 s27, -1
	ds_read2_b64 v[2:5], v14 offset1:16
	ds_read2_b64 v[18:21], v14 offset0:32 offset1:48
	ds_read2_b64 v[22:25], v14 offset0:64 offset1:80
	;; [unrolled: 1-line block ×4, first 2 shown]
	v_add_nc_u32_e32 v74, 0x800, v14
	ds_read2_b64 v[34:37], v14 offset0:160 offset1:176
	ds_read2_b64 v[38:41], v14 offset0:192 offset1:208
	;; [unrolled: 1-line block ×3, first 2 shown]
	ds_read2_b64 v[46:49], v74 offset1:16
	ds_read2_b64 v[50:53], v74 offset0:32 offset1:48
	ds_read2_b64 v[54:57], v74 offset0:64 offset1:80
	;; [unrolled: 1-line block ×6, first 2 shown]
	s_waitcnt lgkmcnt(9)
	v_max_f64 v[34:35], v[34:35], v[34:35]
	v_max_f64 v[36:37], v[36:37], v[36:37]
	;; [unrolled: 1-line block ×4, first 2 shown]
	ds_read2_b64 v[2:5], v74 offset0:224 offset1:240
	v_max_f64 v[18:19], v[18:19], v[18:19]
	v_max_f64 v[20:21], v[20:21], v[20:21]
	;; [unrolled: 1-line block ×8, first 2 shown]
	s_waitcnt lgkmcnt(9)
	v_max_f64 v[38:39], v[38:39], v[38:39]
	v_max_f64 v[40:41], v[40:41], v[40:41]
	s_waitcnt lgkmcnt(8)
	v_max_f64 v[42:43], v[42:43], v[42:43]
	v_max_f64 v[44:45], v[44:45], v[44:45]
	;; [unrolled: 3-line block ×10, first 2 shown]
	ds_read2st64_b64 v[2:5], v83 offset1:4
.LBB191_26:                             ;   Parent Loop BB191_25 Depth=1
                                        ; =>  This Inner Loop Header: Depth=2
	v_mov_b32_e32 v83, s28
	s_waitcnt lgkmcnt(0)
	v_max_f64 v[2:3], v[2:3], v[2:3]
	s_and_b32 vcc_lo, exec_lo, s27
	s_mov_b32 s27, 0
	s_mov_b32 s28, s11
	s_clause 0xf
	buffer_load_dword v91, v83, s[0:3], 0 offen
	buffer_load_dword v92, v83, s[0:3], 0 offen offset:4
	buffer_load_dword v93, v83, s[0:3], 0 offen offset:8
	buffer_load_dword v94, v83, s[0:3], 0 offen offset:12
	buffer_load_dword v95, v83, s[0:3], 0 offen offset:16
	buffer_load_dword v96, v83, s[0:3], 0 offen offset:20
	buffer_load_dword v97, v83, s[0:3], 0 offen offset:24
	buffer_load_dword v98, v83, s[0:3], 0 offen offset:28
	buffer_load_dword v99, v83, s[0:3], 0 offen offset:32
	buffer_load_dword v100, v83, s[0:3], 0 offen offset:36
	buffer_load_dword v101, v83, s[0:3], 0 offen offset:40
	buffer_load_dword v102, v83, s[0:3], 0 offen offset:44
	buffer_load_dword v103, v83, s[0:3], 0 offen offset:48
	buffer_load_dword v104, v83, s[0:3], 0 offen offset:52
	buffer_load_dword v105, v83, s[0:3], 0 offen offset:56
	buffer_load_dword v106, v83, s[0:3], 0 offen offset:60
	v_min_f64 v[84:85], v[14:15], v[2:3]
	s_waitcnt vmcnt(14)
	v_add_f64 v[84:85], v[84:85], v[91:92]
	buffer_store_dword v84, v83, s[0:3], 0 offen
	buffer_store_dword v85, v83, s[0:3], 0 offen offset:4
	v_min_f64 v[84:85], v[16:17], v[2:3]
	s_waitcnt vmcnt(12)
	v_add_f64 v[84:85], v[84:85], v[93:94]
	buffer_store_dword v84, v83, s[0:3], 0 offen offset:8
	buffer_store_dword v85, v83, s[0:3], 0 offen offset:12
	v_min_f64 v[84:85], v[18:19], v[2:3]
	s_waitcnt vmcnt(10)
	v_add_f64 v[84:85], v[84:85], v[95:96]
	buffer_store_dword v84, v83, s[0:3], 0 offen offset:16
	;; [unrolled: 5-line block ×7, first 2 shown]
	buffer_store_dword v85, v83, s[0:3], 0 offen offset:60
	s_clause 0x1
	buffer_load_dword v92, v83, s[0:3], 0 offen offset:68
	buffer_load_dword v91, v83, s[0:3], 0 offen offset:64
	v_min_f64 v[84:85], v[30:31], v[2:3]
	s_waitcnt vmcnt(0)
	v_add_f64 v[84:85], v[84:85], v[91:92]
	buffer_store_dword v85, v83, s[0:3], 0 offen offset:68
	buffer_store_dword v84, v83, s[0:3], 0 offen offset:64
	s_clause 0x1
	buffer_load_dword v91, v83, s[0:3], 0 offen offset:72
	buffer_load_dword v92, v83, s[0:3], 0 offen offset:76
	v_min_f64 v[84:85], v[32:33], v[2:3]
	s_waitcnt vmcnt(0)
	v_add_f64 v[84:85], v[84:85], v[91:92]
	buffer_store_dword v85, v83, s[0:3], 0 offen offset:76
	;; [unrolled: 8-line block ×22, first 2 shown]
	buffer_store_dword v84, v83, s[0:3], 0 offen offset:232
	s_clause 0x1
	buffer_load_dword v91, v83, s[0:3], 0 offen offset:240
	buffer_load_dword v92, v83, s[0:3], 0 offen offset:244
	v_min_f64 v[84:85], v[74:75], v[2:3]
	v_min_f64 v[2:3], v[76:77], v[2:3]
	s_waitcnt vmcnt(0)
	v_add_f64 v[84:85], v[84:85], v[91:92]
	buffer_store_dword v85, v83, s[0:3], 0 offen offset:244
	buffer_store_dword v84, v83, s[0:3], 0 offen offset:240
	s_clause 0x1
	buffer_load_dword v84, v83, s[0:3], 0 offen offset:248
	buffer_load_dword v85, v83, s[0:3], 0 offen offset:252
	s_waitcnt vmcnt(0)
	v_add_f64 v[2:3], v[2:3], v[84:85]
	buffer_store_dword v3, v83, s[0:3], 0 offen offset:252
	buffer_store_dword v2, v83, s[0:3], 0 offen offset:248
	v_mov_b32_e32 v2, v4
	v_mov_b32_e32 v3, v5
	s_cbranch_vccnz .LBB191_26
; %bb.27:                               ;   in Loop: Header=BB191_25 Depth=1
	s_add_i32 s26, s26, 1
	s_cmp_eq_u32 s26, 4
	s_cbranch_scc0 .LBB191_25
; %bb.28:
	v_lshlrev_b32_e32 v2, 3, v86
	v_lshl_add_u32 v91, v0, 5, 0x1000
	v_lshl_add_u32 v92, v1, 5, 0x3000
	s_cmp_lt_i32 s42, 9
	v_lshl_or_b32 v2, v78, 5, v2
	ds_write2st64_b64 v2, v[8:9], v[6:7] offset0:8 offset1:12
	ds_write2st64_b64 v2, v[12:13], v[10:11] offset0:24 offset1:28
	s_waitcnt lgkmcnt(0)
	s_waitcnt_vscnt null, 0x0
	s_barrier
	buffer_gl0_inv
	s_cbranch_scc1 .LBB191_55
; %bb.29:
	v_mad_i64_i32 v[3:4], null, v79, s23, 0
	v_mad_i64_i32 v[5:6], null, v80, s23, 0
	;; [unrolled: 1-line block ×4, first 2 shown]
	v_lshlrev_b64 v[70:71], 3, v[3:4]
	v_add_nc_u32_e32 v93, 0x1000, v2
	v_lshlrev_b64 v[72:73], 3, v[5:6]
	v_add_nc_u32_e32 v94, 0x3000, v2
	v_lshlrev_b64 v[74:75], 3, v[7:8]
	s_add_i32 s23, s42, -8
	v_lshlrev_b64 v[76:77], 3, v[9:10]
	s_or_b32 s24, s6, s25
	s_or_b32 s8, s8, s25
	;; [unrolled: 1-line block ×4, first 2 shown]
	s_mov_b32 s25, 8
	s_mov_b32 s26, 0
.LBB191_30:                             ; =>This Loop Header: Depth=1
                                        ;     Child Loop BB191_39 Depth 2
                                        ;       Child Loop BB191_40 Depth 3
                                        ;     Child Loop BB191_51 Depth 2
                                        ;       Child Loop BB191_52 Depth 3
	v_or_b32_e32 v95, s25, v86
	v_mov_b32_e32 v6, 0
	v_mov_b32_e32 v8, 0
	;; [unrolled: 1-line block ×4, first 2 shown]
	v_min_i32_e32 v2, s22, v95
	v_cmp_le_i32_e32 vcc_lo, s42, v95
	v_ashrrev_i32_e32 v3, 31, v2
	v_lshlrev_b64 v[2:3], 3, v[2:3]
	v_add_co_u32 v4, s6, s20, v2
	v_add_co_ci_u32_e64 v5, null, s21, v3, s6
	s_nor_b32 s6, vcc_lo, s24
	s_and_saveexec_b32 s27, s6
	s_cbranch_execz .LBB191_32
; %bb.31:                               ;   in Loop: Header=BB191_30 Depth=1
	v_add_co_u32 v8, s6, v4, v70
	v_add_co_ci_u32_e64 v9, null, v5, v71, s6
	global_load_dwordx2 v[8:9], v[8:9], off
	s_waitcnt vmcnt(0)
	v_mul_f64 v[8:9], s[16:17], v[8:9]
.LBB191_32:                             ;   in Loop: Header=BB191_30 Depth=1
	s_or_b32 exec_lo, exec_lo, s27
	s_nor_b32 s6, vcc_lo, s8
	s_and_saveexec_b32 s27, s6
	s_cbranch_execz .LBB191_34
; %bb.33:                               ;   in Loop: Header=BB191_30 Depth=1
	v_add_co_u32 v4, s6, v4, v72
	v_add_co_ci_u32_e64 v5, null, v5, v73, s6
	global_load_dwordx2 v[4:5], v[4:5], off
	s_waitcnt vmcnt(0)
	v_mul_f64 v[6:7], s[16:17], v[4:5]
.LBB191_34:                             ;   in Loop: Header=BB191_30 Depth=1
	s_or_b32 exec_lo, exec_lo, s27
	v_add_co_u32 v2, s6, s18, v2
	v_mov_b32_e32 v10, 0
	v_mov_b32_e32 v12, 0
	;; [unrolled: 1-line block ×4, first 2 shown]
	v_add_co_ci_u32_e64 v3, null, s19, v3, s6
	s_nor_b32 s6, vcc_lo, s9
	s_and_saveexec_b32 s27, s6
	s_cbranch_execz .LBB191_36
; %bb.35:                               ;   in Loop: Header=BB191_30 Depth=1
	v_add_co_u32 v4, s6, v2, v74
	v_add_co_ci_u32_e64 v5, null, v3, v75, s6
	global_load_dwordx2 v[4:5], v[4:5], off
	s_waitcnt vmcnt(0)
	v_mul_f64 v[12:13], s[16:17], v[4:5]
.LBB191_36:                             ;   in Loop: Header=BB191_30 Depth=1
	s_or_b32 exec_lo, exec_lo, s27
	s_nor_b32 s27, vcc_lo, s10
	s_and_saveexec_b32 s6, s27
	s_cbranch_execz .LBB191_38
; %bb.37:                               ;   in Loop: Header=BB191_30 Depth=1
	v_add_co_u32 v2, vcc_lo, v2, v76
	v_add_co_ci_u32_e64 v3, null, v3, v77, vcc_lo
	global_load_dwordx2 v[2:3], v[2:3], off
	s_waitcnt vmcnt(0)
	v_mul_f64 v[10:11], s[16:17], v[2:3]
.LBB191_38:                             ;   in Loop: Header=BB191_30 Depth=1
	s_or_b32 exec_lo, exec_lo, s6
	s_mov_b32 s6, 0
.LBB191_39:                             ;   Parent Loop BB191_30 Depth=1
                                        ; =>  This Loop Header: Depth=2
                                        ;       Child Loop BB191_40 Depth 3
	s_lshl_b32 s27, s6, 3
	s_mov_b32 s28, 0
	v_add_nc_u32_e32 v14, s27, v91
	v_add_nc_u32_e32 v96, s27, v92
	s_mov_b32 s27, -1
	ds_read2_b64 v[2:5], v14 offset1:16
	ds_read2_b64 v[18:21], v14 offset0:32 offset1:48
	ds_read2_b64 v[22:25], v14 offset0:64 offset1:80
	v_add_nc_u32_e32 v15, 0x800, v14
	ds_read2_b64 v[26:29], v14 offset0:96 offset1:112
	ds_read2_b64 v[30:33], v14 offset0:128 offset1:144
	ds_read2_b64 v[34:37], v14 offset0:160 offset1:176
	ds_read2_b64 v[38:41], v14 offset0:192 offset1:208
	ds_read2_b64 v[42:45], v14 offset0:224 offset1:240
	ds_read2_b64 v[46:49], v15 offset1:16
	ds_read2_b64 v[50:53], v15 offset0:32 offset1:48
	ds_read2_b64 v[54:57], v15 offset0:64 offset1:80
	;; [unrolled: 1-line block ×7, first 2 shown]
	s_waitcnt lgkmcnt(11)
	v_max_f64 v[30:31], v[30:31], v[30:31]
	v_max_f64 v[32:33], v[32:33], v[32:33]
	s_waitcnt lgkmcnt(10)
	v_max_f64 v[34:35], v[34:35], v[34:35]
	v_max_f64 v[36:37], v[36:37], v[36:37]
	s_waitcnt lgkmcnt(9)
	v_max_f64 v[38:39], v[38:39], v[38:39]
	v_max_f64 v[40:41], v[40:41], v[40:41]
	v_max_f64 v[14:15], v[2:3], v[2:3]
	v_max_f64 v[16:17], v[4:5], v[4:5]
	;; [unrolled: 1-line block ×8, first 2 shown]
	s_waitcnt lgkmcnt(8)
	v_max_f64 v[42:43], v[42:43], v[42:43]
	v_max_f64 v[44:45], v[44:45], v[44:45]
	s_waitcnt lgkmcnt(7)
	v_max_f64 v[46:47], v[46:47], v[46:47]
	v_max_f64 v[48:49], v[48:49], v[48:49]
	;; [unrolled: 3-line block ×9, first 2 shown]
	ds_read2st64_b64 v[2:5], v96 offset1:4
.LBB191_40:                             ;   Parent Loop BB191_30 Depth=1
                                        ;     Parent Loop BB191_39 Depth=2
                                        ; =>    This Inner Loop Header: Depth=3
	v_mov_b32_e32 v96, s28
	s_waitcnt lgkmcnt(0)
	v_max_f64 v[2:3], v[2:3], v[2:3]
	s_and_b32 vcc_lo, exec_lo, s27
	s_mov_b32 s27, 0
	s_mov_b32 s28, s11
	s_clause 0xf
	buffer_load_dword v99, v96, s[0:3], 0 offen
	buffer_load_dword v100, v96, s[0:3], 0 offen offset:4
	buffer_load_dword v101, v96, s[0:3], 0 offen offset:8
	;; [unrolled: 1-line block ×15, first 2 shown]
	v_min_f64 v[97:98], v[14:15], v[2:3]
	s_waitcnt vmcnt(14)
	v_add_f64 v[97:98], v[97:98], v[99:100]
	buffer_store_dword v97, v96, s[0:3], 0 offen
	buffer_store_dword v98, v96, s[0:3], 0 offen offset:4
	v_min_f64 v[97:98], v[16:17], v[2:3]
	s_waitcnt vmcnt(12)
	v_add_f64 v[97:98], v[97:98], v[101:102]
	buffer_store_dword v97, v96, s[0:3], 0 offen offset:8
	buffer_store_dword v98, v96, s[0:3], 0 offen offset:12
	v_min_f64 v[97:98], v[18:19], v[2:3]
	s_waitcnt vmcnt(10)
	v_add_f64 v[97:98], v[97:98], v[103:104]
	buffer_store_dword v97, v96, s[0:3], 0 offen offset:16
	;; [unrolled: 5-line block ×7, first 2 shown]
	buffer_store_dword v98, v96, s[0:3], 0 offen offset:60
	s_clause 0x1
	buffer_load_dword v100, v96, s[0:3], 0 offen offset:68
	buffer_load_dword v99, v96, s[0:3], 0 offen offset:64
	v_min_f64 v[97:98], v[30:31], v[2:3]
	s_waitcnt vmcnt(0)
	v_add_f64 v[97:98], v[97:98], v[99:100]
	buffer_store_dword v98, v96, s[0:3], 0 offen offset:68
	buffer_store_dword v97, v96, s[0:3], 0 offen offset:64
	s_clause 0x1
	buffer_load_dword v99, v96, s[0:3], 0 offen offset:72
	buffer_load_dword v100, v96, s[0:3], 0 offen offset:76
	v_min_f64 v[97:98], v[32:33], v[2:3]
	s_waitcnt vmcnt(0)
	v_add_f64 v[97:98], v[97:98], v[99:100]
	buffer_store_dword v98, v96, s[0:3], 0 offen offset:76
	;; [unrolled: 8-line block ×22, first 2 shown]
	buffer_store_dword v97, v96, s[0:3], 0 offen offset:232
	s_clause 0x1
	buffer_load_dword v99, v96, s[0:3], 0 offen offset:240
	buffer_load_dword v100, v96, s[0:3], 0 offen offset:244
	v_min_f64 v[97:98], v[82:83], v[2:3]
	v_min_f64 v[2:3], v[84:85], v[2:3]
	s_waitcnt vmcnt(0)
	v_add_f64 v[97:98], v[97:98], v[99:100]
	buffer_store_dword v98, v96, s[0:3], 0 offen offset:244
	buffer_store_dword v97, v96, s[0:3], 0 offen offset:240
	s_clause 0x1
	buffer_load_dword v97, v96, s[0:3], 0 offen offset:248
	buffer_load_dword v98, v96, s[0:3], 0 offen offset:252
	s_waitcnt vmcnt(0)
	v_add_f64 v[2:3], v[2:3], v[97:98]
	buffer_store_dword v3, v96, s[0:3], 0 offen offset:252
	buffer_store_dword v2, v96, s[0:3], 0 offen offset:248
	v_mov_b32_e32 v2, v4
	v_mov_b32_e32 v3, v5
	s_cbranch_vccnz .LBB191_40
; %bb.41:                               ;   in Loop: Header=BB191_39 Depth=2
	s_add_i32 s6, s6, 1
	s_cmp_eq_u32 s6, 4
	s_cbranch_scc0 .LBB191_39
; %bb.42:                               ;   in Loop: Header=BB191_30 Depth=1
	v_or_b32_e32 v4, 4, v95
	v_mov_b32_e32 v78, 0
	v_mov_b32_e32 v80, 0
	;; [unrolled: 1-line block ×4, first 2 shown]
	v_min_i32_e32 v2, s22, v4
	v_cmp_le_i32_e32 vcc_lo, s42, v4
	ds_write2st64_b64 v87, v[8:9], v[6:7] offset1:4
	ds_write2st64_b64 v89, v[12:13], v[10:11] offset1:4
	s_waitcnt lgkmcnt(0)
	s_waitcnt_vscnt null, 0x0
	v_ashrrev_i32_e32 v3, 31, v2
	s_barrier
	buffer_gl0_inv
	v_lshlrev_b64 v[2:3], 3, v[2:3]
	v_add_co_u32 v4, s6, s20, v2
	v_add_co_ci_u32_e64 v5, null, s21, v3, s6
	s_nor_b32 s6, vcc_lo, s24
	s_and_saveexec_b32 s27, s6
	s_cbranch_execz .LBB191_44
; %bb.43:                               ;   in Loop: Header=BB191_30 Depth=1
	v_add_co_u32 v6, s6, v4, v70
	v_add_co_ci_u32_e64 v7, null, v5, v71, s6
	global_load_dwordx2 v[6:7], v[6:7], off
	s_waitcnt vmcnt(0)
	v_mul_f64 v[80:81], s[16:17], v[6:7]
.LBB191_44:                             ;   in Loop: Header=BB191_30 Depth=1
	s_or_b32 exec_lo, exec_lo, s27
	s_nor_b32 s6, vcc_lo, s8
	s_and_saveexec_b32 s27, s6
	s_cbranch_execz .LBB191_46
; %bb.45:                               ;   in Loop: Header=BB191_30 Depth=1
	v_add_co_u32 v4, s6, v4, v72
	v_add_co_ci_u32_e64 v5, null, v5, v73, s6
	global_load_dwordx2 v[4:5], v[4:5], off
	s_waitcnt vmcnt(0)
	v_mul_f64 v[78:79], s[16:17], v[4:5]
.LBB191_46:                             ;   in Loop: Header=BB191_30 Depth=1
	s_or_b32 exec_lo, exec_lo, s27
	v_add_co_u32 v2, s6, s18, v2
	v_mov_b32_e32 v82, 0
	v_mov_b32_e32 v84, 0
	;; [unrolled: 1-line block ×4, first 2 shown]
	v_add_co_ci_u32_e64 v3, null, s19, v3, s6
	s_nor_b32 s6, vcc_lo, s9
	s_and_saveexec_b32 s27, s6
	s_cbranch_execz .LBB191_48
; %bb.47:                               ;   in Loop: Header=BB191_30 Depth=1
	v_add_co_u32 v4, s6, v2, v74
	v_add_co_ci_u32_e64 v5, null, v3, v75, s6
	global_load_dwordx2 v[4:5], v[4:5], off
	s_waitcnt vmcnt(0)
	v_mul_f64 v[84:85], s[16:17], v[4:5]
.LBB191_48:                             ;   in Loop: Header=BB191_30 Depth=1
	s_or_b32 exec_lo, exec_lo, s27
	s_nor_b32 s27, vcc_lo, s10
	s_and_saveexec_b32 s6, s27
	s_cbranch_execz .LBB191_50
; %bb.49:                               ;   in Loop: Header=BB191_30 Depth=1
	v_add_co_u32 v2, vcc_lo, v2, v76
	v_add_co_ci_u32_e64 v3, null, v3, v77, vcc_lo
	global_load_dwordx2 v[2:3], v[2:3], off
	s_waitcnt vmcnt(0)
	v_mul_f64 v[82:83], s[16:17], v[2:3]
.LBB191_50:                             ;   in Loop: Header=BB191_30 Depth=1
	s_or_b32 exec_lo, exec_lo, s6
	s_mov_b32 s6, 0
.LBB191_51:                             ;   Parent Loop BB191_30 Depth=1
                                        ; =>  This Loop Header: Depth=2
                                        ;       Child Loop BB191_52 Depth 3
	s_lshl_b32 s27, s6, 3
	s_mov_b32 s28, 0
	v_add_nc_u32_e32 v30, s27, v88
	v_add_nc_u32_e32 v66, s27, v90
	s_mov_b32 s27, -1
	ds_read2_b64 v[2:5], v30 offset1:16
	ds_read2_b64 v[6:9], v30 offset0:32 offset1:48
	ds_read2_b64 v[10:13], v30 offset0:64 offset1:80
	;; [unrolled: 1-line block ×3, first 2 shown]
	v_add_nc_u32_e32 v62, 0x800, v30
	ds_read2_b64 v[18:21], v30 offset0:128 offset1:144
	ds_read2_b64 v[22:25], v30 offset0:160 offset1:176
	;; [unrolled: 1-line block ×4, first 2 shown]
	ds_read2_b64 v[34:37], v62 offset1:16
	ds_read2_b64 v[38:41], v62 offset0:32 offset1:48
	ds_read2_b64 v[42:45], v62 offset0:64 offset1:80
	ds_read2_b64 v[46:49], v62 offset0:96 offset1:112
	ds_read2_b64 v[50:53], v62 offset0:128 offset1:144
	ds_read2_b64 v[54:57], v62 offset0:160 offset1:176
	ds_read2_b64 v[58:61], v62 offset0:192 offset1:208
	ds_read2_b64 v[62:65], v62 offset0:224 offset1:240
	ds_read2st64_b64 v[66:69], v66 offset1:4
.LBB191_52:                             ;   Parent Loop BB191_30 Depth=1
                                        ;     Parent Loop BB191_51 Depth=2
                                        ; =>    This Inner Loop Header: Depth=3
	s_waitcnt lgkmcnt(16)
	v_max_f64 v[95:96], v[2:3], v[2:3]
	s_waitcnt lgkmcnt(0)
	v_max_f64 v[66:67], v[66:67], v[66:67]
	s_and_b32 vcc_lo, exec_lo, s27
	s_mov_b32 s27, 0
	v_min_f64 v[96:97], v[95:96], v[66:67]
	v_mov_b32_e32 v95, s28
	s_mov_b32 s28, s11
	s_clause 0xf
	buffer_load_dword v98, v95, s[0:3], 0 offen
	buffer_load_dword v99, v95, s[0:3], 0 offen offset:4
	buffer_load_dword v100, v95, s[0:3], 0 offen offset:8
	;; [unrolled: 1-line block ×15, first 2 shown]
	s_waitcnt vmcnt(14)
	v_add_f64 v[96:97], v[96:97], v[98:99]
	buffer_store_dword v96, v95, s[0:3], 0 offen
	buffer_store_dword v97, v95, s[0:3], 0 offen offset:4
	v_max_f64 v[96:97], v[4:5], v[4:5]
	v_min_f64 v[96:97], v[96:97], v[66:67]
	s_waitcnt vmcnt(12)
	v_add_f64 v[96:97], v[96:97], v[100:101]
	buffer_store_dword v96, v95, s[0:3], 0 offen offset:8
	buffer_store_dword v97, v95, s[0:3], 0 offen offset:12
	v_max_f64 v[96:97], v[6:7], v[6:7]
	v_min_f64 v[96:97], v[96:97], v[66:67]
	s_waitcnt vmcnt(10)
	v_add_f64 v[96:97], v[96:97], v[102:103]
	buffer_store_dword v96, v95, s[0:3], 0 offen offset:16
	;; [unrolled: 6-line block ×7, first 2 shown]
	buffer_store_dword v97, v95, s[0:3], 0 offen offset:60
	s_clause 0x1
	buffer_load_dword v99, v95, s[0:3], 0 offen offset:68
	buffer_load_dword v98, v95, s[0:3], 0 offen offset:64
	v_max_f64 v[96:97], v[18:19], v[18:19]
	v_min_f64 v[96:97], v[96:97], v[66:67]
	s_waitcnt vmcnt(0)
	v_add_f64 v[96:97], v[96:97], v[98:99]
	buffer_store_dword v97, v95, s[0:3], 0 offen offset:68
	buffer_store_dword v96, v95, s[0:3], 0 offen offset:64
	s_clause 0x1
	buffer_load_dword v98, v95, s[0:3], 0 offen offset:72
	buffer_load_dword v99, v95, s[0:3], 0 offen offset:76
	v_max_f64 v[96:97], v[20:21], v[20:21]
	v_min_f64 v[96:97], v[96:97], v[66:67]
	s_waitcnt vmcnt(0)
	v_add_f64 v[96:97], v[96:97], v[98:99]
	buffer_store_dword v97, v95, s[0:3], 0 offen offset:76
	;; [unrolled: 9-line block ×23, first 2 shown]
	buffer_store_dword v96, v95, s[0:3], 0 offen offset:240
	v_max_f64 v[96:97], v[64:65], v[64:65]
	v_min_f64 v[66:67], v[96:97], v[66:67]
	s_clause 0x1
	buffer_load_dword v96, v95, s[0:3], 0 offen offset:248
	buffer_load_dword v97, v95, s[0:3], 0 offen offset:252
	s_waitcnt vmcnt(0)
	v_add_f64 v[66:67], v[66:67], v[96:97]
	buffer_store_dword v67, v95, s[0:3], 0 offen offset:252
	buffer_store_dword v66, v95, s[0:3], 0 offen offset:248
	v_mov_b32_e32 v66, v68
	v_mov_b32_e32 v67, v69
	s_cbranch_vccnz .LBB191_52
; %bb.53:                               ;   in Loop: Header=BB191_51 Depth=2
	s_add_i32 s6, s6, 1
	s_cmp_eq_u32 s6, 4
	s_cbranch_scc0 .LBB191_51
; %bb.54:                               ;   in Loop: Header=BB191_30 Depth=1
	s_add_i32 s26, s26, 8
	s_add_i32 s25, s25, 8
	s_cmp_ge_i32 s26, s23
	ds_write2st64_b64 v93, v[80:81], v[78:79] offset1:4
	ds_write2st64_b64 v94, v[84:85], v[82:83] offset1:4
	s_waitcnt lgkmcnt(0)
	s_waitcnt_vscnt null, 0x0
	s_barrier
	buffer_gl0_inv
	s_cbranch_scc0 .LBB191_30
.LBB191_55:
	s_mov_b32 s6, 0
.LBB191_56:                             ; =>This Loop Header: Depth=1
                                        ;     Child Loop BB191_57 Depth 2
	s_lshl_b32 s8, s6, 3
	s_mov_b32 s9, 0
	v_add_nc_u32_e32 v6, s8, v91
	v_add_nc_u32_e32 v70, s8, v92
	s_mov_b32 s8, -1
	ds_read2_b64 v[2:5], v6 offset1:16
	ds_read2_b64 v[10:13], v6 offset0:32 offset1:48
	ds_read2_b64 v[14:17], v6 offset0:64 offset1:80
	v_add_nc_u32_e32 v7, 0x800, v6
	ds_read2_b64 v[18:21], v6 offset0:96 offset1:112
	ds_read2_b64 v[22:25], v6 offset0:128 offset1:144
	;; [unrolled: 1-line block ×5, first 2 shown]
	ds_read2_b64 v[38:41], v7 offset1:16
	ds_read2_b64 v[42:45], v7 offset0:32 offset1:48
	ds_read2_b64 v[46:49], v7 offset0:64 offset1:80
	;; [unrolled: 1-line block ×7, first 2 shown]
	s_waitcnt lgkmcnt(11)
	v_max_f64 v[22:23], v[22:23], v[22:23]
	v_max_f64 v[24:25], v[24:25], v[24:25]
	s_waitcnt lgkmcnt(10)
	v_max_f64 v[26:27], v[26:27], v[26:27]
	v_max_f64 v[28:29], v[28:29], v[28:29]
	;; [unrolled: 3-line block ×3, first 2 shown]
	v_max_f64 v[6:7], v[2:3], v[2:3]
	v_max_f64 v[8:9], v[4:5], v[4:5]
	;; [unrolled: 1-line block ×8, first 2 shown]
	s_waitcnt lgkmcnt(8)
	v_max_f64 v[34:35], v[34:35], v[34:35]
	v_max_f64 v[36:37], v[36:37], v[36:37]
	s_waitcnt lgkmcnt(7)
	v_max_f64 v[38:39], v[38:39], v[38:39]
	v_max_f64 v[40:41], v[40:41], v[40:41]
	;; [unrolled: 3-line block ×9, first 2 shown]
	ds_read2st64_b64 v[2:5], v70 offset1:4
.LBB191_57:                             ;   Parent Loop BB191_56 Depth=1
                                        ; =>  This Inner Loop Header: Depth=2
	v_mov_b32_e32 v70, s9
	s_waitcnt lgkmcnt(0)
	v_max_f64 v[2:3], v[2:3], v[2:3]
	s_and_b32 vcc_lo, exec_lo, s8
	s_mov_b32 s8, 0
	s_mov_b32 s9, s11
	s_clause 0xf
	buffer_load_dword v73, v70, s[0:3], 0 offen
	buffer_load_dword v74, v70, s[0:3], 0 offen offset:4
	buffer_load_dword v75, v70, s[0:3], 0 offen offset:8
	;; [unrolled: 1-line block ×15, first 2 shown]
	v_min_f64 v[71:72], v[6:7], v[2:3]
	s_waitcnt vmcnt(14)
	v_add_f64 v[71:72], v[71:72], v[73:74]
	buffer_store_dword v71, v70, s[0:3], 0 offen
	buffer_store_dword v72, v70, s[0:3], 0 offen offset:4
	v_min_f64 v[71:72], v[8:9], v[2:3]
	s_waitcnt vmcnt(12)
	v_add_f64 v[71:72], v[71:72], v[75:76]
	buffer_store_dword v71, v70, s[0:3], 0 offen offset:8
	buffer_store_dword v72, v70, s[0:3], 0 offen offset:12
	v_min_f64 v[71:72], v[10:11], v[2:3]
	s_waitcnt vmcnt(10)
	v_add_f64 v[71:72], v[71:72], v[77:78]
	buffer_store_dword v71, v70, s[0:3], 0 offen offset:16
	;; [unrolled: 5-line block ×7, first 2 shown]
	buffer_store_dword v72, v70, s[0:3], 0 offen offset:60
	s_clause 0x1
	buffer_load_dword v74, v70, s[0:3], 0 offen offset:68
	buffer_load_dword v73, v70, s[0:3], 0 offen offset:64
	v_min_f64 v[71:72], v[22:23], v[2:3]
	s_waitcnt vmcnt(0)
	v_add_f64 v[71:72], v[71:72], v[73:74]
	buffer_store_dword v72, v70, s[0:3], 0 offen offset:68
	buffer_store_dword v71, v70, s[0:3], 0 offen offset:64
	s_clause 0x1
	buffer_load_dword v73, v70, s[0:3], 0 offen offset:72
	buffer_load_dword v74, v70, s[0:3], 0 offen offset:76
	v_min_f64 v[71:72], v[24:25], v[2:3]
	s_waitcnt vmcnt(0)
	v_add_f64 v[71:72], v[71:72], v[73:74]
	buffer_store_dword v72, v70, s[0:3], 0 offen offset:76
	;; [unrolled: 8-line block ×22, first 2 shown]
	buffer_store_dword v71, v70, s[0:3], 0 offen offset:232
	s_clause 0x1
	buffer_load_dword v73, v70, s[0:3], 0 offen offset:240
	buffer_load_dword v74, v70, s[0:3], 0 offen offset:244
	v_min_f64 v[71:72], v[66:67], v[2:3]
	v_min_f64 v[2:3], v[68:69], v[2:3]
	s_waitcnt vmcnt(0)
	v_add_f64 v[71:72], v[71:72], v[73:74]
	buffer_store_dword v72, v70, s[0:3], 0 offen offset:244
	buffer_store_dword v71, v70, s[0:3], 0 offen offset:240
	s_clause 0x1
	buffer_load_dword v71, v70, s[0:3], 0 offen offset:248
	buffer_load_dword v72, v70, s[0:3], 0 offen offset:252
	s_waitcnt vmcnt(0)
	v_add_f64 v[2:3], v[2:3], v[71:72]
	buffer_store_dword v3, v70, s[0:3], 0 offen offset:252
	buffer_store_dword v2, v70, s[0:3], 0 offen offset:248
	v_mov_b32_e32 v2, v4
	v_mov_b32_e32 v3, v5
	s_cbranch_vccnz .LBB191_57
; %bb.58:                               ;   in Loop: Header=BB191_56 Depth=1
	s_add_i32 s6, s6, 1
	s_cmp_eq_u32 s6, 4
	s_cbranch_scc0 .LBB191_56
; %bb.59:
	s_clause 0x2
	s_load_dwordx2 s[8:9], s[4:5], 0x78
	s_load_dword s43, s[4:5], 0x58
	s_load_dword s42, s[4:5], 0x70
	v_add_nc_u32_e32 v71, s13, v1
	v_add_nc_u32_e32 v0, s12, v0
	v_cndmask_b32_e64 v70, 0, 1, s46
	v_cmp_gt_i32_e64 s13, s41, v71
	s_waitcnt lgkmcnt(0)
	s_mul_i32 s4, s9, s7
	v_mad_i64_i32 v[1:2], null, v71, s43, 0
	v_mad_i64_i32 v[3:4], null, v71, s42, 0
	s_mul_hi_u32 s5, s8, s7
	s_mul_i32 s6, s8, s7
	s_add_i32 s7, s5, s4
	v_cmp_gt_i32_e64 s4, s40, v0
	v_lshlrev_b64 v[5:6], 3, v[1:2]
	s_lshl_b64 s[6:7], s[6:7], 3
	v_lshlrev_b64 v[2:3], 3, v[3:4]
	s_add_u32 s47, s14, s6
	s_addc_u32 s48, s15, s7
	v_ashrrev_i32_e32 v1, 31, v0
	v_add_co_u32 v68, vcc_lo, s44, v5
	v_add_co_ci_u32_e64 v69, null, s45, v6, vcc_lo
	v_add_co_u32 v72, vcc_lo, s47, v2
	v_add_co_ci_u32_e64 v73, null, s48, v3, vcc_lo
	s_and_b32 s6, s13, s4
	s_and_saveexec_b32 s5, s6
	s_cbranch_execz .LBB191_64
; %bb.60:
	s_clause 0x1
	buffer_load_dword v2, off, s[0:3], 0
	buffer_load_dword v3, off, s[0:3], 0 offset:4
	v_lshlrev_b64 v[4:5], 3, v[0:1]
	s_andn2_b32 vcc_lo, exec_lo, s46
	s_cbranch_vccnz .LBB191_62
; %bb.61:
	v_add_co_u32 v6, vcc_lo, v68, v4
	v_add_co_ci_u32_e64 v7, null, v69, v5, vcc_lo
	global_load_dwordx2 v[6:7], v[6:7], off
	s_waitcnt vmcnt(0)
	v_mul_f64 v[6:7], s[38:39], v[6:7]
	s_branch .LBB191_63
.LBB191_62:
	v_mov_b32_e32 v6, 0
	v_mov_b32_e32 v7, 0
.LBB191_63:
	s_waitcnt vmcnt(0)
	v_add_f64 v[2:3], v[2:3], v[6:7]
	v_add_co_u32 v4, vcc_lo, v72, v4
	v_add_co_ci_u32_e64 v5, null, v73, v5, vcc_lo
	global_store_dwordx2 v[4:5], v[2:3], off
.LBB191_64:
	s_or_b32 exec_lo, exec_lo, s5
	v_add_nc_u32_e32 v2, 4, v0
	v_cmp_gt_i32_e64 s5, s40, v2
	v_ashrrev_i32_e32 v3, 31, v2
	s_and_b32 s7, s13, s5
	s_and_saveexec_b32 s6, s7
	s_cbranch_execz .LBB191_69
; %bb.65:
	s_clause 0x1
	buffer_load_dword v4, off, s[0:3], 0 offset:8
	buffer_load_dword v5, off, s[0:3], 0 offset:12
	v_lshlrev_b64 v[6:7], 3, v[2:3]
	s_andn2_b32 vcc_lo, exec_lo, s46
	s_cbranch_vccnz .LBB191_67
; %bb.66:
	v_add_co_u32 v8, vcc_lo, v68, v6
	v_add_co_ci_u32_e64 v9, null, v69, v7, vcc_lo
	global_load_dwordx2 v[8:9], v[8:9], off
	s_waitcnt vmcnt(0)
	v_mul_f64 v[8:9], s[38:39], v[8:9]
	s_branch .LBB191_68
.LBB191_67:
	v_mov_b32_e32 v8, 0
	v_mov_b32_e32 v9, 0
.LBB191_68:
	s_waitcnt vmcnt(0)
	v_add_f64 v[4:5], v[4:5], v[8:9]
	v_add_co_u32 v6, vcc_lo, v72, v6
	v_add_co_ci_u32_e64 v7, null, v73, v7, vcc_lo
	global_store_dwordx2 v[6:7], v[4:5], off
.LBB191_69:
	s_or_b32 exec_lo, exec_lo, s6
	v_add_nc_u32_e32 v4, 8, v0
	v_cmp_gt_i32_e64 s6, s40, v4
	v_ashrrev_i32_e32 v5, 31, v4
	s_and_b32 s8, s13, s6
	s_and_saveexec_b32 s7, s8
	s_cbranch_execz .LBB191_74
; %bb.70:
	s_clause 0x1
	buffer_load_dword v6, off, s[0:3], 0 offset:16
	buffer_load_dword v7, off, s[0:3], 0 offset:20
	v_lshlrev_b64 v[8:9], 3, v[4:5]
	s_andn2_b32 vcc_lo, exec_lo, s46
	s_cbranch_vccnz .LBB191_72
; %bb.71:
	v_add_co_u32 v10, vcc_lo, v68, v8
	v_add_co_ci_u32_e64 v11, null, v69, v9, vcc_lo
	global_load_dwordx2 v[10:11], v[10:11], off
	s_waitcnt vmcnt(0)
	v_mul_f64 v[10:11], s[38:39], v[10:11]
	s_branch .LBB191_73
.LBB191_72:
	v_mov_b32_e32 v10, 0
	v_mov_b32_e32 v11, 0
.LBB191_73:
	s_waitcnt vmcnt(0)
	v_add_f64 v[6:7], v[6:7], v[10:11]
	v_add_co_u32 v8, vcc_lo, v72, v8
	v_add_co_ci_u32_e64 v9, null, v73, v9, vcc_lo
	global_store_dwordx2 v[8:9], v[6:7], off
.LBB191_74:
	;; [unrolled: 31-line block ×31, first 2 shown]
	s_or_b32 exec_lo, exec_lo, s13
	v_add_nc_u32_e32 v68, 64, v71
	v_mad_i64_i32 v[64:65], null, v68, s43, 0
	v_mad_i64_i32 v[66:67], null, v68, s42, 0
	v_cmp_gt_i32_e64 s13, s41, v68
	v_lshlrev_b64 v[64:65], 3, v[64:65]
	s_and_b32 s4, s13, s4
	v_lshlrev_b64 v[66:67], 3, v[66:67]
	v_add_co_u32 v71, vcc_lo, s44, v64
	v_add_co_ci_u32_e64 v72, null, s45, v65, vcc_lo
	v_add_co_u32 v68, vcc_lo, s47, v66
	v_add_co_ci_u32_e64 v69, null, s48, v67, vcc_lo
	s_and_saveexec_b32 s40, s4
	s_xor_b32 s4, exec_lo, s40
	s_cbranch_execnz .LBB191_252
; %bb.220:
	s_or_b32 exec_lo, exec_lo, s4
	s_and_b32 s5, s13, s5
	s_and_saveexec_b32 s4, s5
	s_cbranch_execnz .LBB191_256
.LBB191_221:
	s_or_b32 exec_lo, exec_lo, s4
	s_and_b32 s5, s13, s6
	s_and_saveexec_b32 s4, s5
	s_cbranch_execnz .LBB191_260
.LBB191_222:
	s_or_b32 exec_lo, exec_lo, s4
	s_and_b32 s5, s13, s7
	s_and_saveexec_b32 s4, s5
	s_cbranch_execnz .LBB191_264
.LBB191_223:
	s_or_b32 exec_lo, exec_lo, s4
	s_and_b32 s5, s13, s8
	s_and_saveexec_b32 s4, s5
	s_cbranch_execnz .LBB191_268
.LBB191_224:
	s_or_b32 exec_lo, exec_lo, s4
	s_and_b32 s5, s13, s9
	s_and_saveexec_b32 s4, s5
	s_cbranch_execnz .LBB191_272
.LBB191_225:
	s_or_b32 exec_lo, exec_lo, s4
	s_and_b32 s5, s13, s10
	s_and_saveexec_b32 s4, s5
	s_cbranch_execnz .LBB191_276
.LBB191_226:
	s_or_b32 exec_lo, exec_lo, s4
	s_and_b32 s5, s13, s11
	s_and_saveexec_b32 s4, s5
	s_cbranch_execnz .LBB191_280
.LBB191_227:
	s_or_b32 exec_lo, exec_lo, s4
	s_and_b32 s5, s13, s12
	s_and_saveexec_b32 s4, s5
	s_cbranch_execnz .LBB191_284
.LBB191_228:
	s_or_b32 exec_lo, exec_lo, s4
	s_and_b32 s5, s13, s14
	s_and_saveexec_b32 s4, s5
	s_cbranch_execnz .LBB191_288
.LBB191_229:
	s_or_b32 exec_lo, exec_lo, s4
	s_and_b32 s5, s13, s15
	s_and_saveexec_b32 s4, s5
	s_cbranch_execnz .LBB191_292
.LBB191_230:
	s_or_b32 exec_lo, exec_lo, s4
	s_and_b32 s5, s13, s16
	s_and_saveexec_b32 s4, s5
	s_cbranch_execnz .LBB191_296
.LBB191_231:
	s_or_b32 exec_lo, exec_lo, s4
	s_and_b32 s5, s13, s17
	s_and_saveexec_b32 s4, s5
	s_cbranch_execnz .LBB191_300
.LBB191_232:
	s_or_b32 exec_lo, exec_lo, s4
	s_and_b32 s5, s13, s18
	s_and_saveexec_b32 s4, s5
	s_cbranch_execnz .LBB191_304
.LBB191_233:
	s_or_b32 exec_lo, exec_lo, s4
	s_and_b32 s5, s13, s19
	s_and_saveexec_b32 s4, s5
	s_cbranch_execnz .LBB191_308
.LBB191_234:
	s_or_b32 exec_lo, exec_lo, s4
	s_and_b32 s5, s13, s20
	s_and_saveexec_b32 s4, s5
	s_cbranch_execnz .LBB191_312
.LBB191_235:
	s_or_b32 exec_lo, exec_lo, s4
	s_and_b32 s5, s13, s21
	s_and_saveexec_b32 s4, s5
	s_cbranch_execnz .LBB191_316
.LBB191_236:
	s_or_b32 exec_lo, exec_lo, s4
	s_and_b32 s5, s13, s22
	s_and_saveexec_b32 s4, s5
	s_cbranch_execnz .LBB191_320
.LBB191_237:
	s_or_b32 exec_lo, exec_lo, s4
	s_and_b32 s5, s13, s23
	s_and_saveexec_b32 s4, s5
	s_cbranch_execnz .LBB191_324
.LBB191_238:
	s_or_b32 exec_lo, exec_lo, s4
	s_and_b32 s5, s13, s24
	s_and_saveexec_b32 s4, s5
	s_cbranch_execnz .LBB191_328
.LBB191_239:
	s_or_b32 exec_lo, exec_lo, s4
	s_and_b32 s5, s13, s25
	s_and_saveexec_b32 s4, s5
	s_cbranch_execnz .LBB191_332
.LBB191_240:
	s_or_b32 exec_lo, exec_lo, s4
	s_and_b32 s5, s13, s26
	s_and_saveexec_b32 s4, s5
	s_cbranch_execnz .LBB191_336
.LBB191_241:
	s_or_b32 exec_lo, exec_lo, s4
	s_and_b32 s5, s13, s27
	s_and_saveexec_b32 s4, s5
	s_cbranch_execnz .LBB191_340
.LBB191_242:
	s_or_b32 exec_lo, exec_lo, s4
	s_and_b32 s5, s13, s28
	s_and_saveexec_b32 s4, s5
	s_cbranch_execnz .LBB191_344
.LBB191_243:
	s_or_b32 exec_lo, exec_lo, s4
	s_and_b32 s5, s13, s29
	s_and_saveexec_b32 s4, s5
	s_cbranch_execnz .LBB191_348
.LBB191_244:
	s_or_b32 exec_lo, exec_lo, s4
	s_and_b32 s5, s13, s30
	s_and_saveexec_b32 s4, s5
	s_cbranch_execnz .LBB191_352
.LBB191_245:
	s_or_b32 exec_lo, exec_lo, s4
	s_and_b32 s5, s13, s31
	s_and_saveexec_b32 s4, s5
	s_cbranch_execnz .LBB191_356
.LBB191_246:
	s_or_b32 exec_lo, exec_lo, s4
	s_and_b32 s5, s13, s33
	s_and_saveexec_b32 s4, s5
	s_cbranch_execnz .LBB191_360
.LBB191_247:
	s_or_b32 exec_lo, exec_lo, s4
	s_and_b32 s5, s13, s34
	s_and_saveexec_b32 s4, s5
	s_cbranch_execnz .LBB191_364
.LBB191_248:
	s_or_b32 exec_lo, exec_lo, s4
	s_and_b32 s5, s13, s35
	s_and_saveexec_b32 s4, s5
	s_cbranch_execnz .LBB191_368
.LBB191_249:
	s_or_b32 exec_lo, exec_lo, s4
	s_and_b32 s5, s13, s36
	s_and_saveexec_b32 s4, s5
	s_cbranch_execnz .LBB191_372
.LBB191_250:
	s_or_b32 exec_lo, exec_lo, s4
	s_and_b32 s4, s13, s37
	s_and_saveexec_b32 s5, s4
	s_cbranch_execnz .LBB191_376
.LBB191_251:
	s_endpgm
.LBB191_252:
	s_clause 0x1
	buffer_load_dword v64, off, s[0:3], 0 offset:256
	buffer_load_dword v65, off, s[0:3], 0 offset:260
	v_lshlrev_b64 v[0:1], 3, v[0:1]
	s_andn2_b32 vcc_lo, exec_lo, s46
	s_cbranch_vccnz .LBB191_254
; %bb.253:
	v_add_co_u32 v66, vcc_lo, v71, v0
	v_add_co_ci_u32_e64 v67, null, v72, v1, vcc_lo
	global_load_dwordx2 v[66:67], v[66:67], off
	s_waitcnt vmcnt(0)
	v_mul_f64 v[66:67], s[38:39], v[66:67]
	s_branch .LBB191_255
.LBB191_254:
	v_mov_b32_e32 v66, 0
	v_mov_b32_e32 v67, 0
.LBB191_255:
	s_waitcnt vmcnt(0)
	v_add_f64 v[64:65], v[64:65], v[66:67]
	v_add_co_u32 v0, vcc_lo, v68, v0
	v_add_co_ci_u32_e64 v1, null, v69, v1, vcc_lo
	global_store_dwordx2 v[0:1], v[64:65], off
	s_or_b32 exec_lo, exec_lo, s4
	s_and_b32 s5, s13, s5
	s_and_saveexec_b32 s4, s5
	s_cbranch_execz .LBB191_221
.LBB191_256:
	s_clause 0x1
	buffer_load_dword v0, off, s[0:3], 0 offset:264
	buffer_load_dword v1, off, s[0:3], 0 offset:268
	v_cmp_ne_u32_e32 vcc_lo, 1, v70
	v_lshlrev_b64 v[2:3], 3, v[2:3]
	s_cbranch_vccnz .LBB191_258
; %bb.257:
	v_add_co_u32 v64, vcc_lo, v71, v2
	v_add_co_ci_u32_e64 v65, null, v72, v3, vcc_lo
	global_load_dwordx2 v[64:65], v[64:65], off
	s_waitcnt vmcnt(0)
	v_mul_f64 v[64:65], s[38:39], v[64:65]
	s_branch .LBB191_259
.LBB191_258:
	v_mov_b32_e32 v64, 0
	v_mov_b32_e32 v65, 0
.LBB191_259:
	s_waitcnt vmcnt(0)
	v_add_f64 v[0:1], v[0:1], v[64:65]
	v_add_co_u32 v2, vcc_lo, v68, v2
	v_add_co_ci_u32_e64 v3, null, v69, v3, vcc_lo
	global_store_dwordx2 v[2:3], v[0:1], off
	s_or_b32 exec_lo, exec_lo, s4
	s_and_b32 s5, s13, s6
	s_and_saveexec_b32 s4, s5
	s_cbranch_execz .LBB191_222
.LBB191_260:
	s_clause 0x1
	buffer_load_dword v0, off, s[0:3], 0 offset:272
	buffer_load_dword v1, off, s[0:3], 0 offset:276
	v_cmp_ne_u32_e32 vcc_lo, 1, v70
	v_lshlrev_b64 v[2:3], 3, v[4:5]
	s_cbranch_vccnz .LBB191_262
; %bb.261:
	v_add_co_u32 v4, vcc_lo, v71, v2
	v_add_co_ci_u32_e64 v5, null, v72, v3, vcc_lo
	global_load_dwordx2 v[4:5], v[4:5], off
	s_waitcnt vmcnt(0)
	v_mul_f64 v[4:5], s[38:39], v[4:5]
	s_branch .LBB191_263
.LBB191_262:
	v_mov_b32_e32 v4, 0
	v_mov_b32_e32 v5, 0
.LBB191_263:
	s_waitcnt vmcnt(0)
	v_add_f64 v[0:1], v[0:1], v[4:5]
	v_add_co_u32 v2, vcc_lo, v68, v2
	v_add_co_ci_u32_e64 v3, null, v69, v3, vcc_lo
	global_store_dwordx2 v[2:3], v[0:1], off
	s_or_b32 exec_lo, exec_lo, s4
	s_and_b32 s5, s13, s7
	s_and_saveexec_b32 s4, s5
	s_cbranch_execz .LBB191_223
.LBB191_264:
	s_clause 0x1
	buffer_load_dword v0, off, s[0:3], 0 offset:280
	buffer_load_dword v1, off, s[0:3], 0 offset:284
	v_cmp_ne_u32_e32 vcc_lo, 1, v70
	v_lshlrev_b64 v[2:3], 3, v[6:7]
	s_cbranch_vccnz .LBB191_266
; %bb.265:
	v_add_co_u32 v4, vcc_lo, v71, v2
	v_add_co_ci_u32_e64 v5, null, v72, v3, vcc_lo
	global_load_dwordx2 v[4:5], v[4:5], off
	s_waitcnt vmcnt(0)
	v_mul_f64 v[4:5], s[38:39], v[4:5]
	s_branch .LBB191_267
.LBB191_266:
	v_mov_b32_e32 v4, 0
	v_mov_b32_e32 v5, 0
.LBB191_267:
	s_waitcnt vmcnt(0)
	v_add_f64 v[0:1], v[0:1], v[4:5]
	v_add_co_u32 v2, vcc_lo, v68, v2
	v_add_co_ci_u32_e64 v3, null, v69, v3, vcc_lo
	global_store_dwordx2 v[2:3], v[0:1], off
	s_or_b32 exec_lo, exec_lo, s4
	s_and_b32 s5, s13, s8
	s_and_saveexec_b32 s4, s5
	s_cbranch_execz .LBB191_224
.LBB191_268:
	s_clause 0x1
	buffer_load_dword v0, off, s[0:3], 0 offset:288
	buffer_load_dword v1, off, s[0:3], 0 offset:292
	v_cmp_ne_u32_e32 vcc_lo, 1, v70
	v_lshlrev_b64 v[2:3], 3, v[8:9]
	s_cbranch_vccnz .LBB191_270
; %bb.269:
	v_add_co_u32 v4, vcc_lo, v71, v2
	v_add_co_ci_u32_e64 v5, null, v72, v3, vcc_lo
	global_load_dwordx2 v[4:5], v[4:5], off
	s_waitcnt vmcnt(0)
	v_mul_f64 v[4:5], s[38:39], v[4:5]
	s_branch .LBB191_271
.LBB191_270:
	v_mov_b32_e32 v4, 0
	v_mov_b32_e32 v5, 0
.LBB191_271:
	s_waitcnt vmcnt(0)
	v_add_f64 v[0:1], v[0:1], v[4:5]
	v_add_co_u32 v2, vcc_lo, v68, v2
	v_add_co_ci_u32_e64 v3, null, v69, v3, vcc_lo
	global_store_dwordx2 v[2:3], v[0:1], off
	s_or_b32 exec_lo, exec_lo, s4
	s_and_b32 s5, s13, s9
	s_and_saveexec_b32 s4, s5
	s_cbranch_execz .LBB191_225
.LBB191_272:
	s_clause 0x1
	buffer_load_dword v0, off, s[0:3], 0 offset:296
	buffer_load_dword v1, off, s[0:3], 0 offset:300
	v_cmp_ne_u32_e32 vcc_lo, 1, v70
	v_lshlrev_b64 v[2:3], 3, v[10:11]
	s_cbranch_vccnz .LBB191_274
; %bb.273:
	v_add_co_u32 v4, vcc_lo, v71, v2
	v_add_co_ci_u32_e64 v5, null, v72, v3, vcc_lo
	global_load_dwordx2 v[4:5], v[4:5], off
	s_waitcnt vmcnt(0)
	v_mul_f64 v[4:5], s[38:39], v[4:5]
	s_branch .LBB191_275
.LBB191_274:
	v_mov_b32_e32 v4, 0
	v_mov_b32_e32 v5, 0
.LBB191_275:
	s_waitcnt vmcnt(0)
	v_add_f64 v[0:1], v[0:1], v[4:5]
	v_add_co_u32 v2, vcc_lo, v68, v2
	v_add_co_ci_u32_e64 v3, null, v69, v3, vcc_lo
	global_store_dwordx2 v[2:3], v[0:1], off
	s_or_b32 exec_lo, exec_lo, s4
	s_and_b32 s5, s13, s10
	s_and_saveexec_b32 s4, s5
	s_cbranch_execz .LBB191_226
.LBB191_276:
	s_clause 0x1
	buffer_load_dword v0, off, s[0:3], 0 offset:304
	buffer_load_dword v1, off, s[0:3], 0 offset:308
	v_cmp_ne_u32_e32 vcc_lo, 1, v70
	v_lshlrev_b64 v[2:3], 3, v[12:13]
	s_cbranch_vccnz .LBB191_278
; %bb.277:
	v_add_co_u32 v4, vcc_lo, v71, v2
	v_add_co_ci_u32_e64 v5, null, v72, v3, vcc_lo
	global_load_dwordx2 v[4:5], v[4:5], off
	s_waitcnt vmcnt(0)
	v_mul_f64 v[4:5], s[38:39], v[4:5]
	s_branch .LBB191_279
.LBB191_278:
	v_mov_b32_e32 v4, 0
	v_mov_b32_e32 v5, 0
.LBB191_279:
	s_waitcnt vmcnt(0)
	v_add_f64 v[0:1], v[0:1], v[4:5]
	v_add_co_u32 v2, vcc_lo, v68, v2
	v_add_co_ci_u32_e64 v3, null, v69, v3, vcc_lo
	global_store_dwordx2 v[2:3], v[0:1], off
	s_or_b32 exec_lo, exec_lo, s4
	s_and_b32 s5, s13, s11
	s_and_saveexec_b32 s4, s5
	s_cbranch_execz .LBB191_227
.LBB191_280:
	s_clause 0x1
	buffer_load_dword v0, off, s[0:3], 0 offset:312
	buffer_load_dword v1, off, s[0:3], 0 offset:316
	v_cmp_ne_u32_e32 vcc_lo, 1, v70
	v_lshlrev_b64 v[2:3], 3, v[14:15]
	s_cbranch_vccnz .LBB191_282
; %bb.281:
	v_add_co_u32 v4, vcc_lo, v71, v2
	v_add_co_ci_u32_e64 v5, null, v72, v3, vcc_lo
	global_load_dwordx2 v[4:5], v[4:5], off
	s_waitcnt vmcnt(0)
	v_mul_f64 v[4:5], s[38:39], v[4:5]
	s_branch .LBB191_283
.LBB191_282:
	v_mov_b32_e32 v4, 0
	v_mov_b32_e32 v5, 0
.LBB191_283:
	s_waitcnt vmcnt(0)
	v_add_f64 v[0:1], v[0:1], v[4:5]
	v_add_co_u32 v2, vcc_lo, v68, v2
	v_add_co_ci_u32_e64 v3, null, v69, v3, vcc_lo
	global_store_dwordx2 v[2:3], v[0:1], off
	s_or_b32 exec_lo, exec_lo, s4
	s_and_b32 s5, s13, s12
	s_and_saveexec_b32 s4, s5
	s_cbranch_execz .LBB191_228
.LBB191_284:
	s_clause 0x1
	buffer_load_dword v0, off, s[0:3], 0 offset:320
	buffer_load_dword v1, off, s[0:3], 0 offset:324
	v_cmp_ne_u32_e32 vcc_lo, 1, v70
	v_lshlrev_b64 v[2:3], 3, v[16:17]
	s_cbranch_vccnz .LBB191_286
; %bb.285:
	v_add_co_u32 v4, vcc_lo, v71, v2
	v_add_co_ci_u32_e64 v5, null, v72, v3, vcc_lo
	global_load_dwordx2 v[4:5], v[4:5], off
	s_waitcnt vmcnt(0)
	v_mul_f64 v[4:5], s[38:39], v[4:5]
	s_branch .LBB191_287
.LBB191_286:
	v_mov_b32_e32 v4, 0
	v_mov_b32_e32 v5, 0
.LBB191_287:
	s_waitcnt vmcnt(0)
	v_add_f64 v[0:1], v[0:1], v[4:5]
	v_add_co_u32 v2, vcc_lo, v68, v2
	v_add_co_ci_u32_e64 v3, null, v69, v3, vcc_lo
	global_store_dwordx2 v[2:3], v[0:1], off
	s_or_b32 exec_lo, exec_lo, s4
	s_and_b32 s5, s13, s14
	s_and_saveexec_b32 s4, s5
	s_cbranch_execz .LBB191_229
.LBB191_288:
	s_clause 0x1
	buffer_load_dword v0, off, s[0:3], 0 offset:328
	buffer_load_dword v1, off, s[0:3], 0 offset:332
	v_cmp_ne_u32_e32 vcc_lo, 1, v70
	v_lshlrev_b64 v[2:3], 3, v[18:19]
	s_cbranch_vccnz .LBB191_290
; %bb.289:
	v_add_co_u32 v4, vcc_lo, v71, v2
	v_add_co_ci_u32_e64 v5, null, v72, v3, vcc_lo
	global_load_dwordx2 v[4:5], v[4:5], off
	s_waitcnt vmcnt(0)
	v_mul_f64 v[4:5], s[38:39], v[4:5]
	s_branch .LBB191_291
.LBB191_290:
	v_mov_b32_e32 v4, 0
	v_mov_b32_e32 v5, 0
.LBB191_291:
	s_waitcnt vmcnt(0)
	v_add_f64 v[0:1], v[0:1], v[4:5]
	v_add_co_u32 v2, vcc_lo, v68, v2
	v_add_co_ci_u32_e64 v3, null, v69, v3, vcc_lo
	global_store_dwordx2 v[2:3], v[0:1], off
	s_or_b32 exec_lo, exec_lo, s4
	s_and_b32 s5, s13, s15
	s_and_saveexec_b32 s4, s5
	s_cbranch_execz .LBB191_230
.LBB191_292:
	s_clause 0x1
	buffer_load_dword v0, off, s[0:3], 0 offset:336
	buffer_load_dword v1, off, s[0:3], 0 offset:340
	v_cmp_ne_u32_e32 vcc_lo, 1, v70
	v_lshlrev_b64 v[2:3], 3, v[20:21]
	s_cbranch_vccnz .LBB191_294
; %bb.293:
	v_add_co_u32 v4, vcc_lo, v71, v2
	v_add_co_ci_u32_e64 v5, null, v72, v3, vcc_lo
	global_load_dwordx2 v[4:5], v[4:5], off
	s_waitcnt vmcnt(0)
	v_mul_f64 v[4:5], s[38:39], v[4:5]
	s_branch .LBB191_295
.LBB191_294:
	v_mov_b32_e32 v4, 0
	v_mov_b32_e32 v5, 0
.LBB191_295:
	s_waitcnt vmcnt(0)
	v_add_f64 v[0:1], v[0:1], v[4:5]
	v_add_co_u32 v2, vcc_lo, v68, v2
	v_add_co_ci_u32_e64 v3, null, v69, v3, vcc_lo
	global_store_dwordx2 v[2:3], v[0:1], off
	s_or_b32 exec_lo, exec_lo, s4
	s_and_b32 s5, s13, s16
	s_and_saveexec_b32 s4, s5
	s_cbranch_execz .LBB191_231
.LBB191_296:
	s_clause 0x1
	buffer_load_dword v0, off, s[0:3], 0 offset:344
	buffer_load_dword v1, off, s[0:3], 0 offset:348
	v_cmp_ne_u32_e32 vcc_lo, 1, v70
	v_lshlrev_b64 v[2:3], 3, v[22:23]
	s_cbranch_vccnz .LBB191_298
; %bb.297:
	v_add_co_u32 v4, vcc_lo, v71, v2
	v_add_co_ci_u32_e64 v5, null, v72, v3, vcc_lo
	global_load_dwordx2 v[4:5], v[4:5], off
	s_waitcnt vmcnt(0)
	v_mul_f64 v[4:5], s[38:39], v[4:5]
	s_branch .LBB191_299
.LBB191_298:
	v_mov_b32_e32 v4, 0
	v_mov_b32_e32 v5, 0
.LBB191_299:
	s_waitcnt vmcnt(0)
	v_add_f64 v[0:1], v[0:1], v[4:5]
	v_add_co_u32 v2, vcc_lo, v68, v2
	v_add_co_ci_u32_e64 v3, null, v69, v3, vcc_lo
	global_store_dwordx2 v[2:3], v[0:1], off
	s_or_b32 exec_lo, exec_lo, s4
	s_and_b32 s5, s13, s17
	s_and_saveexec_b32 s4, s5
	s_cbranch_execz .LBB191_232
.LBB191_300:
	s_clause 0x1
	buffer_load_dword v0, off, s[0:3], 0 offset:352
	buffer_load_dword v1, off, s[0:3], 0 offset:356
	v_cmp_ne_u32_e32 vcc_lo, 1, v70
	v_lshlrev_b64 v[2:3], 3, v[24:25]
	s_cbranch_vccnz .LBB191_302
; %bb.301:
	v_add_co_u32 v4, vcc_lo, v71, v2
	v_add_co_ci_u32_e64 v5, null, v72, v3, vcc_lo
	global_load_dwordx2 v[4:5], v[4:5], off
	s_waitcnt vmcnt(0)
	v_mul_f64 v[4:5], s[38:39], v[4:5]
	s_branch .LBB191_303
.LBB191_302:
	v_mov_b32_e32 v4, 0
	v_mov_b32_e32 v5, 0
.LBB191_303:
	s_waitcnt vmcnt(0)
	v_add_f64 v[0:1], v[0:1], v[4:5]
	v_add_co_u32 v2, vcc_lo, v68, v2
	v_add_co_ci_u32_e64 v3, null, v69, v3, vcc_lo
	global_store_dwordx2 v[2:3], v[0:1], off
	s_or_b32 exec_lo, exec_lo, s4
	s_and_b32 s5, s13, s18
	s_and_saveexec_b32 s4, s5
	s_cbranch_execz .LBB191_233
.LBB191_304:
	s_clause 0x1
	buffer_load_dword v0, off, s[0:3], 0 offset:360
	buffer_load_dword v1, off, s[0:3], 0 offset:364
	v_cmp_ne_u32_e32 vcc_lo, 1, v70
	v_lshlrev_b64 v[2:3], 3, v[26:27]
	s_cbranch_vccnz .LBB191_306
; %bb.305:
	v_add_co_u32 v4, vcc_lo, v71, v2
	v_add_co_ci_u32_e64 v5, null, v72, v3, vcc_lo
	global_load_dwordx2 v[4:5], v[4:5], off
	s_waitcnt vmcnt(0)
	v_mul_f64 v[4:5], s[38:39], v[4:5]
	s_branch .LBB191_307
.LBB191_306:
	v_mov_b32_e32 v4, 0
	v_mov_b32_e32 v5, 0
.LBB191_307:
	s_waitcnt vmcnt(0)
	v_add_f64 v[0:1], v[0:1], v[4:5]
	v_add_co_u32 v2, vcc_lo, v68, v2
	v_add_co_ci_u32_e64 v3, null, v69, v3, vcc_lo
	global_store_dwordx2 v[2:3], v[0:1], off
	s_or_b32 exec_lo, exec_lo, s4
	s_and_b32 s5, s13, s19
	s_and_saveexec_b32 s4, s5
	s_cbranch_execz .LBB191_234
.LBB191_308:
	s_clause 0x1
	buffer_load_dword v0, off, s[0:3], 0 offset:368
	buffer_load_dword v1, off, s[0:3], 0 offset:372
	v_cmp_ne_u32_e32 vcc_lo, 1, v70
	v_lshlrev_b64 v[2:3], 3, v[28:29]
	s_cbranch_vccnz .LBB191_310
; %bb.309:
	v_add_co_u32 v4, vcc_lo, v71, v2
	v_add_co_ci_u32_e64 v5, null, v72, v3, vcc_lo
	global_load_dwordx2 v[4:5], v[4:5], off
	s_waitcnt vmcnt(0)
	v_mul_f64 v[4:5], s[38:39], v[4:5]
	s_branch .LBB191_311
.LBB191_310:
	v_mov_b32_e32 v4, 0
	v_mov_b32_e32 v5, 0
.LBB191_311:
	s_waitcnt vmcnt(0)
	v_add_f64 v[0:1], v[0:1], v[4:5]
	v_add_co_u32 v2, vcc_lo, v68, v2
	v_add_co_ci_u32_e64 v3, null, v69, v3, vcc_lo
	global_store_dwordx2 v[2:3], v[0:1], off
	s_or_b32 exec_lo, exec_lo, s4
	s_and_b32 s5, s13, s20
	s_and_saveexec_b32 s4, s5
	s_cbranch_execz .LBB191_235
.LBB191_312:
	s_clause 0x1
	buffer_load_dword v0, off, s[0:3], 0 offset:376
	buffer_load_dword v1, off, s[0:3], 0 offset:380
	v_cmp_ne_u32_e32 vcc_lo, 1, v70
	v_lshlrev_b64 v[2:3], 3, v[30:31]
	s_cbranch_vccnz .LBB191_314
; %bb.313:
	v_add_co_u32 v4, vcc_lo, v71, v2
	v_add_co_ci_u32_e64 v5, null, v72, v3, vcc_lo
	global_load_dwordx2 v[4:5], v[4:5], off
	s_waitcnt vmcnt(0)
	v_mul_f64 v[4:5], s[38:39], v[4:5]
	s_branch .LBB191_315
.LBB191_314:
	v_mov_b32_e32 v4, 0
	v_mov_b32_e32 v5, 0
.LBB191_315:
	s_waitcnt vmcnt(0)
	v_add_f64 v[0:1], v[0:1], v[4:5]
	v_add_co_u32 v2, vcc_lo, v68, v2
	v_add_co_ci_u32_e64 v3, null, v69, v3, vcc_lo
	global_store_dwordx2 v[2:3], v[0:1], off
	s_or_b32 exec_lo, exec_lo, s4
	s_and_b32 s5, s13, s21
	s_and_saveexec_b32 s4, s5
	s_cbranch_execz .LBB191_236
.LBB191_316:
	s_clause 0x1
	buffer_load_dword v0, off, s[0:3], 0 offset:384
	buffer_load_dword v1, off, s[0:3], 0 offset:388
	v_cmp_ne_u32_e32 vcc_lo, 1, v70
	v_lshlrev_b64 v[2:3], 3, v[32:33]
	s_cbranch_vccnz .LBB191_318
; %bb.317:
	v_add_co_u32 v4, vcc_lo, v71, v2
	v_add_co_ci_u32_e64 v5, null, v72, v3, vcc_lo
	global_load_dwordx2 v[4:5], v[4:5], off
	s_waitcnt vmcnt(0)
	v_mul_f64 v[4:5], s[38:39], v[4:5]
	s_branch .LBB191_319
.LBB191_318:
	v_mov_b32_e32 v4, 0
	v_mov_b32_e32 v5, 0
.LBB191_319:
	s_waitcnt vmcnt(0)
	v_add_f64 v[0:1], v[0:1], v[4:5]
	v_add_co_u32 v2, vcc_lo, v68, v2
	v_add_co_ci_u32_e64 v3, null, v69, v3, vcc_lo
	global_store_dwordx2 v[2:3], v[0:1], off
	s_or_b32 exec_lo, exec_lo, s4
	s_and_b32 s5, s13, s22
	s_and_saveexec_b32 s4, s5
	s_cbranch_execz .LBB191_237
.LBB191_320:
	s_clause 0x1
	buffer_load_dword v0, off, s[0:3], 0 offset:392
	buffer_load_dword v1, off, s[0:3], 0 offset:396
	v_cmp_ne_u32_e32 vcc_lo, 1, v70
	v_lshlrev_b64 v[2:3], 3, v[34:35]
	s_cbranch_vccnz .LBB191_322
; %bb.321:
	v_add_co_u32 v4, vcc_lo, v71, v2
	v_add_co_ci_u32_e64 v5, null, v72, v3, vcc_lo
	global_load_dwordx2 v[4:5], v[4:5], off
	s_waitcnt vmcnt(0)
	v_mul_f64 v[4:5], s[38:39], v[4:5]
	s_branch .LBB191_323
.LBB191_322:
	v_mov_b32_e32 v4, 0
	v_mov_b32_e32 v5, 0
.LBB191_323:
	s_waitcnt vmcnt(0)
	v_add_f64 v[0:1], v[0:1], v[4:5]
	v_add_co_u32 v2, vcc_lo, v68, v2
	v_add_co_ci_u32_e64 v3, null, v69, v3, vcc_lo
	global_store_dwordx2 v[2:3], v[0:1], off
	s_or_b32 exec_lo, exec_lo, s4
	s_and_b32 s5, s13, s23
	s_and_saveexec_b32 s4, s5
	s_cbranch_execz .LBB191_238
.LBB191_324:
	s_clause 0x1
	buffer_load_dword v0, off, s[0:3], 0 offset:400
	buffer_load_dword v1, off, s[0:3], 0 offset:404
	v_cmp_ne_u32_e32 vcc_lo, 1, v70
	v_lshlrev_b64 v[2:3], 3, v[36:37]
	s_cbranch_vccnz .LBB191_326
; %bb.325:
	v_add_co_u32 v4, vcc_lo, v71, v2
	v_add_co_ci_u32_e64 v5, null, v72, v3, vcc_lo
	global_load_dwordx2 v[4:5], v[4:5], off
	s_waitcnt vmcnt(0)
	v_mul_f64 v[4:5], s[38:39], v[4:5]
	s_branch .LBB191_327
.LBB191_326:
	v_mov_b32_e32 v4, 0
	v_mov_b32_e32 v5, 0
.LBB191_327:
	s_waitcnt vmcnt(0)
	v_add_f64 v[0:1], v[0:1], v[4:5]
	v_add_co_u32 v2, vcc_lo, v68, v2
	v_add_co_ci_u32_e64 v3, null, v69, v3, vcc_lo
	global_store_dwordx2 v[2:3], v[0:1], off
	s_or_b32 exec_lo, exec_lo, s4
	s_and_b32 s5, s13, s24
	s_and_saveexec_b32 s4, s5
	s_cbranch_execz .LBB191_239
.LBB191_328:
	s_clause 0x1
	buffer_load_dword v0, off, s[0:3], 0 offset:408
	buffer_load_dword v1, off, s[0:3], 0 offset:412
	v_cmp_ne_u32_e32 vcc_lo, 1, v70
	v_lshlrev_b64 v[2:3], 3, v[38:39]
	s_cbranch_vccnz .LBB191_330
; %bb.329:
	v_add_co_u32 v4, vcc_lo, v71, v2
	v_add_co_ci_u32_e64 v5, null, v72, v3, vcc_lo
	global_load_dwordx2 v[4:5], v[4:5], off
	s_waitcnt vmcnt(0)
	v_mul_f64 v[4:5], s[38:39], v[4:5]
	s_branch .LBB191_331
.LBB191_330:
	v_mov_b32_e32 v4, 0
	v_mov_b32_e32 v5, 0
.LBB191_331:
	s_waitcnt vmcnt(0)
	v_add_f64 v[0:1], v[0:1], v[4:5]
	v_add_co_u32 v2, vcc_lo, v68, v2
	v_add_co_ci_u32_e64 v3, null, v69, v3, vcc_lo
	global_store_dwordx2 v[2:3], v[0:1], off
	s_or_b32 exec_lo, exec_lo, s4
	s_and_b32 s5, s13, s25
	s_and_saveexec_b32 s4, s5
	s_cbranch_execz .LBB191_240
.LBB191_332:
	s_clause 0x1
	buffer_load_dword v0, off, s[0:3], 0 offset:416
	buffer_load_dword v1, off, s[0:3], 0 offset:420
	v_cmp_ne_u32_e32 vcc_lo, 1, v70
	v_lshlrev_b64 v[2:3], 3, v[40:41]
	s_cbranch_vccnz .LBB191_334
; %bb.333:
	v_add_co_u32 v4, vcc_lo, v71, v2
	v_add_co_ci_u32_e64 v5, null, v72, v3, vcc_lo
	global_load_dwordx2 v[4:5], v[4:5], off
	s_waitcnt vmcnt(0)
	v_mul_f64 v[4:5], s[38:39], v[4:5]
	s_branch .LBB191_335
.LBB191_334:
	v_mov_b32_e32 v4, 0
	v_mov_b32_e32 v5, 0
.LBB191_335:
	s_waitcnt vmcnt(0)
	v_add_f64 v[0:1], v[0:1], v[4:5]
	v_add_co_u32 v2, vcc_lo, v68, v2
	v_add_co_ci_u32_e64 v3, null, v69, v3, vcc_lo
	global_store_dwordx2 v[2:3], v[0:1], off
	s_or_b32 exec_lo, exec_lo, s4
	s_and_b32 s5, s13, s26
	s_and_saveexec_b32 s4, s5
	s_cbranch_execz .LBB191_241
.LBB191_336:
	s_clause 0x1
	buffer_load_dword v0, off, s[0:3], 0 offset:424
	buffer_load_dword v1, off, s[0:3], 0 offset:428
	v_cmp_ne_u32_e32 vcc_lo, 1, v70
	v_lshlrev_b64 v[2:3], 3, v[42:43]
	s_cbranch_vccnz .LBB191_338
; %bb.337:
	v_add_co_u32 v4, vcc_lo, v71, v2
	v_add_co_ci_u32_e64 v5, null, v72, v3, vcc_lo
	global_load_dwordx2 v[4:5], v[4:5], off
	s_waitcnt vmcnt(0)
	v_mul_f64 v[4:5], s[38:39], v[4:5]
	s_branch .LBB191_339
.LBB191_338:
	v_mov_b32_e32 v4, 0
	v_mov_b32_e32 v5, 0
.LBB191_339:
	s_waitcnt vmcnt(0)
	v_add_f64 v[0:1], v[0:1], v[4:5]
	v_add_co_u32 v2, vcc_lo, v68, v2
	v_add_co_ci_u32_e64 v3, null, v69, v3, vcc_lo
	global_store_dwordx2 v[2:3], v[0:1], off
	s_or_b32 exec_lo, exec_lo, s4
	s_and_b32 s5, s13, s27
	s_and_saveexec_b32 s4, s5
	s_cbranch_execz .LBB191_242
.LBB191_340:
	s_clause 0x1
	buffer_load_dword v0, off, s[0:3], 0 offset:432
	buffer_load_dword v1, off, s[0:3], 0 offset:436
	v_cmp_ne_u32_e32 vcc_lo, 1, v70
	v_lshlrev_b64 v[2:3], 3, v[44:45]
	s_cbranch_vccnz .LBB191_342
; %bb.341:
	v_add_co_u32 v4, vcc_lo, v71, v2
	v_add_co_ci_u32_e64 v5, null, v72, v3, vcc_lo
	global_load_dwordx2 v[4:5], v[4:5], off
	s_waitcnt vmcnt(0)
	v_mul_f64 v[4:5], s[38:39], v[4:5]
	s_branch .LBB191_343
.LBB191_342:
	v_mov_b32_e32 v4, 0
	v_mov_b32_e32 v5, 0
.LBB191_343:
	s_waitcnt vmcnt(0)
	v_add_f64 v[0:1], v[0:1], v[4:5]
	v_add_co_u32 v2, vcc_lo, v68, v2
	v_add_co_ci_u32_e64 v3, null, v69, v3, vcc_lo
	global_store_dwordx2 v[2:3], v[0:1], off
	s_or_b32 exec_lo, exec_lo, s4
	s_and_b32 s5, s13, s28
	s_and_saveexec_b32 s4, s5
	s_cbranch_execz .LBB191_243
.LBB191_344:
	s_clause 0x1
	buffer_load_dword v0, off, s[0:3], 0 offset:440
	buffer_load_dword v1, off, s[0:3], 0 offset:444
	v_cmp_ne_u32_e32 vcc_lo, 1, v70
	v_lshlrev_b64 v[2:3], 3, v[46:47]
	s_cbranch_vccnz .LBB191_346
; %bb.345:
	v_add_co_u32 v4, vcc_lo, v71, v2
	v_add_co_ci_u32_e64 v5, null, v72, v3, vcc_lo
	global_load_dwordx2 v[4:5], v[4:5], off
	s_waitcnt vmcnt(0)
	v_mul_f64 v[4:5], s[38:39], v[4:5]
	s_branch .LBB191_347
.LBB191_346:
	v_mov_b32_e32 v4, 0
	v_mov_b32_e32 v5, 0
.LBB191_347:
	s_waitcnt vmcnt(0)
	v_add_f64 v[0:1], v[0:1], v[4:5]
	v_add_co_u32 v2, vcc_lo, v68, v2
	v_add_co_ci_u32_e64 v3, null, v69, v3, vcc_lo
	global_store_dwordx2 v[2:3], v[0:1], off
	s_or_b32 exec_lo, exec_lo, s4
	s_and_b32 s5, s13, s29
	s_and_saveexec_b32 s4, s5
	s_cbranch_execz .LBB191_244
.LBB191_348:
	s_clause 0x1
	buffer_load_dword v0, off, s[0:3], 0 offset:448
	buffer_load_dword v1, off, s[0:3], 0 offset:452
	v_cmp_ne_u32_e32 vcc_lo, 1, v70
	v_lshlrev_b64 v[2:3], 3, v[48:49]
	s_cbranch_vccnz .LBB191_350
; %bb.349:
	v_add_co_u32 v4, vcc_lo, v71, v2
	v_add_co_ci_u32_e64 v5, null, v72, v3, vcc_lo
	global_load_dwordx2 v[4:5], v[4:5], off
	s_waitcnt vmcnt(0)
	v_mul_f64 v[4:5], s[38:39], v[4:5]
	s_branch .LBB191_351
.LBB191_350:
	v_mov_b32_e32 v4, 0
	v_mov_b32_e32 v5, 0
.LBB191_351:
	s_waitcnt vmcnt(0)
	v_add_f64 v[0:1], v[0:1], v[4:5]
	v_add_co_u32 v2, vcc_lo, v68, v2
	v_add_co_ci_u32_e64 v3, null, v69, v3, vcc_lo
	global_store_dwordx2 v[2:3], v[0:1], off
	s_or_b32 exec_lo, exec_lo, s4
	s_and_b32 s5, s13, s30
	s_and_saveexec_b32 s4, s5
	s_cbranch_execz .LBB191_245
.LBB191_352:
	s_clause 0x1
	buffer_load_dword v0, off, s[0:3], 0 offset:456
	buffer_load_dword v1, off, s[0:3], 0 offset:460
	v_cmp_ne_u32_e32 vcc_lo, 1, v70
	v_lshlrev_b64 v[2:3], 3, v[50:51]
	s_cbranch_vccnz .LBB191_354
; %bb.353:
	v_add_co_u32 v4, vcc_lo, v71, v2
	v_add_co_ci_u32_e64 v5, null, v72, v3, vcc_lo
	global_load_dwordx2 v[4:5], v[4:5], off
	s_waitcnt vmcnt(0)
	v_mul_f64 v[4:5], s[38:39], v[4:5]
	s_branch .LBB191_355
.LBB191_354:
	v_mov_b32_e32 v4, 0
	v_mov_b32_e32 v5, 0
.LBB191_355:
	s_waitcnt vmcnt(0)
	v_add_f64 v[0:1], v[0:1], v[4:5]
	v_add_co_u32 v2, vcc_lo, v68, v2
	v_add_co_ci_u32_e64 v3, null, v69, v3, vcc_lo
	global_store_dwordx2 v[2:3], v[0:1], off
	s_or_b32 exec_lo, exec_lo, s4
	s_and_b32 s5, s13, s31
	s_and_saveexec_b32 s4, s5
	s_cbranch_execz .LBB191_246
.LBB191_356:
	s_clause 0x1
	buffer_load_dword v0, off, s[0:3], 0 offset:464
	buffer_load_dword v1, off, s[0:3], 0 offset:468
	v_cmp_ne_u32_e32 vcc_lo, 1, v70
	v_lshlrev_b64 v[2:3], 3, v[52:53]
	s_cbranch_vccnz .LBB191_358
; %bb.357:
	v_add_co_u32 v4, vcc_lo, v71, v2
	v_add_co_ci_u32_e64 v5, null, v72, v3, vcc_lo
	global_load_dwordx2 v[4:5], v[4:5], off
	s_waitcnt vmcnt(0)
	v_mul_f64 v[4:5], s[38:39], v[4:5]
	s_branch .LBB191_359
.LBB191_358:
	v_mov_b32_e32 v4, 0
	v_mov_b32_e32 v5, 0
.LBB191_359:
	s_waitcnt vmcnt(0)
	v_add_f64 v[0:1], v[0:1], v[4:5]
	v_add_co_u32 v2, vcc_lo, v68, v2
	v_add_co_ci_u32_e64 v3, null, v69, v3, vcc_lo
	global_store_dwordx2 v[2:3], v[0:1], off
	s_or_b32 exec_lo, exec_lo, s4
	s_and_b32 s5, s13, s33
	s_and_saveexec_b32 s4, s5
	s_cbranch_execz .LBB191_247
.LBB191_360:
	s_clause 0x1
	buffer_load_dword v0, off, s[0:3], 0 offset:472
	buffer_load_dword v1, off, s[0:3], 0 offset:476
	v_cmp_ne_u32_e32 vcc_lo, 1, v70
	v_lshlrev_b64 v[2:3], 3, v[54:55]
	s_cbranch_vccnz .LBB191_362
; %bb.361:
	v_add_co_u32 v4, vcc_lo, v71, v2
	v_add_co_ci_u32_e64 v5, null, v72, v3, vcc_lo
	global_load_dwordx2 v[4:5], v[4:5], off
	s_waitcnt vmcnt(0)
	v_mul_f64 v[4:5], s[38:39], v[4:5]
	s_branch .LBB191_363
.LBB191_362:
	v_mov_b32_e32 v4, 0
	v_mov_b32_e32 v5, 0
.LBB191_363:
	s_waitcnt vmcnt(0)
	v_add_f64 v[0:1], v[0:1], v[4:5]
	v_add_co_u32 v2, vcc_lo, v68, v2
	v_add_co_ci_u32_e64 v3, null, v69, v3, vcc_lo
	global_store_dwordx2 v[2:3], v[0:1], off
	s_or_b32 exec_lo, exec_lo, s4
	s_and_b32 s5, s13, s34
	s_and_saveexec_b32 s4, s5
	s_cbranch_execz .LBB191_248
.LBB191_364:
	s_clause 0x1
	buffer_load_dword v0, off, s[0:3], 0 offset:480
	buffer_load_dword v1, off, s[0:3], 0 offset:484
	v_cmp_ne_u32_e32 vcc_lo, 1, v70
	v_lshlrev_b64 v[2:3], 3, v[56:57]
	s_cbranch_vccnz .LBB191_366
; %bb.365:
	v_add_co_u32 v4, vcc_lo, v71, v2
	v_add_co_ci_u32_e64 v5, null, v72, v3, vcc_lo
	global_load_dwordx2 v[4:5], v[4:5], off
	s_waitcnt vmcnt(0)
	v_mul_f64 v[4:5], s[38:39], v[4:5]
	s_branch .LBB191_367
.LBB191_366:
	v_mov_b32_e32 v4, 0
	v_mov_b32_e32 v5, 0
.LBB191_367:
	s_waitcnt vmcnt(0)
	v_add_f64 v[0:1], v[0:1], v[4:5]
	v_add_co_u32 v2, vcc_lo, v68, v2
	v_add_co_ci_u32_e64 v3, null, v69, v3, vcc_lo
	global_store_dwordx2 v[2:3], v[0:1], off
	s_or_b32 exec_lo, exec_lo, s4
	s_and_b32 s5, s13, s35
	s_and_saveexec_b32 s4, s5
	s_cbranch_execz .LBB191_249
.LBB191_368:
	s_clause 0x1
	buffer_load_dword v0, off, s[0:3], 0 offset:488
	buffer_load_dword v1, off, s[0:3], 0 offset:492
	v_cmp_ne_u32_e32 vcc_lo, 1, v70
	v_lshlrev_b64 v[2:3], 3, v[58:59]
	s_cbranch_vccnz .LBB191_370
; %bb.369:
	v_add_co_u32 v4, vcc_lo, v71, v2
	v_add_co_ci_u32_e64 v5, null, v72, v3, vcc_lo
	global_load_dwordx2 v[4:5], v[4:5], off
	s_waitcnt vmcnt(0)
	v_mul_f64 v[4:5], s[38:39], v[4:5]
	s_branch .LBB191_371
.LBB191_370:
	v_mov_b32_e32 v4, 0
	v_mov_b32_e32 v5, 0
.LBB191_371:
	s_waitcnt vmcnt(0)
	v_add_f64 v[0:1], v[0:1], v[4:5]
	v_add_co_u32 v2, vcc_lo, v68, v2
	v_add_co_ci_u32_e64 v3, null, v69, v3, vcc_lo
	global_store_dwordx2 v[2:3], v[0:1], off
	s_or_b32 exec_lo, exec_lo, s4
	s_and_b32 s5, s13, s36
	s_and_saveexec_b32 s4, s5
	s_cbranch_execz .LBB191_250
.LBB191_372:
	s_clause 0x1
	buffer_load_dword v0, off, s[0:3], 0 offset:496
	buffer_load_dword v1, off, s[0:3], 0 offset:500
	v_cmp_ne_u32_e32 vcc_lo, 1, v70
	v_lshlrev_b64 v[2:3], 3, v[60:61]
	s_cbranch_vccnz .LBB191_374
; %bb.373:
	v_add_co_u32 v4, vcc_lo, v71, v2
	v_add_co_ci_u32_e64 v5, null, v72, v3, vcc_lo
	global_load_dwordx2 v[4:5], v[4:5], off
	s_waitcnt vmcnt(0)
	v_mul_f64 v[4:5], s[38:39], v[4:5]
	s_branch .LBB191_375
.LBB191_374:
	v_mov_b32_e32 v4, 0
	v_mov_b32_e32 v5, 0
.LBB191_375:
	s_waitcnt vmcnt(0)
	v_add_f64 v[0:1], v[0:1], v[4:5]
	v_add_co_u32 v2, vcc_lo, v68, v2
	v_add_co_ci_u32_e64 v3, null, v69, v3, vcc_lo
	global_store_dwordx2 v[2:3], v[0:1], off
	s_or_b32 exec_lo, exec_lo, s4
	s_and_b32 s4, s13, s37
	s_and_saveexec_b32 s5, s4
	s_cbranch_execz .LBB191_251
.LBB191_376:
	s_clause 0x1
	buffer_load_dword v0, off, s[0:3], 0 offset:504
	buffer_load_dword v1, off, s[0:3], 0 offset:508
	v_cmp_ne_u32_e32 vcc_lo, 1, v70
	v_lshlrev_b64 v[2:3], 3, v[62:63]
	s_cbranch_vccnz .LBB191_378
; %bb.377:
	v_add_co_u32 v4, vcc_lo, v71, v2
	v_add_co_ci_u32_e64 v5, null, v72, v3, vcc_lo
	global_load_dwordx2 v[4:5], v[4:5], off
	s_waitcnt vmcnt(0)
	v_mul_f64 v[4:5], s[38:39], v[4:5]
	s_branch .LBB191_379
.LBB191_378:
	v_mov_b32_e32 v4, 0
	v_mov_b32_e32 v5, 0
.LBB191_379:
	s_waitcnt vmcnt(0)
	v_add_f64 v[0:1], v[0:1], v[4:5]
	v_add_co_u32 v2, vcc_lo, v68, v2
	v_add_co_ci_u32_e64 v3, null, v69, v3, vcc_lo
	global_store_dwordx2 v[2:3], v[0:1], off
	s_endpgm
	.section	.rodata,"a",@progbits
	.p2align	6, 0x0
	.amdhsa_kernel _ZN12_GLOBAL__N_120geam_min_plus_kernelIdddLi4ELi64ELi128ELi128ELi4ELi4ELi64ELi4ELi64ELc84ELc78ELb0ELb1ELb0EdKddEEviiiT16_PT17_ilS4_ilS2_S4_ilPT18_ili26rocblas_geam_ex_operation_
		.amdhsa_group_segment_fixed_size 16384
		.amdhsa_private_segment_fixed_size 528
		.amdhsa_kernarg_size 136
		.amdhsa_user_sgpr_count 6
		.amdhsa_user_sgpr_private_segment_buffer 1
		.amdhsa_user_sgpr_dispatch_ptr 0
		.amdhsa_user_sgpr_queue_ptr 0
		.amdhsa_user_sgpr_kernarg_segment_ptr 1
		.amdhsa_user_sgpr_dispatch_id 0
		.amdhsa_user_sgpr_flat_scratch_init 0
		.amdhsa_user_sgpr_private_segment_size 0
		.amdhsa_wavefront_size32 1
		.amdhsa_uses_dynamic_stack 0
		.amdhsa_system_sgpr_private_segment_wavefront_offset 1
		.amdhsa_system_sgpr_workgroup_id_x 1
		.amdhsa_system_sgpr_workgroup_id_y 0
		.amdhsa_system_sgpr_workgroup_id_z 1
		.amdhsa_system_sgpr_workgroup_info 0
		.amdhsa_system_vgpr_workitem_id 1
		.amdhsa_next_free_vgpr 115
		.amdhsa_next_free_sgpr 50
		.amdhsa_reserve_vcc 1
		.amdhsa_reserve_flat_scratch 0
		.amdhsa_float_round_mode_32 0
		.amdhsa_float_round_mode_16_64 0
		.amdhsa_float_denorm_mode_32 3
		.amdhsa_float_denorm_mode_16_64 3
		.amdhsa_dx10_clamp 1
		.amdhsa_ieee_mode 1
		.amdhsa_fp16_overflow 0
		.amdhsa_workgroup_processor_mode 1
		.amdhsa_memory_ordered 1
		.amdhsa_forward_progress 1
		.amdhsa_shared_vgpr_count 0
		.amdhsa_exception_fp_ieee_invalid_op 0
		.amdhsa_exception_fp_denorm_src 0
		.amdhsa_exception_fp_ieee_div_zero 0
		.amdhsa_exception_fp_ieee_overflow 0
		.amdhsa_exception_fp_ieee_underflow 0
		.amdhsa_exception_fp_ieee_inexact 0
		.amdhsa_exception_int_div_zero 0
	.end_amdhsa_kernel
	.section	.text._ZN12_GLOBAL__N_120geam_min_plus_kernelIdddLi4ELi64ELi128ELi128ELi4ELi4ELi64ELi4ELi64ELc84ELc78ELb0ELb1ELb0EdKddEEviiiT16_PT17_ilS4_ilS2_S4_ilPT18_ili26rocblas_geam_ex_operation_,"axG",@progbits,_ZN12_GLOBAL__N_120geam_min_plus_kernelIdddLi4ELi64ELi128ELi128ELi4ELi4ELi64ELi4ELi64ELc84ELc78ELb0ELb1ELb0EdKddEEviiiT16_PT17_ilS4_ilS2_S4_ilPT18_ili26rocblas_geam_ex_operation_,comdat
.Lfunc_end191:
	.size	_ZN12_GLOBAL__N_120geam_min_plus_kernelIdddLi4ELi64ELi128ELi128ELi4ELi4ELi64ELi4ELi64ELc84ELc78ELb0ELb1ELb0EdKddEEviiiT16_PT17_ilS4_ilS2_S4_ilPT18_ili26rocblas_geam_ex_operation_, .Lfunc_end191-_ZN12_GLOBAL__N_120geam_min_plus_kernelIdddLi4ELi64ELi128ELi128ELi4ELi4ELi64ELi4ELi64ELc84ELc78ELb0ELb1ELb0EdKddEEviiiT16_PT17_ilS4_ilS2_S4_ilPT18_ili26rocblas_geam_ex_operation_
                                        ; -- End function
	.set _ZN12_GLOBAL__N_120geam_min_plus_kernelIdddLi4ELi64ELi128ELi128ELi4ELi4ELi64ELi4ELi64ELc84ELc78ELb0ELb1ELb0EdKddEEviiiT16_PT17_ilS4_ilS2_S4_ilPT18_ili26rocblas_geam_ex_operation_.num_vgpr, 115
	.set _ZN12_GLOBAL__N_120geam_min_plus_kernelIdddLi4ELi64ELi128ELi128ELi4ELi4ELi64ELi4ELi64ELc84ELc78ELb0ELb1ELb0EdKddEEviiiT16_PT17_ilS4_ilS2_S4_ilPT18_ili26rocblas_geam_ex_operation_.num_agpr, 0
	.set _ZN12_GLOBAL__N_120geam_min_plus_kernelIdddLi4ELi64ELi128ELi128ELi4ELi4ELi64ELi4ELi64ELc84ELc78ELb0ELb1ELb0EdKddEEviiiT16_PT17_ilS4_ilS2_S4_ilPT18_ili26rocblas_geam_ex_operation_.numbered_sgpr, 50
	.set _ZN12_GLOBAL__N_120geam_min_plus_kernelIdddLi4ELi64ELi128ELi128ELi4ELi4ELi64ELi4ELi64ELc84ELc78ELb0ELb1ELb0EdKddEEviiiT16_PT17_ilS4_ilS2_S4_ilPT18_ili26rocblas_geam_ex_operation_.num_named_barrier, 0
	.set _ZN12_GLOBAL__N_120geam_min_plus_kernelIdddLi4ELi64ELi128ELi128ELi4ELi4ELi64ELi4ELi64ELc84ELc78ELb0ELb1ELb0EdKddEEviiiT16_PT17_ilS4_ilS2_S4_ilPT18_ili26rocblas_geam_ex_operation_.private_seg_size, 528
	.set _ZN12_GLOBAL__N_120geam_min_plus_kernelIdddLi4ELi64ELi128ELi128ELi4ELi4ELi64ELi4ELi64ELc84ELc78ELb0ELb1ELb0EdKddEEviiiT16_PT17_ilS4_ilS2_S4_ilPT18_ili26rocblas_geam_ex_operation_.uses_vcc, 1
	.set _ZN12_GLOBAL__N_120geam_min_plus_kernelIdddLi4ELi64ELi128ELi128ELi4ELi4ELi64ELi4ELi64ELc84ELc78ELb0ELb1ELb0EdKddEEviiiT16_PT17_ilS4_ilS2_S4_ilPT18_ili26rocblas_geam_ex_operation_.uses_flat_scratch, 0
	.set _ZN12_GLOBAL__N_120geam_min_plus_kernelIdddLi4ELi64ELi128ELi128ELi4ELi4ELi64ELi4ELi64ELc84ELc78ELb0ELb1ELb0EdKddEEviiiT16_PT17_ilS4_ilS2_S4_ilPT18_ili26rocblas_geam_ex_operation_.has_dyn_sized_stack, 0
	.set _ZN12_GLOBAL__N_120geam_min_plus_kernelIdddLi4ELi64ELi128ELi128ELi4ELi4ELi64ELi4ELi64ELc84ELc78ELb0ELb1ELb0EdKddEEviiiT16_PT17_ilS4_ilS2_S4_ilPT18_ili26rocblas_geam_ex_operation_.has_recursion, 0
	.set _ZN12_GLOBAL__N_120geam_min_plus_kernelIdddLi4ELi64ELi128ELi128ELi4ELi4ELi64ELi4ELi64ELc84ELc78ELb0ELb1ELb0EdKddEEviiiT16_PT17_ilS4_ilS2_S4_ilPT18_ili26rocblas_geam_ex_operation_.has_indirect_call, 0
	.section	.AMDGPU.csdata,"",@progbits
; Kernel info:
; codeLenInByte = 22304
; TotalNumSgprs: 52
; NumVgprs: 115
; ScratchSize: 528
; MemoryBound: 0
; FloatMode: 240
; IeeeMode: 1
; LDSByteSize: 16384 bytes/workgroup (compile time only)
; SGPRBlocks: 0
; VGPRBlocks: 14
; NumSGPRsForWavesPerEU: 52
; NumVGPRsForWavesPerEU: 115
; Occupancy: 8
; WaveLimiterHint : 0
; COMPUTE_PGM_RSRC2:SCRATCH_EN: 1
; COMPUTE_PGM_RSRC2:USER_SGPR: 6
; COMPUTE_PGM_RSRC2:TRAP_HANDLER: 0
; COMPUTE_PGM_RSRC2:TGID_X_EN: 1
; COMPUTE_PGM_RSRC2:TGID_Y_EN: 0
; COMPUTE_PGM_RSRC2:TGID_Z_EN: 1
; COMPUTE_PGM_RSRC2:TIDIG_COMP_CNT: 1
	.section	.text._ZN12_GLOBAL__N_120geam_min_plus_kernelIdddLi4ELi64ELi128ELi128ELi4ELi64ELi4ELi64ELi4ELc78ELc84ELb0ELb0ELb0EPKdS1_dEEviiiT16_PT17_ilS5_ilS3_S5_ilPT18_ili26rocblas_geam_ex_operation_,"axG",@progbits,_ZN12_GLOBAL__N_120geam_min_plus_kernelIdddLi4ELi64ELi128ELi128ELi4ELi64ELi4ELi64ELi4ELc78ELc84ELb0ELb0ELb0EPKdS1_dEEviiiT16_PT17_ilS5_ilS3_S5_ilPT18_ili26rocblas_geam_ex_operation_,comdat
	.globl	_ZN12_GLOBAL__N_120geam_min_plus_kernelIdddLi4ELi64ELi128ELi128ELi4ELi64ELi4ELi64ELi4ELc78ELc84ELb0ELb0ELb0EPKdS1_dEEviiiT16_PT17_ilS5_ilS3_S5_ilPT18_ili26rocblas_geam_ex_operation_ ; -- Begin function _ZN12_GLOBAL__N_120geam_min_plus_kernelIdddLi4ELi64ELi128ELi128ELi4ELi64ELi4ELi64ELi4ELc78ELc84ELb0ELb0ELb0EPKdS1_dEEviiiT16_PT17_ilS5_ilS3_S5_ilPT18_ili26rocblas_geam_ex_operation_
	.p2align	8
	.type	_ZN12_GLOBAL__N_120geam_min_plus_kernelIdddLi4ELi64ELi128ELi128ELi4ELi64ELi4ELi64ELi4ELc78ELc84ELb0ELb0ELb0EPKdS1_dEEviiiT16_PT17_ilS5_ilS3_S5_ilPT18_ili26rocblas_geam_ex_operation_,@function
_ZN12_GLOBAL__N_120geam_min_plus_kernelIdddLi4ELi64ELi128ELi128ELi4ELi64ELi4ELi64ELi4ELc78ELc84ELb0ELb0ELb0EPKdS1_dEEviiiT16_PT17_ilS5_ilS3_S5_ilPT18_ili26rocblas_geam_ex_operation_: ; @_ZN12_GLOBAL__N_120geam_min_plus_kernelIdddLi4ELi64ELi128ELi128ELi4ELi64ELi4ELi64ELi4ELc78ELc84ELb0ELb0ELb0EPKdS1_dEEviiiT16_PT17_ilS5_ilS3_S5_ilPT18_ili26rocblas_geam_ex_operation_
; %bb.0:
	s_load_dwordx4 s[16:19], s[4:5], 0x10
	s_mov_b32 s20, s7
	s_mov_b32 s21, 0
	s_add_u32 s0, s0, s8
	s_addc_u32 s1, s1, 0
	s_lshl_b64 s[22:23], s[20:21], 3
	s_clause 0x1
	s_load_dwordx4 s[8:11], s[4:5], 0x28
	s_load_dwordx2 s[26:27], s[4:5], 0x50
	s_mov_b64 s[24:25], 0
	s_waitcnt lgkmcnt(0)
	s_add_u32 s12, s16, s22
	s_addc_u32 s13, s17, s23
	s_load_dwordx2 s[16:17], s[12:13], 0x0
	s_load_dwordx4 s[12:15], s[4:5], 0x40
	s_waitcnt lgkmcnt(0)
	v_cmp_eq_f64_e64 s7, s[16:17], 0
	v_cmp_neq_f64_e64 s21, s[16:17], 0
	s_add_u32 s14, s14, s22
	s_addc_u32 s15, s15, s23
	s_mov_b64 s[22:23], 0
	s_and_b32 vcc_lo, exec_lo, s7
	s_cbranch_vccnz .LBB192_2
; %bb.1:
	s_mul_i32 s7, s9, s20
	s_mul_hi_u32 s9, s8, s20
	s_mul_i32 s8, s8, s20
	s_add_i32 s9, s9, s7
	s_lshl_b64 s[8:9], s[8:9], 3
	s_add_u32 s24, s18, s8
	s_addc_u32 s25, s19, s9
.LBB192_2:
	s_load_dwordx2 s[14:15], s[14:15], 0x0
	v_cndmask_b32_e64 v2, 0, 1, s21
	s_andn2_b32 vcc_lo, exec_lo, s21
	v_cmp_ne_u32_e64 s7, 1, v2
	s_cbranch_vccnz .LBB192_4
; %bb.3:
	s_mul_i32 s8, s13, s20
	s_mul_hi_u32 s9, s12, s20
	s_add_i32 s9, s9, s8
	s_mul_i32 s8, s12, s20
	s_lshl_b64 s[8:9], s[8:9], 3
	s_add_u32 s22, s10, s8
	s_addc_u32 s23, s11, s9
.LBB192_4:
	s_waitcnt lgkmcnt(0)
	v_cmp_eq_f64_e64 s12, s[14:15], 0
	s_load_dwordx4 s[8:11], s[4:5], 0x60
	s_and_b32 vcc_lo, exec_lo, s12
	s_mov_b64 s[12:13], 0
	s_cbranch_vccnz .LBB192_6
; %bb.5:
	s_waitcnt lgkmcnt(0)
	s_mul_i32 s9, s9, s20
	s_mul_hi_u32 s12, s8, s20
	s_mul_i32 s8, s8, s20
	s_add_i32 s9, s12, s9
	s_lshl_b64 s[8:9], s[8:9], 3
	s_add_u32 s12, s26, s8
	s_addc_u32 s13, s27, s9
.LBB192_6:
	s_waitcnt lgkmcnt(0)
	s_clause 0x1
	s_load_dword s8, s[4:5], 0x0
	s_load_dword s19, s[4:5], 0x20
	v_lshl_add_u32 v2, v1, 2, v0
	v_mov_b32_e32 v4, 0
	v_mov_b32_e32 v18, 0
	;; [unrolled: 1-line block ×4, first 2 shown]
	v_and_b32_e32 v88, 63, v2
	v_lshrrev_b32_e32 v82, 6, v2
	v_mov_b32_e32 v19, 0
	buffer_store_dword v8, off, s[0:3], 0 offset:4
	buffer_store_dword v8, off, s[0:3], 0
	buffer_store_dword v8, off, s[0:3], 0 offset:12
	buffer_store_dword v8, off, s[0:3], 0 offset:8
	;; [unrolled: 1-line block ×35, first 2 shown]
	s_waitcnt lgkmcnt(0)
	s_add_i32 s8, s8, -1
	s_ashr_i32 s21, s19, 31
	s_ashr_i32 s9, s8, 31
	buffer_store_dword v8, off, s[0:3], 0 offset:144
	buffer_store_dword v8, off, s[0:3], 0 offset:156
	;; [unrolled: 1-line block ×4, first 2 shown]
	s_lshr_b32 s9, s9, 25
	buffer_store_dword v8, off, s[0:3], 0 offset:160
	buffer_store_dword v8, off, s[0:3], 0 offset:172
	s_add_i32 s8, s8, s9
	buffer_store_dword v8, off, s[0:3], 0 offset:168
	s_ashr_i32 s8, s8, 7
	buffer_store_dword v8, off, s[0:3], 0 offset:180
	s_add_i32 s9, s8, 1
	s_not_b32 s8, s8
	v_cvt_f32_u32_e32 v2, s9
	buffer_store_dword v8, off, s[0:3], 0 offset:176
	buffer_store_dword v8, off, s[0:3], 0 offset:188
	;; [unrolled: 1-line block ×4, first 2 shown]
	v_rcp_iflag_f32_e32 v2, v2
	buffer_store_dword v8, off, s[0:3], 0 offset:192
	buffer_store_dword v8, off, s[0:3], 0 offset:204
	;; [unrolled: 1-line block ×79, first 2 shown]
	v_mul_f32_e32 v2, 0x4f7ffffe, v2
	v_cvt_u32_f32_e32 v2, v2
	v_readfirstlane_b32 s18, v2
	v_mov_b32_e32 v2, 0
	v_mov_b32_e32 v3, 0
	s_mul_i32 s8, s8, s18
	s_mul_hi_u32 s8, s18, s8
	s_add_i32 s18, s18, s8
	s_mul_hi_u32 s8, s6, s18
	s_mul_i32 s18, s8, s9
	s_add_i32 s26, s8, 1
	s_sub_i32 s18, s6, s18
	s_sub_i32 s27, s18, s9
	s_cmp_ge_u32 s18, s9
	s_cselect_b32 s8, s26, s8
	s_cselect_b32 s18, s27, s18
	s_add_i32 s26, s8, 1
	s_cmp_ge_u32 s18, s9
	s_cselect_b32 s8, s26, s8
	s_and_b32 vcc_lo, exec_lo, s7
	s_mul_i32 s9, s8, s9
	s_sub_i32 s6, s6, s9
	s_lshl_b32 s6, s6, 7
	v_or_b32_e32 v6, s6, v88
	v_ashrrev_i32_e32 v7, 31, v6
	s_cbranch_vccnz .LBB192_8
; %bb.7:
	v_mad_i64_i32 v[4:5], null, s19, v82, 0
	v_lshlrev_b64 v[8:9], 3, v[6:7]
	v_lshlrev_b64 v[4:5], 3, v[4:5]
	v_add_co_u32 v4, vcc_lo, s24, v4
	v_add_co_ci_u32_e64 v5, null, s25, v5, vcc_lo
	v_add_co_u32 v4, vcc_lo, v4, v8
	v_add_co_ci_u32_e64 v5, null, v5, v9, vcc_lo
	s_clause 0x1
	global_load_dwordx2 v[8:9], v[4:5], off
	global_load_dwordx2 v[10:11], v[4:5], off offset:512
	s_waitcnt vmcnt(1)
	v_mul_f64 v[4:5], s[16:17], v[8:9]
	s_waitcnt vmcnt(0)
	v_mul_f64 v[18:19], s[16:17], v[10:11]
.LBB192_8:
	s_load_dword s26, s[4:5], 0x38
	s_lshl_b32 s8, s8, 7
	v_mov_b32_e32 v20, 0
	v_or_b32_e32 v8, s8, v88
	v_mov_b32_e32 v21, 0
	s_and_b32 vcc_lo, exec_lo, s7
	v_ashrrev_i32_e32 v9, 31, v8
	s_waitcnt lgkmcnt(0)
	s_ashr_i32 s27, s26, 31
	s_cbranch_vccnz .LBB192_10
; %bb.9:
	v_mad_i64_i32 v[2:3], null, s26, v82, 0
	v_lshlrev_b64 v[10:11], 3, v[8:9]
	v_lshlrev_b64 v[2:3], 3, v[2:3]
	v_add_co_u32 v2, vcc_lo, s22, v2
	v_add_co_ci_u32_e64 v3, null, s23, v3, vcc_lo
	v_add_co_u32 v2, vcc_lo, v2, v10
	v_add_co_ci_u32_e64 v3, null, v3, v11, vcc_lo
	s_clause 0x1
	global_load_dwordx2 v[10:11], v[2:3], off
	global_load_dwordx2 v[12:13], v[2:3], off offset:512
	s_waitcnt vmcnt(1)
	v_mul_f64 v[2:3], s[16:17], v[10:11]
	s_waitcnt vmcnt(0)
	v_mul_f64 v[20:21], s[16:17], v[12:13]
.LBB192_10:
	v_mov_b32_e32 v10, 0
	v_mov_b32_e32 v12, 0
	;; [unrolled: 1-line block ×6, first 2 shown]
	v_add_nc_u32_e32 v83, 4, v82
	s_and_b32 vcc_lo, exec_lo, s7
	s_cbranch_vccnz .LBB192_12
; %bb.11:
	v_mad_i64_i32 v[12:13], null, s19, v83, 0
	v_lshlrev_b64 v[14:15], 3, v[6:7]
	v_lshlrev_b64 v[12:13], 3, v[12:13]
	v_add_co_u32 v12, vcc_lo, s24, v12
	v_add_co_ci_u32_e64 v13, null, s25, v13, vcc_lo
	v_add_co_u32 v12, vcc_lo, v12, v14
	v_add_co_ci_u32_e64 v13, null, v13, v15, vcc_lo
	s_clause 0x1
	global_load_dwordx2 v[14:15], v[12:13], off
	global_load_dwordx2 v[16:17], v[12:13], off offset:512
	s_waitcnt vmcnt(1)
	v_mul_f64 v[12:13], s[16:17], v[14:15]
	s_waitcnt vmcnt(0)
	v_mul_f64 v[14:15], s[16:17], v[16:17]
.LBB192_12:
	v_mov_b32_e32 v16, 0
	v_mov_b32_e32 v17, 0
	s_and_b32 vcc_lo, exec_lo, s7
	s_cbranch_vccnz .LBB192_14
; %bb.13:
	v_mad_i64_i32 v[10:11], null, s26, v83, 0
	v_lshlrev_b64 v[16:17], 3, v[8:9]
	v_lshlrev_b64 v[10:11], 3, v[10:11]
	v_add_co_u32 v10, vcc_lo, s22, v10
	v_add_co_ci_u32_e64 v11, null, s23, v11, vcc_lo
	v_add_co_u32 v10, vcc_lo, v10, v16
	v_add_co_ci_u32_e64 v11, null, v11, v17, vcc_lo
	s_clause 0x1
	global_load_dwordx2 v[16:17], v[10:11], off
	global_load_dwordx2 v[22:23], v[10:11], off offset:512
	s_waitcnt vmcnt(1)
	v_mul_f64 v[10:11], s[16:17], v[16:17]
	s_waitcnt vmcnt(0)
	v_mul_f64 v[16:17], s[16:17], v[22:23]
.LBB192_14:
	v_cmp_neq_f64_e64 s9, s[14:15], 0
	v_lshlrev_b32_e32 v22, 5, v88
	v_lshlrev_b32_e32 v86, 5, v0
	v_lshl_or_b32 v87, v1, 5, 0x2000
	s_mov_b32 s18, 0
	s_mov_b32 s28, 0
	v_lshl_add_u32 v84, v82, 3, v22
	s_addk_i32 s18, 0x100
	v_or_b32_e32 v85, 0x2000, v84
	ds_write2st64_b64 v84, v[4:5], v[18:19] offset1:4
	ds_write2st64_b64 v84, v[2:3], v[20:21] offset0:16 offset1:20
	s_waitcnt lgkmcnt(0)
	s_waitcnt_vscnt null, 0x0
	s_barrier
	buffer_gl0_inv
.LBB192_15:                             ; =>This Loop Header: Depth=1
                                        ;     Child Loop BB192_16 Depth 2
	s_lshl_b32 s29, s28, 3
	s_mov_b32 s30, 0
	v_add_nc_u32_e32 v18, s29, v86
	v_add_nc_u32_e32 v89, s29, v87
	s_mov_b32 s29, -1
	ds_read2_b64 v[2:5], v18 offset1:16
	ds_read2_b64 v[22:25], v18 offset0:32 offset1:48
	ds_read2_b64 v[26:29], v18 offset0:64 offset1:80
	;; [unrolled: 1-line block ×4, first 2 shown]
	v_add_nc_u32_e32 v78, 0x800, v18
	ds_read2_b64 v[38:41], v18 offset0:160 offset1:176
	ds_read2_b64 v[42:45], v18 offset0:192 offset1:208
	;; [unrolled: 1-line block ×3, first 2 shown]
	ds_read2_b64 v[50:53], v78 offset1:16
	ds_read2_b64 v[54:57], v78 offset0:32 offset1:48
	ds_read2_b64 v[58:61], v78 offset0:64 offset1:80
	;; [unrolled: 1-line block ×6, first 2 shown]
	s_waitcnt lgkmcnt(9)
	v_max_f64 v[38:39], v[38:39], v[38:39]
	v_max_f64 v[40:41], v[40:41], v[40:41]
	v_max_f64 v[18:19], v[2:3], v[2:3]
	v_max_f64 v[20:21], v[4:5], v[4:5]
	ds_read2_b64 v[2:5], v78 offset0:224 offset1:240
	v_max_f64 v[22:23], v[22:23], v[22:23]
	v_max_f64 v[24:25], v[24:25], v[24:25]
	;; [unrolled: 1-line block ×8, first 2 shown]
	s_waitcnt lgkmcnt(9)
	v_max_f64 v[42:43], v[42:43], v[42:43]
	v_max_f64 v[44:45], v[44:45], v[44:45]
	s_waitcnt lgkmcnt(8)
	v_max_f64 v[46:47], v[46:47], v[46:47]
	v_max_f64 v[48:49], v[48:49], v[48:49]
	;; [unrolled: 3-line block ×10, first 2 shown]
	ds_read2st64_b64 v[2:5], v89 offset1:4
.LBB192_16:                             ;   Parent Loop BB192_15 Depth=1
                                        ; =>  This Inner Loop Header: Depth=2
	v_mov_b32_e32 v217, s30
	s_waitcnt lgkmcnt(0)
	v_max_f64 v[153:154], v[2:3], v[2:3]
	v_mov_b32_e32 v2, v4
	v_mov_b32_e32 v3, v5
	s_and_b32 vcc_lo, exec_lo, s29
	s_clause 0x3e
	buffer_load_dword v89, v217, s[0:3], 0 offen
	buffer_load_dword v90, v217, s[0:3], 0 offen offset:4
	buffer_load_dword v91, v217, s[0:3], 0 offen offset:8
	;; [unrolled: 1-line block ×63, first 2 shown]
	s_mov_b32 s29, 0
	s_mov_b32 s30, s18
	v_min_f64 v[155:156], v[18:19], v[153:154]
	v_min_f64 v[157:158], v[20:21], v[153:154]
	;; [unrolled: 1-line block ×32, first 2 shown]
	s_waitcnt vmcnt(62)
	v_add_f64 v[89:90], v[155:156], v[89:90]
	s_waitcnt vmcnt(60)
	v_add_f64 v[91:92], v[157:158], v[91:92]
	;; [unrolled: 2-line block ×32, first 2 shown]
	buffer_store_dword v89, v217, s[0:3], 0 offen
	buffer_store_dword v90, v217, s[0:3], 0 offen offset:4
	buffer_store_dword v91, v217, s[0:3], 0 offen offset:8
	;; [unrolled: 1-line block ×63, first 2 shown]
	s_cbranch_vccnz .LBB192_16
; %bb.17:                               ;   in Loop: Header=BB192_15 Depth=1
	s_add_i32 s28, s28, 1
	s_cmp_eq_u32 s28, 4
	s_cbranch_scc0 .LBB192_15
; %bb.18:
	s_load_dword s28, s[4:5], 0x8
	v_lshlrev_b32_e32 v2, 3, v82
	v_lshl_add_u32 v78, v0, 5, 0x1000
	v_lshl_add_u32 v79, v1, 5, 0x3000
	;; [unrolled: 1-line block ×3, first 2 shown]
	ds_write2st64_b64 v2, v[12:13], v[14:15] offset0:8 offset1:12
	ds_write2st64_b64 v2, v[10:11], v[16:17] offset0:24 offset1:28
	s_waitcnt lgkmcnt(0)
	s_waitcnt_vscnt null, 0x0
	s_barrier
	buffer_gl0_inv
	s_cmp_lt_i32 s28, 9
	s_cbranch_scc1 .LBB192_37
; %bb.19:
	v_lshlrev_b64 v[3:4], 3, v[6:7]
	v_lshlrev_b64 v[5:6], 3, v[8:9]
	v_or_b32_e32 v80, 0x1000, v2
	v_or_b32_e32 v81, 0x3000, v2
	v_add_co_u32 v88, vcc_lo, s24, v3
	v_add_co_ci_u32_e64 v89, null, s25, v4, vcc_lo
	v_add_co_u32 v90, vcc_lo, s22, v5
	v_add_co_ci_u32_e64 v91, null, s23, v6, vcc_lo
	s_add_i32 s22, s28, -8
	s_mov_b32 s23, 8
	s_mov_b32 s24, 0
.LBB192_20:                             ; =>This Loop Header: Depth=1
                                        ;     Child Loop BB192_25 Depth 2
                                        ;       Child Loop BB192_26 Depth 3
                                        ;     Child Loop BB192_33 Depth 2
                                        ;       Child Loop BB192_34 Depth 3
	v_mov_b32_e32 v6, 0
	v_mov_b32_e32 v8, 0
	v_mov_b32_e32 v10, 0
	v_mov_b32_e32 v7, 0
	v_mov_b32_e32 v9, 0
	v_mov_b32_e32 v11, 0
	v_add_nc_u32_e32 v2, s23, v82
	s_and_b32 vcc_lo, exec_lo, s7
	s_cbranch_vccnz .LBB192_22
; %bb.21:                               ;   in Loop: Header=BB192_20 Depth=1
	v_mad_u64_u32 v[3:4], null, v2, s19, 0
	v_mad_u64_u32 v[4:5], null, v2, s21, v[4:5]
	v_lshlrev_b64 v[3:4], 3, v[3:4]
	v_add_co_u32 v3, vcc_lo, v88, v3
	v_add_co_ci_u32_e64 v4, null, v89, v4, vcc_lo
	s_clause 0x1
	global_load_dwordx2 v[8:9], v[3:4], off
	global_load_dwordx2 v[3:4], v[3:4], off offset:512
	s_waitcnt vmcnt(1)
	v_mul_f64 v[8:9], s[16:17], v[8:9]
	s_waitcnt vmcnt(0)
	v_mul_f64 v[10:11], s[16:17], v[3:4]
.LBB192_22:                             ;   in Loop: Header=BB192_20 Depth=1
	v_mov_b32_e32 v12, 0
	v_mov_b32_e32 v13, 0
	s_and_b32 vcc_lo, exec_lo, s7
	s_cbranch_vccnz .LBB192_24
; %bb.23:                               ;   in Loop: Header=BB192_20 Depth=1
	v_mad_u64_u32 v[3:4], null, v2, s26, 0
	v_mad_u64_u32 v[4:5], null, v2, s27, v[4:5]
	v_lshlrev_b64 v[2:3], 3, v[3:4]
	v_add_co_u32 v2, vcc_lo, v90, v2
	v_add_co_ci_u32_e64 v3, null, v91, v3, vcc_lo
	s_clause 0x1
	global_load_dwordx2 v[4:5], v[2:3], off
	global_load_dwordx2 v[2:3], v[2:3], off offset:512
	s_waitcnt vmcnt(1)
	v_mul_f64 v[6:7], s[16:17], v[4:5]
	s_waitcnt vmcnt(0)
	v_mul_f64 v[12:13], s[16:17], v[2:3]
.LBB192_24:                             ;   in Loop: Header=BB192_20 Depth=1
	s_mov_b32 s25, 0
.LBB192_25:                             ;   Parent Loop BB192_20 Depth=1
                                        ; =>  This Loop Header: Depth=2
                                        ;       Child Loop BB192_26 Depth 3
	s_lshl_b32 s28, s25, 3
	s_mov_b32 s29, 0
	v_add_nc_u32_e32 v14, s28, v78
	v_add_nc_u32_e32 v92, s28, v79
	s_mov_b32 s28, -1
	ds_read2_b64 v[2:5], v14 offset1:16
	ds_read2_b64 v[18:21], v14 offset0:32 offset1:48
	ds_read2_b64 v[22:25], v14 offset0:64 offset1:80
	v_add_nc_u32_e32 v15, 0x800, v14
	ds_read2_b64 v[26:29], v14 offset0:96 offset1:112
	ds_read2_b64 v[30:33], v14 offset0:128 offset1:144
	;; [unrolled: 1-line block ×5, first 2 shown]
	ds_read2_b64 v[46:49], v15 offset1:16
	ds_read2_b64 v[50:53], v15 offset0:32 offset1:48
	ds_read2_b64 v[54:57], v15 offset0:64 offset1:80
	;; [unrolled: 1-line block ×7, first 2 shown]
	s_waitcnt lgkmcnt(11)
	v_max_f64 v[30:31], v[30:31], v[30:31]
	v_max_f64 v[32:33], v[32:33], v[32:33]
	s_waitcnt lgkmcnt(10)
	v_max_f64 v[34:35], v[34:35], v[34:35]
	v_max_f64 v[36:37], v[36:37], v[36:37]
	;; [unrolled: 3-line block ×3, first 2 shown]
	v_max_f64 v[14:15], v[2:3], v[2:3]
	v_max_f64 v[16:17], v[4:5], v[4:5]
	;; [unrolled: 1-line block ×8, first 2 shown]
	s_waitcnt lgkmcnt(8)
	v_max_f64 v[42:43], v[42:43], v[42:43]
	v_max_f64 v[44:45], v[44:45], v[44:45]
	s_waitcnt lgkmcnt(7)
	v_max_f64 v[46:47], v[46:47], v[46:47]
	v_max_f64 v[48:49], v[48:49], v[48:49]
	;; [unrolled: 3-line block ×9, first 2 shown]
	ds_read2st64_b64 v[2:5], v92 offset1:4
.LBB192_26:                             ;   Parent Loop BB192_20 Depth=1
                                        ;     Parent Loop BB192_25 Depth=2
                                        ; =>    This Inner Loop Header: Depth=3
	v_mov_b32_e32 v220, s29
	s_waitcnt lgkmcnt(0)
	v_max_f64 v[156:157], v[2:3], v[2:3]
	v_mov_b32_e32 v2, v4
	v_mov_b32_e32 v3, v5
	s_and_b32 vcc_lo, exec_lo, s28
	s_clause 0x3e
	buffer_load_dword v92, v220, s[0:3], 0 offen
	buffer_load_dword v93, v220, s[0:3], 0 offen offset:4
	buffer_load_dword v94, v220, s[0:3], 0 offen offset:8
	;; [unrolled: 1-line block ×63, first 2 shown]
	s_mov_b32 s28, 0
	s_mov_b32 s29, s18
	v_min_f64 v[158:159], v[14:15], v[156:157]
	v_min_f64 v[160:161], v[16:17], v[156:157]
	;; [unrolled: 1-line block ×32, first 2 shown]
	s_waitcnt vmcnt(62)
	v_add_f64 v[92:93], v[158:159], v[92:93]
	s_waitcnt vmcnt(60)
	v_add_f64 v[94:95], v[160:161], v[94:95]
	;; [unrolled: 2-line block ×32, first 2 shown]
	buffer_store_dword v92, v220, s[0:3], 0 offen
	buffer_store_dword v93, v220, s[0:3], 0 offen offset:4
	buffer_store_dword v94, v220, s[0:3], 0 offen offset:8
	;; [unrolled: 1-line block ×63, first 2 shown]
	s_cbranch_vccnz .LBB192_26
; %bb.27:                               ;   in Loop: Header=BB192_25 Depth=2
	s_add_i32 s25, s25, 1
	s_cmp_eq_u32 s25, 4
	s_cbranch_scc0 .LBB192_25
; %bb.28:                               ;   in Loop: Header=BB192_20 Depth=1
	v_mov_b32_e32 v70, 0
	v_mov_b32_e32 v72, 0
	;; [unrolled: 1-line block ×6, first 2 shown]
	v_add_nc_u32_e32 v2, s23, v83
	s_and_b32 vcc_lo, exec_lo, s7
	ds_write2st64_b64 v84, v[8:9], v[10:11] offset1:4
	ds_write2st64_b64 v85, v[6:7], v[12:13] offset1:4
	s_waitcnt lgkmcnt(0)
	s_waitcnt_vscnt null, 0x0
	s_barrier
	buffer_gl0_inv
	s_cbranch_vccnz .LBB192_30
; %bb.29:                               ;   in Loop: Header=BB192_20 Depth=1
	v_mad_u64_u32 v[3:4], null, v2, s19, 0
	v_mad_u64_u32 v[4:5], null, v2, s21, v[4:5]
	v_lshlrev_b64 v[3:4], 3, v[3:4]
	v_add_co_u32 v3, vcc_lo, v88, v3
	v_add_co_ci_u32_e64 v4, null, v89, v4, vcc_lo
	s_clause 0x1
	global_load_dwordx2 v[5:6], v[3:4], off
	global_load_dwordx2 v[3:4], v[3:4], off offset:512
	s_waitcnt vmcnt(1)
	v_mul_f64 v[72:73], s[16:17], v[5:6]
	s_waitcnt vmcnt(0)
	v_mul_f64 v[74:75], s[16:17], v[3:4]
.LBB192_30:                             ;   in Loop: Header=BB192_20 Depth=1
	v_mov_b32_e32 v76, 0
	v_mov_b32_e32 v77, 0
	s_and_b32 vcc_lo, exec_lo, s7
	s_cbranch_vccnz .LBB192_32
; %bb.31:                               ;   in Loop: Header=BB192_20 Depth=1
	v_mad_u64_u32 v[3:4], null, v2, s26, 0
	v_mad_u64_u32 v[4:5], null, v2, s27, v[4:5]
	v_lshlrev_b64 v[2:3], 3, v[3:4]
	v_add_co_u32 v2, vcc_lo, v90, v2
	v_add_co_ci_u32_e64 v3, null, v91, v3, vcc_lo
	s_clause 0x1
	global_load_dwordx2 v[4:5], v[2:3], off
	global_load_dwordx2 v[2:3], v[2:3], off offset:512
	s_waitcnt vmcnt(1)
	v_mul_f64 v[70:71], s[16:17], v[4:5]
	s_waitcnt vmcnt(0)
	v_mul_f64 v[76:77], s[16:17], v[2:3]
.LBB192_32:                             ;   in Loop: Header=BB192_20 Depth=1
	s_mov_b32 s25, 0
.LBB192_33:                             ;   Parent Loop BB192_20 Depth=1
                                        ; =>  This Loop Header: Depth=2
                                        ;       Child Loop BB192_34 Depth 3
	s_lshl_b32 s28, s25, 3
	s_mov_b32 s29, 0
	v_add_nc_u32_e32 v30, s28, v86
	v_add_nc_u32_e32 v66, s28, v87
	s_mov_b32 s28, -1
	ds_read2_b64 v[2:5], v30 offset1:16
	ds_read2_b64 v[6:9], v30 offset0:32 offset1:48
	ds_read2_b64 v[10:13], v30 offset0:64 offset1:80
	;; [unrolled: 1-line block ×3, first 2 shown]
	v_add_nc_u32_e32 v62, 0x800, v30
	ds_read2_b64 v[18:21], v30 offset0:128 offset1:144
	ds_read2_b64 v[22:25], v30 offset0:160 offset1:176
	;; [unrolled: 1-line block ×4, first 2 shown]
	ds_read2_b64 v[34:37], v62 offset1:16
	ds_read2_b64 v[38:41], v62 offset0:32 offset1:48
	ds_read2_b64 v[42:45], v62 offset0:64 offset1:80
	ds_read2_b64 v[46:49], v62 offset0:96 offset1:112
	ds_read2_b64 v[50:53], v62 offset0:128 offset1:144
	ds_read2_b64 v[54:57], v62 offset0:160 offset1:176
	ds_read2_b64 v[58:61], v62 offset0:192 offset1:208
	ds_read2_b64 v[62:65], v62 offset0:224 offset1:240
	ds_read2st64_b64 v[66:69], v66 offset1:4
.LBB192_34:                             ;   Parent Loop BB192_20 Depth=1
                                        ;     Parent Loop BB192_33 Depth=2
                                        ; =>    This Inner Loop Header: Depth=3
	v_mov_b32_e32 v92, s29
	s_waitcnt lgkmcnt(16)
	v_max_f64 v[157:158], v[2:3], v[2:3]
	s_waitcnt lgkmcnt(0)
	v_max_f64 v[159:160], v[66:67], v[66:67]
	v_max_f64 v[161:162], v[4:5], v[4:5]
	;; [unrolled: 1-line block ×3, first 2 shown]
	s_clause 0x3e
	buffer_load_dword v93, v92, s[0:3], 0 offen
	buffer_load_dword v94, v92, s[0:3], 0 offen offset:4
	buffer_load_dword v95, v92, s[0:3], 0 offen offset:8
	;; [unrolled: 1-line block ×63, first 2 shown]
	v_max_f64 v[165:166], v[8:9], v[8:9]
	v_max_f64 v[167:168], v[10:11], v[10:11]
	;; [unrolled: 1-line block ×29, first 2 shown]
	v_min_f64 v[157:158], v[157:158], v[159:160]
	v_min_f64 v[161:162], v[161:162], v[159:160]
	;; [unrolled: 1-line block ×32, first 2 shown]
	v_mov_b32_e32 v66, v68
	v_mov_b32_e32 v67, v69
	s_and_b32 vcc_lo, exec_lo, s28
	s_mov_b32 s28, 0
	s_mov_b32 s29, s18
	s_waitcnt vmcnt(62)
	v_add_f64 v[93:94], v[157:158], v[93:94]
	s_waitcnt vmcnt(60)
	v_add_f64 v[95:96], v[161:162], v[95:96]
	;; [unrolled: 2-line block ×32, first 2 shown]
	buffer_store_dword v93, v92, s[0:3], 0 offen
	buffer_store_dword v94, v92, s[0:3], 0 offen offset:4
	buffer_store_dword v95, v92, s[0:3], 0 offen offset:8
	;; [unrolled: 1-line block ×63, first 2 shown]
	s_cbranch_vccnz .LBB192_34
; %bb.35:                               ;   in Loop: Header=BB192_33 Depth=2
	s_add_i32 s25, s25, 1
	s_cmp_eq_u32 s25, 4
	s_cbranch_scc0 .LBB192_33
; %bb.36:                               ;   in Loop: Header=BB192_20 Depth=1
	s_add_i32 s24, s24, 8
	s_add_i32 s23, s23, 8
	s_cmp_ge_i32 s24, s22
	ds_write2st64_b64 v80, v[72:73], v[74:75] offset1:4
	ds_write2st64_b64 v81, v[70:71], v[76:77] offset1:4
	s_waitcnt lgkmcnt(0)
	s_waitcnt_vscnt null, 0x0
	s_barrier
	buffer_gl0_inv
	s_cbranch_scc0 .LBB192_20
.LBB192_37:
	s_mov_b32 s7, 0
.LBB192_38:                             ; =>This Loop Header: Depth=1
                                        ;     Child Loop BB192_39 Depth 2
	s_lshl_b32 s16, s7, 3
	s_mov_b32 s17, 0
	v_add_nc_u32_e32 v6, s16, v78
	v_add_nc_u32_e32 v70, s16, v79
	s_mov_b32 s16, -1
	ds_read2_b64 v[2:5], v6 offset1:16
	ds_read2_b64 v[10:13], v6 offset0:32 offset1:48
	ds_read2_b64 v[14:17], v6 offset0:64 offset1:80
	v_add_nc_u32_e32 v7, 0x800, v6
	ds_read2_b64 v[18:21], v6 offset0:96 offset1:112
	ds_read2_b64 v[22:25], v6 offset0:128 offset1:144
	;; [unrolled: 1-line block ×5, first 2 shown]
	ds_read2_b64 v[38:41], v7 offset1:16
	ds_read2_b64 v[42:45], v7 offset0:32 offset1:48
	ds_read2_b64 v[46:49], v7 offset0:64 offset1:80
	;; [unrolled: 1-line block ×7, first 2 shown]
	s_waitcnt lgkmcnt(11)
	v_max_f64 v[22:23], v[22:23], v[22:23]
	v_max_f64 v[24:25], v[24:25], v[24:25]
	s_waitcnt lgkmcnt(10)
	v_max_f64 v[26:27], v[26:27], v[26:27]
	v_max_f64 v[28:29], v[28:29], v[28:29]
	;; [unrolled: 3-line block ×3, first 2 shown]
	v_max_f64 v[6:7], v[2:3], v[2:3]
	v_max_f64 v[8:9], v[4:5], v[4:5]
	;; [unrolled: 1-line block ×8, first 2 shown]
	s_waitcnt lgkmcnt(8)
	v_max_f64 v[34:35], v[34:35], v[34:35]
	v_max_f64 v[36:37], v[36:37], v[36:37]
	s_waitcnt lgkmcnt(7)
	v_max_f64 v[38:39], v[38:39], v[38:39]
	v_max_f64 v[40:41], v[40:41], v[40:41]
	;; [unrolled: 3-line block ×9, first 2 shown]
	ds_read2st64_b64 v[2:5], v70 offset1:4
.LBB192_39:                             ;   Parent Loop BB192_38 Depth=1
                                        ; =>  This Inner Loop Header: Depth=2
	v_mov_b32_e32 v200, s17
	s_waitcnt lgkmcnt(0)
	v_max_f64 v[136:137], v[2:3], v[2:3]
	v_mov_b32_e32 v2, v4
	v_mov_b32_e32 v3, v5
	s_and_b32 vcc_lo, exec_lo, s16
	s_clause 0x3e
	buffer_load_dword v70, v200, s[0:3], 0 offen
	buffer_load_dword v71, v200, s[0:3], 0 offen offset:4
	buffer_load_dword v72, v200, s[0:3], 0 offen offset:8
	;; [unrolled: 1-line block ×63, first 2 shown]
	s_mov_b32 s16, 0
	s_mov_b32 s17, s18
	v_min_f64 v[138:139], v[6:7], v[136:137]
	v_min_f64 v[140:141], v[8:9], v[136:137]
	;; [unrolled: 1-line block ×32, first 2 shown]
	s_waitcnt vmcnt(62)
	v_add_f64 v[70:71], v[138:139], v[70:71]
	s_waitcnt vmcnt(60)
	v_add_f64 v[72:73], v[140:141], v[72:73]
	;; [unrolled: 2-line block ×32, first 2 shown]
	buffer_store_dword v70, v200, s[0:3], 0 offen
	buffer_store_dword v71, v200, s[0:3], 0 offen offset:4
	buffer_store_dword v72, v200, s[0:3], 0 offen offset:8
	;; [unrolled: 1-line block ×63, first 2 shown]
	s_cbranch_vccnz .LBB192_39
; %bb.40:                               ;   in Loop: Header=BB192_38 Depth=1
	s_add_i32 s7, s7, 1
	s_cmp_eq_u32 s7, 4
	s_cbranch_scc0 .LBB192_38
; %bb.41:
	s_clause 0x1
	buffer_load_dword v2, off, s[0:3], 0
	buffer_load_dword v3, off, s[0:3], 0 offset:4
	s_load_dword s7, s[4:5], 0x58
	v_add_nc_u32_e32 v71, s8, v1
	v_add_nc_u32_e32 v12, s6, v0
	v_cndmask_b32_e64 v0, 0, 1, s9
	v_mov_b32_e32 v8, 0
	v_mov_b32_e32 v9, 0
	v_ashrrev_i32_e32 v13, 31, v12
	v_cmp_ne_u32_e64 s6, 1, v0
	v_lshlrev_b64 v[0:1], 3, v[12:13]
	s_waitcnt lgkmcnt(0)
	v_mad_i64_i32 v[4:5], null, v71, s7, 0
	v_lshlrev_b64 v[6:7], 3, v[4:5]
	v_mov_b32_e32 v4, 0
	v_mov_b32_e32 v5, 0
	v_add_co_u32 v72, vcc_lo, s12, v6
	v_add_co_ci_u32_e64 v73, null, s13, v7, vcc_lo
	s_andn2_b32 vcc_lo, exec_lo, s9
	s_cbranch_vccnz .LBB192_43
; %bb.42:
	v_add_co_u32 v6, vcc_lo, v72, v0
	v_add_co_ci_u32_e64 v7, null, v73, v1, vcc_lo
	global_load_dwordx2 v[6:7], v[6:7], off
	s_waitcnt vmcnt(0)
	v_mul_f64 v[8:9], s[14:15], v[6:7]
.LBB192_43:
	s_clause 0x1
	buffer_load_dword v6, off, s[0:3], 0 offset:8
	buffer_load_dword v7, off, s[0:3], 0 offset:12
	s_clause 0x1
	s_load_dwordx2 s[8:9], s[4:5], 0x78
	s_load_dword s4, s[4:5], 0x70
	s_waitcnt vmcnt(2)
	v_add_f64 v[8:9], v[2:3], v[8:9]
	s_waitcnt lgkmcnt(0)
	s_mul_i32 s5, s9, s20
	v_mad_i64_i32 v[10:11], null, v71, s4, 0
	s_mul_hi_u32 s9, s8, s20
	s_mul_i32 s8, s8, s20
	s_add_i32 s9, s9, s5
	s_lshl_b64 s[8:9], s[8:9], 3
	v_lshlrev_b64 v[2:3], 3, v[10:11]
	v_add_nc_u32_e32 v10, 4, v12
	s_add_u32 s5, s10, s8
	s_addc_u32 s8, s11, s9
	v_ashrrev_i32_e32 v11, 31, v10
	v_add_co_u32 v74, vcc_lo, s5, v2
	v_add_co_ci_u32_e64 v75, null, s8, v3, vcc_lo
	v_lshlrev_b64 v[2:3], 3, v[10:11]
	v_add_co_u32 v13, vcc_lo, v74, v0
	v_add_co_ci_u32_e64 v14, null, v75, v1, vcc_lo
	s_and_b32 vcc_lo, exec_lo, s6
	global_store_dwordx2 v[13:14], v[8:9], off
	s_cbranch_vccnz .LBB192_45
; %bb.44:
	v_add_co_u32 v4, vcc_lo, v72, v2
	v_add_co_ci_u32_e64 v5, null, v73, v3, vcc_lo
	global_load_dwordx2 v[4:5], v[4:5], off
	s_waitcnt vmcnt(0)
	v_mul_f64 v[4:5], s[14:15], v[4:5]
.LBB192_45:
	s_clause 0x1
	buffer_load_dword v10, off, s[0:3], 0 offset:16
	buffer_load_dword v11, off, s[0:3], 0 offset:20
	s_waitcnt vmcnt(2)
	v_add_f64 v[13:14], v[6:7], v[4:5]
	v_add_nc_u32_e32 v4, 8, v12
	v_add_co_u32 v15, vcc_lo, v74, v2
	v_mov_b32_e32 v8, 0
	v_mov_b32_e32 v6, 0
	v_ashrrev_i32_e32 v5, 31, v4
	v_add_co_ci_u32_e64 v16, null, v75, v3, vcc_lo
	v_mov_b32_e32 v9, 0
	v_mov_b32_e32 v7, 0
	v_lshlrev_b64 v[4:5], 3, v[4:5]
	s_and_b32 vcc_lo, exec_lo, s6
	global_store_dwordx2 v[15:16], v[13:14], off
	s_cbranch_vccnz .LBB192_47
; %bb.46:
	v_add_co_u32 v6, vcc_lo, v72, v4
	v_add_co_ci_u32_e64 v7, null, v73, v5, vcc_lo
	global_load_dwordx2 v[6:7], v[6:7], off
	s_waitcnt vmcnt(0)
	v_mul_f64 v[6:7], s[14:15], v[6:7]
.LBB192_47:
	s_clause 0x1
	buffer_load_dword v13, off, s[0:3], 0 offset:24
	buffer_load_dword v14, off, s[0:3], 0 offset:28
	s_waitcnt vmcnt(2)
	v_add_f64 v[10:11], v[10:11], v[6:7]
	v_add_nc_u32_e32 v6, 12, v12
	v_add_co_u32 v15, vcc_lo, v74, v4
	v_add_co_ci_u32_e64 v16, null, v75, v5, vcc_lo
	v_ashrrev_i32_e32 v7, 31, v6
	s_and_b32 vcc_lo, exec_lo, s6
	v_lshlrev_b64 v[6:7], 3, v[6:7]
	global_store_dwordx2 v[15:16], v[10:11], off
	s_cbranch_vccnz .LBB192_49
; %bb.48:
	v_add_co_u32 v8, vcc_lo, v72, v6
	v_add_co_ci_u32_e64 v9, null, v73, v7, vcc_lo
	global_load_dwordx2 v[8:9], v[8:9], off
	s_waitcnt vmcnt(0)
	v_mul_f64 v[8:9], s[14:15], v[8:9]
.LBB192_49:
	s_clause 0x1
	buffer_load_dword v10, off, s[0:3], 0 offset:32
	buffer_load_dword v11, off, s[0:3], 0 offset:36
	s_waitcnt vmcnt(2)
	v_add_f64 v[17:18], v[13:14], v[8:9]
	v_add_nc_u32_e32 v8, 16, v12
	v_add_co_u32 v19, vcc_lo, v74, v6
	v_mov_b32_e32 v13, 0
	v_mov_b32_e32 v15, 0
	v_ashrrev_i32_e32 v9, 31, v8
	v_add_co_ci_u32_e64 v20, null, v75, v7, vcc_lo
	v_mov_b32_e32 v14, 0
	v_mov_b32_e32 v16, 0
	v_lshlrev_b64 v[8:9], 3, v[8:9]
	s_and_b32 vcc_lo, exec_lo, s6
	global_store_dwordx2 v[19:20], v[17:18], off
	s_cbranch_vccnz .LBB192_51
; %bb.50:
	v_add_co_u32 v15, vcc_lo, v72, v8
	v_add_co_ci_u32_e64 v16, null, v73, v9, vcc_lo
	global_load_dwordx2 v[15:16], v[15:16], off
	s_waitcnt vmcnt(0)
	v_mul_f64 v[15:16], s[14:15], v[15:16]
.LBB192_51:
	s_clause 0x1
	buffer_load_dword v17, off, s[0:3], 0 offset:40
	buffer_load_dword v18, off, s[0:3], 0 offset:44
	s_waitcnt vmcnt(2)
	v_add_f64 v[15:16], v[10:11], v[15:16]
	v_add_nc_u32_e32 v10, 20, v12
	v_add_co_u32 v19, vcc_lo, v74, v8
	v_add_co_ci_u32_e64 v20, null, v75, v9, vcc_lo
	v_ashrrev_i32_e32 v11, 31, v10
	s_and_b32 vcc_lo, exec_lo, s6
	v_lshlrev_b64 v[10:11], 3, v[10:11]
	;; [unrolled: 44-line block ×15, first 2 shown]
	global_store_dwordx2 v[76:77], v[67:68], off
	s_cbranch_vccnz .LBB192_105
; %bb.104:
	v_add_co_u32 v65, vcc_lo, v72, v63
	v_add_co_ci_u32_e64 v66, null, v73, v64, vcc_lo
	global_load_dwordx2 v[65:66], v[65:66], off
	s_waitcnt vmcnt(0)
	v_mul_f64 v[65:66], s[14:15], v[65:66]
.LBB192_105:
	s_clause 0x1
	buffer_load_dword v67, off, s[0:3], 0 offset:256
	buffer_load_dword v68, off, s[0:3], 0 offset:260
	v_add_nc_u32_e32 v76, 64, v71
	s_waitcnt vmcnt(2)
	v_add_f64 v[69:70], v[69:70], v[65:66]
	v_add_co_u32 v74, vcc_lo, v74, v63
	v_add_co_ci_u32_e64 v75, null, v75, v64, vcc_lo
	v_mad_i64_i32 v[65:66], null, v76, s7, 0
	v_mov_b32_e32 v71, 0
	v_mov_b32_e32 v72, 0
	v_lshlrev_b64 v[77:78], 3, v[65:66]
	v_mov_b32_e32 v65, 0
	v_mov_b32_e32 v66, 0
	v_add_co_u32 v12, vcc_lo, s12, v77
	v_add_co_ci_u32_e64 v73, null, s13, v78, vcc_lo
	s_and_b32 vcc_lo, exec_lo, s6
	global_store_dwordx2 v[74:75], v[69:70], off
	s_cbranch_vccnz .LBB192_107
; %bb.106:
	v_add_co_u32 v69, vcc_lo, v12, v0
	v_add_co_ci_u32_e64 v70, null, v73, v1, vcc_lo
	global_load_dwordx2 v[69:70], v[69:70], off
	s_waitcnt vmcnt(0)
	v_mul_f64 v[71:72], s[14:15], v[69:70]
.LBB192_107:
	s_clause 0x1
	buffer_load_dword v69, off, s[0:3], 0 offset:264
	buffer_load_dword v70, off, s[0:3], 0 offset:268
	v_mad_i64_i32 v[74:75], null, v76, s4, 0
	s_waitcnt vmcnt(2)
	v_add_f64 v[67:68], v[67:68], v[71:72]
	v_lshlrev_b64 v[71:72], 3, v[74:75]
	v_add_co_u32 v71, vcc_lo, s5, v71
	v_add_co_ci_u32_e64 v72, null, s8, v72, vcc_lo
	v_add_co_u32 v0, vcc_lo, v71, v0
	v_add_co_ci_u32_e64 v1, null, v72, v1, vcc_lo
	s_and_b32 vcc_lo, exec_lo, s6
	global_store_dwordx2 v[0:1], v[67:68], off
	s_cbranch_vccnz .LBB192_109
; %bb.108:
	v_add_co_u32 v0, vcc_lo, v12, v2
	v_add_co_ci_u32_e64 v1, null, v73, v3, vcc_lo
	global_load_dwordx2 v[0:1], v[0:1], off
	s_waitcnt vmcnt(0)
	v_mul_f64 v[65:66], s[14:15], v[0:1]
.LBB192_109:
	s_clause 0x1
	buffer_load_dword v67, off, s[0:3], 0 offset:272
	buffer_load_dword v68, off, s[0:3], 0 offset:276
	s_waitcnt vmcnt(2)
	v_add_f64 v[65:66], v[69:70], v[65:66]
	v_add_co_u32 v69, vcc_lo, v71, v2
	v_add_co_ci_u32_e64 v70, null, v72, v3, vcc_lo
	v_mov_b32_e32 v0, 0
	v_mov_b32_e32 v2, 0
	;; [unrolled: 1-line block ×4, first 2 shown]
	s_and_b32 vcc_lo, exec_lo, s6
	global_store_dwordx2 v[69:70], v[65:66], off
	s_cbranch_vccnz .LBB192_111
; %bb.110:
	v_add_co_u32 v2, vcc_lo, v12, v4
	v_add_co_ci_u32_e64 v3, null, v73, v5, vcc_lo
	global_load_dwordx2 v[2:3], v[2:3], off
	s_waitcnt vmcnt(0)
	v_mul_f64 v[2:3], s[14:15], v[2:3]
.LBB192_111:
	s_clause 0x1
	buffer_load_dword v65, off, s[0:3], 0 offset:280
	buffer_load_dword v66, off, s[0:3], 0 offset:284
	s_waitcnt vmcnt(2)
	v_add_f64 v[2:3], v[67:68], v[2:3]
	v_add_co_u32 v4, vcc_lo, v71, v4
	v_add_co_ci_u32_e64 v5, null, v72, v5, vcc_lo
	s_and_b32 vcc_lo, exec_lo, s6
	global_store_dwordx2 v[4:5], v[2:3], off
	s_cbranch_vccnz .LBB192_113
; %bb.112:
	v_add_co_u32 v0, vcc_lo, v12, v6
	v_add_co_ci_u32_e64 v1, null, v73, v7, vcc_lo
	global_load_dwordx2 v[0:1], v[0:1], off
	s_waitcnt vmcnt(0)
	v_mul_f64 v[0:1], s[14:15], v[0:1]
.LBB192_113:
	s_clause 0x1
	buffer_load_dword v2, off, s[0:3], 0 offset:288
	buffer_load_dword v3, off, s[0:3], 0 offset:292
	s_waitcnt vmcnt(2)
	v_add_f64 v[4:5], v[65:66], v[0:1]
	v_add_co_u32 v65, vcc_lo, v71, v6
	v_add_co_ci_u32_e64 v66, null, v72, v7, vcc_lo
	v_mov_b32_e32 v0, 0
	v_mov_b32_e32 v6, 0
	;; [unrolled: 1-line block ×4, first 2 shown]
	s_and_b32 vcc_lo, exec_lo, s6
	global_store_dwordx2 v[65:66], v[4:5], off
	s_cbranch_vccnz .LBB192_115
; %bb.114:
	v_add_co_u32 v4, vcc_lo, v12, v8
	v_add_co_ci_u32_e64 v5, null, v73, v9, vcc_lo
	global_load_dwordx2 v[4:5], v[4:5], off
	s_waitcnt vmcnt(0)
	v_mul_f64 v[6:7], s[14:15], v[4:5]
.LBB192_115:
	s_clause 0x1
	buffer_load_dword v4, off, s[0:3], 0 offset:296
	buffer_load_dword v5, off, s[0:3], 0 offset:300
	s_waitcnt vmcnt(2)
	v_add_f64 v[2:3], v[2:3], v[6:7]
	v_add_co_u32 v6, vcc_lo, v71, v8
	v_add_co_ci_u32_e64 v7, null, v72, v9, vcc_lo
	s_and_b32 vcc_lo, exec_lo, s6
	global_store_dwordx2 v[6:7], v[2:3], off
	s_cbranch_vccnz .LBB192_117
; %bb.116:
	v_add_co_u32 v0, vcc_lo, v12, v10
	v_add_co_ci_u32_e64 v1, null, v73, v11, vcc_lo
	global_load_dwordx2 v[0:1], v[0:1], off
	s_waitcnt vmcnt(0)
	v_mul_f64 v[0:1], s[14:15], v[0:1]
.LBB192_117:
	s_clause 0x1
	buffer_load_dword v2, off, s[0:3], 0 offset:304
	buffer_load_dword v3, off, s[0:3], 0 offset:308
	s_waitcnt vmcnt(2)
	v_add_f64 v[4:5], v[4:5], v[0:1]
	v_add_co_u32 v8, vcc_lo, v71, v10
	v_mov_b32_e32 v0, 0
	v_mov_b32_e32 v6, 0
	v_add_co_ci_u32_e64 v9, null, v72, v11, vcc_lo
	v_mov_b32_e32 v1, 0
	v_mov_b32_e32 v7, 0
	s_and_b32 vcc_lo, exec_lo, s6
	global_store_dwordx2 v[8:9], v[4:5], off
	s_cbranch_vccnz .LBB192_119
; %bb.118:
	v_add_co_u32 v4, vcc_lo, v12, v13
	v_add_co_ci_u32_e64 v5, null, v73, v14, vcc_lo
	global_load_dwordx2 v[4:5], v[4:5], off
	s_waitcnt vmcnt(0)
	v_mul_f64 v[6:7], s[14:15], v[4:5]
.LBB192_119:
	s_clause 0x1
	buffer_load_dword v4, off, s[0:3], 0 offset:312
	buffer_load_dword v5, off, s[0:3], 0 offset:316
	s_waitcnt vmcnt(2)
	v_add_f64 v[2:3], v[2:3], v[6:7]
	v_add_co_u32 v6, vcc_lo, v71, v13
	v_add_co_ci_u32_e64 v7, null, v72, v14, vcc_lo
	s_and_b32 vcc_lo, exec_lo, s6
	global_store_dwordx2 v[6:7], v[2:3], off
	s_cbranch_vccnz .LBB192_121
; %bb.120:
	v_add_co_u32 v0, vcc_lo, v12, v15
	v_add_co_ci_u32_e64 v1, null, v73, v16, vcc_lo
	global_load_dwordx2 v[0:1], v[0:1], off
	s_waitcnt vmcnt(0)
	v_mul_f64 v[0:1], s[14:15], v[0:1]
.LBB192_121:
	s_clause 0x1
	buffer_load_dword v2, off, s[0:3], 0 offset:320
	buffer_load_dword v3, off, s[0:3], 0 offset:324
	s_waitcnt vmcnt(2)
	v_add_f64 v[4:5], v[4:5], v[0:1]
	v_add_co_u32 v8, vcc_lo, v71, v15
	v_mov_b32_e32 v0, 0
	v_mov_b32_e32 v6, 0
	v_add_co_ci_u32_e64 v9, null, v72, v16, vcc_lo
	v_mov_b32_e32 v1, 0
	v_mov_b32_e32 v7, 0
	;; [unrolled: 38-line block ×13, first 2 shown]
	s_and_b32 vcc_lo, exec_lo, s6
	global_store_dwordx2 v[8:9], v[4:5], off
	s_cbranch_vccnz .LBB192_167
; %bb.166:
	v_add_co_u32 v4, vcc_lo, v12, v61
	v_add_co_ci_u32_e64 v5, null, v73, v62, vcc_lo
	global_load_dwordx2 v[4:5], v[4:5], off
	s_waitcnt vmcnt(0)
	v_mul_f64 v[6:7], s[14:15], v[4:5]
.LBB192_167:
	s_clause 0x1
	buffer_load_dword v4, off, s[0:3], 0 offset:504
	buffer_load_dword v5, off, s[0:3], 0 offset:508
	s_waitcnt vmcnt(2)
	v_add_f64 v[2:3], v[2:3], v[6:7]
	v_add_co_u32 v6, vcc_lo, v71, v61
	v_add_co_ci_u32_e64 v7, null, v72, v62, vcc_lo
	s_and_b32 vcc_lo, exec_lo, s6
	global_store_dwordx2 v[6:7], v[2:3], off
	s_cbranch_vccnz .LBB192_169
; %bb.168:
	v_add_co_u32 v0, vcc_lo, v12, v63
	v_add_co_ci_u32_e64 v1, null, v73, v64, vcc_lo
	global_load_dwordx2 v[0:1], v[0:1], off
	s_waitcnt vmcnt(0)
	v_mul_f64 v[0:1], s[14:15], v[0:1]
.LBB192_169:
	s_waitcnt vmcnt(0)
	v_add_f64 v[0:1], v[4:5], v[0:1]
	v_add_co_u32 v2, vcc_lo, v71, v63
	v_add_co_ci_u32_e64 v3, null, v72, v64, vcc_lo
	global_store_dwordx2 v[2:3], v[0:1], off
	s_endpgm
	.section	.rodata,"a",@progbits
	.p2align	6, 0x0
	.amdhsa_kernel _ZN12_GLOBAL__N_120geam_min_plus_kernelIdddLi4ELi64ELi128ELi128ELi4ELi64ELi4ELi64ELi4ELc78ELc84ELb0ELb0ELb0EPKdS1_dEEviiiT16_PT17_ilS5_ilS3_S5_ilPT18_ili26rocblas_geam_ex_operation_
		.amdhsa_group_segment_fixed_size 16384
		.amdhsa_private_segment_fixed_size 528
		.amdhsa_kernarg_size 136
		.amdhsa_user_sgpr_count 6
		.amdhsa_user_sgpr_private_segment_buffer 1
		.amdhsa_user_sgpr_dispatch_ptr 0
		.amdhsa_user_sgpr_queue_ptr 0
		.amdhsa_user_sgpr_kernarg_segment_ptr 1
		.amdhsa_user_sgpr_dispatch_id 0
		.amdhsa_user_sgpr_flat_scratch_init 0
		.amdhsa_user_sgpr_private_segment_size 0
		.amdhsa_wavefront_size32 1
		.amdhsa_uses_dynamic_stack 0
		.amdhsa_system_sgpr_private_segment_wavefront_offset 1
		.amdhsa_system_sgpr_workgroup_id_x 1
		.amdhsa_system_sgpr_workgroup_id_y 0
		.amdhsa_system_sgpr_workgroup_id_z 1
		.amdhsa_system_sgpr_workgroup_info 0
		.amdhsa_system_vgpr_workitem_id 1
		.amdhsa_next_free_vgpr 223
		.amdhsa_next_free_sgpr 31
		.amdhsa_reserve_vcc 1
		.amdhsa_reserve_flat_scratch 0
		.amdhsa_float_round_mode_32 0
		.amdhsa_float_round_mode_16_64 0
		.amdhsa_float_denorm_mode_32 3
		.amdhsa_float_denorm_mode_16_64 3
		.amdhsa_dx10_clamp 1
		.amdhsa_ieee_mode 1
		.amdhsa_fp16_overflow 0
		.amdhsa_workgroup_processor_mode 1
		.amdhsa_memory_ordered 1
		.amdhsa_forward_progress 1
		.amdhsa_shared_vgpr_count 0
		.amdhsa_exception_fp_ieee_invalid_op 0
		.amdhsa_exception_fp_denorm_src 0
		.amdhsa_exception_fp_ieee_div_zero 0
		.amdhsa_exception_fp_ieee_overflow 0
		.amdhsa_exception_fp_ieee_underflow 0
		.amdhsa_exception_fp_ieee_inexact 0
		.amdhsa_exception_int_div_zero 0
	.end_amdhsa_kernel
	.section	.text._ZN12_GLOBAL__N_120geam_min_plus_kernelIdddLi4ELi64ELi128ELi128ELi4ELi64ELi4ELi64ELi4ELc78ELc84ELb0ELb0ELb0EPKdS1_dEEviiiT16_PT17_ilS5_ilS3_S5_ilPT18_ili26rocblas_geam_ex_operation_,"axG",@progbits,_ZN12_GLOBAL__N_120geam_min_plus_kernelIdddLi4ELi64ELi128ELi128ELi4ELi64ELi4ELi64ELi4ELc78ELc84ELb0ELb0ELb0EPKdS1_dEEviiiT16_PT17_ilS5_ilS3_S5_ilPT18_ili26rocblas_geam_ex_operation_,comdat
.Lfunc_end192:
	.size	_ZN12_GLOBAL__N_120geam_min_plus_kernelIdddLi4ELi64ELi128ELi128ELi4ELi64ELi4ELi64ELi4ELc78ELc84ELb0ELb0ELb0EPKdS1_dEEviiiT16_PT17_ilS5_ilS3_S5_ilPT18_ili26rocblas_geam_ex_operation_, .Lfunc_end192-_ZN12_GLOBAL__N_120geam_min_plus_kernelIdddLi4ELi64ELi128ELi128ELi4ELi64ELi4ELi64ELi4ELc78ELc84ELb0ELb0ELb0EPKdS1_dEEviiiT16_PT17_ilS5_ilS3_S5_ilPT18_ili26rocblas_geam_ex_operation_
                                        ; -- End function
	.set _ZN12_GLOBAL__N_120geam_min_plus_kernelIdddLi4ELi64ELi128ELi128ELi4ELi64ELi4ELi64ELi4ELc78ELc84ELb0ELb0ELb0EPKdS1_dEEviiiT16_PT17_ilS5_ilS3_S5_ilPT18_ili26rocblas_geam_ex_operation_.num_vgpr, 223
	.set _ZN12_GLOBAL__N_120geam_min_plus_kernelIdddLi4ELi64ELi128ELi128ELi4ELi64ELi4ELi64ELi4ELc78ELc84ELb0ELb0ELb0EPKdS1_dEEviiiT16_PT17_ilS5_ilS3_S5_ilPT18_ili26rocblas_geam_ex_operation_.num_agpr, 0
	.set _ZN12_GLOBAL__N_120geam_min_plus_kernelIdddLi4ELi64ELi128ELi128ELi4ELi64ELi4ELi64ELi4ELc78ELc84ELb0ELb0ELb0EPKdS1_dEEviiiT16_PT17_ilS5_ilS3_S5_ilPT18_ili26rocblas_geam_ex_operation_.numbered_sgpr, 31
	.set _ZN12_GLOBAL__N_120geam_min_plus_kernelIdddLi4ELi64ELi128ELi128ELi4ELi64ELi4ELi64ELi4ELc78ELc84ELb0ELb0ELb0EPKdS1_dEEviiiT16_PT17_ilS5_ilS3_S5_ilPT18_ili26rocblas_geam_ex_operation_.num_named_barrier, 0
	.set _ZN12_GLOBAL__N_120geam_min_plus_kernelIdddLi4ELi64ELi128ELi128ELi4ELi64ELi4ELi64ELi4ELc78ELc84ELb0ELb0ELb0EPKdS1_dEEviiiT16_PT17_ilS5_ilS3_S5_ilPT18_ili26rocblas_geam_ex_operation_.private_seg_size, 528
	.set _ZN12_GLOBAL__N_120geam_min_plus_kernelIdddLi4ELi64ELi128ELi128ELi4ELi64ELi4ELi64ELi4ELc78ELc84ELb0ELb0ELb0EPKdS1_dEEviiiT16_PT17_ilS5_ilS3_S5_ilPT18_ili26rocblas_geam_ex_operation_.uses_vcc, 1
	.set _ZN12_GLOBAL__N_120geam_min_plus_kernelIdddLi4ELi64ELi128ELi128ELi4ELi64ELi4ELi64ELi4ELc78ELc84ELb0ELb0ELb0EPKdS1_dEEviiiT16_PT17_ilS5_ilS3_S5_ilPT18_ili26rocblas_geam_ex_operation_.uses_flat_scratch, 0
	.set _ZN12_GLOBAL__N_120geam_min_plus_kernelIdddLi4ELi64ELi128ELi128ELi4ELi64ELi4ELi64ELi4ELc78ELc84ELb0ELb0ELb0EPKdS1_dEEviiiT16_PT17_ilS5_ilS3_S5_ilPT18_ili26rocblas_geam_ex_operation_.has_dyn_sized_stack, 0
	.set _ZN12_GLOBAL__N_120geam_min_plus_kernelIdddLi4ELi64ELi128ELi128ELi4ELi64ELi4ELi64ELi4ELc78ELc84ELb0ELb0ELb0EPKdS1_dEEviiiT16_PT17_ilS5_ilS3_S5_ilPT18_ili26rocblas_geam_ex_operation_.has_recursion, 0
	.set _ZN12_GLOBAL__N_120geam_min_plus_kernelIdddLi4ELi64ELi128ELi128ELi4ELi64ELi4ELi64ELi4ELc78ELc84ELb0ELb0ELb0EPKdS1_dEEviiiT16_PT17_ilS5_ilS3_S5_ilPT18_ili26rocblas_geam_ex_operation_.has_indirect_call, 0
	.section	.AMDGPU.csdata,"",@progbits
; Kernel info:
; codeLenInByte = 19208
; TotalNumSgprs: 33
; NumVgprs: 223
; ScratchSize: 528
; MemoryBound: 1
; FloatMode: 240
; IeeeMode: 1
; LDSByteSize: 16384 bytes/workgroup (compile time only)
; SGPRBlocks: 0
; VGPRBlocks: 27
; NumSGPRsForWavesPerEU: 33
; NumVGPRsForWavesPerEU: 223
; Occupancy: 4
; WaveLimiterHint : 1
; COMPUTE_PGM_RSRC2:SCRATCH_EN: 1
; COMPUTE_PGM_RSRC2:USER_SGPR: 6
; COMPUTE_PGM_RSRC2:TRAP_HANDLER: 0
; COMPUTE_PGM_RSRC2:TGID_X_EN: 1
; COMPUTE_PGM_RSRC2:TGID_Y_EN: 0
; COMPUTE_PGM_RSRC2:TGID_Z_EN: 1
; COMPUTE_PGM_RSRC2:TIDIG_COMP_CNT: 1
	.section	.text._ZN12_GLOBAL__N_120geam_min_plus_kernelIdddLi4ELi64ELi128ELi128ELi4ELi64ELi4ELi64ELi4ELc78ELc84ELb1ELb0ELb0EdKddEEviiiT16_PT17_ilS4_ilS2_S4_ilPT18_ili26rocblas_geam_ex_operation_,"axG",@progbits,_ZN12_GLOBAL__N_120geam_min_plus_kernelIdddLi4ELi64ELi128ELi128ELi4ELi64ELi4ELi64ELi4ELc78ELc84ELb1ELb0ELb0EdKddEEviiiT16_PT17_ilS4_ilS2_S4_ilPT18_ili26rocblas_geam_ex_operation_,comdat
	.globl	_ZN12_GLOBAL__N_120geam_min_plus_kernelIdddLi4ELi64ELi128ELi128ELi4ELi64ELi4ELi64ELi4ELc78ELc84ELb1ELb0ELb0EdKddEEviiiT16_PT17_ilS4_ilS2_S4_ilPT18_ili26rocblas_geam_ex_operation_ ; -- Begin function _ZN12_GLOBAL__N_120geam_min_plus_kernelIdddLi4ELi64ELi128ELi128ELi4ELi64ELi4ELi64ELi4ELc78ELc84ELb1ELb0ELb0EdKddEEviiiT16_PT17_ilS4_ilS2_S4_ilPT18_ili26rocblas_geam_ex_operation_
	.p2align	8
	.type	_ZN12_GLOBAL__N_120geam_min_plus_kernelIdddLi4ELi64ELi128ELi128ELi4ELi64ELi4ELi64ELi4ELc78ELc84ELb1ELb0ELb0EdKddEEviiiT16_PT17_ilS4_ilS2_S4_ilPT18_ili26rocblas_geam_ex_operation_,@function
_ZN12_GLOBAL__N_120geam_min_plus_kernelIdddLi4ELi64ELi128ELi128ELi4ELi64ELi4ELi64ELi4ELc78ELc84ELb1ELb0ELb0EdKddEEviiiT16_PT17_ilS4_ilS2_S4_ilPT18_ili26rocblas_geam_ex_operation_: ; @_ZN12_GLOBAL__N_120geam_min_plus_kernelIdddLi4ELi64ELi128ELi128ELi4ELi64ELi4ELi64ELi4ELc78ELc84ELb1ELb0ELb0EdKddEEviiiT16_PT17_ilS4_ilS2_S4_ilPT18_ili26rocblas_geam_ex_operation_
; %bb.0:
	s_add_u32 s0, s0, s8
	s_clause 0x1
	s_load_dwordx4 s[8:11], s[4:5], 0x10
	s_load_dwordx4 s[12:15], s[4:5], 0x28
	s_addc_u32 s1, s1, 0
	s_mov_b64 s[18:19], 0
	s_waitcnt lgkmcnt(0)
	v_cmp_eq_f64_e64 s16, s[8:9], 0
	s_and_b32 vcc_lo, exec_lo, s16
	s_cbranch_vccnz .LBB193_2
; %bb.1:
	s_mul_i32 s8, s13, s7
	s_mul_hi_u32 s9, s12, s7
	s_add_i32 s9, s9, s8
	s_mul_i32 s8, s12, s7
	s_lshl_b64 s[8:9], s[8:9], 3
	s_add_u32 s18, s10, s8
	s_addc_u32 s19, s11, s9
.LBB193_2:
	s_clause 0x1
	s_load_dwordx4 s[8:11], s[4:5], 0x40
	s_load_dwordx2 s[22:23], s[4:5], 0x50
	s_andn2_b32 vcc_lo, exec_lo, s16
	s_mov_b32 s12, -1
	s_cbranch_vccz .LBB193_154
; %bb.3:
	s_mov_b64 s[16:17], 0
	s_andn2_b32 vcc_lo, exec_lo, s12
	s_mov_b64 s[20:21], 0
	s_cbranch_vccz .LBB193_155
.LBB193_4:
	s_waitcnt lgkmcnt(0)
	v_cmp_eq_f64_e64 s8, s[10:11], 0
	s_load_dwordx4 s[12:15], s[4:5], 0x60
	s_and_b32 vcc_lo, exec_lo, s8
	s_cbranch_vccnz .LBB193_6
.LBB193_5:
	s_waitcnt lgkmcnt(0)
	s_mul_i32 s8, s13, s7
	s_mul_hi_u32 s9, s12, s7
	s_add_i32 s9, s9, s8
	s_mul_i32 s8, s12, s7
	s_lshl_b64 s[8:9], s[8:9], 3
	s_add_u32 s16, s22, s8
	s_addc_u32 s17, s23, s9
.LBB193_6:
	s_load_dword s8, s[4:5], 0x0
	s_waitcnt lgkmcnt(0)
	s_clause 0x1
	s_load_dword s13, s[4:5], 0x20
	s_load_dword s22, s[4:5], 0x38
	v_lshl_add_u32 v3, v1, 2, v0
	v_lshlrev_b32_e32 v84, 5, v0
	v_lshl_or_b32 v85, v1, 5, 0x2000
	v_lshrrev_b32_e32 v82, 6, v3
	v_and_b32_e32 v88, 63, v3
	v_add_nc_u32_e32 v83, 4, v82
	s_add_i32 s8, s8, -1
	s_waitcnt lgkmcnt(0)
	s_ashr_i32 s23, s13, 31
	s_ashr_i32 s9, s8, 31
	;; [unrolled: 1-line block ×3, first 2 shown]
	s_lshr_b32 s9, s9, 25
	v_mad_i64_i32 v[4:5], null, s22, v82, 0
	s_add_i32 s8, s8, s9
	v_mad_i64_i32 v[6:7], null, s13, v83, 0
	s_ashr_i32 s12, s8, 7
	s_mov_b32 s8, 0
	s_add_i32 s9, s12, 1
	s_not_b32 s12, s12
	v_cvt_f32_u32_e32 v2, s9
	s_addk_i32 s8, 0x100
	v_mad_i64_i32 v[8:9], null, s22, v83, 0
	v_lshlrev_b64 v[4:5], 3, v[4:5]
	v_rcp_iflag_f32_e32 v2, v2
	v_lshlrev_b64 v[6:7], 3, v[6:7]
	v_lshlrev_b64 v[8:9], 3, v[8:9]
	v_mul_f32_e32 v2, 0x4f7ffffe, v2
	v_cvt_u32_f32_e32 v2, v2
	v_readfirstlane_b32 s25, v2
	v_mad_i64_i32 v[2:3], null, s13, v82, 0
	s_mul_i32 s12, s12, s25
	s_mul_hi_u32 s12, s25, s12
	s_add_i32 s25, s25, s12
	v_lshlrev_b64 v[2:3], 3, v[2:3]
	s_mul_hi_u32 s12, s6, s25
	s_mul_i32 s25, s12, s9
	s_add_i32 s26, s12, 1
	s_sub_i32 s25, s6, s25
	v_add_co_u32 v10, vcc_lo, s18, v2
	s_sub_i32 s27, s25, s9
	s_cmp_ge_u32 s25, s9
	v_add_co_ci_u32_e64 v11, null, s19, v3, vcc_lo
	s_cselect_b32 s12, s26, s12
	s_cselect_b32 s25, s27, s25
	s_add_i32 s26, s12, 1
	s_cmp_ge_u32 s25, s9
	v_add_co_u32 v12, vcc_lo, s20, v4
	s_cselect_b32 s12, s26, s12
	v_add_co_ci_u32_e64 v13, null, s21, v5, vcc_lo
	s_mul_i32 s25, s12, s9
	s_lshl_b32 s9, s12, 7
	s_sub_i32 s6, s6, s25
	v_or_b32_e32 v2, s9, v88
	s_lshl_b32 s6, s6, 7
	v_add_co_u32 v14, vcc_lo, s18, v6
	v_or_b32_e32 v4, s6, v88
	v_ashrrev_i32_e32 v3, 31, v2
	v_add_co_ci_u32_e64 v15, null, s19, v7, vcc_lo
	v_add_co_u32 v16, vcc_lo, s20, v8
	v_ashrrev_i32_e32 v5, 31, v4
	v_lshlrev_b64 v[6:7], 3, v[2:3]
	v_add_co_ci_u32_e64 v17, null, s21, v9, vcc_lo
	v_cmp_neq_f64_e64 s12, s[10:11], 0
	v_lshlrev_b64 v[8:9], 3, v[4:5]
	s_mov_b32 s25, 0
	v_add_co_u32 v2, vcc_lo, v12, v6
	v_add_co_ci_u32_e64 v3, null, v13, v7, vcc_lo
	v_add_co_u32 v4, vcc_lo, v16, v6
	v_add_co_ci_u32_e64 v5, null, v17, v7, vcc_lo
	;; [unrolled: 2-line block ×4, first 2 shown]
	s_clause 0x1
	global_load_dwordx2 v[18:19], v[2:3], off
	global_load_dwordx2 v[2:3], v[2:3], off offset:512
	s_clause 0x1
	global_load_dwordx2 v[20:21], v[10:11], off
	global_load_dwordx2 v[22:23], v[10:11], off offset:512
	;; [unrolled: 3-line block ×4, first 2 shown]
	v_lshlrev_b32_e32 v5, 5, v88
	v_mov_b32_e32 v4, 0
	buffer_store_dword v4, off, s[0:3], 0 offset:4
	buffer_store_dword v4, off, s[0:3], 0
	buffer_store_dword v4, off, s[0:3], 0 offset:12
	buffer_store_dword v4, off, s[0:3], 0 offset:8
	;; [unrolled: 1-line block ×118, first 2 shown]
	v_lshl_add_u32 v86, v82, 3, v5
	buffer_store_dword v4, off, s[0:3], 0 offset:484
	buffer_store_dword v4, off, s[0:3], 0 offset:480
	;; [unrolled: 1-line block ×8, first 2 shown]
	s_waitcnt vmcnt(6)
	ds_write2st64_b64 v86, v[18:19], v[2:3] offset0:16 offset1:20
	s_waitcnt vmcnt(4)
	ds_write2st64_b64 v86, v[20:21], v[22:23] offset1:4
	v_or_b32_e32 v87, 0x2000, v86
	s_waitcnt vmcnt(0) lgkmcnt(0)
	s_waitcnt_vscnt null, 0x0
	s_barrier
	buffer_gl0_inv
.LBB193_7:                              ; =>This Loop Header: Depth=1
                                        ;     Child Loop BB193_8 Depth 2
	s_lshl_b32 s26, s25, 3
	s_mov_b32 s27, 0
	v_add_nc_u32_e32 v18, s26, v84
	v_add_nc_u32_e32 v89, s26, v85
	s_mov_b32 s26, -1
	ds_read2_b64 v[2:5], v18 offset1:16
	ds_read2_b64 v[22:25], v18 offset0:32 offset1:48
	ds_read2_b64 v[26:29], v18 offset0:64 offset1:80
	;; [unrolled: 1-line block ×4, first 2 shown]
	v_add_nc_u32_e32 v78, 0x800, v18
	ds_read2_b64 v[38:41], v18 offset0:160 offset1:176
	ds_read2_b64 v[42:45], v18 offset0:192 offset1:208
	;; [unrolled: 1-line block ×3, first 2 shown]
	ds_read2_b64 v[50:53], v78 offset1:16
	ds_read2_b64 v[54:57], v78 offset0:32 offset1:48
	ds_read2_b64 v[58:61], v78 offset0:64 offset1:80
	;; [unrolled: 1-line block ×6, first 2 shown]
	s_waitcnt lgkmcnt(9)
	v_max_f64 v[38:39], v[38:39], v[38:39]
	v_max_f64 v[40:41], v[40:41], v[40:41]
	v_max_f64 v[18:19], v[2:3], v[2:3]
	v_max_f64 v[20:21], v[4:5], v[4:5]
	ds_read2_b64 v[2:5], v78 offset0:224 offset1:240
	v_max_f64 v[22:23], v[22:23], v[22:23]
	v_max_f64 v[24:25], v[24:25], v[24:25]
	;; [unrolled: 1-line block ×8, first 2 shown]
	s_waitcnt lgkmcnt(9)
	v_max_f64 v[42:43], v[42:43], v[42:43]
	v_max_f64 v[44:45], v[44:45], v[44:45]
	s_waitcnt lgkmcnt(8)
	v_max_f64 v[46:47], v[46:47], v[46:47]
	v_max_f64 v[48:49], v[48:49], v[48:49]
	;; [unrolled: 3-line block ×10, first 2 shown]
	ds_read2st64_b64 v[2:5], v89 offset1:4
.LBB193_8:                              ;   Parent Loop BB193_7 Depth=1
                                        ; =>  This Inner Loop Header: Depth=2
	v_mov_b32_e32 v217, s27
	s_waitcnt lgkmcnt(0)
	v_max_f64 v[153:154], v[2:3], v[2:3]
	v_mov_b32_e32 v2, v4
	v_mov_b32_e32 v3, v5
	s_and_b32 vcc_lo, exec_lo, s26
	s_clause 0x3e
	buffer_load_dword v89, v217, s[0:3], 0 offen
	buffer_load_dword v90, v217, s[0:3], 0 offen offset:4
	buffer_load_dword v91, v217, s[0:3], 0 offen offset:8
	;; [unrolled: 1-line block ×63, first 2 shown]
	s_mov_b32 s26, 0
	s_mov_b32 s27, s8
	v_min_f64 v[155:156], v[18:19], v[153:154]
	v_min_f64 v[157:158], v[20:21], v[153:154]
	;; [unrolled: 1-line block ×32, first 2 shown]
	s_waitcnt vmcnt(62)
	v_add_f64 v[89:90], v[155:156], v[89:90]
	s_waitcnt vmcnt(60)
	v_add_f64 v[91:92], v[157:158], v[91:92]
	;; [unrolled: 2-line block ×32, first 2 shown]
	buffer_store_dword v89, v217, s[0:3], 0 offen
	buffer_store_dword v90, v217, s[0:3], 0 offen offset:4
	buffer_store_dword v91, v217, s[0:3], 0 offen offset:8
	;; [unrolled: 1-line block ×63, first 2 shown]
	s_cbranch_vccnz .LBB193_8
; %bb.9:                                ;   in Loop: Header=BB193_7 Depth=1
	s_add_i32 s25, s25, 1
	s_cmp_eq_u32 s25, 4
	s_cbranch_scc0 .LBB193_7
; %bb.10:
	s_load_dword s25, s[4:5], 0x8
	v_lshlrev_b32_e32 v2, 3, v82
	v_lshl_add_u32 v78, v0, 5, 0x1000
	v_lshl_add_u32 v79, v1, 5, 0x3000
	;; [unrolled: 1-line block ×3, first 2 shown]
	ds_write2st64_b64 v2, v[14:15], v[16:17] offset0:8 offset1:12
	ds_write2st64_b64 v2, v[10:11], v[12:13] offset0:24 offset1:28
	s_waitcnt lgkmcnt(0)
	s_waitcnt_vscnt null, 0x0
	s_barrier
	buffer_gl0_inv
	s_cmp_lt_i32 s25, 9
	s_cbranch_scc1 .LBB193_21
; %bb.11:
	v_add_co_u32 v88, vcc_lo, s18, v8
	v_add_co_ci_u32_e64 v89, null, s19, v9, vcc_lo
	v_add_co_u32 v90, vcc_lo, s20, v6
	v_or_b32_e32 v80, 0x1000, v2
	v_or_b32_e32 v81, 0x3000, v2
	v_add_co_ci_u32_e64 v91, null, s21, v7, vcc_lo
	s_add_i32 s18, s25, -8
	s_mov_b32 s19, 8
	s_mov_b32 s20, 0
.LBB193_12:                             ; =>This Loop Header: Depth=1
                                        ;     Child Loop BB193_13 Depth 2
                                        ;       Child Loop BB193_14 Depth 3
                                        ;     Child Loop BB193_17 Depth 2
                                        ;       Child Loop BB193_18 Depth 3
	v_add_nc_u32_e32 v8, s19, v82
	s_mov_b32 s21, 0
	v_mad_u64_u32 v[2:3], null, v8, s13, 0
	v_mad_u64_u32 v[4:5], null, v8, s22, 0
	;; [unrolled: 1-line block ×4, first 2 shown]
	v_mov_b32_e32 v3, v6
	v_lshlrev_b64 v[2:3], 3, v[2:3]
	v_mov_b32_e32 v5, v7
	v_add_co_u32 v2, vcc_lo, v88, v2
	v_lshlrev_b64 v[4:5], 3, v[4:5]
	v_add_co_ci_u32_e64 v3, null, v89, v3, vcc_lo
	v_add_co_u32 v4, vcc_lo, v90, v4
	v_add_co_ci_u32_e64 v5, null, v91, v5, vcc_lo
	s_clause 0x1
	global_load_dwordx2 v[6:7], v[2:3], off
	global_load_dwordx2 v[8:9], v[2:3], off offset:512
	s_clause 0x1
	global_load_dwordx2 v[10:11], v[4:5], off
	global_load_dwordx2 v[12:13], v[4:5], off offset:512
.LBB193_13:                             ;   Parent Loop BB193_12 Depth=1
                                        ; =>  This Loop Header: Depth=2
                                        ;       Child Loop BB193_14 Depth 3
	s_lshl_b32 s25, s21, 3
	s_mov_b32 s26, 0
	v_add_nc_u32_e32 v14, s25, v78
	v_add_nc_u32_e32 v92, s25, v79
	s_mov_b32 s25, -1
	ds_read2_b64 v[2:5], v14 offset1:16
	ds_read2_b64 v[18:21], v14 offset0:32 offset1:48
	ds_read2_b64 v[22:25], v14 offset0:64 offset1:80
	v_add_nc_u32_e32 v15, 0x800, v14
	ds_read2_b64 v[26:29], v14 offset0:96 offset1:112
	ds_read2_b64 v[30:33], v14 offset0:128 offset1:144
	;; [unrolled: 1-line block ×5, first 2 shown]
	ds_read2_b64 v[46:49], v15 offset1:16
	ds_read2_b64 v[50:53], v15 offset0:32 offset1:48
	ds_read2_b64 v[54:57], v15 offset0:64 offset1:80
	ds_read2_b64 v[58:61], v15 offset0:96 offset1:112
	ds_read2_b64 v[62:65], v15 offset0:128 offset1:144
	ds_read2_b64 v[66:69], v15 offset0:160 offset1:176
	ds_read2_b64 v[70:73], v15 offset0:192 offset1:208
	ds_read2_b64 v[74:77], v15 offset0:224 offset1:240
	s_waitcnt lgkmcnt(11)
	v_max_f64 v[30:31], v[30:31], v[30:31]
	v_max_f64 v[32:33], v[32:33], v[32:33]
	s_waitcnt lgkmcnt(10)
	v_max_f64 v[34:35], v[34:35], v[34:35]
	v_max_f64 v[36:37], v[36:37], v[36:37]
	;; [unrolled: 3-line block ×3, first 2 shown]
	v_max_f64 v[14:15], v[2:3], v[2:3]
	v_max_f64 v[16:17], v[4:5], v[4:5]
	;; [unrolled: 1-line block ×8, first 2 shown]
	s_waitcnt lgkmcnt(8)
	v_max_f64 v[42:43], v[42:43], v[42:43]
	v_max_f64 v[44:45], v[44:45], v[44:45]
	s_waitcnt lgkmcnt(7)
	v_max_f64 v[46:47], v[46:47], v[46:47]
	v_max_f64 v[48:49], v[48:49], v[48:49]
	;; [unrolled: 3-line block ×9, first 2 shown]
	ds_read2st64_b64 v[2:5], v92 offset1:4
.LBB193_14:                             ;   Parent Loop BB193_12 Depth=1
                                        ;     Parent Loop BB193_13 Depth=2
                                        ; =>    This Inner Loop Header: Depth=3
	v_mov_b32_e32 v220, s26
	s_waitcnt lgkmcnt(0)
	v_max_f64 v[156:157], v[2:3], v[2:3]
	v_mov_b32_e32 v2, v4
	v_mov_b32_e32 v3, v5
	s_and_b32 vcc_lo, exec_lo, s25
	s_clause 0x3e
	buffer_load_dword v92, v220, s[0:3], 0 offen
	buffer_load_dword v93, v220, s[0:3], 0 offen offset:4
	buffer_load_dword v94, v220, s[0:3], 0 offen offset:8
	;; [unrolled: 1-line block ×63, first 2 shown]
	s_mov_b32 s25, 0
	s_mov_b32 s26, s8
	v_min_f64 v[158:159], v[14:15], v[156:157]
	v_min_f64 v[160:161], v[16:17], v[156:157]
	;; [unrolled: 1-line block ×32, first 2 shown]
	s_waitcnt vmcnt(62)
	v_add_f64 v[92:93], v[158:159], v[92:93]
	s_waitcnt vmcnt(60)
	v_add_f64 v[94:95], v[160:161], v[94:95]
	;; [unrolled: 2-line block ×32, first 2 shown]
	buffer_store_dword v92, v220, s[0:3], 0 offen
	buffer_store_dword v93, v220, s[0:3], 0 offen offset:4
	buffer_store_dword v94, v220, s[0:3], 0 offen offset:8
	;; [unrolled: 1-line block ×63, first 2 shown]
	s_cbranch_vccnz .LBB193_14
; %bb.15:                               ;   in Loop: Header=BB193_13 Depth=2
	s_add_i32 s21, s21, 1
	s_cmp_eq_u32 s21, 4
	s_cbranch_scc0 .LBB193_13
; %bb.16:                               ;   in Loop: Header=BB193_12 Depth=1
	v_add_nc_u32_e32 v16, s19, v83
	ds_write2st64_b64 v86, v[6:7], v[8:9] offset1:4
	ds_write2st64_b64 v87, v[10:11], v[12:13] offset1:4
	s_waitcnt lgkmcnt(0)
	s_waitcnt_vscnt null, 0x0
	s_barrier
	buffer_gl0_inv
	v_mad_u64_u32 v[2:3], null, v16, s13, 0
	v_mad_u64_u32 v[4:5], null, v16, s22, 0
	s_mov_b32 s21, 0
	v_mad_u64_u32 v[14:15], null, v16, s23, v[3:4]
	v_mad_u64_u32 v[15:16], null, v16, s24, v[5:6]
	v_mov_b32_e32 v3, v14
	v_mov_b32_e32 v5, v15
	v_lshlrev_b64 v[2:3], 3, v[2:3]
	v_lshlrev_b64 v[4:5], 3, v[4:5]
	v_add_co_u32 v2, vcc_lo, v88, v2
	v_add_co_ci_u32_e64 v3, null, v89, v3, vcc_lo
	v_add_co_u32 v4, vcc_lo, v90, v4
	v_add_co_ci_u32_e64 v5, null, v91, v5, vcc_lo
	s_clause 0x1
	global_load_dwordx2 v[70:71], v[2:3], off
	global_load_dwordx2 v[72:73], v[2:3], off offset:512
	s_clause 0x1
	global_load_dwordx2 v[74:75], v[4:5], off
	global_load_dwordx2 v[76:77], v[4:5], off offset:512
.LBB193_17:                             ;   Parent Loop BB193_12 Depth=1
                                        ; =>  This Loop Header: Depth=2
                                        ;       Child Loop BB193_18 Depth 3
	s_lshl_b32 s25, s21, 3
	s_mov_b32 s26, 0
	v_add_nc_u32_e32 v30, s25, v84
	v_add_nc_u32_e32 v66, s25, v85
	s_mov_b32 s25, -1
	ds_read2_b64 v[2:5], v30 offset1:16
	ds_read2_b64 v[6:9], v30 offset0:32 offset1:48
	ds_read2_b64 v[10:13], v30 offset0:64 offset1:80
	ds_read2_b64 v[14:17], v30 offset0:96 offset1:112
	v_add_nc_u32_e32 v62, 0x800, v30
	ds_read2_b64 v[18:21], v30 offset0:128 offset1:144
	ds_read2_b64 v[22:25], v30 offset0:160 offset1:176
	;; [unrolled: 1-line block ×4, first 2 shown]
	ds_read2_b64 v[34:37], v62 offset1:16
	ds_read2_b64 v[38:41], v62 offset0:32 offset1:48
	ds_read2_b64 v[42:45], v62 offset0:64 offset1:80
	;; [unrolled: 1-line block ×7, first 2 shown]
	ds_read2st64_b64 v[66:69], v66 offset1:4
.LBB193_18:                             ;   Parent Loop BB193_12 Depth=1
                                        ;     Parent Loop BB193_17 Depth=2
                                        ; =>    This Inner Loop Header: Depth=3
	v_mov_b32_e32 v92, s26
	s_waitcnt lgkmcnt(16)
	v_max_f64 v[157:158], v[2:3], v[2:3]
	s_waitcnt lgkmcnt(0)
	v_max_f64 v[159:160], v[66:67], v[66:67]
	v_max_f64 v[161:162], v[4:5], v[4:5]
	;; [unrolled: 1-line block ×3, first 2 shown]
	s_clause 0x3e
	buffer_load_dword v93, v92, s[0:3], 0 offen
	buffer_load_dword v94, v92, s[0:3], 0 offen offset:4
	buffer_load_dword v95, v92, s[0:3], 0 offen offset:8
	;; [unrolled: 1-line block ×63, first 2 shown]
	v_max_f64 v[165:166], v[8:9], v[8:9]
	v_max_f64 v[167:168], v[10:11], v[10:11]
	;; [unrolled: 1-line block ×29, first 2 shown]
	v_min_f64 v[157:158], v[157:158], v[159:160]
	v_min_f64 v[161:162], v[161:162], v[159:160]
	;; [unrolled: 1-line block ×32, first 2 shown]
	v_mov_b32_e32 v66, v68
	v_mov_b32_e32 v67, v69
	s_and_b32 vcc_lo, exec_lo, s25
	s_mov_b32 s25, 0
	s_mov_b32 s26, s8
	s_waitcnt vmcnt(62)
	v_add_f64 v[93:94], v[157:158], v[93:94]
	s_waitcnt vmcnt(60)
	v_add_f64 v[95:96], v[161:162], v[95:96]
	;; [unrolled: 2-line block ×32, first 2 shown]
	buffer_store_dword v93, v92, s[0:3], 0 offen
	buffer_store_dword v94, v92, s[0:3], 0 offen offset:4
	buffer_store_dword v95, v92, s[0:3], 0 offen offset:8
	;; [unrolled: 1-line block ×63, first 2 shown]
	s_cbranch_vccnz .LBB193_18
; %bb.19:                               ;   in Loop: Header=BB193_17 Depth=2
	s_add_i32 s21, s21, 1
	s_cmp_eq_u32 s21, 4
	s_cbranch_scc0 .LBB193_17
; %bb.20:                               ;   in Loop: Header=BB193_12 Depth=1
	s_add_i32 s20, s20, 8
	s_add_i32 s19, s19, 8
	s_cmp_ge_i32 s20, s18
	ds_write2st64_b64 v80, v[70:71], v[72:73] offset1:4
	ds_write2st64_b64 v81, v[74:75], v[76:77] offset1:4
	s_waitcnt lgkmcnt(0)
	s_waitcnt_vscnt null, 0x0
	s_barrier
	buffer_gl0_inv
	s_cbranch_scc0 .LBB193_12
.LBB193_21:
	s_mov_b32 s13, 0
.LBB193_22:                             ; =>This Loop Header: Depth=1
                                        ;     Child Loop BB193_23 Depth 2
	s_lshl_b32 s18, s13, 3
	s_mov_b32 s19, 0
	v_add_nc_u32_e32 v6, s18, v78
	v_add_nc_u32_e32 v70, s18, v79
	s_mov_b32 s18, -1
	ds_read2_b64 v[2:5], v6 offset1:16
	ds_read2_b64 v[10:13], v6 offset0:32 offset1:48
	ds_read2_b64 v[14:17], v6 offset0:64 offset1:80
	v_add_nc_u32_e32 v7, 0x800, v6
	ds_read2_b64 v[18:21], v6 offset0:96 offset1:112
	ds_read2_b64 v[22:25], v6 offset0:128 offset1:144
	;; [unrolled: 1-line block ×5, first 2 shown]
	ds_read2_b64 v[38:41], v7 offset1:16
	ds_read2_b64 v[42:45], v7 offset0:32 offset1:48
	ds_read2_b64 v[46:49], v7 offset0:64 offset1:80
	;; [unrolled: 1-line block ×7, first 2 shown]
	s_waitcnt lgkmcnt(11)
	v_max_f64 v[22:23], v[22:23], v[22:23]
	v_max_f64 v[24:25], v[24:25], v[24:25]
	s_waitcnt lgkmcnt(10)
	v_max_f64 v[26:27], v[26:27], v[26:27]
	v_max_f64 v[28:29], v[28:29], v[28:29]
	s_waitcnt lgkmcnt(9)
	v_max_f64 v[30:31], v[30:31], v[30:31]
	v_max_f64 v[32:33], v[32:33], v[32:33]
	v_max_f64 v[6:7], v[2:3], v[2:3]
	v_max_f64 v[8:9], v[4:5], v[4:5]
	v_max_f64 v[10:11], v[10:11], v[10:11]
	v_max_f64 v[12:13], v[12:13], v[12:13]
	v_max_f64 v[14:15], v[14:15], v[14:15]
	v_max_f64 v[16:17], v[16:17], v[16:17]
	v_max_f64 v[18:19], v[18:19], v[18:19]
	v_max_f64 v[20:21], v[20:21], v[20:21]
	s_waitcnt lgkmcnt(8)
	v_max_f64 v[34:35], v[34:35], v[34:35]
	v_max_f64 v[36:37], v[36:37], v[36:37]
	s_waitcnt lgkmcnt(7)
	v_max_f64 v[38:39], v[38:39], v[38:39]
	v_max_f64 v[40:41], v[40:41], v[40:41]
	;; [unrolled: 3-line block ×9, first 2 shown]
	ds_read2st64_b64 v[2:5], v70 offset1:4
.LBB193_23:                             ;   Parent Loop BB193_22 Depth=1
                                        ; =>  This Inner Loop Header: Depth=2
	v_mov_b32_e32 v200, s19
	s_waitcnt lgkmcnt(0)
	v_max_f64 v[136:137], v[2:3], v[2:3]
	v_mov_b32_e32 v2, v4
	v_mov_b32_e32 v3, v5
	s_and_b32 vcc_lo, exec_lo, s18
	s_clause 0x3e
	buffer_load_dword v70, v200, s[0:3], 0 offen
	buffer_load_dword v71, v200, s[0:3], 0 offen offset:4
	buffer_load_dword v72, v200, s[0:3], 0 offen offset:8
	;; [unrolled: 1-line block ×63, first 2 shown]
	s_mov_b32 s18, 0
	s_mov_b32 s19, s8
	v_min_f64 v[138:139], v[6:7], v[136:137]
	v_min_f64 v[140:141], v[8:9], v[136:137]
	;; [unrolled: 1-line block ×32, first 2 shown]
	s_waitcnt vmcnt(62)
	v_add_f64 v[70:71], v[138:139], v[70:71]
	s_waitcnt vmcnt(60)
	v_add_f64 v[72:73], v[140:141], v[72:73]
	;; [unrolled: 2-line block ×32, first 2 shown]
	buffer_store_dword v70, v200, s[0:3], 0 offen
	buffer_store_dword v71, v200, s[0:3], 0 offen offset:4
	buffer_store_dword v72, v200, s[0:3], 0 offen offset:8
	;; [unrolled: 1-line block ×63, first 2 shown]
	s_cbranch_vccnz .LBB193_23
; %bb.24:                               ;   in Loop: Header=BB193_22 Depth=1
	s_add_i32 s13, s13, 1
	s_cmp_eq_u32 s13, 4
	s_cbranch_scc0 .LBB193_22
; %bb.25:
	s_clause 0x1
	buffer_load_dword v2, off, s[0:3], 0
	buffer_load_dword v3, off, s[0:3], 0 offset:4
	s_load_dword s8, s[4:5], 0x58
	v_add_nc_u32_e32 v71, s9, v1
	v_add_nc_u32_e32 v12, s6, v0
	v_cndmask_b32_e64 v0, 0, 1, s12
	v_mov_b32_e32 v8, 0
	v_mov_b32_e32 v9, 0
	v_ashrrev_i32_e32 v13, 31, v12
	v_cmp_ne_u32_e64 s6, 1, v0
	v_lshlrev_b64 v[0:1], 3, v[12:13]
	s_waitcnt lgkmcnt(0)
	v_mad_i64_i32 v[4:5], null, v71, s8, 0
	v_lshlrev_b64 v[6:7], 3, v[4:5]
	v_mov_b32_e32 v4, 0
	v_mov_b32_e32 v5, 0
	v_add_co_u32 v72, vcc_lo, s16, v6
	v_add_co_ci_u32_e64 v73, null, s17, v7, vcc_lo
	s_andn2_b32 vcc_lo, exec_lo, s12
	s_cbranch_vccnz .LBB193_27
; %bb.26:
	v_add_co_u32 v6, vcc_lo, v72, v0
	v_add_co_ci_u32_e64 v7, null, v73, v1, vcc_lo
	global_load_dwordx2 v[6:7], v[6:7], off
	s_waitcnt vmcnt(0)
	v_mul_f64 v[8:9], s[10:11], v[6:7]
.LBB193_27:
	s_clause 0x1
	buffer_load_dword v6, off, s[0:3], 0 offset:8
	buffer_load_dword v7, off, s[0:3], 0 offset:12
	s_clause 0x1
	s_load_dwordx2 s[12:13], s[4:5], 0x78
	s_load_dword s4, s[4:5], 0x70
	s_waitcnt vmcnt(2)
	v_add_f64 v[8:9], v[2:3], v[8:9]
	s_waitcnt lgkmcnt(0)
	s_mul_i32 s5, s13, s7
	v_mad_i64_i32 v[10:11], null, v71, s4, 0
	s_mul_hi_u32 s9, s12, s7
	s_mul_i32 s12, s12, s7
	s_add_i32 s13, s9, s5
	s_lshl_b64 s[12:13], s[12:13], 3
	v_lshlrev_b64 v[2:3], 3, v[10:11]
	v_add_nc_u32_e32 v10, 4, v12
	s_add_u32 s5, s14, s12
	s_addc_u32 s7, s15, s13
	v_ashrrev_i32_e32 v11, 31, v10
	v_add_co_u32 v74, vcc_lo, s5, v2
	v_add_co_ci_u32_e64 v75, null, s7, v3, vcc_lo
	v_lshlrev_b64 v[2:3], 3, v[10:11]
	v_add_co_u32 v13, vcc_lo, v74, v0
	v_add_co_ci_u32_e64 v14, null, v75, v1, vcc_lo
	s_and_b32 vcc_lo, exec_lo, s6
	global_store_dwordx2 v[13:14], v[8:9], off
	s_cbranch_vccnz .LBB193_29
; %bb.28:
	v_add_co_u32 v4, vcc_lo, v72, v2
	v_add_co_ci_u32_e64 v5, null, v73, v3, vcc_lo
	global_load_dwordx2 v[4:5], v[4:5], off
	s_waitcnt vmcnt(0)
	v_mul_f64 v[4:5], s[10:11], v[4:5]
.LBB193_29:
	s_clause 0x1
	buffer_load_dword v10, off, s[0:3], 0 offset:16
	buffer_load_dword v11, off, s[0:3], 0 offset:20
	s_waitcnt vmcnt(2)
	v_add_f64 v[13:14], v[6:7], v[4:5]
	v_add_nc_u32_e32 v4, 8, v12
	v_add_co_u32 v15, vcc_lo, v74, v2
	v_mov_b32_e32 v8, 0
	v_mov_b32_e32 v6, 0
	v_ashrrev_i32_e32 v5, 31, v4
	v_add_co_ci_u32_e64 v16, null, v75, v3, vcc_lo
	v_mov_b32_e32 v9, 0
	v_mov_b32_e32 v7, 0
	v_lshlrev_b64 v[4:5], 3, v[4:5]
	s_and_b32 vcc_lo, exec_lo, s6
	global_store_dwordx2 v[15:16], v[13:14], off
	s_cbranch_vccnz .LBB193_31
; %bb.30:
	v_add_co_u32 v6, vcc_lo, v72, v4
	v_add_co_ci_u32_e64 v7, null, v73, v5, vcc_lo
	global_load_dwordx2 v[6:7], v[6:7], off
	s_waitcnt vmcnt(0)
	v_mul_f64 v[6:7], s[10:11], v[6:7]
.LBB193_31:
	s_clause 0x1
	buffer_load_dword v13, off, s[0:3], 0 offset:24
	buffer_load_dword v14, off, s[0:3], 0 offset:28
	s_waitcnt vmcnt(2)
	v_add_f64 v[10:11], v[10:11], v[6:7]
	v_add_nc_u32_e32 v6, 12, v12
	v_add_co_u32 v15, vcc_lo, v74, v4
	v_add_co_ci_u32_e64 v16, null, v75, v5, vcc_lo
	v_ashrrev_i32_e32 v7, 31, v6
	s_and_b32 vcc_lo, exec_lo, s6
	v_lshlrev_b64 v[6:7], 3, v[6:7]
	global_store_dwordx2 v[15:16], v[10:11], off
	s_cbranch_vccnz .LBB193_33
; %bb.32:
	v_add_co_u32 v8, vcc_lo, v72, v6
	v_add_co_ci_u32_e64 v9, null, v73, v7, vcc_lo
	global_load_dwordx2 v[8:9], v[8:9], off
	s_waitcnt vmcnt(0)
	v_mul_f64 v[8:9], s[10:11], v[8:9]
.LBB193_33:
	s_clause 0x1
	buffer_load_dword v10, off, s[0:3], 0 offset:32
	buffer_load_dword v11, off, s[0:3], 0 offset:36
	s_waitcnt vmcnt(2)
	v_add_f64 v[17:18], v[13:14], v[8:9]
	v_add_nc_u32_e32 v8, 16, v12
	v_add_co_u32 v19, vcc_lo, v74, v6
	v_mov_b32_e32 v13, 0
	v_mov_b32_e32 v15, 0
	v_ashrrev_i32_e32 v9, 31, v8
	v_add_co_ci_u32_e64 v20, null, v75, v7, vcc_lo
	v_mov_b32_e32 v14, 0
	v_mov_b32_e32 v16, 0
	v_lshlrev_b64 v[8:9], 3, v[8:9]
	s_and_b32 vcc_lo, exec_lo, s6
	global_store_dwordx2 v[19:20], v[17:18], off
	s_cbranch_vccnz .LBB193_35
; %bb.34:
	v_add_co_u32 v15, vcc_lo, v72, v8
	v_add_co_ci_u32_e64 v16, null, v73, v9, vcc_lo
	global_load_dwordx2 v[15:16], v[15:16], off
	s_waitcnt vmcnt(0)
	v_mul_f64 v[15:16], s[10:11], v[15:16]
.LBB193_35:
	s_clause 0x1
	buffer_load_dword v17, off, s[0:3], 0 offset:40
	buffer_load_dword v18, off, s[0:3], 0 offset:44
	s_waitcnt vmcnt(2)
	v_add_f64 v[15:16], v[10:11], v[15:16]
	v_add_nc_u32_e32 v10, 20, v12
	v_add_co_u32 v19, vcc_lo, v74, v8
	v_add_co_ci_u32_e64 v20, null, v75, v9, vcc_lo
	v_ashrrev_i32_e32 v11, 31, v10
	s_and_b32 vcc_lo, exec_lo, s6
	v_lshlrev_b64 v[10:11], 3, v[10:11]
	;; [unrolled: 44-line block ×15, first 2 shown]
	global_store_dwordx2 v[76:77], v[67:68], off
	s_cbranch_vccnz .LBB193_89
; %bb.88:
	v_add_co_u32 v65, vcc_lo, v72, v63
	v_add_co_ci_u32_e64 v66, null, v73, v64, vcc_lo
	global_load_dwordx2 v[65:66], v[65:66], off
	s_waitcnt vmcnt(0)
	v_mul_f64 v[65:66], s[10:11], v[65:66]
.LBB193_89:
	s_clause 0x1
	buffer_load_dword v67, off, s[0:3], 0 offset:256
	buffer_load_dword v68, off, s[0:3], 0 offset:260
	v_add_nc_u32_e32 v76, 64, v71
	s_waitcnt vmcnt(2)
	v_add_f64 v[69:70], v[69:70], v[65:66]
	v_add_co_u32 v74, vcc_lo, v74, v63
	v_add_co_ci_u32_e64 v75, null, v75, v64, vcc_lo
	v_mad_i64_i32 v[65:66], null, v76, s8, 0
	v_mov_b32_e32 v71, 0
	v_mov_b32_e32 v72, 0
	v_lshlrev_b64 v[77:78], 3, v[65:66]
	v_mov_b32_e32 v65, 0
	v_mov_b32_e32 v66, 0
	v_add_co_u32 v12, vcc_lo, s16, v77
	v_add_co_ci_u32_e64 v73, null, s17, v78, vcc_lo
	s_and_b32 vcc_lo, exec_lo, s6
	global_store_dwordx2 v[74:75], v[69:70], off
	s_cbranch_vccnz .LBB193_91
; %bb.90:
	v_add_co_u32 v69, vcc_lo, v12, v0
	v_add_co_ci_u32_e64 v70, null, v73, v1, vcc_lo
	global_load_dwordx2 v[69:70], v[69:70], off
	s_waitcnt vmcnt(0)
	v_mul_f64 v[71:72], s[10:11], v[69:70]
.LBB193_91:
	s_clause 0x1
	buffer_load_dword v69, off, s[0:3], 0 offset:264
	buffer_load_dword v70, off, s[0:3], 0 offset:268
	v_mad_i64_i32 v[74:75], null, v76, s4, 0
	s_waitcnt vmcnt(2)
	v_add_f64 v[67:68], v[67:68], v[71:72]
	v_lshlrev_b64 v[71:72], 3, v[74:75]
	v_add_co_u32 v71, vcc_lo, s5, v71
	v_add_co_ci_u32_e64 v72, null, s7, v72, vcc_lo
	v_add_co_u32 v0, vcc_lo, v71, v0
	v_add_co_ci_u32_e64 v1, null, v72, v1, vcc_lo
	s_and_b32 vcc_lo, exec_lo, s6
	global_store_dwordx2 v[0:1], v[67:68], off
	s_cbranch_vccnz .LBB193_93
; %bb.92:
	v_add_co_u32 v0, vcc_lo, v12, v2
	v_add_co_ci_u32_e64 v1, null, v73, v3, vcc_lo
	global_load_dwordx2 v[0:1], v[0:1], off
	s_waitcnt vmcnt(0)
	v_mul_f64 v[65:66], s[10:11], v[0:1]
.LBB193_93:
	s_clause 0x1
	buffer_load_dword v67, off, s[0:3], 0 offset:272
	buffer_load_dword v68, off, s[0:3], 0 offset:276
	s_waitcnt vmcnt(2)
	v_add_f64 v[65:66], v[69:70], v[65:66]
	v_add_co_u32 v69, vcc_lo, v71, v2
	v_add_co_ci_u32_e64 v70, null, v72, v3, vcc_lo
	v_mov_b32_e32 v0, 0
	v_mov_b32_e32 v2, 0
	;; [unrolled: 1-line block ×4, first 2 shown]
	s_and_b32 vcc_lo, exec_lo, s6
	global_store_dwordx2 v[69:70], v[65:66], off
	s_cbranch_vccnz .LBB193_95
; %bb.94:
	v_add_co_u32 v2, vcc_lo, v12, v4
	v_add_co_ci_u32_e64 v3, null, v73, v5, vcc_lo
	global_load_dwordx2 v[2:3], v[2:3], off
	s_waitcnt vmcnt(0)
	v_mul_f64 v[2:3], s[10:11], v[2:3]
.LBB193_95:
	s_clause 0x1
	buffer_load_dword v65, off, s[0:3], 0 offset:280
	buffer_load_dword v66, off, s[0:3], 0 offset:284
	s_waitcnt vmcnt(2)
	v_add_f64 v[2:3], v[67:68], v[2:3]
	v_add_co_u32 v4, vcc_lo, v71, v4
	v_add_co_ci_u32_e64 v5, null, v72, v5, vcc_lo
	s_and_b32 vcc_lo, exec_lo, s6
	global_store_dwordx2 v[4:5], v[2:3], off
	s_cbranch_vccnz .LBB193_97
; %bb.96:
	v_add_co_u32 v0, vcc_lo, v12, v6
	v_add_co_ci_u32_e64 v1, null, v73, v7, vcc_lo
	global_load_dwordx2 v[0:1], v[0:1], off
	s_waitcnt vmcnt(0)
	v_mul_f64 v[0:1], s[10:11], v[0:1]
.LBB193_97:
	s_clause 0x1
	buffer_load_dword v2, off, s[0:3], 0 offset:288
	buffer_load_dword v3, off, s[0:3], 0 offset:292
	s_waitcnt vmcnt(2)
	v_add_f64 v[4:5], v[65:66], v[0:1]
	v_add_co_u32 v65, vcc_lo, v71, v6
	v_add_co_ci_u32_e64 v66, null, v72, v7, vcc_lo
	v_mov_b32_e32 v0, 0
	v_mov_b32_e32 v6, 0
	;; [unrolled: 1-line block ×4, first 2 shown]
	s_and_b32 vcc_lo, exec_lo, s6
	global_store_dwordx2 v[65:66], v[4:5], off
	s_cbranch_vccnz .LBB193_99
; %bb.98:
	v_add_co_u32 v4, vcc_lo, v12, v8
	v_add_co_ci_u32_e64 v5, null, v73, v9, vcc_lo
	global_load_dwordx2 v[4:5], v[4:5], off
	s_waitcnt vmcnt(0)
	v_mul_f64 v[6:7], s[10:11], v[4:5]
.LBB193_99:
	s_clause 0x1
	buffer_load_dword v4, off, s[0:3], 0 offset:296
	buffer_load_dword v5, off, s[0:3], 0 offset:300
	s_waitcnt vmcnt(2)
	v_add_f64 v[2:3], v[2:3], v[6:7]
	v_add_co_u32 v6, vcc_lo, v71, v8
	v_add_co_ci_u32_e64 v7, null, v72, v9, vcc_lo
	s_and_b32 vcc_lo, exec_lo, s6
	global_store_dwordx2 v[6:7], v[2:3], off
	s_cbranch_vccnz .LBB193_101
; %bb.100:
	v_add_co_u32 v0, vcc_lo, v12, v10
	v_add_co_ci_u32_e64 v1, null, v73, v11, vcc_lo
	global_load_dwordx2 v[0:1], v[0:1], off
	s_waitcnt vmcnt(0)
	v_mul_f64 v[0:1], s[10:11], v[0:1]
.LBB193_101:
	s_clause 0x1
	buffer_load_dword v2, off, s[0:3], 0 offset:304
	buffer_load_dword v3, off, s[0:3], 0 offset:308
	s_waitcnt vmcnt(2)
	v_add_f64 v[4:5], v[4:5], v[0:1]
	v_add_co_u32 v8, vcc_lo, v71, v10
	v_mov_b32_e32 v0, 0
	v_mov_b32_e32 v6, 0
	v_add_co_ci_u32_e64 v9, null, v72, v11, vcc_lo
	v_mov_b32_e32 v1, 0
	v_mov_b32_e32 v7, 0
	s_and_b32 vcc_lo, exec_lo, s6
	global_store_dwordx2 v[8:9], v[4:5], off
	s_cbranch_vccnz .LBB193_103
; %bb.102:
	v_add_co_u32 v4, vcc_lo, v12, v13
	v_add_co_ci_u32_e64 v5, null, v73, v14, vcc_lo
	global_load_dwordx2 v[4:5], v[4:5], off
	s_waitcnt vmcnt(0)
	v_mul_f64 v[6:7], s[10:11], v[4:5]
.LBB193_103:
	s_clause 0x1
	buffer_load_dword v4, off, s[0:3], 0 offset:312
	buffer_load_dword v5, off, s[0:3], 0 offset:316
	s_waitcnt vmcnt(2)
	v_add_f64 v[2:3], v[2:3], v[6:7]
	v_add_co_u32 v6, vcc_lo, v71, v13
	v_add_co_ci_u32_e64 v7, null, v72, v14, vcc_lo
	s_and_b32 vcc_lo, exec_lo, s6
	global_store_dwordx2 v[6:7], v[2:3], off
	s_cbranch_vccnz .LBB193_105
; %bb.104:
	v_add_co_u32 v0, vcc_lo, v12, v15
	v_add_co_ci_u32_e64 v1, null, v73, v16, vcc_lo
	global_load_dwordx2 v[0:1], v[0:1], off
	s_waitcnt vmcnt(0)
	v_mul_f64 v[0:1], s[10:11], v[0:1]
.LBB193_105:
	s_clause 0x1
	buffer_load_dword v2, off, s[0:3], 0 offset:320
	buffer_load_dword v3, off, s[0:3], 0 offset:324
	s_waitcnt vmcnt(2)
	v_add_f64 v[4:5], v[4:5], v[0:1]
	v_add_co_u32 v8, vcc_lo, v71, v15
	v_mov_b32_e32 v0, 0
	v_mov_b32_e32 v6, 0
	v_add_co_ci_u32_e64 v9, null, v72, v16, vcc_lo
	v_mov_b32_e32 v1, 0
	v_mov_b32_e32 v7, 0
	;; [unrolled: 38-line block ×13, first 2 shown]
	s_and_b32 vcc_lo, exec_lo, s6
	global_store_dwordx2 v[8:9], v[4:5], off
	s_cbranch_vccnz .LBB193_151
; %bb.150:
	v_add_co_u32 v4, vcc_lo, v12, v61
	v_add_co_ci_u32_e64 v5, null, v73, v62, vcc_lo
	global_load_dwordx2 v[4:5], v[4:5], off
	s_waitcnt vmcnt(0)
	v_mul_f64 v[6:7], s[10:11], v[4:5]
.LBB193_151:
	s_clause 0x1
	buffer_load_dword v4, off, s[0:3], 0 offset:504
	buffer_load_dword v5, off, s[0:3], 0 offset:508
	s_waitcnt vmcnt(2)
	v_add_f64 v[2:3], v[2:3], v[6:7]
	v_add_co_u32 v6, vcc_lo, v71, v61
	v_add_co_ci_u32_e64 v7, null, v72, v62, vcc_lo
	s_and_b32 vcc_lo, exec_lo, s6
	global_store_dwordx2 v[6:7], v[2:3], off
	s_cbranch_vccnz .LBB193_153
; %bb.152:
	v_add_co_u32 v0, vcc_lo, v12, v63
	v_add_co_ci_u32_e64 v1, null, v73, v64, vcc_lo
	global_load_dwordx2 v[0:1], v[0:1], off
	s_waitcnt vmcnt(0)
	v_mul_f64 v[0:1], s[10:11], v[0:1]
.LBB193_153:
	s_waitcnt vmcnt(0)
	v_add_f64 v[0:1], v[4:5], v[0:1]
	v_add_co_u32 v2, vcc_lo, v71, v63
	v_add_co_ci_u32_e64 v3, null, v72, v64, vcc_lo
	global_store_dwordx2 v[2:3], v[0:1], off
	s_endpgm
.LBB193_154:
	s_mov_b64 s[16:17], 0
	s_mov_b64 s[20:21], 0
	s_cbranch_execnz .LBB193_4
.LBB193_155:
	s_waitcnt lgkmcnt(0)
	s_mul_i32 s9, s9, s7
	s_mul_hi_u32 s12, s8, s7
	s_mul_i32 s8, s8, s7
	s_add_i32 s9, s12, s9
	s_lshl_b64 s[8:9], s[8:9], 3
	s_add_u32 s20, s14, s8
	s_addc_u32 s21, s15, s9
	v_cmp_eq_f64_e64 s8, s[10:11], 0
	s_load_dwordx4 s[12:15], s[4:5], 0x60
	s_and_b32 vcc_lo, exec_lo, s8
	s_cbranch_vccz .LBB193_5
	s_branch .LBB193_6
	.section	.rodata,"a",@progbits
	.p2align	6, 0x0
	.amdhsa_kernel _ZN12_GLOBAL__N_120geam_min_plus_kernelIdddLi4ELi64ELi128ELi128ELi4ELi64ELi4ELi64ELi4ELc78ELc84ELb1ELb0ELb0EdKddEEviiiT16_PT17_ilS4_ilS2_S4_ilPT18_ili26rocblas_geam_ex_operation_
		.amdhsa_group_segment_fixed_size 16384
		.amdhsa_private_segment_fixed_size 528
		.amdhsa_kernarg_size 136
		.amdhsa_user_sgpr_count 6
		.amdhsa_user_sgpr_private_segment_buffer 1
		.amdhsa_user_sgpr_dispatch_ptr 0
		.amdhsa_user_sgpr_queue_ptr 0
		.amdhsa_user_sgpr_kernarg_segment_ptr 1
		.amdhsa_user_sgpr_dispatch_id 0
		.amdhsa_user_sgpr_flat_scratch_init 0
		.amdhsa_user_sgpr_private_segment_size 0
		.amdhsa_wavefront_size32 1
		.amdhsa_uses_dynamic_stack 0
		.amdhsa_system_sgpr_private_segment_wavefront_offset 1
		.amdhsa_system_sgpr_workgroup_id_x 1
		.amdhsa_system_sgpr_workgroup_id_y 0
		.amdhsa_system_sgpr_workgroup_id_z 1
		.amdhsa_system_sgpr_workgroup_info 0
		.amdhsa_system_vgpr_workitem_id 1
		.amdhsa_next_free_vgpr 223
		.amdhsa_next_free_sgpr 28
		.amdhsa_reserve_vcc 1
		.amdhsa_reserve_flat_scratch 0
		.amdhsa_float_round_mode_32 0
		.amdhsa_float_round_mode_16_64 0
		.amdhsa_float_denorm_mode_32 3
		.amdhsa_float_denorm_mode_16_64 3
		.amdhsa_dx10_clamp 1
		.amdhsa_ieee_mode 1
		.amdhsa_fp16_overflow 0
		.amdhsa_workgroup_processor_mode 1
		.amdhsa_memory_ordered 1
		.amdhsa_forward_progress 1
		.amdhsa_shared_vgpr_count 0
		.amdhsa_exception_fp_ieee_invalid_op 0
		.amdhsa_exception_fp_denorm_src 0
		.amdhsa_exception_fp_ieee_div_zero 0
		.amdhsa_exception_fp_ieee_overflow 0
		.amdhsa_exception_fp_ieee_underflow 0
		.amdhsa_exception_fp_ieee_inexact 0
		.amdhsa_exception_int_div_zero 0
	.end_amdhsa_kernel
	.section	.text._ZN12_GLOBAL__N_120geam_min_plus_kernelIdddLi4ELi64ELi128ELi128ELi4ELi64ELi4ELi64ELi4ELc78ELc84ELb1ELb0ELb0EdKddEEviiiT16_PT17_ilS4_ilS2_S4_ilPT18_ili26rocblas_geam_ex_operation_,"axG",@progbits,_ZN12_GLOBAL__N_120geam_min_plus_kernelIdddLi4ELi64ELi128ELi128ELi4ELi64ELi4ELi64ELi4ELc78ELc84ELb1ELb0ELb0EdKddEEviiiT16_PT17_ilS4_ilS2_S4_ilPT18_ili26rocblas_geam_ex_operation_,comdat
.Lfunc_end193:
	.size	_ZN12_GLOBAL__N_120geam_min_plus_kernelIdddLi4ELi64ELi128ELi128ELi4ELi64ELi4ELi64ELi4ELc78ELc84ELb1ELb0ELb0EdKddEEviiiT16_PT17_ilS4_ilS2_S4_ilPT18_ili26rocblas_geam_ex_operation_, .Lfunc_end193-_ZN12_GLOBAL__N_120geam_min_plus_kernelIdddLi4ELi64ELi128ELi128ELi4ELi64ELi4ELi64ELi4ELc78ELc84ELb1ELb0ELb0EdKddEEviiiT16_PT17_ilS4_ilS2_S4_ilPT18_ili26rocblas_geam_ex_operation_
                                        ; -- End function
	.set _ZN12_GLOBAL__N_120geam_min_plus_kernelIdddLi4ELi64ELi128ELi128ELi4ELi64ELi4ELi64ELi4ELc78ELc84ELb1ELb0ELb0EdKddEEviiiT16_PT17_ilS4_ilS2_S4_ilPT18_ili26rocblas_geam_ex_operation_.num_vgpr, 223
	.set _ZN12_GLOBAL__N_120geam_min_plus_kernelIdddLi4ELi64ELi128ELi128ELi4ELi64ELi4ELi64ELi4ELc78ELc84ELb1ELb0ELb0EdKddEEviiiT16_PT17_ilS4_ilS2_S4_ilPT18_ili26rocblas_geam_ex_operation_.num_agpr, 0
	.set _ZN12_GLOBAL__N_120geam_min_plus_kernelIdddLi4ELi64ELi128ELi128ELi4ELi64ELi4ELi64ELi4ELc78ELc84ELb1ELb0ELb0EdKddEEviiiT16_PT17_ilS4_ilS2_S4_ilPT18_ili26rocblas_geam_ex_operation_.numbered_sgpr, 28
	.set _ZN12_GLOBAL__N_120geam_min_plus_kernelIdddLi4ELi64ELi128ELi128ELi4ELi64ELi4ELi64ELi4ELc78ELc84ELb1ELb0ELb0EdKddEEviiiT16_PT17_ilS4_ilS2_S4_ilPT18_ili26rocblas_geam_ex_operation_.num_named_barrier, 0
	.set _ZN12_GLOBAL__N_120geam_min_plus_kernelIdddLi4ELi64ELi128ELi128ELi4ELi64ELi4ELi64ELi4ELc78ELc84ELb1ELb0ELb0EdKddEEviiiT16_PT17_ilS4_ilS2_S4_ilPT18_ili26rocblas_geam_ex_operation_.private_seg_size, 528
	.set _ZN12_GLOBAL__N_120geam_min_plus_kernelIdddLi4ELi64ELi128ELi128ELi4ELi64ELi4ELi64ELi4ELc78ELc84ELb1ELb0ELb0EdKddEEviiiT16_PT17_ilS4_ilS2_S4_ilPT18_ili26rocblas_geam_ex_operation_.uses_vcc, 1
	.set _ZN12_GLOBAL__N_120geam_min_plus_kernelIdddLi4ELi64ELi128ELi128ELi4ELi64ELi4ELi64ELi4ELc78ELc84ELb1ELb0ELb0EdKddEEviiiT16_PT17_ilS4_ilS2_S4_ilPT18_ili26rocblas_geam_ex_operation_.uses_flat_scratch, 0
	.set _ZN12_GLOBAL__N_120geam_min_plus_kernelIdddLi4ELi64ELi128ELi128ELi4ELi64ELi4ELi64ELi4ELc78ELc84ELb1ELb0ELb0EdKddEEviiiT16_PT17_ilS4_ilS2_S4_ilPT18_ili26rocblas_geam_ex_operation_.has_dyn_sized_stack, 0
	.set _ZN12_GLOBAL__N_120geam_min_plus_kernelIdddLi4ELi64ELi128ELi128ELi4ELi64ELi4ELi64ELi4ELc78ELc84ELb1ELb0ELb0EdKddEEviiiT16_PT17_ilS4_ilS2_S4_ilPT18_ili26rocblas_geam_ex_operation_.has_recursion, 0
	.set _ZN12_GLOBAL__N_120geam_min_plus_kernelIdddLi4ELi64ELi128ELi128ELi4ELi64ELi4ELi64ELi4ELc78ELc84ELb1ELb0ELb0EdKddEEviiiT16_PT17_ilS4_ilS2_S4_ilPT18_ili26rocblas_geam_ex_operation_.has_indirect_call, 0
	.section	.AMDGPU.csdata,"",@progbits
; Kernel info:
; codeLenInByte = 18800
; TotalNumSgprs: 30
; NumVgprs: 223
; ScratchSize: 528
; MemoryBound: 1
; FloatMode: 240
; IeeeMode: 1
; LDSByteSize: 16384 bytes/workgroup (compile time only)
; SGPRBlocks: 0
; VGPRBlocks: 27
; NumSGPRsForWavesPerEU: 30
; NumVGPRsForWavesPerEU: 223
; Occupancy: 4
; WaveLimiterHint : 1
; COMPUTE_PGM_RSRC2:SCRATCH_EN: 1
; COMPUTE_PGM_RSRC2:USER_SGPR: 6
; COMPUTE_PGM_RSRC2:TRAP_HANDLER: 0
; COMPUTE_PGM_RSRC2:TGID_X_EN: 1
; COMPUTE_PGM_RSRC2:TGID_Y_EN: 0
; COMPUTE_PGM_RSRC2:TGID_Z_EN: 1
; COMPUTE_PGM_RSRC2:TIDIG_COMP_CNT: 1
	.section	.text._ZN12_GLOBAL__N_120geam_min_plus_kernelIdddLi4ELi64ELi128ELi128ELi4ELi64ELi4ELi64ELi4ELc78ELc84ELb0ELb0ELb0EdKddEEviiiT16_PT17_ilS4_ilS2_S4_ilPT18_ili26rocblas_geam_ex_operation_,"axG",@progbits,_ZN12_GLOBAL__N_120geam_min_plus_kernelIdddLi4ELi64ELi128ELi128ELi4ELi64ELi4ELi64ELi4ELc78ELc84ELb0ELb0ELb0EdKddEEviiiT16_PT17_ilS4_ilS2_S4_ilPT18_ili26rocblas_geam_ex_operation_,comdat
	.globl	_ZN12_GLOBAL__N_120geam_min_plus_kernelIdddLi4ELi64ELi128ELi128ELi4ELi64ELi4ELi64ELi4ELc78ELc84ELb0ELb0ELb0EdKddEEviiiT16_PT17_ilS4_ilS2_S4_ilPT18_ili26rocblas_geam_ex_operation_ ; -- Begin function _ZN12_GLOBAL__N_120geam_min_plus_kernelIdddLi4ELi64ELi128ELi128ELi4ELi64ELi4ELi64ELi4ELc78ELc84ELb0ELb0ELb0EdKddEEviiiT16_PT17_ilS4_ilS2_S4_ilPT18_ili26rocblas_geam_ex_operation_
	.p2align	8
	.type	_ZN12_GLOBAL__N_120geam_min_plus_kernelIdddLi4ELi64ELi128ELi128ELi4ELi64ELi4ELi64ELi4ELc78ELc84ELb0ELb0ELb0EdKddEEviiiT16_PT17_ilS4_ilS2_S4_ilPT18_ili26rocblas_geam_ex_operation_,@function
_ZN12_GLOBAL__N_120geam_min_plus_kernelIdddLi4ELi64ELi128ELi128ELi4ELi64ELi4ELi64ELi4ELc78ELc84ELb0ELb0ELb0EdKddEEviiiT16_PT17_ilS4_ilS2_S4_ilPT18_ili26rocblas_geam_ex_operation_: ; @_ZN12_GLOBAL__N_120geam_min_plus_kernelIdddLi4ELi64ELi128ELi128ELi4ELi64ELi4ELi64ELi4ELc78ELc84ELb0ELb0ELb0EdKddEEviiiT16_PT17_ilS4_ilS2_S4_ilPT18_ili26rocblas_geam_ex_operation_
; %bb.0:
	s_clause 0x1
	s_load_dwordx4 s[16:19], s[4:5], 0x10
	s_load_dwordx4 s[12:15], s[4:5], 0x28
	s_add_u32 s0, s0, s8
	s_addc_u32 s1, s1, 0
	s_mov_b64 s[20:21], 0
	s_waitcnt lgkmcnt(0)
	v_cmp_eq_f64_e64 s22, s[16:17], 0
	s_and_b32 vcc_lo, exec_lo, s22
	s_cbranch_vccnz .LBB194_2
; %bb.1:
	s_mul_i32 s8, s13, s7
	s_mul_hi_u32 s9, s12, s7
	s_add_i32 s9, s9, s8
	s_mul_i32 s8, s12, s7
	s_lshl_b64 s[8:9], s[8:9], 3
	s_add_u32 s20, s18, s8
	s_addc_u32 s21, s19, s9
.LBB194_2:
	s_clause 0x1
	s_load_dwordx4 s[8:11], s[4:5], 0x40
	s_load_dwordx2 s[24:25], s[4:5], 0x50
	s_andn2_b32 vcc_lo, exec_lo, s22
	s_mov_b32 s12, -1
	s_cbranch_vccnz .LBB194_4
; %bb.3:
	s_mov_b32 s12, 0
.LBB194_4:
	s_mov_b64 s[18:19], 0
	s_andn2_b32 vcc_lo, exec_lo, s12
	s_mov_b64 s[22:23], 0
	s_cbranch_vccnz .LBB194_6
; %bb.5:
	s_waitcnt lgkmcnt(0)
	s_mul_i32 s9, s9, s7
	s_mul_hi_u32 s12, s8, s7
	s_mul_i32 s8, s8, s7
	s_add_i32 s9, s12, s9
	s_lshl_b64 s[8:9], s[8:9], 3
	s_add_u32 s22, s14, s8
	s_addc_u32 s23, s15, s9
.LBB194_6:
	s_waitcnt lgkmcnt(0)
	v_cmp_eq_f64_e64 s8, s[10:11], 0
	v_cmp_neq_f64_e64 s9, s[16:17], 0
	s_load_dwordx4 s[12:15], s[4:5], 0x60
	s_and_b32 vcc_lo, exec_lo, s8
	s_cbranch_vccnz .LBB194_8
; %bb.7:
	s_waitcnt lgkmcnt(0)
	s_mul_i32 s8, s13, s7
	s_mul_hi_u32 s13, s12, s7
	s_mul_i32 s12, s12, s7
	s_add_i32 s13, s13, s8
	s_lshl_b64 s[12:13], s[12:13], 3
	s_add_u32 s18, s24, s12
	s_addc_u32 s19, s25, s13
.LBB194_8:
	s_clause 0x1
	s_load_dword s8, s[4:5], 0x0
	s_load_dword s24, s[4:5], 0x20
	v_lshl_add_u32 v2, v1, 2, v0
	v_cndmask_b32_e64 v4, 0, 1, s9
	v_mov_b32_e32 v18, 0
	v_mov_b32_e32 v8, 0
	;; [unrolled: 1-line block ×3, first 2 shown]
	v_and_b32_e32 v88, 63, v2
	v_lshrrev_b32_e32 v82, 6, v2
	buffer_store_dword v8, off, s[0:3], 0 offset:4
	buffer_store_dword v8, off, s[0:3], 0
	buffer_store_dword v8, off, s[0:3], 0 offset:12
	buffer_store_dword v8, off, s[0:3], 0 offset:8
	;; [unrolled: 1-line block ×35, first 2 shown]
	s_waitcnt lgkmcnt(0)
	s_add_i32 s8, s8, -1
	s_ashr_i32 s25, s24, 31
	s_ashr_i32 s12, s8, 31
	buffer_store_dword v8, off, s[0:3], 0 offset:144
	buffer_store_dword v8, off, s[0:3], 0 offset:156
	;; [unrolled: 1-line block ×4, first 2 shown]
	s_lshr_b32 s12, s12, 25
	buffer_store_dword v8, off, s[0:3], 0 offset:160
	buffer_store_dword v8, off, s[0:3], 0 offset:172
	s_add_i32 s8, s8, s12
	buffer_store_dword v8, off, s[0:3], 0 offset:168
	s_ashr_i32 s8, s8, 7
	buffer_store_dword v8, off, s[0:3], 0 offset:180
	s_add_i32 s13, s8, 1
	s_not_b32 s8, s8
	v_cvt_f32_u32_e32 v2, s13
	buffer_store_dword v8, off, s[0:3], 0 offset:176
	buffer_store_dword v8, off, s[0:3], 0 offset:188
	;; [unrolled: 1-line block ×4, first 2 shown]
	v_rcp_iflag_f32_e32 v2, v2
	buffer_store_dword v8, off, s[0:3], 0 offset:192
	buffer_store_dword v8, off, s[0:3], 0 offset:204
	;; [unrolled: 1-line block ×79, first 2 shown]
	v_mul_f32_e32 v2, 0x4f7ffffe, v2
	v_cvt_u32_f32_e32 v2, v2
	v_readfirstlane_b32 s12, v2
	v_mov_b32_e32 v2, 0
	v_mov_b32_e32 v3, 0
	s_mul_i32 s8, s8, s12
	s_mul_hi_u32 s8, s12, s8
	s_add_i32 s12, s12, s8
	s_mul_hi_u32 s8, s6, s12
	s_mul_i32 s12, s8, s13
	s_add_i32 s26, s8, 1
	s_sub_i32 s12, s6, s12
	s_sub_i32 s27, s12, s13
	s_cmp_ge_u32 s12, s13
	s_cselect_b32 s8, s26, s8
	s_cselect_b32 s12, s27, s12
	s_add_i32 s26, s8, 1
	s_cmp_ge_u32 s12, s13
	s_cselect_b32 s12, s26, s8
	s_andn2_b32 vcc_lo, exec_lo, s9
	s_mul_i32 s8, s12, s13
	s_sub_i32 s6, s6, s8
	s_lshl_b32 s8, s6, 7
	v_cmp_ne_u32_e64 s6, 1, v4
	v_or_b32_e32 v6, s8, v88
	v_mov_b32_e32 v4, 0
	v_mov_b32_e32 v5, 0
	v_ashrrev_i32_e32 v7, 31, v6
	s_cbranch_vccnz .LBB194_10
; %bb.9:
	v_mad_i64_i32 v[4:5], null, s24, v82, 0
	v_lshlrev_b64 v[8:9], 3, v[6:7]
	v_lshlrev_b64 v[4:5], 3, v[4:5]
	v_add_co_u32 v4, vcc_lo, s20, v4
	v_add_co_ci_u32_e64 v5, null, s21, v5, vcc_lo
	v_add_co_u32 v4, vcc_lo, v4, v8
	v_add_co_ci_u32_e64 v5, null, v5, v9, vcc_lo
	s_clause 0x1
	global_load_dwordx2 v[8:9], v[4:5], off
	global_load_dwordx2 v[10:11], v[4:5], off offset:512
	s_waitcnt vmcnt(1)
	v_mul_f64 v[4:5], s[16:17], v[8:9]
	s_waitcnt vmcnt(0)
	v_mul_f64 v[18:19], s[16:17], v[10:11]
.LBB194_10:
	s_load_dword s26, s[4:5], 0x38
	s_lshl_b32 s9, s12, 7
	v_mov_b32_e32 v20, 0
	v_or_b32_e32 v8, s9, v88
	v_mov_b32_e32 v21, 0
	s_and_b32 vcc_lo, exec_lo, s6
	v_ashrrev_i32_e32 v9, 31, v8
	s_waitcnt lgkmcnt(0)
	s_ashr_i32 s27, s26, 31
	s_cbranch_vccnz .LBB194_12
; %bb.11:
	v_mad_i64_i32 v[2:3], null, s26, v82, 0
	v_lshlrev_b64 v[10:11], 3, v[8:9]
	v_lshlrev_b64 v[2:3], 3, v[2:3]
	v_add_co_u32 v2, vcc_lo, s22, v2
	v_add_co_ci_u32_e64 v3, null, s23, v3, vcc_lo
	v_add_co_u32 v2, vcc_lo, v2, v10
	v_add_co_ci_u32_e64 v3, null, v3, v11, vcc_lo
	s_clause 0x1
	global_load_dwordx2 v[10:11], v[2:3], off
	global_load_dwordx2 v[12:13], v[2:3], off offset:512
	s_waitcnt vmcnt(1)
	v_mul_f64 v[2:3], s[16:17], v[10:11]
	s_waitcnt vmcnt(0)
	v_mul_f64 v[20:21], s[16:17], v[12:13]
.LBB194_12:
	v_mov_b32_e32 v10, 0
	v_mov_b32_e32 v12, 0
	;; [unrolled: 1-line block ×6, first 2 shown]
	v_add_nc_u32_e32 v83, 4, v82
	s_and_b32 vcc_lo, exec_lo, s6
	s_cbranch_vccnz .LBB194_14
; %bb.13:
	v_mad_i64_i32 v[12:13], null, s24, v83, 0
	v_lshlrev_b64 v[14:15], 3, v[6:7]
	v_lshlrev_b64 v[12:13], 3, v[12:13]
	v_add_co_u32 v12, vcc_lo, s20, v12
	v_add_co_ci_u32_e64 v13, null, s21, v13, vcc_lo
	v_add_co_u32 v12, vcc_lo, v12, v14
	v_add_co_ci_u32_e64 v13, null, v13, v15, vcc_lo
	s_clause 0x1
	global_load_dwordx2 v[14:15], v[12:13], off
	global_load_dwordx2 v[16:17], v[12:13], off offset:512
	s_waitcnt vmcnt(1)
	v_mul_f64 v[12:13], s[16:17], v[14:15]
	s_waitcnt vmcnt(0)
	v_mul_f64 v[14:15], s[16:17], v[16:17]
.LBB194_14:
	v_mov_b32_e32 v16, 0
	v_mov_b32_e32 v17, 0
	s_and_b32 vcc_lo, exec_lo, s6
	s_cbranch_vccnz .LBB194_16
; %bb.15:
	v_mad_i64_i32 v[10:11], null, s26, v83, 0
	v_lshlrev_b64 v[16:17], 3, v[8:9]
	v_lshlrev_b64 v[10:11], 3, v[10:11]
	v_add_co_u32 v10, vcc_lo, s22, v10
	v_add_co_ci_u32_e64 v11, null, s23, v11, vcc_lo
	v_add_co_u32 v10, vcc_lo, v10, v16
	v_add_co_ci_u32_e64 v11, null, v11, v17, vcc_lo
	s_clause 0x1
	global_load_dwordx2 v[16:17], v[10:11], off
	global_load_dwordx2 v[22:23], v[10:11], off offset:512
	s_waitcnt vmcnt(1)
	v_mul_f64 v[10:11], s[16:17], v[16:17]
	s_waitcnt vmcnt(0)
	v_mul_f64 v[16:17], s[16:17], v[22:23]
.LBB194_16:
	v_cmp_neq_f64_e64 s12, s[10:11], 0
	v_lshlrev_b32_e32 v22, 5, v88
	v_lshlrev_b32_e32 v86, 5, v0
	v_lshl_or_b32 v87, v1, 5, 0x2000
	s_mov_b32 s13, 0
	s_mov_b32 s28, 0
	v_lshl_add_u32 v84, v82, 3, v22
	s_addk_i32 s13, 0x100
	v_or_b32_e32 v85, 0x2000, v84
	ds_write2st64_b64 v84, v[4:5], v[18:19] offset1:4
	ds_write2st64_b64 v84, v[2:3], v[20:21] offset0:16 offset1:20
	s_waitcnt lgkmcnt(0)
	s_waitcnt_vscnt null, 0x0
	s_barrier
	buffer_gl0_inv
.LBB194_17:                             ; =>This Loop Header: Depth=1
                                        ;     Child Loop BB194_18 Depth 2
	s_lshl_b32 s29, s28, 3
	s_mov_b32 s30, 0
	v_add_nc_u32_e32 v18, s29, v86
	v_add_nc_u32_e32 v89, s29, v87
	s_mov_b32 s29, -1
	ds_read2_b64 v[2:5], v18 offset1:16
	ds_read2_b64 v[22:25], v18 offset0:32 offset1:48
	ds_read2_b64 v[26:29], v18 offset0:64 offset1:80
	;; [unrolled: 1-line block ×4, first 2 shown]
	v_add_nc_u32_e32 v78, 0x800, v18
	ds_read2_b64 v[38:41], v18 offset0:160 offset1:176
	ds_read2_b64 v[42:45], v18 offset0:192 offset1:208
	;; [unrolled: 1-line block ×3, first 2 shown]
	ds_read2_b64 v[50:53], v78 offset1:16
	ds_read2_b64 v[54:57], v78 offset0:32 offset1:48
	ds_read2_b64 v[58:61], v78 offset0:64 offset1:80
	;; [unrolled: 1-line block ×6, first 2 shown]
	s_waitcnt lgkmcnt(9)
	v_max_f64 v[38:39], v[38:39], v[38:39]
	v_max_f64 v[40:41], v[40:41], v[40:41]
	;; [unrolled: 1-line block ×4, first 2 shown]
	ds_read2_b64 v[2:5], v78 offset0:224 offset1:240
	v_max_f64 v[22:23], v[22:23], v[22:23]
	v_max_f64 v[24:25], v[24:25], v[24:25]
	;; [unrolled: 1-line block ×8, first 2 shown]
	s_waitcnt lgkmcnt(9)
	v_max_f64 v[42:43], v[42:43], v[42:43]
	v_max_f64 v[44:45], v[44:45], v[44:45]
	s_waitcnt lgkmcnt(8)
	v_max_f64 v[46:47], v[46:47], v[46:47]
	v_max_f64 v[48:49], v[48:49], v[48:49]
	;; [unrolled: 3-line block ×10, first 2 shown]
	ds_read2st64_b64 v[2:5], v89 offset1:4
.LBB194_18:                             ;   Parent Loop BB194_17 Depth=1
                                        ; =>  This Inner Loop Header: Depth=2
	v_mov_b32_e32 v217, s30
	s_waitcnt lgkmcnt(0)
	v_max_f64 v[153:154], v[2:3], v[2:3]
	v_mov_b32_e32 v2, v4
	v_mov_b32_e32 v3, v5
	s_and_b32 vcc_lo, exec_lo, s29
	s_clause 0x3e
	buffer_load_dword v89, v217, s[0:3], 0 offen
	buffer_load_dword v90, v217, s[0:3], 0 offen offset:4
	buffer_load_dword v91, v217, s[0:3], 0 offen offset:8
	;; [unrolled: 1-line block ×63, first 2 shown]
	s_mov_b32 s29, 0
	s_mov_b32 s30, s13
	v_min_f64 v[155:156], v[18:19], v[153:154]
	v_min_f64 v[157:158], v[20:21], v[153:154]
	;; [unrolled: 1-line block ×32, first 2 shown]
	s_waitcnt vmcnt(62)
	v_add_f64 v[89:90], v[155:156], v[89:90]
	s_waitcnt vmcnt(60)
	v_add_f64 v[91:92], v[157:158], v[91:92]
	;; [unrolled: 2-line block ×32, first 2 shown]
	buffer_store_dword v89, v217, s[0:3], 0 offen
	buffer_store_dword v90, v217, s[0:3], 0 offen offset:4
	buffer_store_dword v91, v217, s[0:3], 0 offen offset:8
	;; [unrolled: 1-line block ×63, first 2 shown]
	s_cbranch_vccnz .LBB194_18
; %bb.19:                               ;   in Loop: Header=BB194_17 Depth=1
	s_add_i32 s28, s28, 1
	s_cmp_eq_u32 s28, 4
	s_cbranch_scc0 .LBB194_17
; %bb.20:
	s_load_dword s28, s[4:5], 0x8
	v_lshlrev_b32_e32 v2, 3, v82
	v_lshl_add_u32 v78, v0, 5, 0x1000
	v_lshl_add_u32 v79, v1, 5, 0x3000
	v_lshl_add_u32 v2, v88, 5, v2
	ds_write2st64_b64 v2, v[12:13], v[14:15] offset0:8 offset1:12
	ds_write2st64_b64 v2, v[10:11], v[16:17] offset0:24 offset1:28
	s_waitcnt lgkmcnt(0)
	s_waitcnt_vscnt null, 0x0
	s_barrier
	buffer_gl0_inv
	s_cmp_lt_i32 s28, 9
	s_cbranch_scc1 .LBB194_39
; %bb.21:
	v_lshlrev_b64 v[3:4], 3, v[6:7]
	v_lshlrev_b64 v[5:6], 3, v[8:9]
	v_or_b32_e32 v80, 0x1000, v2
	v_or_b32_e32 v81, 0x3000, v2
	v_add_co_u32 v88, vcc_lo, s20, v3
	v_add_co_ci_u32_e64 v89, null, s21, v4, vcc_lo
	v_add_co_u32 v90, vcc_lo, s22, v5
	v_add_co_ci_u32_e64 v91, null, s23, v6, vcc_lo
	s_add_i32 s20, s28, -8
	s_mov_b32 s21, 8
	s_mov_b32 s22, 0
.LBB194_22:                             ; =>This Loop Header: Depth=1
                                        ;     Child Loop BB194_27 Depth 2
                                        ;       Child Loop BB194_28 Depth 3
                                        ;     Child Loop BB194_35 Depth 2
                                        ;       Child Loop BB194_36 Depth 3
	v_mov_b32_e32 v6, 0
	v_mov_b32_e32 v8, 0
	;; [unrolled: 1-line block ×6, first 2 shown]
	v_add_nc_u32_e32 v2, s21, v82
	s_and_b32 vcc_lo, exec_lo, s6
	s_cbranch_vccnz .LBB194_24
; %bb.23:                               ;   in Loop: Header=BB194_22 Depth=1
	v_mad_u64_u32 v[3:4], null, v2, s24, 0
	v_mad_u64_u32 v[4:5], null, v2, s25, v[4:5]
	v_lshlrev_b64 v[3:4], 3, v[3:4]
	v_add_co_u32 v3, vcc_lo, v88, v3
	v_add_co_ci_u32_e64 v4, null, v89, v4, vcc_lo
	s_clause 0x1
	global_load_dwordx2 v[8:9], v[3:4], off
	global_load_dwordx2 v[3:4], v[3:4], off offset:512
	s_waitcnt vmcnt(1)
	v_mul_f64 v[8:9], s[16:17], v[8:9]
	s_waitcnt vmcnt(0)
	v_mul_f64 v[10:11], s[16:17], v[3:4]
.LBB194_24:                             ;   in Loop: Header=BB194_22 Depth=1
	v_mov_b32_e32 v12, 0
	v_mov_b32_e32 v13, 0
	s_and_b32 vcc_lo, exec_lo, s6
	s_cbranch_vccnz .LBB194_26
; %bb.25:                               ;   in Loop: Header=BB194_22 Depth=1
	v_mad_u64_u32 v[3:4], null, v2, s26, 0
	v_mad_u64_u32 v[4:5], null, v2, s27, v[4:5]
	v_lshlrev_b64 v[2:3], 3, v[3:4]
	v_add_co_u32 v2, vcc_lo, v90, v2
	v_add_co_ci_u32_e64 v3, null, v91, v3, vcc_lo
	s_clause 0x1
	global_load_dwordx2 v[4:5], v[2:3], off
	global_load_dwordx2 v[2:3], v[2:3], off offset:512
	s_waitcnt vmcnt(1)
	v_mul_f64 v[6:7], s[16:17], v[4:5]
	s_waitcnt vmcnt(0)
	v_mul_f64 v[12:13], s[16:17], v[2:3]
.LBB194_26:                             ;   in Loop: Header=BB194_22 Depth=1
	s_mov_b32 s23, 0
.LBB194_27:                             ;   Parent Loop BB194_22 Depth=1
                                        ; =>  This Loop Header: Depth=2
                                        ;       Child Loop BB194_28 Depth 3
	s_lshl_b32 s28, s23, 3
	s_mov_b32 s29, 0
	v_add_nc_u32_e32 v14, s28, v78
	v_add_nc_u32_e32 v92, s28, v79
	s_mov_b32 s28, -1
	ds_read2_b64 v[2:5], v14 offset1:16
	ds_read2_b64 v[18:21], v14 offset0:32 offset1:48
	ds_read2_b64 v[22:25], v14 offset0:64 offset1:80
	v_add_nc_u32_e32 v15, 0x800, v14
	ds_read2_b64 v[26:29], v14 offset0:96 offset1:112
	ds_read2_b64 v[30:33], v14 offset0:128 offset1:144
	;; [unrolled: 1-line block ×5, first 2 shown]
	ds_read2_b64 v[46:49], v15 offset1:16
	ds_read2_b64 v[50:53], v15 offset0:32 offset1:48
	ds_read2_b64 v[54:57], v15 offset0:64 offset1:80
	ds_read2_b64 v[58:61], v15 offset0:96 offset1:112
	ds_read2_b64 v[62:65], v15 offset0:128 offset1:144
	ds_read2_b64 v[66:69], v15 offset0:160 offset1:176
	ds_read2_b64 v[70:73], v15 offset0:192 offset1:208
	ds_read2_b64 v[74:77], v15 offset0:224 offset1:240
	s_waitcnt lgkmcnt(11)
	v_max_f64 v[30:31], v[30:31], v[30:31]
	v_max_f64 v[32:33], v[32:33], v[32:33]
	s_waitcnt lgkmcnt(10)
	v_max_f64 v[34:35], v[34:35], v[34:35]
	v_max_f64 v[36:37], v[36:37], v[36:37]
	;; [unrolled: 3-line block ×3, first 2 shown]
	v_max_f64 v[14:15], v[2:3], v[2:3]
	v_max_f64 v[16:17], v[4:5], v[4:5]
	;; [unrolled: 1-line block ×8, first 2 shown]
	s_waitcnt lgkmcnt(8)
	v_max_f64 v[42:43], v[42:43], v[42:43]
	v_max_f64 v[44:45], v[44:45], v[44:45]
	s_waitcnt lgkmcnt(7)
	v_max_f64 v[46:47], v[46:47], v[46:47]
	v_max_f64 v[48:49], v[48:49], v[48:49]
	;; [unrolled: 3-line block ×9, first 2 shown]
	ds_read2st64_b64 v[2:5], v92 offset1:4
.LBB194_28:                             ;   Parent Loop BB194_22 Depth=1
                                        ;     Parent Loop BB194_27 Depth=2
                                        ; =>    This Inner Loop Header: Depth=3
	v_mov_b32_e32 v220, s29
	s_waitcnt lgkmcnt(0)
	v_max_f64 v[156:157], v[2:3], v[2:3]
	v_mov_b32_e32 v2, v4
	v_mov_b32_e32 v3, v5
	s_and_b32 vcc_lo, exec_lo, s28
	s_clause 0x3e
	buffer_load_dword v92, v220, s[0:3], 0 offen
	buffer_load_dword v93, v220, s[0:3], 0 offen offset:4
	buffer_load_dword v94, v220, s[0:3], 0 offen offset:8
	;; [unrolled: 1-line block ×63, first 2 shown]
	s_mov_b32 s28, 0
	s_mov_b32 s29, s13
	v_min_f64 v[158:159], v[14:15], v[156:157]
	v_min_f64 v[160:161], v[16:17], v[156:157]
	;; [unrolled: 1-line block ×32, first 2 shown]
	s_waitcnt vmcnt(62)
	v_add_f64 v[92:93], v[158:159], v[92:93]
	s_waitcnt vmcnt(60)
	v_add_f64 v[94:95], v[160:161], v[94:95]
	;; [unrolled: 2-line block ×32, first 2 shown]
	buffer_store_dword v92, v220, s[0:3], 0 offen
	buffer_store_dword v93, v220, s[0:3], 0 offen offset:4
	buffer_store_dword v94, v220, s[0:3], 0 offen offset:8
	;; [unrolled: 1-line block ×63, first 2 shown]
	s_cbranch_vccnz .LBB194_28
; %bb.29:                               ;   in Loop: Header=BB194_27 Depth=2
	s_add_i32 s23, s23, 1
	s_cmp_eq_u32 s23, 4
	s_cbranch_scc0 .LBB194_27
; %bb.30:                               ;   in Loop: Header=BB194_22 Depth=1
	v_mov_b32_e32 v70, 0
	v_mov_b32_e32 v72, 0
	;; [unrolled: 1-line block ×6, first 2 shown]
	v_add_nc_u32_e32 v2, s21, v83
	s_and_b32 vcc_lo, exec_lo, s6
	ds_write2st64_b64 v84, v[8:9], v[10:11] offset1:4
	ds_write2st64_b64 v85, v[6:7], v[12:13] offset1:4
	s_waitcnt lgkmcnt(0)
	s_waitcnt_vscnt null, 0x0
	s_barrier
	buffer_gl0_inv
	s_cbranch_vccnz .LBB194_32
; %bb.31:                               ;   in Loop: Header=BB194_22 Depth=1
	v_mad_u64_u32 v[3:4], null, v2, s24, 0
	v_mad_u64_u32 v[4:5], null, v2, s25, v[4:5]
	v_lshlrev_b64 v[3:4], 3, v[3:4]
	v_add_co_u32 v3, vcc_lo, v88, v3
	v_add_co_ci_u32_e64 v4, null, v89, v4, vcc_lo
	s_clause 0x1
	global_load_dwordx2 v[5:6], v[3:4], off
	global_load_dwordx2 v[3:4], v[3:4], off offset:512
	s_waitcnt vmcnt(1)
	v_mul_f64 v[72:73], s[16:17], v[5:6]
	s_waitcnt vmcnt(0)
	v_mul_f64 v[74:75], s[16:17], v[3:4]
.LBB194_32:                             ;   in Loop: Header=BB194_22 Depth=1
	v_mov_b32_e32 v76, 0
	v_mov_b32_e32 v77, 0
	s_and_b32 vcc_lo, exec_lo, s6
	s_cbranch_vccnz .LBB194_34
; %bb.33:                               ;   in Loop: Header=BB194_22 Depth=1
	v_mad_u64_u32 v[3:4], null, v2, s26, 0
	v_mad_u64_u32 v[4:5], null, v2, s27, v[4:5]
	v_lshlrev_b64 v[2:3], 3, v[3:4]
	v_add_co_u32 v2, vcc_lo, v90, v2
	v_add_co_ci_u32_e64 v3, null, v91, v3, vcc_lo
	s_clause 0x1
	global_load_dwordx2 v[4:5], v[2:3], off
	global_load_dwordx2 v[2:3], v[2:3], off offset:512
	s_waitcnt vmcnt(1)
	v_mul_f64 v[70:71], s[16:17], v[4:5]
	s_waitcnt vmcnt(0)
	v_mul_f64 v[76:77], s[16:17], v[2:3]
.LBB194_34:                             ;   in Loop: Header=BB194_22 Depth=1
	s_mov_b32 s23, 0
.LBB194_35:                             ;   Parent Loop BB194_22 Depth=1
                                        ; =>  This Loop Header: Depth=2
                                        ;       Child Loop BB194_36 Depth 3
	s_lshl_b32 s28, s23, 3
	s_mov_b32 s29, 0
	v_add_nc_u32_e32 v30, s28, v86
	v_add_nc_u32_e32 v66, s28, v87
	s_mov_b32 s28, -1
	ds_read2_b64 v[2:5], v30 offset1:16
	ds_read2_b64 v[6:9], v30 offset0:32 offset1:48
	ds_read2_b64 v[10:13], v30 offset0:64 offset1:80
	ds_read2_b64 v[14:17], v30 offset0:96 offset1:112
	v_add_nc_u32_e32 v62, 0x800, v30
	ds_read2_b64 v[18:21], v30 offset0:128 offset1:144
	ds_read2_b64 v[22:25], v30 offset0:160 offset1:176
	;; [unrolled: 1-line block ×4, first 2 shown]
	ds_read2_b64 v[34:37], v62 offset1:16
	ds_read2_b64 v[38:41], v62 offset0:32 offset1:48
	ds_read2_b64 v[42:45], v62 offset0:64 offset1:80
	;; [unrolled: 1-line block ×7, first 2 shown]
	ds_read2st64_b64 v[66:69], v66 offset1:4
.LBB194_36:                             ;   Parent Loop BB194_22 Depth=1
                                        ;     Parent Loop BB194_35 Depth=2
                                        ; =>    This Inner Loop Header: Depth=3
	v_mov_b32_e32 v92, s29
	s_waitcnt lgkmcnt(16)
	v_max_f64 v[157:158], v[2:3], v[2:3]
	s_waitcnt lgkmcnt(0)
	v_max_f64 v[159:160], v[66:67], v[66:67]
	v_max_f64 v[161:162], v[4:5], v[4:5]
	;; [unrolled: 1-line block ×3, first 2 shown]
	s_clause 0x3e
	buffer_load_dword v93, v92, s[0:3], 0 offen
	buffer_load_dword v94, v92, s[0:3], 0 offen offset:4
	buffer_load_dword v95, v92, s[0:3], 0 offen offset:8
	;; [unrolled: 1-line block ×63, first 2 shown]
	v_max_f64 v[165:166], v[8:9], v[8:9]
	v_max_f64 v[167:168], v[10:11], v[10:11]
	;; [unrolled: 1-line block ×29, first 2 shown]
	v_min_f64 v[157:158], v[157:158], v[159:160]
	v_min_f64 v[161:162], v[161:162], v[159:160]
	;; [unrolled: 1-line block ×32, first 2 shown]
	v_mov_b32_e32 v66, v68
	v_mov_b32_e32 v67, v69
	s_and_b32 vcc_lo, exec_lo, s28
	s_mov_b32 s28, 0
	s_mov_b32 s29, s13
	s_waitcnt vmcnt(62)
	v_add_f64 v[93:94], v[157:158], v[93:94]
	s_waitcnt vmcnt(60)
	v_add_f64 v[95:96], v[161:162], v[95:96]
	;; [unrolled: 2-line block ×32, first 2 shown]
	buffer_store_dword v93, v92, s[0:3], 0 offen
	buffer_store_dword v94, v92, s[0:3], 0 offen offset:4
	buffer_store_dword v95, v92, s[0:3], 0 offen offset:8
	;; [unrolled: 1-line block ×63, first 2 shown]
	s_cbranch_vccnz .LBB194_36
; %bb.37:                               ;   in Loop: Header=BB194_35 Depth=2
	s_add_i32 s23, s23, 1
	s_cmp_eq_u32 s23, 4
	s_cbranch_scc0 .LBB194_35
; %bb.38:                               ;   in Loop: Header=BB194_22 Depth=1
	s_add_i32 s22, s22, 8
	s_add_i32 s21, s21, 8
	s_cmp_ge_i32 s22, s20
	ds_write2st64_b64 v80, v[72:73], v[74:75] offset1:4
	ds_write2st64_b64 v81, v[70:71], v[76:77] offset1:4
	s_waitcnt lgkmcnt(0)
	s_waitcnt_vscnt null, 0x0
	s_barrier
	buffer_gl0_inv
	s_cbranch_scc0 .LBB194_22
.LBB194_39:
	s_mov_b32 s6, 0
.LBB194_40:                             ; =>This Loop Header: Depth=1
                                        ;     Child Loop BB194_41 Depth 2
	s_lshl_b32 s16, s6, 3
	s_mov_b32 s17, 0
	v_add_nc_u32_e32 v6, s16, v78
	v_add_nc_u32_e32 v70, s16, v79
	s_mov_b32 s16, -1
	ds_read2_b64 v[2:5], v6 offset1:16
	ds_read2_b64 v[10:13], v6 offset0:32 offset1:48
	ds_read2_b64 v[14:17], v6 offset0:64 offset1:80
	v_add_nc_u32_e32 v7, 0x800, v6
	ds_read2_b64 v[18:21], v6 offset0:96 offset1:112
	ds_read2_b64 v[22:25], v6 offset0:128 offset1:144
	;; [unrolled: 1-line block ×5, first 2 shown]
	ds_read2_b64 v[38:41], v7 offset1:16
	ds_read2_b64 v[42:45], v7 offset0:32 offset1:48
	ds_read2_b64 v[46:49], v7 offset0:64 offset1:80
	;; [unrolled: 1-line block ×7, first 2 shown]
	s_waitcnt lgkmcnt(11)
	v_max_f64 v[22:23], v[22:23], v[22:23]
	v_max_f64 v[24:25], v[24:25], v[24:25]
	s_waitcnt lgkmcnt(10)
	v_max_f64 v[26:27], v[26:27], v[26:27]
	v_max_f64 v[28:29], v[28:29], v[28:29]
	;; [unrolled: 3-line block ×3, first 2 shown]
	v_max_f64 v[6:7], v[2:3], v[2:3]
	v_max_f64 v[8:9], v[4:5], v[4:5]
	;; [unrolled: 1-line block ×8, first 2 shown]
	s_waitcnt lgkmcnt(8)
	v_max_f64 v[34:35], v[34:35], v[34:35]
	v_max_f64 v[36:37], v[36:37], v[36:37]
	s_waitcnt lgkmcnt(7)
	v_max_f64 v[38:39], v[38:39], v[38:39]
	v_max_f64 v[40:41], v[40:41], v[40:41]
	;; [unrolled: 3-line block ×9, first 2 shown]
	ds_read2st64_b64 v[2:5], v70 offset1:4
.LBB194_41:                             ;   Parent Loop BB194_40 Depth=1
                                        ; =>  This Inner Loop Header: Depth=2
	v_mov_b32_e32 v200, s17
	s_waitcnt lgkmcnt(0)
	v_max_f64 v[136:137], v[2:3], v[2:3]
	v_mov_b32_e32 v2, v4
	v_mov_b32_e32 v3, v5
	s_and_b32 vcc_lo, exec_lo, s16
	s_clause 0x3e
	buffer_load_dword v70, v200, s[0:3], 0 offen
	buffer_load_dword v71, v200, s[0:3], 0 offen offset:4
	buffer_load_dword v72, v200, s[0:3], 0 offen offset:8
	;; [unrolled: 1-line block ×63, first 2 shown]
	s_mov_b32 s16, 0
	s_mov_b32 s17, s13
	v_min_f64 v[138:139], v[6:7], v[136:137]
	v_min_f64 v[140:141], v[8:9], v[136:137]
	;; [unrolled: 1-line block ×32, first 2 shown]
	s_waitcnt vmcnt(62)
	v_add_f64 v[70:71], v[138:139], v[70:71]
	s_waitcnt vmcnt(60)
	v_add_f64 v[72:73], v[140:141], v[72:73]
	;; [unrolled: 2-line block ×32, first 2 shown]
	buffer_store_dword v70, v200, s[0:3], 0 offen
	buffer_store_dword v71, v200, s[0:3], 0 offen offset:4
	buffer_store_dword v72, v200, s[0:3], 0 offen offset:8
	;; [unrolled: 1-line block ×63, first 2 shown]
	s_cbranch_vccnz .LBB194_41
; %bb.42:                               ;   in Loop: Header=BB194_40 Depth=1
	s_add_i32 s6, s6, 1
	s_cmp_eq_u32 s6, 4
	s_cbranch_scc0 .LBB194_40
; %bb.43:
	s_clause 0x1
	buffer_load_dword v2, off, s[0:3], 0
	buffer_load_dword v3, off, s[0:3], 0 offset:4
	s_load_dword s13, s[4:5], 0x58
	v_add_nc_u32_e32 v71, s9, v1
	v_add_nc_u32_e32 v12, s8, v0
	v_cndmask_b32_e64 v0, 0, 1, s12
	v_mov_b32_e32 v8, 0
	v_mov_b32_e32 v9, 0
	v_ashrrev_i32_e32 v13, 31, v12
	v_cmp_ne_u32_e64 s6, 1, v0
	v_lshlrev_b64 v[0:1], 3, v[12:13]
	s_waitcnt lgkmcnt(0)
	v_mad_i64_i32 v[4:5], null, v71, s13, 0
	v_lshlrev_b64 v[6:7], 3, v[4:5]
	v_mov_b32_e32 v4, 0
	v_mov_b32_e32 v5, 0
	v_add_co_u32 v72, vcc_lo, s18, v6
	v_add_co_ci_u32_e64 v73, null, s19, v7, vcc_lo
	s_andn2_b32 vcc_lo, exec_lo, s12
	s_cbranch_vccnz .LBB194_45
; %bb.44:
	v_add_co_u32 v6, vcc_lo, v72, v0
	v_add_co_ci_u32_e64 v7, null, v73, v1, vcc_lo
	global_load_dwordx2 v[6:7], v[6:7], off
	s_waitcnt vmcnt(0)
	v_mul_f64 v[8:9], s[10:11], v[6:7]
.LBB194_45:
	s_clause 0x1
	buffer_load_dword v6, off, s[0:3], 0 offset:8
	buffer_load_dword v7, off, s[0:3], 0 offset:12
	s_clause 0x1
	s_load_dwordx2 s[8:9], s[4:5], 0x78
	s_load_dword s4, s[4:5], 0x70
	s_waitcnt vmcnt(2)
	v_add_f64 v[8:9], v[2:3], v[8:9]
	s_waitcnt lgkmcnt(0)
	s_mul_i32 s5, s9, s7
	v_mad_i64_i32 v[10:11], null, v71, s4, 0
	s_mul_hi_u32 s9, s8, s7
	s_mul_i32 s8, s8, s7
	s_add_i32 s9, s9, s5
	s_lshl_b64 s[8:9], s[8:9], 3
	v_lshlrev_b64 v[2:3], 3, v[10:11]
	v_add_nc_u32_e32 v10, 4, v12
	s_add_u32 s5, s14, s8
	s_addc_u32 s7, s15, s9
	v_ashrrev_i32_e32 v11, 31, v10
	v_add_co_u32 v74, vcc_lo, s5, v2
	v_add_co_ci_u32_e64 v75, null, s7, v3, vcc_lo
	v_lshlrev_b64 v[2:3], 3, v[10:11]
	v_add_co_u32 v13, vcc_lo, v74, v0
	v_add_co_ci_u32_e64 v14, null, v75, v1, vcc_lo
	s_and_b32 vcc_lo, exec_lo, s6
	global_store_dwordx2 v[13:14], v[8:9], off
	s_cbranch_vccnz .LBB194_47
; %bb.46:
	v_add_co_u32 v4, vcc_lo, v72, v2
	v_add_co_ci_u32_e64 v5, null, v73, v3, vcc_lo
	global_load_dwordx2 v[4:5], v[4:5], off
	s_waitcnt vmcnt(0)
	v_mul_f64 v[4:5], s[10:11], v[4:5]
.LBB194_47:
	s_clause 0x1
	buffer_load_dword v10, off, s[0:3], 0 offset:16
	buffer_load_dword v11, off, s[0:3], 0 offset:20
	s_waitcnt vmcnt(2)
	v_add_f64 v[13:14], v[6:7], v[4:5]
	v_add_nc_u32_e32 v4, 8, v12
	v_add_co_u32 v15, vcc_lo, v74, v2
	v_mov_b32_e32 v8, 0
	v_mov_b32_e32 v6, 0
	v_ashrrev_i32_e32 v5, 31, v4
	v_add_co_ci_u32_e64 v16, null, v75, v3, vcc_lo
	v_mov_b32_e32 v9, 0
	v_mov_b32_e32 v7, 0
	v_lshlrev_b64 v[4:5], 3, v[4:5]
	s_and_b32 vcc_lo, exec_lo, s6
	global_store_dwordx2 v[15:16], v[13:14], off
	s_cbranch_vccnz .LBB194_49
; %bb.48:
	v_add_co_u32 v6, vcc_lo, v72, v4
	v_add_co_ci_u32_e64 v7, null, v73, v5, vcc_lo
	global_load_dwordx2 v[6:7], v[6:7], off
	s_waitcnt vmcnt(0)
	v_mul_f64 v[6:7], s[10:11], v[6:7]
.LBB194_49:
	s_clause 0x1
	buffer_load_dword v13, off, s[0:3], 0 offset:24
	buffer_load_dword v14, off, s[0:3], 0 offset:28
	s_waitcnt vmcnt(2)
	v_add_f64 v[10:11], v[10:11], v[6:7]
	v_add_nc_u32_e32 v6, 12, v12
	v_add_co_u32 v15, vcc_lo, v74, v4
	v_add_co_ci_u32_e64 v16, null, v75, v5, vcc_lo
	v_ashrrev_i32_e32 v7, 31, v6
	s_and_b32 vcc_lo, exec_lo, s6
	v_lshlrev_b64 v[6:7], 3, v[6:7]
	global_store_dwordx2 v[15:16], v[10:11], off
	s_cbranch_vccnz .LBB194_51
; %bb.50:
	v_add_co_u32 v8, vcc_lo, v72, v6
	v_add_co_ci_u32_e64 v9, null, v73, v7, vcc_lo
	global_load_dwordx2 v[8:9], v[8:9], off
	s_waitcnt vmcnt(0)
	v_mul_f64 v[8:9], s[10:11], v[8:9]
.LBB194_51:
	s_clause 0x1
	buffer_load_dword v10, off, s[0:3], 0 offset:32
	buffer_load_dword v11, off, s[0:3], 0 offset:36
	s_waitcnt vmcnt(2)
	v_add_f64 v[17:18], v[13:14], v[8:9]
	v_add_nc_u32_e32 v8, 16, v12
	v_add_co_u32 v19, vcc_lo, v74, v6
	v_mov_b32_e32 v13, 0
	v_mov_b32_e32 v15, 0
	v_ashrrev_i32_e32 v9, 31, v8
	v_add_co_ci_u32_e64 v20, null, v75, v7, vcc_lo
	v_mov_b32_e32 v14, 0
	v_mov_b32_e32 v16, 0
	v_lshlrev_b64 v[8:9], 3, v[8:9]
	s_and_b32 vcc_lo, exec_lo, s6
	global_store_dwordx2 v[19:20], v[17:18], off
	s_cbranch_vccnz .LBB194_53
; %bb.52:
	v_add_co_u32 v15, vcc_lo, v72, v8
	v_add_co_ci_u32_e64 v16, null, v73, v9, vcc_lo
	global_load_dwordx2 v[15:16], v[15:16], off
	s_waitcnt vmcnt(0)
	v_mul_f64 v[15:16], s[10:11], v[15:16]
.LBB194_53:
	s_clause 0x1
	buffer_load_dword v17, off, s[0:3], 0 offset:40
	buffer_load_dword v18, off, s[0:3], 0 offset:44
	s_waitcnt vmcnt(2)
	v_add_f64 v[15:16], v[10:11], v[15:16]
	v_add_nc_u32_e32 v10, 20, v12
	v_add_co_u32 v19, vcc_lo, v74, v8
	v_add_co_ci_u32_e64 v20, null, v75, v9, vcc_lo
	v_ashrrev_i32_e32 v11, 31, v10
	s_and_b32 vcc_lo, exec_lo, s6
	v_lshlrev_b64 v[10:11], 3, v[10:11]
	;; [unrolled: 44-line block ×15, first 2 shown]
	global_store_dwordx2 v[76:77], v[67:68], off
	s_cbranch_vccnz .LBB194_107
; %bb.106:
	v_add_co_u32 v65, vcc_lo, v72, v63
	v_add_co_ci_u32_e64 v66, null, v73, v64, vcc_lo
	global_load_dwordx2 v[65:66], v[65:66], off
	s_waitcnt vmcnt(0)
	v_mul_f64 v[65:66], s[10:11], v[65:66]
.LBB194_107:
	s_clause 0x1
	buffer_load_dword v67, off, s[0:3], 0 offset:256
	buffer_load_dword v68, off, s[0:3], 0 offset:260
	v_add_nc_u32_e32 v76, 64, v71
	s_waitcnt vmcnt(2)
	v_add_f64 v[69:70], v[69:70], v[65:66]
	v_add_co_u32 v74, vcc_lo, v74, v63
	v_add_co_ci_u32_e64 v75, null, v75, v64, vcc_lo
	v_mad_i64_i32 v[65:66], null, v76, s13, 0
	v_mov_b32_e32 v71, 0
	v_mov_b32_e32 v72, 0
	v_lshlrev_b64 v[77:78], 3, v[65:66]
	v_mov_b32_e32 v65, 0
	v_mov_b32_e32 v66, 0
	v_add_co_u32 v12, vcc_lo, s18, v77
	v_add_co_ci_u32_e64 v73, null, s19, v78, vcc_lo
	s_and_b32 vcc_lo, exec_lo, s6
	global_store_dwordx2 v[74:75], v[69:70], off
	s_cbranch_vccnz .LBB194_109
; %bb.108:
	v_add_co_u32 v69, vcc_lo, v12, v0
	v_add_co_ci_u32_e64 v70, null, v73, v1, vcc_lo
	global_load_dwordx2 v[69:70], v[69:70], off
	s_waitcnt vmcnt(0)
	v_mul_f64 v[71:72], s[10:11], v[69:70]
.LBB194_109:
	s_clause 0x1
	buffer_load_dword v69, off, s[0:3], 0 offset:264
	buffer_load_dword v70, off, s[0:3], 0 offset:268
	v_mad_i64_i32 v[74:75], null, v76, s4, 0
	s_waitcnt vmcnt(2)
	v_add_f64 v[67:68], v[67:68], v[71:72]
	v_lshlrev_b64 v[71:72], 3, v[74:75]
	v_add_co_u32 v71, vcc_lo, s5, v71
	v_add_co_ci_u32_e64 v72, null, s7, v72, vcc_lo
	v_add_co_u32 v0, vcc_lo, v71, v0
	v_add_co_ci_u32_e64 v1, null, v72, v1, vcc_lo
	s_and_b32 vcc_lo, exec_lo, s6
	global_store_dwordx2 v[0:1], v[67:68], off
	s_cbranch_vccnz .LBB194_111
; %bb.110:
	v_add_co_u32 v0, vcc_lo, v12, v2
	v_add_co_ci_u32_e64 v1, null, v73, v3, vcc_lo
	global_load_dwordx2 v[0:1], v[0:1], off
	s_waitcnt vmcnt(0)
	v_mul_f64 v[65:66], s[10:11], v[0:1]
.LBB194_111:
	s_clause 0x1
	buffer_load_dword v67, off, s[0:3], 0 offset:272
	buffer_load_dword v68, off, s[0:3], 0 offset:276
	s_waitcnt vmcnt(2)
	v_add_f64 v[65:66], v[69:70], v[65:66]
	v_add_co_u32 v69, vcc_lo, v71, v2
	v_add_co_ci_u32_e64 v70, null, v72, v3, vcc_lo
	v_mov_b32_e32 v0, 0
	v_mov_b32_e32 v2, 0
	;; [unrolled: 1-line block ×4, first 2 shown]
	s_and_b32 vcc_lo, exec_lo, s6
	global_store_dwordx2 v[69:70], v[65:66], off
	s_cbranch_vccnz .LBB194_113
; %bb.112:
	v_add_co_u32 v2, vcc_lo, v12, v4
	v_add_co_ci_u32_e64 v3, null, v73, v5, vcc_lo
	global_load_dwordx2 v[2:3], v[2:3], off
	s_waitcnt vmcnt(0)
	v_mul_f64 v[2:3], s[10:11], v[2:3]
.LBB194_113:
	s_clause 0x1
	buffer_load_dword v65, off, s[0:3], 0 offset:280
	buffer_load_dword v66, off, s[0:3], 0 offset:284
	s_waitcnt vmcnt(2)
	v_add_f64 v[2:3], v[67:68], v[2:3]
	v_add_co_u32 v4, vcc_lo, v71, v4
	v_add_co_ci_u32_e64 v5, null, v72, v5, vcc_lo
	s_and_b32 vcc_lo, exec_lo, s6
	global_store_dwordx2 v[4:5], v[2:3], off
	s_cbranch_vccnz .LBB194_115
; %bb.114:
	v_add_co_u32 v0, vcc_lo, v12, v6
	v_add_co_ci_u32_e64 v1, null, v73, v7, vcc_lo
	global_load_dwordx2 v[0:1], v[0:1], off
	s_waitcnt vmcnt(0)
	v_mul_f64 v[0:1], s[10:11], v[0:1]
.LBB194_115:
	s_clause 0x1
	buffer_load_dword v2, off, s[0:3], 0 offset:288
	buffer_load_dword v3, off, s[0:3], 0 offset:292
	s_waitcnt vmcnt(2)
	v_add_f64 v[4:5], v[65:66], v[0:1]
	v_add_co_u32 v65, vcc_lo, v71, v6
	v_add_co_ci_u32_e64 v66, null, v72, v7, vcc_lo
	v_mov_b32_e32 v0, 0
	v_mov_b32_e32 v6, 0
	;; [unrolled: 1-line block ×4, first 2 shown]
	s_and_b32 vcc_lo, exec_lo, s6
	global_store_dwordx2 v[65:66], v[4:5], off
	s_cbranch_vccnz .LBB194_117
; %bb.116:
	v_add_co_u32 v4, vcc_lo, v12, v8
	v_add_co_ci_u32_e64 v5, null, v73, v9, vcc_lo
	global_load_dwordx2 v[4:5], v[4:5], off
	s_waitcnt vmcnt(0)
	v_mul_f64 v[6:7], s[10:11], v[4:5]
.LBB194_117:
	s_clause 0x1
	buffer_load_dword v4, off, s[0:3], 0 offset:296
	buffer_load_dword v5, off, s[0:3], 0 offset:300
	s_waitcnt vmcnt(2)
	v_add_f64 v[2:3], v[2:3], v[6:7]
	v_add_co_u32 v6, vcc_lo, v71, v8
	v_add_co_ci_u32_e64 v7, null, v72, v9, vcc_lo
	s_and_b32 vcc_lo, exec_lo, s6
	global_store_dwordx2 v[6:7], v[2:3], off
	s_cbranch_vccnz .LBB194_119
; %bb.118:
	v_add_co_u32 v0, vcc_lo, v12, v10
	v_add_co_ci_u32_e64 v1, null, v73, v11, vcc_lo
	global_load_dwordx2 v[0:1], v[0:1], off
	s_waitcnt vmcnt(0)
	v_mul_f64 v[0:1], s[10:11], v[0:1]
.LBB194_119:
	s_clause 0x1
	buffer_load_dword v2, off, s[0:3], 0 offset:304
	buffer_load_dword v3, off, s[0:3], 0 offset:308
	s_waitcnt vmcnt(2)
	v_add_f64 v[4:5], v[4:5], v[0:1]
	v_add_co_u32 v8, vcc_lo, v71, v10
	v_mov_b32_e32 v0, 0
	v_mov_b32_e32 v6, 0
	v_add_co_ci_u32_e64 v9, null, v72, v11, vcc_lo
	v_mov_b32_e32 v1, 0
	v_mov_b32_e32 v7, 0
	s_and_b32 vcc_lo, exec_lo, s6
	global_store_dwordx2 v[8:9], v[4:5], off
	s_cbranch_vccnz .LBB194_121
; %bb.120:
	v_add_co_u32 v4, vcc_lo, v12, v13
	v_add_co_ci_u32_e64 v5, null, v73, v14, vcc_lo
	global_load_dwordx2 v[4:5], v[4:5], off
	s_waitcnt vmcnt(0)
	v_mul_f64 v[6:7], s[10:11], v[4:5]
.LBB194_121:
	s_clause 0x1
	buffer_load_dword v4, off, s[0:3], 0 offset:312
	buffer_load_dword v5, off, s[0:3], 0 offset:316
	s_waitcnt vmcnt(2)
	v_add_f64 v[2:3], v[2:3], v[6:7]
	v_add_co_u32 v6, vcc_lo, v71, v13
	v_add_co_ci_u32_e64 v7, null, v72, v14, vcc_lo
	s_and_b32 vcc_lo, exec_lo, s6
	global_store_dwordx2 v[6:7], v[2:3], off
	s_cbranch_vccnz .LBB194_123
; %bb.122:
	v_add_co_u32 v0, vcc_lo, v12, v15
	v_add_co_ci_u32_e64 v1, null, v73, v16, vcc_lo
	global_load_dwordx2 v[0:1], v[0:1], off
	s_waitcnt vmcnt(0)
	v_mul_f64 v[0:1], s[10:11], v[0:1]
.LBB194_123:
	s_clause 0x1
	buffer_load_dword v2, off, s[0:3], 0 offset:320
	buffer_load_dword v3, off, s[0:3], 0 offset:324
	s_waitcnt vmcnt(2)
	v_add_f64 v[4:5], v[4:5], v[0:1]
	v_add_co_u32 v8, vcc_lo, v71, v15
	v_mov_b32_e32 v0, 0
	v_mov_b32_e32 v6, 0
	v_add_co_ci_u32_e64 v9, null, v72, v16, vcc_lo
	v_mov_b32_e32 v1, 0
	v_mov_b32_e32 v7, 0
	;; [unrolled: 38-line block ×13, first 2 shown]
	s_and_b32 vcc_lo, exec_lo, s6
	global_store_dwordx2 v[8:9], v[4:5], off
	s_cbranch_vccnz .LBB194_169
; %bb.168:
	v_add_co_u32 v4, vcc_lo, v12, v61
	v_add_co_ci_u32_e64 v5, null, v73, v62, vcc_lo
	global_load_dwordx2 v[4:5], v[4:5], off
	s_waitcnt vmcnt(0)
	v_mul_f64 v[6:7], s[10:11], v[4:5]
.LBB194_169:
	s_clause 0x1
	buffer_load_dword v4, off, s[0:3], 0 offset:504
	buffer_load_dword v5, off, s[0:3], 0 offset:508
	s_waitcnt vmcnt(2)
	v_add_f64 v[2:3], v[2:3], v[6:7]
	v_add_co_u32 v6, vcc_lo, v71, v61
	v_add_co_ci_u32_e64 v7, null, v72, v62, vcc_lo
	s_and_b32 vcc_lo, exec_lo, s6
	global_store_dwordx2 v[6:7], v[2:3], off
	s_cbranch_vccnz .LBB194_171
; %bb.170:
	v_add_co_u32 v0, vcc_lo, v12, v63
	v_add_co_ci_u32_e64 v1, null, v73, v64, vcc_lo
	global_load_dwordx2 v[0:1], v[0:1], off
	s_waitcnt vmcnt(0)
	v_mul_f64 v[0:1], s[10:11], v[0:1]
.LBB194_171:
	s_waitcnt vmcnt(0)
	v_add_f64 v[0:1], v[4:5], v[0:1]
	v_add_co_u32 v2, vcc_lo, v71, v63
	v_add_co_ci_u32_e64 v3, null, v72, v64, vcc_lo
	global_store_dwordx2 v[2:3], v[0:1], off
	s_endpgm
	.section	.rodata,"a",@progbits
	.p2align	6, 0x0
	.amdhsa_kernel _ZN12_GLOBAL__N_120geam_min_plus_kernelIdddLi4ELi64ELi128ELi128ELi4ELi64ELi4ELi64ELi4ELc78ELc84ELb0ELb0ELb0EdKddEEviiiT16_PT17_ilS4_ilS2_S4_ilPT18_ili26rocblas_geam_ex_operation_
		.amdhsa_group_segment_fixed_size 16384
		.amdhsa_private_segment_fixed_size 528
		.amdhsa_kernarg_size 136
		.amdhsa_user_sgpr_count 6
		.amdhsa_user_sgpr_private_segment_buffer 1
		.amdhsa_user_sgpr_dispatch_ptr 0
		.amdhsa_user_sgpr_queue_ptr 0
		.amdhsa_user_sgpr_kernarg_segment_ptr 1
		.amdhsa_user_sgpr_dispatch_id 0
		.amdhsa_user_sgpr_flat_scratch_init 0
		.amdhsa_user_sgpr_private_segment_size 0
		.amdhsa_wavefront_size32 1
		.amdhsa_uses_dynamic_stack 0
		.amdhsa_system_sgpr_private_segment_wavefront_offset 1
		.amdhsa_system_sgpr_workgroup_id_x 1
		.amdhsa_system_sgpr_workgroup_id_y 0
		.amdhsa_system_sgpr_workgroup_id_z 1
		.amdhsa_system_sgpr_workgroup_info 0
		.amdhsa_system_vgpr_workitem_id 1
		.amdhsa_next_free_vgpr 223
		.amdhsa_next_free_sgpr 31
		.amdhsa_reserve_vcc 1
		.amdhsa_reserve_flat_scratch 0
		.amdhsa_float_round_mode_32 0
		.amdhsa_float_round_mode_16_64 0
		.amdhsa_float_denorm_mode_32 3
		.amdhsa_float_denorm_mode_16_64 3
		.amdhsa_dx10_clamp 1
		.amdhsa_ieee_mode 1
		.amdhsa_fp16_overflow 0
		.amdhsa_workgroup_processor_mode 1
		.amdhsa_memory_ordered 1
		.amdhsa_forward_progress 1
		.amdhsa_shared_vgpr_count 0
		.amdhsa_exception_fp_ieee_invalid_op 0
		.amdhsa_exception_fp_denorm_src 0
		.amdhsa_exception_fp_ieee_div_zero 0
		.amdhsa_exception_fp_ieee_overflow 0
		.amdhsa_exception_fp_ieee_underflow 0
		.amdhsa_exception_fp_ieee_inexact 0
		.amdhsa_exception_int_div_zero 0
	.end_amdhsa_kernel
	.section	.text._ZN12_GLOBAL__N_120geam_min_plus_kernelIdddLi4ELi64ELi128ELi128ELi4ELi64ELi4ELi64ELi4ELc78ELc84ELb0ELb0ELb0EdKddEEviiiT16_PT17_ilS4_ilS2_S4_ilPT18_ili26rocblas_geam_ex_operation_,"axG",@progbits,_ZN12_GLOBAL__N_120geam_min_plus_kernelIdddLi4ELi64ELi128ELi128ELi4ELi64ELi4ELi64ELi4ELc78ELc84ELb0ELb0ELb0EdKddEEviiiT16_PT17_ilS4_ilS2_S4_ilPT18_ili26rocblas_geam_ex_operation_,comdat
.Lfunc_end194:
	.size	_ZN12_GLOBAL__N_120geam_min_plus_kernelIdddLi4ELi64ELi128ELi128ELi4ELi64ELi4ELi64ELi4ELc78ELc84ELb0ELb0ELb0EdKddEEviiiT16_PT17_ilS4_ilS2_S4_ilPT18_ili26rocblas_geam_ex_operation_, .Lfunc_end194-_ZN12_GLOBAL__N_120geam_min_plus_kernelIdddLi4ELi64ELi128ELi128ELi4ELi64ELi4ELi64ELi4ELc78ELc84ELb0ELb0ELb0EdKddEEviiiT16_PT17_ilS4_ilS2_S4_ilPT18_ili26rocblas_geam_ex_operation_
                                        ; -- End function
	.set _ZN12_GLOBAL__N_120geam_min_plus_kernelIdddLi4ELi64ELi128ELi128ELi4ELi64ELi4ELi64ELi4ELc78ELc84ELb0ELb0ELb0EdKddEEviiiT16_PT17_ilS4_ilS2_S4_ilPT18_ili26rocblas_geam_ex_operation_.num_vgpr, 223
	.set _ZN12_GLOBAL__N_120geam_min_plus_kernelIdddLi4ELi64ELi128ELi128ELi4ELi64ELi4ELi64ELi4ELc78ELc84ELb0ELb0ELb0EdKddEEviiiT16_PT17_ilS4_ilS2_S4_ilPT18_ili26rocblas_geam_ex_operation_.num_agpr, 0
	.set _ZN12_GLOBAL__N_120geam_min_plus_kernelIdddLi4ELi64ELi128ELi128ELi4ELi64ELi4ELi64ELi4ELc78ELc84ELb0ELb0ELb0EdKddEEviiiT16_PT17_ilS4_ilS2_S4_ilPT18_ili26rocblas_geam_ex_operation_.numbered_sgpr, 31
	.set _ZN12_GLOBAL__N_120geam_min_plus_kernelIdddLi4ELi64ELi128ELi128ELi4ELi64ELi4ELi64ELi4ELc78ELc84ELb0ELb0ELb0EdKddEEviiiT16_PT17_ilS4_ilS2_S4_ilPT18_ili26rocblas_geam_ex_operation_.num_named_barrier, 0
	.set _ZN12_GLOBAL__N_120geam_min_plus_kernelIdddLi4ELi64ELi128ELi128ELi4ELi64ELi4ELi64ELi4ELc78ELc84ELb0ELb0ELb0EdKddEEviiiT16_PT17_ilS4_ilS2_S4_ilPT18_ili26rocblas_geam_ex_operation_.private_seg_size, 528
	.set _ZN12_GLOBAL__N_120geam_min_plus_kernelIdddLi4ELi64ELi128ELi128ELi4ELi64ELi4ELi64ELi4ELc78ELc84ELb0ELb0ELb0EdKddEEviiiT16_PT17_ilS4_ilS2_S4_ilPT18_ili26rocblas_geam_ex_operation_.uses_vcc, 1
	.set _ZN12_GLOBAL__N_120geam_min_plus_kernelIdddLi4ELi64ELi128ELi128ELi4ELi64ELi4ELi64ELi4ELc78ELc84ELb0ELb0ELb0EdKddEEviiiT16_PT17_ilS4_ilS2_S4_ilPT18_ili26rocblas_geam_ex_operation_.uses_flat_scratch, 0
	.set _ZN12_GLOBAL__N_120geam_min_plus_kernelIdddLi4ELi64ELi128ELi128ELi4ELi64ELi4ELi64ELi4ELc78ELc84ELb0ELb0ELb0EdKddEEviiiT16_PT17_ilS4_ilS2_S4_ilPT18_ili26rocblas_geam_ex_operation_.has_dyn_sized_stack, 0
	.set _ZN12_GLOBAL__N_120geam_min_plus_kernelIdddLi4ELi64ELi128ELi128ELi4ELi64ELi4ELi64ELi4ELc78ELc84ELb0ELb0ELb0EdKddEEviiiT16_PT17_ilS4_ilS2_S4_ilPT18_ili26rocblas_geam_ex_operation_.has_recursion, 0
	.set _ZN12_GLOBAL__N_120geam_min_plus_kernelIdddLi4ELi64ELi128ELi128ELi4ELi64ELi4ELi64ELi4ELc78ELc84ELb0ELb0ELb0EdKddEEviiiT16_PT17_ilS4_ilS2_S4_ilPT18_ili26rocblas_geam_ex_operation_.has_indirect_call, 0
	.section	.AMDGPU.csdata,"",@progbits
; Kernel info:
; codeLenInByte = 19180
; TotalNumSgprs: 33
; NumVgprs: 223
; ScratchSize: 528
; MemoryBound: 1
; FloatMode: 240
; IeeeMode: 1
; LDSByteSize: 16384 bytes/workgroup (compile time only)
; SGPRBlocks: 0
; VGPRBlocks: 27
; NumSGPRsForWavesPerEU: 33
; NumVGPRsForWavesPerEU: 223
; Occupancy: 4
; WaveLimiterHint : 1
; COMPUTE_PGM_RSRC2:SCRATCH_EN: 1
; COMPUTE_PGM_RSRC2:USER_SGPR: 6
; COMPUTE_PGM_RSRC2:TRAP_HANDLER: 0
; COMPUTE_PGM_RSRC2:TGID_X_EN: 1
; COMPUTE_PGM_RSRC2:TGID_Y_EN: 0
; COMPUTE_PGM_RSRC2:TGID_Z_EN: 1
; COMPUTE_PGM_RSRC2:TIDIG_COMP_CNT: 1
	.section	.text._ZN12_GLOBAL__N_120geam_min_plus_kernelIdddLi4ELi64ELi128ELi128ELi4ELi64ELi4ELi64ELi4ELc78ELc84ELb0ELb1ELb0EPKdS1_dEEviiiT16_PT17_ilS5_ilS3_S5_ilPT18_ili26rocblas_geam_ex_operation_,"axG",@progbits,_ZN12_GLOBAL__N_120geam_min_plus_kernelIdddLi4ELi64ELi128ELi128ELi4ELi64ELi4ELi64ELi4ELc78ELc84ELb0ELb1ELb0EPKdS1_dEEviiiT16_PT17_ilS5_ilS3_S5_ilPT18_ili26rocblas_geam_ex_operation_,comdat
	.globl	_ZN12_GLOBAL__N_120geam_min_plus_kernelIdddLi4ELi64ELi128ELi128ELi4ELi64ELi4ELi64ELi4ELc78ELc84ELb0ELb1ELb0EPKdS1_dEEviiiT16_PT17_ilS5_ilS3_S5_ilPT18_ili26rocblas_geam_ex_operation_ ; -- Begin function _ZN12_GLOBAL__N_120geam_min_plus_kernelIdddLi4ELi64ELi128ELi128ELi4ELi64ELi4ELi64ELi4ELc78ELc84ELb0ELb1ELb0EPKdS1_dEEviiiT16_PT17_ilS5_ilS3_S5_ilPT18_ili26rocblas_geam_ex_operation_
	.p2align	8
	.type	_ZN12_GLOBAL__N_120geam_min_plus_kernelIdddLi4ELi64ELi128ELi128ELi4ELi64ELi4ELi64ELi4ELc78ELc84ELb0ELb1ELb0EPKdS1_dEEviiiT16_PT17_ilS5_ilS3_S5_ilPT18_ili26rocblas_geam_ex_operation_,@function
_ZN12_GLOBAL__N_120geam_min_plus_kernelIdddLi4ELi64ELi128ELi128ELi4ELi64ELi4ELi64ELi4ELc78ELc84ELb0ELb1ELb0EPKdS1_dEEviiiT16_PT17_ilS5_ilS3_S5_ilPT18_ili26rocblas_geam_ex_operation_: ; @_ZN12_GLOBAL__N_120geam_min_plus_kernelIdddLi4ELi64ELi128ELi128ELi4ELi64ELi4ELi64ELi4ELc78ELc84ELb0ELb1ELb0EPKdS1_dEEviiiT16_PT17_ilS5_ilS3_S5_ilPT18_ili26rocblas_geam_ex_operation_
; %bb.0:
	s_load_dwordx4 s[16:19], s[4:5], 0x10
	s_mov_b32 s20, s7
	s_mov_b32 s21, 0
	s_add_u32 s0, s0, s8
	s_addc_u32 s1, s1, 0
	s_lshl_b64 s[22:23], s[20:21], 3
	s_clause 0x1
	s_load_dwordx4 s[8:11], s[4:5], 0x28
	s_load_dwordx2 s[26:27], s[4:5], 0x50
	s_mov_b64 s[24:25], 0
	s_waitcnt lgkmcnt(0)
	s_add_u32 s12, s16, s22
	s_addc_u32 s13, s17, s23
	s_load_dwordx2 s[16:17], s[12:13], 0x0
	s_load_dwordx4 s[12:15], s[4:5], 0x40
	s_waitcnt lgkmcnt(0)
	v_cmp_eq_f64_e64 s21, s[16:17], 0
	v_cmp_neq_f64_e64 s7, s[16:17], 0
	s_add_u32 s14, s14, s22
	s_addc_u32 s15, s15, s23
	s_mov_b64 s[22:23], 0
	s_and_b32 vcc_lo, exec_lo, s21
	s_cbranch_vccnz .LBB195_2
; %bb.1:
	s_mul_i32 s9, s9, s20
	s_mul_hi_u32 s21, s8, s20
	s_mul_i32 s8, s8, s20
	s_add_i32 s9, s21, s9
	s_lshl_b64 s[8:9], s[8:9], 3
	s_add_u32 s24, s18, s8
	s_addc_u32 s25, s19, s9
.LBB195_2:
	s_load_dwordx2 s[38:39], s[14:15], 0x0
	s_andn2_b32 vcc_lo, exec_lo, s7
	s_cbranch_vccnz .LBB195_4
; %bb.3:
	s_mul_i32 s7, s13, s20
	s_mul_hi_u32 s8, s12, s20
	s_add_i32 s9, s8, s7
	s_mul_i32 s8, s12, s20
	s_lshl_b64 s[8:9], s[8:9], 3
	s_add_u32 s22, s10, s8
	s_addc_u32 s23, s11, s9
.LBB195_4:
	s_waitcnt lgkmcnt(0)
	v_cmp_eq_f64_e64 s7, s[38:39], 0
	v_cmp_neq_f64_e64 s46, s[38:39], 0
	s_load_dwordx4 s[12:15], s[4:5], 0x60
	s_mov_b64 s[44:45], 0
	s_and_b32 vcc_lo, exec_lo, s7
	s_cbranch_vccnz .LBB195_6
; %bb.5:
	s_waitcnt lgkmcnt(0)
	s_mul_i32 s7, s13, s20
	s_mul_hi_u32 s8, s12, s20
	s_add_i32 s9, s8, s7
	s_mul_i32 s8, s12, s20
	s_lshl_b64 s[8:9], s[8:9], 3
	s_add_u32 s44, s26, s8
	s_addc_u32 s45, s27, s9
.LBB195_6:
	s_clause 0x1
	s_load_dwordx4 s[40:43], s[4:5], 0x0
	s_load_dword s18, s[4:5], 0x20
	v_lshl_add_u32 v2, v1, 2, v0
	v_cmp_eq_f64_e64 s21, s[16:17], 0
	v_mov_b32_e32 v11, 0
	buffer_store_dword v11, off, s[0:3], 0 offset:4
	buffer_store_dword v11, off, s[0:3], 0
	buffer_store_dword v11, off, s[0:3], 0 offset:12
	buffer_store_dword v11, off, s[0:3], 0 offset:8
	;; [unrolled: 1-line block ×12, first 2 shown]
	v_and_b32_e32 v22, 63, v2
	v_lshrrev_b32_e32 v82, 6, v2
	buffer_store_dword v11, off, s[0:3], 0 offset:60
	buffer_store_dword v11, off, s[0:3], 0 offset:56
	;; [unrolled: 1-line block ×19, first 2 shown]
	s_waitcnt lgkmcnt(0)
	s_add_i32 s7, s40, -1
	v_cmp_le_i32_e32 vcc_lo, s42, v82
	s_ashr_i32 s8, s7, 31
	buffer_store_dword v11, off, s[0:3], 0 offset:128
	buffer_store_dword v11, off, s[0:3], 0 offset:140
	;; [unrolled: 1-line block ×4, first 2 shown]
	s_lshr_b32 s8, s8, 25
	buffer_store_dword v11, off, s[0:3], 0 offset:144
	buffer_store_dword v11, off, s[0:3], 0 offset:156
	;; [unrolled: 1-line block ×4, first 2 shown]
	s_add_i32 s7, s7, s8
	buffer_store_dword v11, off, s[0:3], 0 offset:160
	buffer_store_dword v11, off, s[0:3], 0 offset:172
	s_ashr_i32 s7, s7, 7
	buffer_store_dword v11, off, s[0:3], 0 offset:168
	s_add_i32 s8, s7, 1
	s_not_b32 s7, s7
	v_cvt_f32_u32_e32 v2, s8
	buffer_store_dword v11, off, s[0:3], 0 offset:180
	buffer_store_dword v11, off, s[0:3], 0 offset:176
	;; [unrolled: 1-line block ×4, first 2 shown]
	v_rcp_iflag_f32_e32 v2, v2
	buffer_store_dword v11, off, s[0:3], 0 offset:196
	buffer_store_dword v11, off, s[0:3], 0 offset:192
	;; [unrolled: 1-line block ×71, first 2 shown]
	v_mul_f32_e32 v2, 0x4f7ffffe, v2
	buffer_store_dword v11, off, s[0:3], 0 offset:472
	buffer_store_dword v11, off, s[0:3], 0 offset:484
	;; [unrolled: 1-line block ×9, first 2 shown]
	v_cvt_u32_f32_e32 v2, v2
	v_readfirstlane_b32 s9, v2
	s_mul_i32 s7, s7, s9
	s_mul_hi_u32 s7, s9, s7
	s_add_i32 s9, s9, s7
	s_mul_hi_u32 s7, s6, s9
	s_mul_i32 s9, s7, s8
	s_add_i32 s10, s7, 1
	s_sub_i32 s9, s6, s9
	s_sub_i32 s11, s9, s8
	s_cmp_ge_u32 s9, s8
	s_cselect_b32 s7, s10, s7
	s_cselect_b32 s9, s11, s9
	s_add_i32 s10, s7, 1
	s_cmp_ge_u32 s9, s8
	s_cselect_b32 s9, s10, s7
	s_add_i32 s19, s42, -1
	s_mul_i32 s7, s9, s8
	v_min_i32_e32 v8, s19, v82
	s_sub_i32 s6, s6, s7
	s_lshl_b32 s11, s6, 7
	v_mad_i64_i32 v[2:3], null, s18, v8, 0
	v_or_b32_e32 v6, s11, v22
	v_cmp_le_i32_e64 s6, s40, v6
	v_lshlrev_b64 v[4:5], 3, v[2:3]
	v_mov_b32_e32 v2, 0
	v_mov_b32_e32 v3, 0
	v_ashrrev_i32_e32 v7, 31, v6
	v_add_co_u32 v9, s7, s24, v4
	v_add_co_ci_u32_e64 v10, null, s25, v5, s7
	v_mov_b32_e32 v4, 0
	v_mov_b32_e32 v5, 0
	s_or_b32 s7, s6, vcc_lo
	s_nor_b32 s7, s21, s7
	s_and_saveexec_b32 s8, s7
	s_cbranch_execz .LBB195_8
; %bb.7:
	v_lshlrev_b64 v[4:5], 3, v[6:7]
	v_add_co_u32 v4, s7, v9, v4
	v_add_co_ci_u32_e64 v5, null, v10, v5, s7
	global_load_dwordx2 v[4:5], v[4:5], off
	s_waitcnt vmcnt(0)
	v_mul_f64 v[4:5], s[16:17], v[4:5]
.LBB195_8:
	s_or_b32 exec_lo, exec_lo, s8
	v_or_b32_e32 v11, 64, v6
	v_cmp_le_i32_e64 s7, s40, v11
	s_or_b32 s8, s7, vcc_lo
	s_nor_b32 s8, s21, s8
	s_and_saveexec_b32 s10, s8
	s_cbranch_execz .LBB195_10
; %bb.9:
	v_lshlrev_b64 v[2:3], 3, v[6:7]
	v_add_co_u32 v2, s8, v9, v2
	v_add_co_ci_u32_e64 v3, null, v10, v3, s8
	global_load_dwordx2 v[2:3], v[2:3], off offset:512
	s_waitcnt vmcnt(0)
	v_mul_f64 v[2:3], s[16:17], v[2:3]
.LBB195_10:
	s_or_b32 exec_lo, exec_lo, s10
	s_load_dword s26, s[4:5], 0x38
	s_lshl_b32 s12, s9, 7
	v_mov_b32_e32 v18, 0
	v_mov_b32_e32 v20, 0
	;; [unrolled: 1-line block ×4, first 2 shown]
	s_waitcnt lgkmcnt(0)
	v_mad_i64_i32 v[9:10], null, s26, v8, 0
	v_or_b32_e32 v8, s12, v22
	v_cmp_le_i32_e64 s8, s41, v8
	v_lshlrev_b64 v[10:11], 3, v[9:10]
	v_ashrrev_i32_e32 v9, 31, v8
	v_add_co_u32 v10, s9, s22, v10
	v_add_co_ci_u32_e64 v11, null, s23, v11, s9
	s_or_b32 s9, s8, vcc_lo
	s_nor_b32 s9, s21, s9
	s_and_saveexec_b32 s10, s9
	s_cbranch_execz .LBB195_12
; %bb.11:
	v_lshlrev_b64 v[12:13], 3, v[8:9]
	v_add_co_u32 v12, s9, v10, v12
	v_add_co_ci_u32_e64 v13, null, v11, v13, s9
	global_load_dwordx2 v[12:13], v[12:13], off
	s_waitcnt vmcnt(0)
	v_mul_f64 v[20:21], s[16:17], v[12:13]
.LBB195_12:
	s_or_b32 exec_lo, exec_lo, s10
	v_or_b32_e32 v12, 64, v8
	v_cmp_le_i32_e64 s9, s41, v12
	s_or_b32 s10, s9, vcc_lo
	s_nor_b32 s13, s21, s10
	s_and_saveexec_b32 s10, s13
	s_cbranch_execz .LBB195_14
; %bb.13:
	v_lshlrev_b64 v[12:13], 3, v[8:9]
	v_add_co_u32 v10, vcc_lo, v10, v12
	v_add_co_ci_u32_e64 v11, null, v11, v13, vcc_lo
	global_load_dwordx2 v[10:11], v[10:11], off offset:512
	s_waitcnt vmcnt(0)
	v_mul_f64 v[18:19], s[16:17], v[10:11]
.LBB195_14:
	s_or_b32 exec_lo, exec_lo, s10
	v_add_nc_u32_e32 v17, 4, v82
	v_mov_b32_e32 v12, 0
	v_mov_b32_e32 v13, 0
	v_min_i32_e32 v14, s19, v17
	v_cmp_le_i32_e32 vcc_lo, s42, v17
	v_mad_i64_i32 v[10:11], null, s18, v14, 0
	v_lshlrev_b64 v[15:16], 3, v[10:11]
	v_mov_b32_e32 v10, 0
	v_mov_b32_e32 v11, 0
	v_add_co_u32 v15, s10, s24, v15
	v_add_co_ci_u32_e64 v16, null, s25, v16, s10
	s_or_b32 s10, s6, vcc_lo
	s_nor_b32 s10, s21, s10
	s_and_saveexec_b32 s13, s10
	s_cbranch_execz .LBB195_16
; %bb.15:
	v_lshlrev_b64 v[12:13], 3, v[6:7]
	v_add_co_u32 v12, s10, v15, v12
	v_add_co_ci_u32_e64 v13, null, v16, v13, s10
	global_load_dwordx2 v[12:13], v[12:13], off
	s_waitcnt vmcnt(0)
	v_mul_f64 v[12:13], s[16:17], v[12:13]
.LBB195_16:
	s_or_b32 exec_lo, exec_lo, s13
	s_or_b32 s10, s7, vcc_lo
	s_nor_b32 s10, s21, s10
	s_and_saveexec_b32 s13, s10
	s_cbranch_execz .LBB195_18
; %bb.17:
	v_lshlrev_b64 v[10:11], 3, v[6:7]
	v_add_co_u32 v10, s10, v15, v10
	v_add_co_ci_u32_e64 v11, null, v16, v11, s10
	global_load_dwordx2 v[10:11], v[10:11], off offset:512
	s_waitcnt vmcnt(0)
	v_mul_f64 v[10:11], s[16:17], v[10:11]
.LBB195_18:
	s_or_b32 exec_lo, exec_lo, s13
	v_mad_i64_i32 v[14:15], null, s26, v14, 0
	v_mov_b32_e32 v16, 0
	v_mov_b32_e32 v17, 0
	v_lshlrev_b64 v[23:24], 3, v[14:15]
	v_mov_b32_e32 v14, 0
	v_mov_b32_e32 v15, 0
	v_add_co_u32 v23, s10, s22, v23
	v_add_co_ci_u32_e64 v24, null, s23, v24, s10
	s_or_b32 s10, s8, vcc_lo
	s_nor_b32 s10, s21, s10
	s_and_saveexec_b32 s13, s10
	s_cbranch_execz .LBB195_20
; %bb.19:
	v_lshlrev_b64 v[16:17], 3, v[8:9]
	v_add_co_u32 v16, s10, v23, v16
	v_add_co_ci_u32_e64 v17, null, v24, v17, s10
	global_load_dwordx2 v[16:17], v[16:17], off
	s_waitcnt vmcnt(0)
	v_mul_f64 v[16:17], s[16:17], v[16:17]
.LBB195_20:
	s_or_b32 exec_lo, exec_lo, s13
	s_or_b32 s10, s9, vcc_lo
	s_nor_b32 s13, s21, s10
	s_and_saveexec_b32 s10, s13
	s_cbranch_execz .LBB195_22
; %bb.21:
	v_lshlrev_b64 v[14:15], 3, v[8:9]
	v_add_co_u32 v14, vcc_lo, v23, v14
	v_add_co_ci_u32_e64 v15, null, v24, v15, vcc_lo
	global_load_dwordx2 v[14:15], v[14:15], off offset:512
	s_waitcnt vmcnt(0)
	v_mul_f64 v[14:15], s[16:17], v[14:15]
.LBB195_22:
	s_or_b32 exec_lo, exec_lo, s10
	v_lshlrev_b32_e32 v22, 5, v22
	v_lshlrev_b32_e32 v84, 5, v0
	v_lshl_or_b32 v86, v1, 5, 0x2000
	s_mov_b32 s13, 0
	s_mov_b32 s10, 0
	v_lshl_add_u32 v83, v82, 3, v22
	s_addk_i32 s13, 0x100
	v_add_nc_u32_e32 v85, 0x2000, v83
	ds_write2st64_b64 v83, v[4:5], v[2:3] offset1:4
	ds_write2st64_b64 v83, v[20:21], v[18:19] offset0:16 offset1:20
	s_waitcnt lgkmcnt(0)
	s_waitcnt_vscnt null, 0x0
	s_barrier
	buffer_gl0_inv
.LBB195_23:                             ; =>This Loop Header: Depth=1
                                        ;     Child Loop BB195_24 Depth 2
	s_lshl_b32 s27, s10, 3
	s_mov_b32 s28, 0
	v_add_nc_u32_e32 v18, s27, v84
	v_add_nc_u32_e32 v87, s27, v86
	s_mov_b32 s27, -1
	ds_read2_b64 v[2:5], v18 offset1:16
	ds_read2_b64 v[22:25], v18 offset0:32 offset1:48
	ds_read2_b64 v[26:29], v18 offset0:64 offset1:80
	;; [unrolled: 1-line block ×4, first 2 shown]
	v_add_nc_u32_e32 v78, 0x800, v18
	ds_read2_b64 v[38:41], v18 offset0:160 offset1:176
	ds_read2_b64 v[42:45], v18 offset0:192 offset1:208
	;; [unrolled: 1-line block ×3, first 2 shown]
	ds_read2_b64 v[50:53], v78 offset1:16
	ds_read2_b64 v[54:57], v78 offset0:32 offset1:48
	ds_read2_b64 v[58:61], v78 offset0:64 offset1:80
	;; [unrolled: 1-line block ×6, first 2 shown]
	s_waitcnt lgkmcnt(9)
	v_max_f64 v[38:39], v[38:39], v[38:39]
	v_max_f64 v[40:41], v[40:41], v[40:41]
	;; [unrolled: 1-line block ×4, first 2 shown]
	ds_read2_b64 v[2:5], v78 offset0:224 offset1:240
	v_max_f64 v[22:23], v[22:23], v[22:23]
	v_max_f64 v[24:25], v[24:25], v[24:25]
	;; [unrolled: 1-line block ×8, first 2 shown]
	s_waitcnt lgkmcnt(9)
	v_max_f64 v[42:43], v[42:43], v[42:43]
	v_max_f64 v[44:45], v[44:45], v[44:45]
	s_waitcnt lgkmcnt(8)
	v_max_f64 v[46:47], v[46:47], v[46:47]
	v_max_f64 v[48:49], v[48:49], v[48:49]
	;; [unrolled: 3-line block ×10, first 2 shown]
	ds_read2st64_b64 v[2:5], v87 offset1:4
.LBB195_24:                             ;   Parent Loop BB195_23 Depth=1
                                        ; =>  This Inner Loop Header: Depth=2
	v_mov_b32_e32 v87, s28
	s_waitcnt lgkmcnt(0)
	v_max_f64 v[2:3], v[2:3], v[2:3]
	s_and_b32 vcc_lo, exec_lo, s27
	s_mov_b32 s27, 0
	s_mov_b32 s28, s13
	s_clause 0xf
	buffer_load_dword v90, v87, s[0:3], 0 offen
	buffer_load_dword v91, v87, s[0:3], 0 offen offset:4
	buffer_load_dword v92, v87, s[0:3], 0 offen offset:8
	;; [unrolled: 1-line block ×15, first 2 shown]
	v_min_f64 v[88:89], v[18:19], v[2:3]
	s_waitcnt vmcnt(14)
	v_add_f64 v[88:89], v[88:89], v[90:91]
	buffer_store_dword v88, v87, s[0:3], 0 offen
	buffer_store_dword v89, v87, s[0:3], 0 offen offset:4
	v_min_f64 v[88:89], v[20:21], v[2:3]
	s_waitcnt vmcnt(12)
	v_add_f64 v[88:89], v[88:89], v[92:93]
	buffer_store_dword v88, v87, s[0:3], 0 offen offset:8
	buffer_store_dword v89, v87, s[0:3], 0 offen offset:12
	v_min_f64 v[88:89], v[22:23], v[2:3]
	s_waitcnt vmcnt(10)
	v_add_f64 v[88:89], v[88:89], v[94:95]
	buffer_store_dword v88, v87, s[0:3], 0 offen offset:16
	;; [unrolled: 5-line block ×7, first 2 shown]
	buffer_store_dword v89, v87, s[0:3], 0 offen offset:60
	s_clause 0x1
	buffer_load_dword v91, v87, s[0:3], 0 offen offset:68
	buffer_load_dword v90, v87, s[0:3], 0 offen offset:64
	v_min_f64 v[88:89], v[34:35], v[2:3]
	s_waitcnt vmcnt(0)
	v_add_f64 v[88:89], v[88:89], v[90:91]
	buffer_store_dword v89, v87, s[0:3], 0 offen offset:68
	buffer_store_dword v88, v87, s[0:3], 0 offen offset:64
	s_clause 0x1
	buffer_load_dword v90, v87, s[0:3], 0 offen offset:72
	buffer_load_dword v91, v87, s[0:3], 0 offen offset:76
	v_min_f64 v[88:89], v[36:37], v[2:3]
	s_waitcnt vmcnt(0)
	v_add_f64 v[88:89], v[88:89], v[90:91]
	buffer_store_dword v89, v87, s[0:3], 0 offen offset:76
	;; [unrolled: 8-line block ×22, first 2 shown]
	buffer_store_dword v88, v87, s[0:3], 0 offen offset:232
	s_clause 0x1
	buffer_load_dword v90, v87, s[0:3], 0 offen offset:240
	buffer_load_dword v91, v87, s[0:3], 0 offen offset:244
	v_min_f64 v[88:89], v[78:79], v[2:3]
	v_min_f64 v[2:3], v[80:81], v[2:3]
	s_waitcnt vmcnt(0)
	v_add_f64 v[88:89], v[88:89], v[90:91]
	buffer_store_dword v89, v87, s[0:3], 0 offen offset:244
	buffer_store_dword v88, v87, s[0:3], 0 offen offset:240
	s_clause 0x1
	buffer_load_dword v88, v87, s[0:3], 0 offen offset:248
	buffer_load_dword v89, v87, s[0:3], 0 offen offset:252
	s_waitcnt vmcnt(0)
	v_add_f64 v[2:3], v[2:3], v[88:89]
	buffer_store_dword v3, v87, s[0:3], 0 offen offset:252
	buffer_store_dword v2, v87, s[0:3], 0 offen offset:248
	v_mov_b32_e32 v2, v4
	v_mov_b32_e32 v3, v5
	s_cbranch_vccnz .LBB195_24
; %bb.25:                               ;   in Loop: Header=BB195_23 Depth=1
	s_add_i32 s10, s10, 1
	s_cmp_eq_u32 s10, 4
	s_cbranch_scc0 .LBB195_23
; %bb.26:
	v_lshl_add_u32 v87, v0, 5, 0x1000
	v_lshl_add_u32 v88, v1, 5, 0x3000
	s_cmp_lt_i32 s42, 9
	ds_write2st64_b64 v83, v[12:13], v[10:11] offset0:8 offset1:12
	ds_write2st64_b64 v83, v[16:17], v[14:15] offset0:24 offset1:28
	s_waitcnt lgkmcnt(0)
	s_waitcnt_vscnt null, 0x0
	s_barrier
	buffer_gl0_inv
	s_cbranch_scc1 .LBB195_53
; %bb.27:
	v_lshlrev_b64 v[70:71], 3, v[6:7]
	v_lshlrev_b64 v[72:73], 3, v[8:9]
	v_add_nc_u32_e32 v89, 0x1000, v83
	v_add_nc_u32_e32 v90, 0x3000, v83
	s_add_i32 s27, s42, -8
	s_mov_b32 s28, 8
	s_mov_b32 s29, 0
.LBB195_28:                             ; =>This Loop Header: Depth=1
                                        ;     Child Loop BB195_37 Depth 2
                                        ;       Child Loop BB195_38 Depth 3
                                        ;     Child Loop BB195_49 Depth 2
                                        ;       Child Loop BB195_50 Depth 3
	v_add_nc_u32_e32 v5, s28, v82
	v_mov_b32_e32 v6, 0
	v_mov_b32_e32 v8, 0
	;; [unrolled: 1-line block ×4, first 2 shown]
	v_min_i32_e32 v2, s19, v5
	v_cmp_le_i32_e32 vcc_lo, s42, v5
	v_mad_i64_i32 v[3:4], null, v2, s18, 0
	v_lshlrev_b64 v[3:4], 3, v[3:4]
	v_add_co_u32 v3, s10, s24, v3
	v_add_co_ci_u32_e64 v4, null, s25, v4, s10
	s_or_b32 s10, s6, vcc_lo
	s_nor_b32 s10, s21, s10
	s_and_saveexec_b32 s30, s10
	s_cbranch_execz .LBB195_30
; %bb.29:                               ;   in Loop: Header=BB195_28 Depth=1
	v_add_co_u32 v8, s10, v3, v70
	v_add_co_ci_u32_e64 v9, null, v4, v71, s10
	global_load_dwordx2 v[8:9], v[8:9], off
	s_waitcnt vmcnt(0)
	v_mul_f64 v[8:9], s[16:17], v[8:9]
.LBB195_30:                             ;   in Loop: Header=BB195_28 Depth=1
	s_or_b32 exec_lo, exec_lo, s30
	s_or_b32 s10, s7, vcc_lo
	s_nor_b32 s10, s21, s10
	s_and_saveexec_b32 s30, s10
	s_cbranch_execz .LBB195_32
; %bb.31:                               ;   in Loop: Header=BB195_28 Depth=1
	v_add_co_u32 v3, s10, v3, v70
	v_add_co_ci_u32_e64 v4, null, v4, v71, s10
	global_load_dwordx2 v[3:4], v[3:4], off offset:512
	s_waitcnt vmcnt(0)
	v_mul_f64 v[6:7], s[16:17], v[3:4]
.LBB195_32:                             ;   in Loop: Header=BB195_28 Depth=1
	s_or_b32 exec_lo, exec_lo, s30
	v_mad_i64_i32 v[2:3], null, v2, s26, 0
	v_mov_b32_e32 v10, 0
	v_mov_b32_e32 v12, 0
	;; [unrolled: 1-line block ×4, first 2 shown]
	v_lshlrev_b64 v[2:3], 3, v[2:3]
	v_add_co_u32 v2, s10, s22, v2
	v_add_co_ci_u32_e64 v3, null, s23, v3, s10
	s_or_b32 s10, s8, vcc_lo
	s_nor_b32 s10, s21, s10
	s_and_saveexec_b32 s30, s10
	s_cbranch_execz .LBB195_34
; %bb.33:                               ;   in Loop: Header=BB195_28 Depth=1
	v_add_co_u32 v4, s10, v2, v72
	v_add_co_ci_u32_e64 v5, null, v3, v73, s10
	global_load_dwordx2 v[4:5], v[4:5], off
	s_waitcnt vmcnt(0)
	v_mul_f64 v[12:13], s[16:17], v[4:5]
.LBB195_34:                             ;   in Loop: Header=BB195_28 Depth=1
	s_or_b32 exec_lo, exec_lo, s30
	s_or_b32 s10, s9, vcc_lo
	s_nor_b32 s30, s21, s10
	s_and_saveexec_b32 s10, s30
	s_cbranch_execz .LBB195_36
; %bb.35:                               ;   in Loop: Header=BB195_28 Depth=1
	v_add_co_u32 v2, vcc_lo, v2, v72
	v_add_co_ci_u32_e64 v3, null, v3, v73, vcc_lo
	global_load_dwordx2 v[2:3], v[2:3], off offset:512
	s_waitcnt vmcnt(0)
	v_mul_f64 v[10:11], s[16:17], v[2:3]
.LBB195_36:                             ;   in Loop: Header=BB195_28 Depth=1
	s_or_b32 exec_lo, exec_lo, s10
	s_mov_b32 s10, 0
.LBB195_37:                             ;   Parent Loop BB195_28 Depth=1
                                        ; =>  This Loop Header: Depth=2
                                        ;       Child Loop BB195_38 Depth 3
	s_lshl_b32 s30, s10, 3
	s_mov_b32 s31, 0
	v_add_nc_u32_e32 v14, s30, v87
	v_add_nc_u32_e32 v91, s30, v88
	s_mov_b32 s30, -1
	ds_read2_b64 v[2:5], v14 offset1:16
	ds_read2_b64 v[18:21], v14 offset0:32 offset1:48
	ds_read2_b64 v[22:25], v14 offset0:64 offset1:80
	v_add_nc_u32_e32 v15, 0x800, v14
	ds_read2_b64 v[26:29], v14 offset0:96 offset1:112
	ds_read2_b64 v[30:33], v14 offset0:128 offset1:144
	;; [unrolled: 1-line block ×5, first 2 shown]
	ds_read2_b64 v[46:49], v15 offset1:16
	ds_read2_b64 v[50:53], v15 offset0:32 offset1:48
	ds_read2_b64 v[54:57], v15 offset0:64 offset1:80
	;; [unrolled: 1-line block ×7, first 2 shown]
	s_waitcnt lgkmcnt(11)
	v_max_f64 v[30:31], v[30:31], v[30:31]
	v_max_f64 v[32:33], v[32:33], v[32:33]
	s_waitcnt lgkmcnt(10)
	v_max_f64 v[34:35], v[34:35], v[34:35]
	v_max_f64 v[36:37], v[36:37], v[36:37]
	;; [unrolled: 3-line block ×3, first 2 shown]
	v_max_f64 v[14:15], v[2:3], v[2:3]
	v_max_f64 v[16:17], v[4:5], v[4:5]
	;; [unrolled: 1-line block ×8, first 2 shown]
	s_waitcnt lgkmcnt(8)
	v_max_f64 v[42:43], v[42:43], v[42:43]
	v_max_f64 v[44:45], v[44:45], v[44:45]
	s_waitcnt lgkmcnt(7)
	v_max_f64 v[46:47], v[46:47], v[46:47]
	v_max_f64 v[48:49], v[48:49], v[48:49]
	;; [unrolled: 3-line block ×9, first 2 shown]
	ds_read2st64_b64 v[2:5], v91 offset1:4
.LBB195_38:                             ;   Parent Loop BB195_28 Depth=1
                                        ;     Parent Loop BB195_37 Depth=2
                                        ; =>    This Inner Loop Header: Depth=3
	v_mov_b32_e32 v91, s31
	s_waitcnt lgkmcnt(0)
	v_max_f64 v[2:3], v[2:3], v[2:3]
	s_and_b32 vcc_lo, exec_lo, s30
	s_mov_b32 s30, 0
	s_mov_b32 s31, s13
	s_clause 0xf
	buffer_load_dword v94, v91, s[0:3], 0 offen
	buffer_load_dword v95, v91, s[0:3], 0 offen offset:4
	buffer_load_dword v96, v91, s[0:3], 0 offen offset:8
	;; [unrolled: 1-line block ×15, first 2 shown]
	v_min_f64 v[92:93], v[14:15], v[2:3]
	s_waitcnt vmcnt(14)
	v_add_f64 v[92:93], v[92:93], v[94:95]
	buffer_store_dword v92, v91, s[0:3], 0 offen
	buffer_store_dword v93, v91, s[0:3], 0 offen offset:4
	v_min_f64 v[92:93], v[16:17], v[2:3]
	s_waitcnt vmcnt(12)
	v_add_f64 v[92:93], v[92:93], v[96:97]
	buffer_store_dword v92, v91, s[0:3], 0 offen offset:8
	buffer_store_dword v93, v91, s[0:3], 0 offen offset:12
	v_min_f64 v[92:93], v[18:19], v[2:3]
	s_waitcnt vmcnt(10)
	v_add_f64 v[92:93], v[92:93], v[98:99]
	buffer_store_dword v92, v91, s[0:3], 0 offen offset:16
	;; [unrolled: 5-line block ×7, first 2 shown]
	buffer_store_dword v93, v91, s[0:3], 0 offen offset:60
	s_clause 0x1
	buffer_load_dword v95, v91, s[0:3], 0 offen offset:68
	buffer_load_dword v94, v91, s[0:3], 0 offen offset:64
	v_min_f64 v[92:93], v[30:31], v[2:3]
	s_waitcnt vmcnt(0)
	v_add_f64 v[92:93], v[92:93], v[94:95]
	buffer_store_dword v93, v91, s[0:3], 0 offen offset:68
	buffer_store_dword v92, v91, s[0:3], 0 offen offset:64
	s_clause 0x1
	buffer_load_dword v94, v91, s[0:3], 0 offen offset:72
	buffer_load_dword v95, v91, s[0:3], 0 offen offset:76
	v_min_f64 v[92:93], v[32:33], v[2:3]
	s_waitcnt vmcnt(0)
	v_add_f64 v[92:93], v[92:93], v[94:95]
	buffer_store_dword v93, v91, s[0:3], 0 offen offset:76
	buffer_store_dword v92, v91, s[0:3], 0 offen offset:72
	s_clause 0x1
	buffer_load_dword v94, v91, s[0:3], 0 offen offset:80
	buffer_load_dword v95, v91, s[0:3], 0 offen offset:84
	v_min_f64 v[92:93], v[34:35], v[2:3]
	s_waitcnt vmcnt(0)
	v_add_f64 v[92:93], v[92:93], v[94:95]
	buffer_store_dword v93, v91, s[0:3], 0 offen offset:84
	buffer_store_dword v92, v91, s[0:3], 0 offen offset:80
	s_clause 0x1
	buffer_load_dword v94, v91, s[0:3], 0 offen offset:88
	buffer_load_dword v95, v91, s[0:3], 0 offen offset:92
	v_min_f64 v[92:93], v[36:37], v[2:3]
	s_waitcnt vmcnt(0)
	v_add_f64 v[92:93], v[92:93], v[94:95]
	buffer_store_dword v93, v91, s[0:3], 0 offen offset:92
	buffer_store_dword v92, v91, s[0:3], 0 offen offset:88
	s_clause 0x1
	buffer_load_dword v94, v91, s[0:3], 0 offen offset:96
	buffer_load_dword v95, v91, s[0:3], 0 offen offset:100
	v_min_f64 v[92:93], v[38:39], v[2:3]
	s_waitcnt vmcnt(0)
	v_add_f64 v[92:93], v[92:93], v[94:95]
	buffer_store_dword v93, v91, s[0:3], 0 offen offset:100
	buffer_store_dword v92, v91, s[0:3], 0 offen offset:96
	s_clause 0x1
	buffer_load_dword v94, v91, s[0:3], 0 offen offset:104
	buffer_load_dword v95, v91, s[0:3], 0 offen offset:108
	v_min_f64 v[92:93], v[40:41], v[2:3]
	s_waitcnt vmcnt(0)
	v_add_f64 v[92:93], v[92:93], v[94:95]
	buffer_store_dword v93, v91, s[0:3], 0 offen offset:108
	buffer_store_dword v92, v91, s[0:3], 0 offen offset:104
	s_clause 0x1
	buffer_load_dword v94, v91, s[0:3], 0 offen offset:112
	buffer_load_dword v95, v91, s[0:3], 0 offen offset:116
	v_min_f64 v[92:93], v[42:43], v[2:3]
	s_waitcnt vmcnt(0)
	v_add_f64 v[92:93], v[92:93], v[94:95]
	buffer_store_dword v93, v91, s[0:3], 0 offen offset:116
	buffer_store_dword v92, v91, s[0:3], 0 offen offset:112
	s_clause 0x1
	buffer_load_dword v94, v91, s[0:3], 0 offen offset:120
	buffer_load_dword v95, v91, s[0:3], 0 offen offset:124
	v_min_f64 v[92:93], v[44:45], v[2:3]
	s_waitcnt vmcnt(0)
	v_add_f64 v[92:93], v[92:93], v[94:95]
	buffer_store_dword v93, v91, s[0:3], 0 offen offset:124
	buffer_store_dword v92, v91, s[0:3], 0 offen offset:120
	s_clause 0x1
	buffer_load_dword v94, v91, s[0:3], 0 offen offset:128
	buffer_load_dword v95, v91, s[0:3], 0 offen offset:132
	v_min_f64 v[92:93], v[46:47], v[2:3]
	s_waitcnt vmcnt(0)
	v_add_f64 v[92:93], v[92:93], v[94:95]
	buffer_store_dword v93, v91, s[0:3], 0 offen offset:132
	buffer_store_dword v92, v91, s[0:3], 0 offen offset:128
	s_clause 0x1
	buffer_load_dword v94, v91, s[0:3], 0 offen offset:136
	buffer_load_dword v95, v91, s[0:3], 0 offen offset:140
	v_min_f64 v[92:93], v[48:49], v[2:3]
	s_waitcnt vmcnt(0)
	v_add_f64 v[92:93], v[92:93], v[94:95]
	buffer_store_dword v93, v91, s[0:3], 0 offen offset:140
	buffer_store_dword v92, v91, s[0:3], 0 offen offset:136
	s_clause 0x1
	buffer_load_dword v94, v91, s[0:3], 0 offen offset:144
	buffer_load_dword v95, v91, s[0:3], 0 offen offset:148
	v_min_f64 v[92:93], v[50:51], v[2:3]
	s_waitcnt vmcnt(0)
	v_add_f64 v[92:93], v[92:93], v[94:95]
	buffer_store_dword v93, v91, s[0:3], 0 offen offset:148
	buffer_store_dword v92, v91, s[0:3], 0 offen offset:144
	s_clause 0x1
	buffer_load_dword v94, v91, s[0:3], 0 offen offset:152
	buffer_load_dword v95, v91, s[0:3], 0 offen offset:156
	v_min_f64 v[92:93], v[52:53], v[2:3]
	s_waitcnt vmcnt(0)
	v_add_f64 v[92:93], v[92:93], v[94:95]
	buffer_store_dword v93, v91, s[0:3], 0 offen offset:156
	buffer_store_dword v92, v91, s[0:3], 0 offen offset:152
	s_clause 0x1
	buffer_load_dword v94, v91, s[0:3], 0 offen offset:160
	buffer_load_dword v95, v91, s[0:3], 0 offen offset:164
	v_min_f64 v[92:93], v[54:55], v[2:3]
	s_waitcnt vmcnt(0)
	v_add_f64 v[92:93], v[92:93], v[94:95]
	buffer_store_dword v93, v91, s[0:3], 0 offen offset:164
	buffer_store_dword v92, v91, s[0:3], 0 offen offset:160
	s_clause 0x1
	buffer_load_dword v94, v91, s[0:3], 0 offen offset:168
	buffer_load_dword v95, v91, s[0:3], 0 offen offset:172
	v_min_f64 v[92:93], v[56:57], v[2:3]
	s_waitcnt vmcnt(0)
	v_add_f64 v[92:93], v[92:93], v[94:95]
	buffer_store_dword v93, v91, s[0:3], 0 offen offset:172
	buffer_store_dword v92, v91, s[0:3], 0 offen offset:168
	s_clause 0x1
	buffer_load_dword v94, v91, s[0:3], 0 offen offset:176
	buffer_load_dword v95, v91, s[0:3], 0 offen offset:180
	v_min_f64 v[92:93], v[58:59], v[2:3]
	s_waitcnt vmcnt(0)
	v_add_f64 v[92:93], v[92:93], v[94:95]
	buffer_store_dword v93, v91, s[0:3], 0 offen offset:180
	buffer_store_dword v92, v91, s[0:3], 0 offen offset:176
	s_clause 0x1
	buffer_load_dword v94, v91, s[0:3], 0 offen offset:184
	buffer_load_dword v95, v91, s[0:3], 0 offen offset:188
	v_min_f64 v[92:93], v[60:61], v[2:3]
	s_waitcnt vmcnt(0)
	v_add_f64 v[92:93], v[92:93], v[94:95]
	buffer_store_dword v93, v91, s[0:3], 0 offen offset:188
	buffer_store_dword v92, v91, s[0:3], 0 offen offset:184
	s_clause 0x1
	buffer_load_dword v94, v91, s[0:3], 0 offen offset:192
	buffer_load_dword v95, v91, s[0:3], 0 offen offset:196
	v_min_f64 v[92:93], v[62:63], v[2:3]
	s_waitcnt vmcnt(0)
	v_add_f64 v[92:93], v[92:93], v[94:95]
	buffer_store_dword v93, v91, s[0:3], 0 offen offset:196
	buffer_store_dword v92, v91, s[0:3], 0 offen offset:192
	s_clause 0x1
	buffer_load_dword v94, v91, s[0:3], 0 offen offset:200
	buffer_load_dword v95, v91, s[0:3], 0 offen offset:204
	v_min_f64 v[92:93], v[64:65], v[2:3]
	s_waitcnt vmcnt(0)
	v_add_f64 v[92:93], v[92:93], v[94:95]
	buffer_store_dword v93, v91, s[0:3], 0 offen offset:204
	buffer_store_dword v92, v91, s[0:3], 0 offen offset:200
	s_clause 0x1
	buffer_load_dword v94, v91, s[0:3], 0 offen offset:208
	buffer_load_dword v95, v91, s[0:3], 0 offen offset:212
	v_min_f64 v[92:93], v[66:67], v[2:3]
	s_waitcnt vmcnt(0)
	v_add_f64 v[92:93], v[92:93], v[94:95]
	buffer_store_dword v93, v91, s[0:3], 0 offen offset:212
	buffer_store_dword v92, v91, s[0:3], 0 offen offset:208
	s_clause 0x1
	buffer_load_dword v94, v91, s[0:3], 0 offen offset:216
	buffer_load_dword v95, v91, s[0:3], 0 offen offset:220
	v_min_f64 v[92:93], v[68:69], v[2:3]
	s_waitcnt vmcnt(0)
	v_add_f64 v[92:93], v[92:93], v[94:95]
	buffer_store_dword v93, v91, s[0:3], 0 offen offset:220
	buffer_store_dword v92, v91, s[0:3], 0 offen offset:216
	s_clause 0x1
	buffer_load_dword v94, v91, s[0:3], 0 offen offset:224
	buffer_load_dword v95, v91, s[0:3], 0 offen offset:228
	v_min_f64 v[92:93], v[74:75], v[2:3]
	s_waitcnt vmcnt(0)
	v_add_f64 v[92:93], v[92:93], v[94:95]
	buffer_store_dword v93, v91, s[0:3], 0 offen offset:228
	buffer_store_dword v92, v91, s[0:3], 0 offen offset:224
	s_clause 0x1
	buffer_load_dword v94, v91, s[0:3], 0 offen offset:232
	buffer_load_dword v95, v91, s[0:3], 0 offen offset:236
	v_min_f64 v[92:93], v[76:77], v[2:3]
	s_waitcnt vmcnt(0)
	v_add_f64 v[92:93], v[92:93], v[94:95]
	buffer_store_dword v93, v91, s[0:3], 0 offen offset:236
	buffer_store_dword v92, v91, s[0:3], 0 offen offset:232
	s_clause 0x1
	buffer_load_dword v94, v91, s[0:3], 0 offen offset:240
	buffer_load_dword v95, v91, s[0:3], 0 offen offset:244
	v_min_f64 v[92:93], v[78:79], v[2:3]
	v_min_f64 v[2:3], v[80:81], v[2:3]
	s_waitcnt vmcnt(0)
	v_add_f64 v[92:93], v[92:93], v[94:95]
	buffer_store_dword v93, v91, s[0:3], 0 offen offset:244
	buffer_store_dword v92, v91, s[0:3], 0 offen offset:240
	s_clause 0x1
	buffer_load_dword v92, v91, s[0:3], 0 offen offset:248
	buffer_load_dword v93, v91, s[0:3], 0 offen offset:252
	s_waitcnt vmcnt(0)
	v_add_f64 v[2:3], v[2:3], v[92:93]
	buffer_store_dword v3, v91, s[0:3], 0 offen offset:252
	buffer_store_dword v2, v91, s[0:3], 0 offen offset:248
	v_mov_b32_e32 v2, v4
	v_mov_b32_e32 v3, v5
	s_cbranch_vccnz .LBB195_38
; %bb.39:                               ;   in Loop: Header=BB195_37 Depth=2
	s_add_i32 s10, s10, 1
	s_cmp_eq_u32 s10, 4
	s_cbranch_scc0 .LBB195_37
; %bb.40:                               ;   in Loop: Header=BB195_28 Depth=1
	v_add3_u32 v5, v82, s28, 4
	v_mov_b32_e32 v74, 0
	v_mov_b32_e32 v76, 0
	;; [unrolled: 1-line block ×4, first 2 shown]
	v_min_i32_e32 v2, s19, v5
	v_cmp_le_i32_e32 vcc_lo, s42, v5
	ds_write2st64_b64 v83, v[8:9], v[6:7] offset1:4
	ds_write2st64_b64 v85, v[12:13], v[10:11] offset1:4
	s_waitcnt lgkmcnt(0)
	s_waitcnt_vscnt null, 0x0
	s_barrier
	v_mad_i64_i32 v[3:4], null, v2, s18, 0
	buffer_gl0_inv
	v_lshlrev_b64 v[3:4], 3, v[3:4]
	v_add_co_u32 v3, s10, s24, v3
	v_add_co_ci_u32_e64 v4, null, s25, v4, s10
	s_or_b32 s10, s6, vcc_lo
	s_nor_b32 s10, s21, s10
	s_and_saveexec_b32 s30, s10
	s_cbranch_execz .LBB195_42
; %bb.41:                               ;   in Loop: Header=BB195_28 Depth=1
	v_add_co_u32 v5, s10, v3, v70
	v_add_co_ci_u32_e64 v6, null, v4, v71, s10
	global_load_dwordx2 v[5:6], v[5:6], off
	s_waitcnt vmcnt(0)
	v_mul_f64 v[76:77], s[16:17], v[5:6]
.LBB195_42:                             ;   in Loop: Header=BB195_28 Depth=1
	s_or_b32 exec_lo, exec_lo, s30
	s_or_b32 s10, s7, vcc_lo
	s_nor_b32 s10, s21, s10
	s_and_saveexec_b32 s30, s10
	s_cbranch_execz .LBB195_44
; %bb.43:                               ;   in Loop: Header=BB195_28 Depth=1
	v_add_co_u32 v3, s10, v3, v70
	v_add_co_ci_u32_e64 v4, null, v4, v71, s10
	global_load_dwordx2 v[3:4], v[3:4], off offset:512
	s_waitcnt vmcnt(0)
	v_mul_f64 v[74:75], s[16:17], v[3:4]
.LBB195_44:                             ;   in Loop: Header=BB195_28 Depth=1
	s_or_b32 exec_lo, exec_lo, s30
	v_mad_i64_i32 v[2:3], null, v2, s26, 0
	v_mov_b32_e32 v78, 0
	v_mov_b32_e32 v80, 0
	;; [unrolled: 1-line block ×4, first 2 shown]
	v_lshlrev_b64 v[2:3], 3, v[2:3]
	v_add_co_u32 v2, s10, s22, v2
	v_add_co_ci_u32_e64 v3, null, s23, v3, s10
	s_or_b32 s10, s8, vcc_lo
	s_nor_b32 s10, s21, s10
	s_and_saveexec_b32 s30, s10
	s_cbranch_execz .LBB195_46
; %bb.45:                               ;   in Loop: Header=BB195_28 Depth=1
	v_add_co_u32 v4, s10, v2, v72
	v_add_co_ci_u32_e64 v5, null, v3, v73, s10
	global_load_dwordx2 v[4:5], v[4:5], off
	s_waitcnt vmcnt(0)
	v_mul_f64 v[80:81], s[16:17], v[4:5]
.LBB195_46:                             ;   in Loop: Header=BB195_28 Depth=1
	s_or_b32 exec_lo, exec_lo, s30
	s_or_b32 s10, s9, vcc_lo
	s_nor_b32 s30, s21, s10
	s_and_saveexec_b32 s10, s30
	s_cbranch_execz .LBB195_48
; %bb.47:                               ;   in Loop: Header=BB195_28 Depth=1
	v_add_co_u32 v2, vcc_lo, v2, v72
	v_add_co_ci_u32_e64 v3, null, v3, v73, vcc_lo
	global_load_dwordx2 v[2:3], v[2:3], off offset:512
	s_waitcnt vmcnt(0)
	v_mul_f64 v[78:79], s[16:17], v[2:3]
.LBB195_48:                             ;   in Loop: Header=BB195_28 Depth=1
	s_or_b32 exec_lo, exec_lo, s10
	s_mov_b32 s10, 0
.LBB195_49:                             ;   Parent Loop BB195_28 Depth=1
                                        ; =>  This Loop Header: Depth=2
                                        ;       Child Loop BB195_50 Depth 3
	s_lshl_b32 s30, s10, 3
	s_mov_b32 s31, 0
	v_add_nc_u32_e32 v30, s30, v84
	v_add_nc_u32_e32 v66, s30, v86
	s_mov_b32 s30, -1
	ds_read2_b64 v[2:5], v30 offset1:16
	ds_read2_b64 v[6:9], v30 offset0:32 offset1:48
	ds_read2_b64 v[10:13], v30 offset0:64 offset1:80
	;; [unrolled: 1-line block ×3, first 2 shown]
	v_add_nc_u32_e32 v62, 0x800, v30
	ds_read2_b64 v[18:21], v30 offset0:128 offset1:144
	ds_read2_b64 v[22:25], v30 offset0:160 offset1:176
	;; [unrolled: 1-line block ×4, first 2 shown]
	ds_read2_b64 v[34:37], v62 offset1:16
	ds_read2_b64 v[38:41], v62 offset0:32 offset1:48
	ds_read2_b64 v[42:45], v62 offset0:64 offset1:80
	;; [unrolled: 1-line block ×7, first 2 shown]
	ds_read2st64_b64 v[66:69], v66 offset1:4
.LBB195_50:                             ;   Parent Loop BB195_28 Depth=1
                                        ;     Parent Loop BB195_49 Depth=2
                                        ; =>    This Inner Loop Header: Depth=3
	s_waitcnt lgkmcnt(16)
	v_max_f64 v[91:92], v[2:3], v[2:3]
	s_waitcnt lgkmcnt(0)
	v_max_f64 v[66:67], v[66:67], v[66:67]
	s_and_b32 vcc_lo, exec_lo, s30
	s_mov_b32 s30, 0
	v_min_f64 v[92:93], v[91:92], v[66:67]
	v_mov_b32_e32 v91, s31
	s_mov_b32 s31, s13
	s_clause 0xf
	buffer_load_dword v94, v91, s[0:3], 0 offen
	buffer_load_dword v95, v91, s[0:3], 0 offen offset:4
	buffer_load_dword v96, v91, s[0:3], 0 offen offset:8
	;; [unrolled: 1-line block ×15, first 2 shown]
	s_waitcnt vmcnt(14)
	v_add_f64 v[92:93], v[92:93], v[94:95]
	buffer_store_dword v92, v91, s[0:3], 0 offen
	buffer_store_dword v93, v91, s[0:3], 0 offen offset:4
	v_max_f64 v[92:93], v[4:5], v[4:5]
	v_min_f64 v[92:93], v[92:93], v[66:67]
	s_waitcnt vmcnt(12)
	v_add_f64 v[92:93], v[92:93], v[96:97]
	buffer_store_dword v92, v91, s[0:3], 0 offen offset:8
	buffer_store_dword v93, v91, s[0:3], 0 offen offset:12
	v_max_f64 v[92:93], v[6:7], v[6:7]
	v_min_f64 v[92:93], v[92:93], v[66:67]
	s_waitcnt vmcnt(10)
	v_add_f64 v[92:93], v[92:93], v[98:99]
	buffer_store_dword v92, v91, s[0:3], 0 offen offset:16
	;; [unrolled: 6-line block ×7, first 2 shown]
	buffer_store_dword v93, v91, s[0:3], 0 offen offset:60
	s_clause 0x1
	buffer_load_dword v95, v91, s[0:3], 0 offen offset:68
	buffer_load_dword v94, v91, s[0:3], 0 offen offset:64
	v_max_f64 v[92:93], v[18:19], v[18:19]
	v_min_f64 v[92:93], v[92:93], v[66:67]
	s_waitcnt vmcnt(0)
	v_add_f64 v[92:93], v[92:93], v[94:95]
	buffer_store_dword v93, v91, s[0:3], 0 offen offset:68
	buffer_store_dword v92, v91, s[0:3], 0 offen offset:64
	s_clause 0x1
	buffer_load_dword v94, v91, s[0:3], 0 offen offset:72
	buffer_load_dword v95, v91, s[0:3], 0 offen offset:76
	v_max_f64 v[92:93], v[20:21], v[20:21]
	v_min_f64 v[92:93], v[92:93], v[66:67]
	s_waitcnt vmcnt(0)
	v_add_f64 v[92:93], v[92:93], v[94:95]
	buffer_store_dword v93, v91, s[0:3], 0 offen offset:76
	;; [unrolled: 9-line block ×23, first 2 shown]
	buffer_store_dword v92, v91, s[0:3], 0 offen offset:240
	v_max_f64 v[92:93], v[64:65], v[64:65]
	v_min_f64 v[66:67], v[92:93], v[66:67]
	s_clause 0x1
	buffer_load_dword v92, v91, s[0:3], 0 offen offset:248
	buffer_load_dword v93, v91, s[0:3], 0 offen offset:252
	s_waitcnt vmcnt(0)
	v_add_f64 v[66:67], v[66:67], v[92:93]
	buffer_store_dword v67, v91, s[0:3], 0 offen offset:252
	buffer_store_dword v66, v91, s[0:3], 0 offen offset:248
	v_mov_b32_e32 v66, v68
	v_mov_b32_e32 v67, v69
	s_cbranch_vccnz .LBB195_50
; %bb.51:                               ;   in Loop: Header=BB195_49 Depth=2
	s_add_i32 s10, s10, 1
	s_cmp_eq_u32 s10, 4
	s_cbranch_scc0 .LBB195_49
; %bb.52:                               ;   in Loop: Header=BB195_28 Depth=1
	s_add_i32 s29, s29, 8
	s_add_i32 s28, s28, 8
	s_cmp_ge_i32 s29, s27
	ds_write2st64_b64 v89, v[76:77], v[74:75] offset1:4
	ds_write2st64_b64 v90, v[80:81], v[78:79] offset1:4
	s_waitcnt lgkmcnt(0)
	s_waitcnt_vscnt null, 0x0
	s_barrier
	buffer_gl0_inv
	s_cbranch_scc0 .LBB195_28
.LBB195_53:
	s_mov_b32 s6, 0
.LBB195_54:                             ; =>This Loop Header: Depth=1
                                        ;     Child Loop BB195_55 Depth 2
	s_lshl_b32 s7, s6, 3
	s_mov_b32 s8, 0
	v_add_nc_u32_e32 v6, s7, v87
	v_add_nc_u32_e32 v70, s7, v88
	s_mov_b32 s7, -1
	ds_read2_b64 v[2:5], v6 offset1:16
	ds_read2_b64 v[10:13], v6 offset0:32 offset1:48
	ds_read2_b64 v[14:17], v6 offset0:64 offset1:80
	v_add_nc_u32_e32 v7, 0x800, v6
	ds_read2_b64 v[18:21], v6 offset0:96 offset1:112
	ds_read2_b64 v[22:25], v6 offset0:128 offset1:144
	;; [unrolled: 1-line block ×5, first 2 shown]
	ds_read2_b64 v[38:41], v7 offset1:16
	ds_read2_b64 v[42:45], v7 offset0:32 offset1:48
	ds_read2_b64 v[46:49], v7 offset0:64 offset1:80
	;; [unrolled: 1-line block ×7, first 2 shown]
	s_waitcnt lgkmcnt(11)
	v_max_f64 v[22:23], v[22:23], v[22:23]
	v_max_f64 v[24:25], v[24:25], v[24:25]
	s_waitcnt lgkmcnt(10)
	v_max_f64 v[26:27], v[26:27], v[26:27]
	v_max_f64 v[28:29], v[28:29], v[28:29]
	;; [unrolled: 3-line block ×3, first 2 shown]
	v_max_f64 v[6:7], v[2:3], v[2:3]
	v_max_f64 v[8:9], v[4:5], v[4:5]
	;; [unrolled: 1-line block ×8, first 2 shown]
	s_waitcnt lgkmcnt(8)
	v_max_f64 v[34:35], v[34:35], v[34:35]
	v_max_f64 v[36:37], v[36:37], v[36:37]
	s_waitcnt lgkmcnt(7)
	v_max_f64 v[38:39], v[38:39], v[38:39]
	v_max_f64 v[40:41], v[40:41], v[40:41]
	;; [unrolled: 3-line block ×9, first 2 shown]
	ds_read2st64_b64 v[2:5], v70 offset1:4
.LBB195_55:                             ;   Parent Loop BB195_54 Depth=1
                                        ; =>  This Inner Loop Header: Depth=2
	v_mov_b32_e32 v70, s8
	s_waitcnt lgkmcnt(0)
	v_max_f64 v[2:3], v[2:3], v[2:3]
	s_and_b32 vcc_lo, exec_lo, s7
	s_mov_b32 s7, 0
	s_mov_b32 s8, s13
	s_clause 0xf
	buffer_load_dword v73, v70, s[0:3], 0 offen
	buffer_load_dword v74, v70, s[0:3], 0 offen offset:4
	buffer_load_dword v75, v70, s[0:3], 0 offen offset:8
	buffer_load_dword v76, v70, s[0:3], 0 offen offset:12
	buffer_load_dword v77, v70, s[0:3], 0 offen offset:16
	buffer_load_dword v78, v70, s[0:3], 0 offen offset:20
	buffer_load_dword v79, v70, s[0:3], 0 offen offset:24
	buffer_load_dword v80, v70, s[0:3], 0 offen offset:28
	buffer_load_dword v81, v70, s[0:3], 0 offen offset:32
	buffer_load_dword v82, v70, s[0:3], 0 offen offset:36
	buffer_load_dword v83, v70, s[0:3], 0 offen offset:40
	buffer_load_dword v84, v70, s[0:3], 0 offen offset:44
	buffer_load_dword v85, v70, s[0:3], 0 offen offset:48
	buffer_load_dword v86, v70, s[0:3], 0 offen offset:52
	buffer_load_dword v89, v70, s[0:3], 0 offen offset:56
	buffer_load_dword v90, v70, s[0:3], 0 offen offset:60
	v_min_f64 v[71:72], v[6:7], v[2:3]
	s_waitcnt vmcnt(14)
	v_add_f64 v[71:72], v[71:72], v[73:74]
	buffer_store_dword v71, v70, s[0:3], 0 offen
	buffer_store_dword v72, v70, s[0:3], 0 offen offset:4
	v_min_f64 v[71:72], v[8:9], v[2:3]
	s_waitcnt vmcnt(12)
	v_add_f64 v[71:72], v[71:72], v[75:76]
	buffer_store_dword v71, v70, s[0:3], 0 offen offset:8
	buffer_store_dword v72, v70, s[0:3], 0 offen offset:12
	v_min_f64 v[71:72], v[10:11], v[2:3]
	s_waitcnt vmcnt(10)
	v_add_f64 v[71:72], v[71:72], v[77:78]
	buffer_store_dword v71, v70, s[0:3], 0 offen offset:16
	;; [unrolled: 5-line block ×7, first 2 shown]
	buffer_store_dword v72, v70, s[0:3], 0 offen offset:60
	s_clause 0x1
	buffer_load_dword v74, v70, s[0:3], 0 offen offset:68
	buffer_load_dword v73, v70, s[0:3], 0 offen offset:64
	v_min_f64 v[71:72], v[22:23], v[2:3]
	s_waitcnt vmcnt(0)
	v_add_f64 v[71:72], v[71:72], v[73:74]
	buffer_store_dword v72, v70, s[0:3], 0 offen offset:68
	buffer_store_dword v71, v70, s[0:3], 0 offen offset:64
	s_clause 0x1
	buffer_load_dword v73, v70, s[0:3], 0 offen offset:72
	buffer_load_dword v74, v70, s[0:3], 0 offen offset:76
	v_min_f64 v[71:72], v[24:25], v[2:3]
	s_waitcnt vmcnt(0)
	v_add_f64 v[71:72], v[71:72], v[73:74]
	buffer_store_dword v72, v70, s[0:3], 0 offen offset:76
	;; [unrolled: 8-line block ×22, first 2 shown]
	buffer_store_dword v71, v70, s[0:3], 0 offen offset:232
	s_clause 0x1
	buffer_load_dword v73, v70, s[0:3], 0 offen offset:240
	buffer_load_dword v74, v70, s[0:3], 0 offen offset:244
	v_min_f64 v[71:72], v[66:67], v[2:3]
	v_min_f64 v[2:3], v[68:69], v[2:3]
	s_waitcnt vmcnt(0)
	v_add_f64 v[71:72], v[71:72], v[73:74]
	buffer_store_dword v72, v70, s[0:3], 0 offen offset:244
	buffer_store_dword v71, v70, s[0:3], 0 offen offset:240
	s_clause 0x1
	buffer_load_dword v71, v70, s[0:3], 0 offen offset:248
	buffer_load_dword v72, v70, s[0:3], 0 offen offset:252
	s_waitcnt vmcnt(0)
	v_add_f64 v[2:3], v[2:3], v[71:72]
	buffer_store_dword v3, v70, s[0:3], 0 offen offset:252
	buffer_store_dword v2, v70, s[0:3], 0 offen offset:248
	v_mov_b32_e32 v2, v4
	v_mov_b32_e32 v3, v5
	s_cbranch_vccnz .LBB195_55
; %bb.56:                               ;   in Loop: Header=BB195_54 Depth=1
	s_add_i32 s6, s6, 1
	s_cmp_eq_u32 s6, 4
	s_cbranch_scc0 .LBB195_54
; %bb.57:
	s_clause 0x2
	s_load_dwordx2 s[6:7], s[4:5], 0x78
	s_load_dword s43, s[4:5], 0x58
	s_load_dword s42, s[4:5], 0x70
	v_add_nc_u32_e32 v71, s12, v1
	v_add_nc_u32_e32 v0, s11, v0
	v_cndmask_b32_e64 v70, 0, 1, s46
	v_cmp_gt_i32_e64 s13, s41, v71
	s_waitcnt lgkmcnt(0)
	s_mul_i32 s4, s7, s20
	v_mad_i64_i32 v[1:2], null, v71, s43, 0
	v_mad_i64_i32 v[3:4], null, v71, s42, 0
	s_mul_hi_u32 s5, s6, s20
	s_mul_i32 s6, s6, s20
	s_add_i32 s7, s5, s4
	v_cmp_gt_i32_e64 s4, s40, v0
	v_lshlrev_b64 v[5:6], 3, v[1:2]
	s_lshl_b64 s[6:7], s[6:7], 3
	v_lshlrev_b64 v[2:3], 3, v[3:4]
	s_add_u32 s47, s14, s6
	s_addc_u32 s48, s15, s7
	v_ashrrev_i32_e32 v1, 31, v0
	v_add_co_u32 v68, vcc_lo, s44, v5
	v_add_co_ci_u32_e64 v69, null, s45, v6, vcc_lo
	v_add_co_u32 v72, vcc_lo, s47, v2
	v_add_co_ci_u32_e64 v73, null, s48, v3, vcc_lo
	s_and_b32 s6, s13, s4
	s_and_saveexec_b32 s5, s6
	s_cbranch_execz .LBB195_62
; %bb.58:
	s_clause 0x1
	buffer_load_dword v2, off, s[0:3], 0
	buffer_load_dword v3, off, s[0:3], 0 offset:4
	v_lshlrev_b64 v[4:5], 3, v[0:1]
	s_andn2_b32 vcc_lo, exec_lo, s46
	s_cbranch_vccnz .LBB195_60
; %bb.59:
	v_add_co_u32 v6, vcc_lo, v68, v4
	v_add_co_ci_u32_e64 v7, null, v69, v5, vcc_lo
	global_load_dwordx2 v[6:7], v[6:7], off
	s_waitcnt vmcnt(0)
	v_mul_f64 v[6:7], s[38:39], v[6:7]
	s_branch .LBB195_61
.LBB195_60:
	v_mov_b32_e32 v6, 0
	v_mov_b32_e32 v7, 0
.LBB195_61:
	s_waitcnt vmcnt(0)
	v_add_f64 v[2:3], v[2:3], v[6:7]
	v_add_co_u32 v4, vcc_lo, v72, v4
	v_add_co_ci_u32_e64 v5, null, v73, v5, vcc_lo
	global_store_dwordx2 v[4:5], v[2:3], off
.LBB195_62:
	s_or_b32 exec_lo, exec_lo, s5
	v_add_nc_u32_e32 v2, 4, v0
	v_cmp_gt_i32_e64 s5, s40, v2
	v_ashrrev_i32_e32 v3, 31, v2
	s_and_b32 s7, s13, s5
	s_and_saveexec_b32 s6, s7
	s_cbranch_execz .LBB195_67
; %bb.63:
	s_clause 0x1
	buffer_load_dword v4, off, s[0:3], 0 offset:8
	buffer_load_dword v5, off, s[0:3], 0 offset:12
	v_lshlrev_b64 v[6:7], 3, v[2:3]
	s_andn2_b32 vcc_lo, exec_lo, s46
	s_cbranch_vccnz .LBB195_65
; %bb.64:
	v_add_co_u32 v8, vcc_lo, v68, v6
	v_add_co_ci_u32_e64 v9, null, v69, v7, vcc_lo
	global_load_dwordx2 v[8:9], v[8:9], off
	s_waitcnt vmcnt(0)
	v_mul_f64 v[8:9], s[38:39], v[8:9]
	s_branch .LBB195_66
.LBB195_65:
	v_mov_b32_e32 v8, 0
	v_mov_b32_e32 v9, 0
.LBB195_66:
	s_waitcnt vmcnt(0)
	v_add_f64 v[4:5], v[4:5], v[8:9]
	v_add_co_u32 v6, vcc_lo, v72, v6
	v_add_co_ci_u32_e64 v7, null, v73, v7, vcc_lo
	global_store_dwordx2 v[6:7], v[4:5], off
.LBB195_67:
	s_or_b32 exec_lo, exec_lo, s6
	v_add_nc_u32_e32 v4, 8, v0
	v_cmp_gt_i32_e64 s6, s40, v4
	v_ashrrev_i32_e32 v5, 31, v4
	s_and_b32 s8, s13, s6
	s_and_saveexec_b32 s7, s8
	s_cbranch_execz .LBB195_72
; %bb.68:
	s_clause 0x1
	buffer_load_dword v6, off, s[0:3], 0 offset:16
	buffer_load_dword v7, off, s[0:3], 0 offset:20
	v_lshlrev_b64 v[8:9], 3, v[4:5]
	s_andn2_b32 vcc_lo, exec_lo, s46
	s_cbranch_vccnz .LBB195_70
; %bb.69:
	v_add_co_u32 v10, vcc_lo, v68, v8
	v_add_co_ci_u32_e64 v11, null, v69, v9, vcc_lo
	global_load_dwordx2 v[10:11], v[10:11], off
	s_waitcnt vmcnt(0)
	v_mul_f64 v[10:11], s[38:39], v[10:11]
	s_branch .LBB195_71
.LBB195_70:
	v_mov_b32_e32 v10, 0
	v_mov_b32_e32 v11, 0
.LBB195_71:
	s_waitcnt vmcnt(0)
	v_add_f64 v[6:7], v[6:7], v[10:11]
	v_add_co_u32 v8, vcc_lo, v72, v8
	v_add_co_ci_u32_e64 v9, null, v73, v9, vcc_lo
	global_store_dwordx2 v[8:9], v[6:7], off
.LBB195_72:
	;; [unrolled: 31-line block ×31, first 2 shown]
	s_or_b32 exec_lo, exec_lo, s13
	v_add_nc_u32_e32 v68, 64, v71
	v_mad_i64_i32 v[64:65], null, v68, s43, 0
	v_mad_i64_i32 v[66:67], null, v68, s42, 0
	v_cmp_gt_i32_e64 s13, s41, v68
	v_lshlrev_b64 v[64:65], 3, v[64:65]
	s_and_b32 s4, s13, s4
	v_lshlrev_b64 v[66:67], 3, v[66:67]
	v_add_co_u32 v71, vcc_lo, s44, v64
	v_add_co_ci_u32_e64 v72, null, s45, v65, vcc_lo
	v_add_co_u32 v68, vcc_lo, s47, v66
	v_add_co_ci_u32_e64 v69, null, s48, v67, vcc_lo
	s_and_saveexec_b32 s40, s4
	s_xor_b32 s4, exec_lo, s40
	s_cbranch_execnz .LBB195_250
; %bb.218:
	s_or_b32 exec_lo, exec_lo, s4
	s_and_b32 s5, s13, s5
	s_and_saveexec_b32 s4, s5
	s_cbranch_execnz .LBB195_254
.LBB195_219:
	s_or_b32 exec_lo, exec_lo, s4
	s_and_b32 s5, s13, s6
	s_and_saveexec_b32 s4, s5
	s_cbranch_execnz .LBB195_258
.LBB195_220:
	s_or_b32 exec_lo, exec_lo, s4
	s_and_b32 s5, s13, s7
	s_and_saveexec_b32 s4, s5
	s_cbranch_execnz .LBB195_262
.LBB195_221:
	s_or_b32 exec_lo, exec_lo, s4
	s_and_b32 s5, s13, s8
	s_and_saveexec_b32 s4, s5
	s_cbranch_execnz .LBB195_266
.LBB195_222:
	s_or_b32 exec_lo, exec_lo, s4
	s_and_b32 s5, s13, s9
	s_and_saveexec_b32 s4, s5
	s_cbranch_execnz .LBB195_270
.LBB195_223:
	s_or_b32 exec_lo, exec_lo, s4
	s_and_b32 s5, s13, s10
	s_and_saveexec_b32 s4, s5
	s_cbranch_execnz .LBB195_274
.LBB195_224:
	s_or_b32 exec_lo, exec_lo, s4
	s_and_b32 s5, s13, s11
	s_and_saveexec_b32 s4, s5
	s_cbranch_execnz .LBB195_278
.LBB195_225:
	s_or_b32 exec_lo, exec_lo, s4
	s_and_b32 s5, s13, s12
	s_and_saveexec_b32 s4, s5
	s_cbranch_execnz .LBB195_282
.LBB195_226:
	s_or_b32 exec_lo, exec_lo, s4
	s_and_b32 s5, s13, s14
	s_and_saveexec_b32 s4, s5
	s_cbranch_execnz .LBB195_286
.LBB195_227:
	s_or_b32 exec_lo, exec_lo, s4
	s_and_b32 s5, s13, s15
	s_and_saveexec_b32 s4, s5
	s_cbranch_execnz .LBB195_290
.LBB195_228:
	s_or_b32 exec_lo, exec_lo, s4
	s_and_b32 s5, s13, s16
	s_and_saveexec_b32 s4, s5
	s_cbranch_execnz .LBB195_294
.LBB195_229:
	s_or_b32 exec_lo, exec_lo, s4
	s_and_b32 s5, s13, s17
	s_and_saveexec_b32 s4, s5
	s_cbranch_execnz .LBB195_298
.LBB195_230:
	s_or_b32 exec_lo, exec_lo, s4
	s_and_b32 s5, s13, s18
	s_and_saveexec_b32 s4, s5
	s_cbranch_execnz .LBB195_302
.LBB195_231:
	s_or_b32 exec_lo, exec_lo, s4
	s_and_b32 s5, s13, s19
	s_and_saveexec_b32 s4, s5
	s_cbranch_execnz .LBB195_306
.LBB195_232:
	s_or_b32 exec_lo, exec_lo, s4
	s_and_b32 s5, s13, s20
	s_and_saveexec_b32 s4, s5
	s_cbranch_execnz .LBB195_310
.LBB195_233:
	s_or_b32 exec_lo, exec_lo, s4
	s_and_b32 s5, s13, s21
	s_and_saveexec_b32 s4, s5
	s_cbranch_execnz .LBB195_314
.LBB195_234:
	s_or_b32 exec_lo, exec_lo, s4
	s_and_b32 s5, s13, s22
	s_and_saveexec_b32 s4, s5
	s_cbranch_execnz .LBB195_318
.LBB195_235:
	s_or_b32 exec_lo, exec_lo, s4
	s_and_b32 s5, s13, s23
	s_and_saveexec_b32 s4, s5
	s_cbranch_execnz .LBB195_322
.LBB195_236:
	s_or_b32 exec_lo, exec_lo, s4
	s_and_b32 s5, s13, s24
	s_and_saveexec_b32 s4, s5
	s_cbranch_execnz .LBB195_326
.LBB195_237:
	s_or_b32 exec_lo, exec_lo, s4
	s_and_b32 s5, s13, s25
	s_and_saveexec_b32 s4, s5
	s_cbranch_execnz .LBB195_330
.LBB195_238:
	s_or_b32 exec_lo, exec_lo, s4
	s_and_b32 s5, s13, s26
	s_and_saveexec_b32 s4, s5
	s_cbranch_execnz .LBB195_334
.LBB195_239:
	s_or_b32 exec_lo, exec_lo, s4
	s_and_b32 s5, s13, s27
	s_and_saveexec_b32 s4, s5
	s_cbranch_execnz .LBB195_338
.LBB195_240:
	s_or_b32 exec_lo, exec_lo, s4
	s_and_b32 s5, s13, s28
	s_and_saveexec_b32 s4, s5
	s_cbranch_execnz .LBB195_342
.LBB195_241:
	s_or_b32 exec_lo, exec_lo, s4
	s_and_b32 s5, s13, s29
	s_and_saveexec_b32 s4, s5
	s_cbranch_execnz .LBB195_346
.LBB195_242:
	s_or_b32 exec_lo, exec_lo, s4
	s_and_b32 s5, s13, s30
	s_and_saveexec_b32 s4, s5
	s_cbranch_execnz .LBB195_350
.LBB195_243:
	s_or_b32 exec_lo, exec_lo, s4
	s_and_b32 s5, s13, s31
	s_and_saveexec_b32 s4, s5
	s_cbranch_execnz .LBB195_354
.LBB195_244:
	s_or_b32 exec_lo, exec_lo, s4
	s_and_b32 s5, s13, s33
	s_and_saveexec_b32 s4, s5
	s_cbranch_execnz .LBB195_358
.LBB195_245:
	s_or_b32 exec_lo, exec_lo, s4
	s_and_b32 s5, s13, s34
	s_and_saveexec_b32 s4, s5
	s_cbranch_execnz .LBB195_362
.LBB195_246:
	s_or_b32 exec_lo, exec_lo, s4
	s_and_b32 s5, s13, s35
	s_and_saveexec_b32 s4, s5
	s_cbranch_execnz .LBB195_366
.LBB195_247:
	s_or_b32 exec_lo, exec_lo, s4
	s_and_b32 s5, s13, s36
	s_and_saveexec_b32 s4, s5
	s_cbranch_execnz .LBB195_370
.LBB195_248:
	s_or_b32 exec_lo, exec_lo, s4
	s_and_b32 s4, s13, s37
	s_and_saveexec_b32 s5, s4
	s_cbranch_execnz .LBB195_374
.LBB195_249:
	s_endpgm
.LBB195_250:
	s_clause 0x1
	buffer_load_dword v64, off, s[0:3], 0 offset:256
	buffer_load_dword v65, off, s[0:3], 0 offset:260
	v_lshlrev_b64 v[0:1], 3, v[0:1]
	s_andn2_b32 vcc_lo, exec_lo, s46
	s_cbranch_vccnz .LBB195_252
; %bb.251:
	v_add_co_u32 v66, vcc_lo, v71, v0
	v_add_co_ci_u32_e64 v67, null, v72, v1, vcc_lo
	global_load_dwordx2 v[66:67], v[66:67], off
	s_waitcnt vmcnt(0)
	v_mul_f64 v[66:67], s[38:39], v[66:67]
	s_branch .LBB195_253
.LBB195_252:
	v_mov_b32_e32 v66, 0
	v_mov_b32_e32 v67, 0
.LBB195_253:
	s_waitcnt vmcnt(0)
	v_add_f64 v[64:65], v[64:65], v[66:67]
	v_add_co_u32 v0, vcc_lo, v68, v0
	v_add_co_ci_u32_e64 v1, null, v69, v1, vcc_lo
	global_store_dwordx2 v[0:1], v[64:65], off
	s_or_b32 exec_lo, exec_lo, s4
	s_and_b32 s5, s13, s5
	s_and_saveexec_b32 s4, s5
	s_cbranch_execz .LBB195_219
.LBB195_254:
	s_clause 0x1
	buffer_load_dword v0, off, s[0:3], 0 offset:264
	buffer_load_dword v1, off, s[0:3], 0 offset:268
	v_cmp_ne_u32_e32 vcc_lo, 1, v70
	v_lshlrev_b64 v[2:3], 3, v[2:3]
	s_cbranch_vccnz .LBB195_256
; %bb.255:
	v_add_co_u32 v64, vcc_lo, v71, v2
	v_add_co_ci_u32_e64 v65, null, v72, v3, vcc_lo
	global_load_dwordx2 v[64:65], v[64:65], off
	s_waitcnt vmcnt(0)
	v_mul_f64 v[64:65], s[38:39], v[64:65]
	s_branch .LBB195_257
.LBB195_256:
	v_mov_b32_e32 v64, 0
	v_mov_b32_e32 v65, 0
.LBB195_257:
	s_waitcnt vmcnt(0)
	v_add_f64 v[0:1], v[0:1], v[64:65]
	v_add_co_u32 v2, vcc_lo, v68, v2
	v_add_co_ci_u32_e64 v3, null, v69, v3, vcc_lo
	global_store_dwordx2 v[2:3], v[0:1], off
	s_or_b32 exec_lo, exec_lo, s4
	s_and_b32 s5, s13, s6
	s_and_saveexec_b32 s4, s5
	s_cbranch_execz .LBB195_220
.LBB195_258:
	s_clause 0x1
	buffer_load_dword v0, off, s[0:3], 0 offset:272
	buffer_load_dword v1, off, s[0:3], 0 offset:276
	v_cmp_ne_u32_e32 vcc_lo, 1, v70
	v_lshlrev_b64 v[2:3], 3, v[4:5]
	s_cbranch_vccnz .LBB195_260
; %bb.259:
	v_add_co_u32 v4, vcc_lo, v71, v2
	v_add_co_ci_u32_e64 v5, null, v72, v3, vcc_lo
	global_load_dwordx2 v[4:5], v[4:5], off
	s_waitcnt vmcnt(0)
	v_mul_f64 v[4:5], s[38:39], v[4:5]
	s_branch .LBB195_261
.LBB195_260:
	v_mov_b32_e32 v4, 0
	v_mov_b32_e32 v5, 0
.LBB195_261:
	s_waitcnt vmcnt(0)
	v_add_f64 v[0:1], v[0:1], v[4:5]
	v_add_co_u32 v2, vcc_lo, v68, v2
	v_add_co_ci_u32_e64 v3, null, v69, v3, vcc_lo
	global_store_dwordx2 v[2:3], v[0:1], off
	s_or_b32 exec_lo, exec_lo, s4
	s_and_b32 s5, s13, s7
	s_and_saveexec_b32 s4, s5
	s_cbranch_execz .LBB195_221
.LBB195_262:
	s_clause 0x1
	buffer_load_dword v0, off, s[0:3], 0 offset:280
	buffer_load_dword v1, off, s[0:3], 0 offset:284
	v_cmp_ne_u32_e32 vcc_lo, 1, v70
	v_lshlrev_b64 v[2:3], 3, v[6:7]
	s_cbranch_vccnz .LBB195_264
; %bb.263:
	v_add_co_u32 v4, vcc_lo, v71, v2
	v_add_co_ci_u32_e64 v5, null, v72, v3, vcc_lo
	global_load_dwordx2 v[4:5], v[4:5], off
	s_waitcnt vmcnt(0)
	v_mul_f64 v[4:5], s[38:39], v[4:5]
	s_branch .LBB195_265
.LBB195_264:
	v_mov_b32_e32 v4, 0
	v_mov_b32_e32 v5, 0
.LBB195_265:
	s_waitcnt vmcnt(0)
	v_add_f64 v[0:1], v[0:1], v[4:5]
	v_add_co_u32 v2, vcc_lo, v68, v2
	v_add_co_ci_u32_e64 v3, null, v69, v3, vcc_lo
	global_store_dwordx2 v[2:3], v[0:1], off
	s_or_b32 exec_lo, exec_lo, s4
	s_and_b32 s5, s13, s8
	s_and_saveexec_b32 s4, s5
	s_cbranch_execz .LBB195_222
.LBB195_266:
	s_clause 0x1
	buffer_load_dword v0, off, s[0:3], 0 offset:288
	buffer_load_dword v1, off, s[0:3], 0 offset:292
	v_cmp_ne_u32_e32 vcc_lo, 1, v70
	v_lshlrev_b64 v[2:3], 3, v[8:9]
	s_cbranch_vccnz .LBB195_268
; %bb.267:
	v_add_co_u32 v4, vcc_lo, v71, v2
	v_add_co_ci_u32_e64 v5, null, v72, v3, vcc_lo
	global_load_dwordx2 v[4:5], v[4:5], off
	s_waitcnt vmcnt(0)
	v_mul_f64 v[4:5], s[38:39], v[4:5]
	s_branch .LBB195_269
.LBB195_268:
	v_mov_b32_e32 v4, 0
	v_mov_b32_e32 v5, 0
.LBB195_269:
	s_waitcnt vmcnt(0)
	v_add_f64 v[0:1], v[0:1], v[4:5]
	v_add_co_u32 v2, vcc_lo, v68, v2
	v_add_co_ci_u32_e64 v3, null, v69, v3, vcc_lo
	global_store_dwordx2 v[2:3], v[0:1], off
	s_or_b32 exec_lo, exec_lo, s4
	s_and_b32 s5, s13, s9
	s_and_saveexec_b32 s4, s5
	s_cbranch_execz .LBB195_223
.LBB195_270:
	s_clause 0x1
	buffer_load_dword v0, off, s[0:3], 0 offset:296
	buffer_load_dword v1, off, s[0:3], 0 offset:300
	v_cmp_ne_u32_e32 vcc_lo, 1, v70
	v_lshlrev_b64 v[2:3], 3, v[10:11]
	s_cbranch_vccnz .LBB195_272
; %bb.271:
	v_add_co_u32 v4, vcc_lo, v71, v2
	v_add_co_ci_u32_e64 v5, null, v72, v3, vcc_lo
	global_load_dwordx2 v[4:5], v[4:5], off
	s_waitcnt vmcnt(0)
	v_mul_f64 v[4:5], s[38:39], v[4:5]
	s_branch .LBB195_273
.LBB195_272:
	v_mov_b32_e32 v4, 0
	v_mov_b32_e32 v5, 0
.LBB195_273:
	s_waitcnt vmcnt(0)
	v_add_f64 v[0:1], v[0:1], v[4:5]
	v_add_co_u32 v2, vcc_lo, v68, v2
	v_add_co_ci_u32_e64 v3, null, v69, v3, vcc_lo
	global_store_dwordx2 v[2:3], v[0:1], off
	s_or_b32 exec_lo, exec_lo, s4
	s_and_b32 s5, s13, s10
	s_and_saveexec_b32 s4, s5
	s_cbranch_execz .LBB195_224
.LBB195_274:
	s_clause 0x1
	buffer_load_dword v0, off, s[0:3], 0 offset:304
	buffer_load_dword v1, off, s[0:3], 0 offset:308
	v_cmp_ne_u32_e32 vcc_lo, 1, v70
	v_lshlrev_b64 v[2:3], 3, v[12:13]
	s_cbranch_vccnz .LBB195_276
; %bb.275:
	v_add_co_u32 v4, vcc_lo, v71, v2
	v_add_co_ci_u32_e64 v5, null, v72, v3, vcc_lo
	global_load_dwordx2 v[4:5], v[4:5], off
	s_waitcnt vmcnt(0)
	v_mul_f64 v[4:5], s[38:39], v[4:5]
	s_branch .LBB195_277
.LBB195_276:
	v_mov_b32_e32 v4, 0
	v_mov_b32_e32 v5, 0
.LBB195_277:
	s_waitcnt vmcnt(0)
	v_add_f64 v[0:1], v[0:1], v[4:5]
	v_add_co_u32 v2, vcc_lo, v68, v2
	v_add_co_ci_u32_e64 v3, null, v69, v3, vcc_lo
	global_store_dwordx2 v[2:3], v[0:1], off
	s_or_b32 exec_lo, exec_lo, s4
	s_and_b32 s5, s13, s11
	s_and_saveexec_b32 s4, s5
	s_cbranch_execz .LBB195_225
.LBB195_278:
	s_clause 0x1
	buffer_load_dword v0, off, s[0:3], 0 offset:312
	buffer_load_dword v1, off, s[0:3], 0 offset:316
	v_cmp_ne_u32_e32 vcc_lo, 1, v70
	v_lshlrev_b64 v[2:3], 3, v[14:15]
	s_cbranch_vccnz .LBB195_280
; %bb.279:
	v_add_co_u32 v4, vcc_lo, v71, v2
	v_add_co_ci_u32_e64 v5, null, v72, v3, vcc_lo
	global_load_dwordx2 v[4:5], v[4:5], off
	s_waitcnt vmcnt(0)
	v_mul_f64 v[4:5], s[38:39], v[4:5]
	s_branch .LBB195_281
.LBB195_280:
	v_mov_b32_e32 v4, 0
	v_mov_b32_e32 v5, 0
.LBB195_281:
	s_waitcnt vmcnt(0)
	v_add_f64 v[0:1], v[0:1], v[4:5]
	v_add_co_u32 v2, vcc_lo, v68, v2
	v_add_co_ci_u32_e64 v3, null, v69, v3, vcc_lo
	global_store_dwordx2 v[2:3], v[0:1], off
	s_or_b32 exec_lo, exec_lo, s4
	s_and_b32 s5, s13, s12
	s_and_saveexec_b32 s4, s5
	s_cbranch_execz .LBB195_226
.LBB195_282:
	s_clause 0x1
	buffer_load_dword v0, off, s[0:3], 0 offset:320
	buffer_load_dword v1, off, s[0:3], 0 offset:324
	v_cmp_ne_u32_e32 vcc_lo, 1, v70
	v_lshlrev_b64 v[2:3], 3, v[16:17]
	s_cbranch_vccnz .LBB195_284
; %bb.283:
	v_add_co_u32 v4, vcc_lo, v71, v2
	v_add_co_ci_u32_e64 v5, null, v72, v3, vcc_lo
	global_load_dwordx2 v[4:5], v[4:5], off
	s_waitcnt vmcnt(0)
	v_mul_f64 v[4:5], s[38:39], v[4:5]
	s_branch .LBB195_285
.LBB195_284:
	v_mov_b32_e32 v4, 0
	v_mov_b32_e32 v5, 0
.LBB195_285:
	s_waitcnt vmcnt(0)
	v_add_f64 v[0:1], v[0:1], v[4:5]
	v_add_co_u32 v2, vcc_lo, v68, v2
	v_add_co_ci_u32_e64 v3, null, v69, v3, vcc_lo
	global_store_dwordx2 v[2:3], v[0:1], off
	s_or_b32 exec_lo, exec_lo, s4
	s_and_b32 s5, s13, s14
	s_and_saveexec_b32 s4, s5
	s_cbranch_execz .LBB195_227
.LBB195_286:
	s_clause 0x1
	buffer_load_dword v0, off, s[0:3], 0 offset:328
	buffer_load_dword v1, off, s[0:3], 0 offset:332
	v_cmp_ne_u32_e32 vcc_lo, 1, v70
	v_lshlrev_b64 v[2:3], 3, v[18:19]
	s_cbranch_vccnz .LBB195_288
; %bb.287:
	v_add_co_u32 v4, vcc_lo, v71, v2
	v_add_co_ci_u32_e64 v5, null, v72, v3, vcc_lo
	global_load_dwordx2 v[4:5], v[4:5], off
	s_waitcnt vmcnt(0)
	v_mul_f64 v[4:5], s[38:39], v[4:5]
	s_branch .LBB195_289
.LBB195_288:
	v_mov_b32_e32 v4, 0
	v_mov_b32_e32 v5, 0
.LBB195_289:
	s_waitcnt vmcnt(0)
	v_add_f64 v[0:1], v[0:1], v[4:5]
	v_add_co_u32 v2, vcc_lo, v68, v2
	v_add_co_ci_u32_e64 v3, null, v69, v3, vcc_lo
	global_store_dwordx2 v[2:3], v[0:1], off
	s_or_b32 exec_lo, exec_lo, s4
	s_and_b32 s5, s13, s15
	s_and_saveexec_b32 s4, s5
	s_cbranch_execz .LBB195_228
.LBB195_290:
	s_clause 0x1
	buffer_load_dword v0, off, s[0:3], 0 offset:336
	buffer_load_dword v1, off, s[0:3], 0 offset:340
	v_cmp_ne_u32_e32 vcc_lo, 1, v70
	v_lshlrev_b64 v[2:3], 3, v[20:21]
	s_cbranch_vccnz .LBB195_292
; %bb.291:
	v_add_co_u32 v4, vcc_lo, v71, v2
	v_add_co_ci_u32_e64 v5, null, v72, v3, vcc_lo
	global_load_dwordx2 v[4:5], v[4:5], off
	s_waitcnt vmcnt(0)
	v_mul_f64 v[4:5], s[38:39], v[4:5]
	s_branch .LBB195_293
.LBB195_292:
	v_mov_b32_e32 v4, 0
	v_mov_b32_e32 v5, 0
.LBB195_293:
	s_waitcnt vmcnt(0)
	v_add_f64 v[0:1], v[0:1], v[4:5]
	v_add_co_u32 v2, vcc_lo, v68, v2
	v_add_co_ci_u32_e64 v3, null, v69, v3, vcc_lo
	global_store_dwordx2 v[2:3], v[0:1], off
	s_or_b32 exec_lo, exec_lo, s4
	s_and_b32 s5, s13, s16
	s_and_saveexec_b32 s4, s5
	s_cbranch_execz .LBB195_229
.LBB195_294:
	s_clause 0x1
	buffer_load_dword v0, off, s[0:3], 0 offset:344
	buffer_load_dword v1, off, s[0:3], 0 offset:348
	v_cmp_ne_u32_e32 vcc_lo, 1, v70
	v_lshlrev_b64 v[2:3], 3, v[22:23]
	s_cbranch_vccnz .LBB195_296
; %bb.295:
	v_add_co_u32 v4, vcc_lo, v71, v2
	v_add_co_ci_u32_e64 v5, null, v72, v3, vcc_lo
	global_load_dwordx2 v[4:5], v[4:5], off
	s_waitcnt vmcnt(0)
	v_mul_f64 v[4:5], s[38:39], v[4:5]
	s_branch .LBB195_297
.LBB195_296:
	v_mov_b32_e32 v4, 0
	v_mov_b32_e32 v5, 0
.LBB195_297:
	s_waitcnt vmcnt(0)
	v_add_f64 v[0:1], v[0:1], v[4:5]
	v_add_co_u32 v2, vcc_lo, v68, v2
	v_add_co_ci_u32_e64 v3, null, v69, v3, vcc_lo
	global_store_dwordx2 v[2:3], v[0:1], off
	s_or_b32 exec_lo, exec_lo, s4
	s_and_b32 s5, s13, s17
	s_and_saveexec_b32 s4, s5
	s_cbranch_execz .LBB195_230
.LBB195_298:
	s_clause 0x1
	buffer_load_dword v0, off, s[0:3], 0 offset:352
	buffer_load_dword v1, off, s[0:3], 0 offset:356
	v_cmp_ne_u32_e32 vcc_lo, 1, v70
	v_lshlrev_b64 v[2:3], 3, v[24:25]
	s_cbranch_vccnz .LBB195_300
; %bb.299:
	v_add_co_u32 v4, vcc_lo, v71, v2
	v_add_co_ci_u32_e64 v5, null, v72, v3, vcc_lo
	global_load_dwordx2 v[4:5], v[4:5], off
	s_waitcnt vmcnt(0)
	v_mul_f64 v[4:5], s[38:39], v[4:5]
	s_branch .LBB195_301
.LBB195_300:
	v_mov_b32_e32 v4, 0
	v_mov_b32_e32 v5, 0
.LBB195_301:
	s_waitcnt vmcnt(0)
	v_add_f64 v[0:1], v[0:1], v[4:5]
	v_add_co_u32 v2, vcc_lo, v68, v2
	v_add_co_ci_u32_e64 v3, null, v69, v3, vcc_lo
	global_store_dwordx2 v[2:3], v[0:1], off
	s_or_b32 exec_lo, exec_lo, s4
	s_and_b32 s5, s13, s18
	s_and_saveexec_b32 s4, s5
	s_cbranch_execz .LBB195_231
.LBB195_302:
	s_clause 0x1
	buffer_load_dword v0, off, s[0:3], 0 offset:360
	buffer_load_dword v1, off, s[0:3], 0 offset:364
	v_cmp_ne_u32_e32 vcc_lo, 1, v70
	v_lshlrev_b64 v[2:3], 3, v[26:27]
	s_cbranch_vccnz .LBB195_304
; %bb.303:
	v_add_co_u32 v4, vcc_lo, v71, v2
	v_add_co_ci_u32_e64 v5, null, v72, v3, vcc_lo
	global_load_dwordx2 v[4:5], v[4:5], off
	s_waitcnt vmcnt(0)
	v_mul_f64 v[4:5], s[38:39], v[4:5]
	s_branch .LBB195_305
.LBB195_304:
	v_mov_b32_e32 v4, 0
	v_mov_b32_e32 v5, 0
.LBB195_305:
	s_waitcnt vmcnt(0)
	v_add_f64 v[0:1], v[0:1], v[4:5]
	v_add_co_u32 v2, vcc_lo, v68, v2
	v_add_co_ci_u32_e64 v3, null, v69, v3, vcc_lo
	global_store_dwordx2 v[2:3], v[0:1], off
	s_or_b32 exec_lo, exec_lo, s4
	s_and_b32 s5, s13, s19
	s_and_saveexec_b32 s4, s5
	s_cbranch_execz .LBB195_232
.LBB195_306:
	s_clause 0x1
	buffer_load_dword v0, off, s[0:3], 0 offset:368
	buffer_load_dword v1, off, s[0:3], 0 offset:372
	v_cmp_ne_u32_e32 vcc_lo, 1, v70
	v_lshlrev_b64 v[2:3], 3, v[28:29]
	s_cbranch_vccnz .LBB195_308
; %bb.307:
	v_add_co_u32 v4, vcc_lo, v71, v2
	v_add_co_ci_u32_e64 v5, null, v72, v3, vcc_lo
	global_load_dwordx2 v[4:5], v[4:5], off
	s_waitcnt vmcnt(0)
	v_mul_f64 v[4:5], s[38:39], v[4:5]
	s_branch .LBB195_309
.LBB195_308:
	v_mov_b32_e32 v4, 0
	v_mov_b32_e32 v5, 0
.LBB195_309:
	s_waitcnt vmcnt(0)
	v_add_f64 v[0:1], v[0:1], v[4:5]
	v_add_co_u32 v2, vcc_lo, v68, v2
	v_add_co_ci_u32_e64 v3, null, v69, v3, vcc_lo
	global_store_dwordx2 v[2:3], v[0:1], off
	s_or_b32 exec_lo, exec_lo, s4
	s_and_b32 s5, s13, s20
	s_and_saveexec_b32 s4, s5
	s_cbranch_execz .LBB195_233
.LBB195_310:
	s_clause 0x1
	buffer_load_dword v0, off, s[0:3], 0 offset:376
	buffer_load_dword v1, off, s[0:3], 0 offset:380
	v_cmp_ne_u32_e32 vcc_lo, 1, v70
	v_lshlrev_b64 v[2:3], 3, v[30:31]
	s_cbranch_vccnz .LBB195_312
; %bb.311:
	v_add_co_u32 v4, vcc_lo, v71, v2
	v_add_co_ci_u32_e64 v5, null, v72, v3, vcc_lo
	global_load_dwordx2 v[4:5], v[4:5], off
	s_waitcnt vmcnt(0)
	v_mul_f64 v[4:5], s[38:39], v[4:5]
	s_branch .LBB195_313
.LBB195_312:
	v_mov_b32_e32 v4, 0
	v_mov_b32_e32 v5, 0
.LBB195_313:
	s_waitcnt vmcnt(0)
	v_add_f64 v[0:1], v[0:1], v[4:5]
	v_add_co_u32 v2, vcc_lo, v68, v2
	v_add_co_ci_u32_e64 v3, null, v69, v3, vcc_lo
	global_store_dwordx2 v[2:3], v[0:1], off
	s_or_b32 exec_lo, exec_lo, s4
	s_and_b32 s5, s13, s21
	s_and_saveexec_b32 s4, s5
	s_cbranch_execz .LBB195_234
.LBB195_314:
	s_clause 0x1
	buffer_load_dword v0, off, s[0:3], 0 offset:384
	buffer_load_dword v1, off, s[0:3], 0 offset:388
	v_cmp_ne_u32_e32 vcc_lo, 1, v70
	v_lshlrev_b64 v[2:3], 3, v[32:33]
	s_cbranch_vccnz .LBB195_316
; %bb.315:
	v_add_co_u32 v4, vcc_lo, v71, v2
	v_add_co_ci_u32_e64 v5, null, v72, v3, vcc_lo
	global_load_dwordx2 v[4:5], v[4:5], off
	s_waitcnt vmcnt(0)
	v_mul_f64 v[4:5], s[38:39], v[4:5]
	s_branch .LBB195_317
.LBB195_316:
	v_mov_b32_e32 v4, 0
	v_mov_b32_e32 v5, 0
.LBB195_317:
	s_waitcnt vmcnt(0)
	v_add_f64 v[0:1], v[0:1], v[4:5]
	v_add_co_u32 v2, vcc_lo, v68, v2
	v_add_co_ci_u32_e64 v3, null, v69, v3, vcc_lo
	global_store_dwordx2 v[2:3], v[0:1], off
	s_or_b32 exec_lo, exec_lo, s4
	s_and_b32 s5, s13, s22
	s_and_saveexec_b32 s4, s5
	s_cbranch_execz .LBB195_235
.LBB195_318:
	s_clause 0x1
	buffer_load_dword v0, off, s[0:3], 0 offset:392
	buffer_load_dword v1, off, s[0:3], 0 offset:396
	v_cmp_ne_u32_e32 vcc_lo, 1, v70
	v_lshlrev_b64 v[2:3], 3, v[34:35]
	s_cbranch_vccnz .LBB195_320
; %bb.319:
	v_add_co_u32 v4, vcc_lo, v71, v2
	v_add_co_ci_u32_e64 v5, null, v72, v3, vcc_lo
	global_load_dwordx2 v[4:5], v[4:5], off
	s_waitcnt vmcnt(0)
	v_mul_f64 v[4:5], s[38:39], v[4:5]
	s_branch .LBB195_321
.LBB195_320:
	v_mov_b32_e32 v4, 0
	v_mov_b32_e32 v5, 0
.LBB195_321:
	s_waitcnt vmcnt(0)
	v_add_f64 v[0:1], v[0:1], v[4:5]
	v_add_co_u32 v2, vcc_lo, v68, v2
	v_add_co_ci_u32_e64 v3, null, v69, v3, vcc_lo
	global_store_dwordx2 v[2:3], v[0:1], off
	s_or_b32 exec_lo, exec_lo, s4
	s_and_b32 s5, s13, s23
	s_and_saveexec_b32 s4, s5
	s_cbranch_execz .LBB195_236
.LBB195_322:
	s_clause 0x1
	buffer_load_dword v0, off, s[0:3], 0 offset:400
	buffer_load_dword v1, off, s[0:3], 0 offset:404
	v_cmp_ne_u32_e32 vcc_lo, 1, v70
	v_lshlrev_b64 v[2:3], 3, v[36:37]
	s_cbranch_vccnz .LBB195_324
; %bb.323:
	v_add_co_u32 v4, vcc_lo, v71, v2
	v_add_co_ci_u32_e64 v5, null, v72, v3, vcc_lo
	global_load_dwordx2 v[4:5], v[4:5], off
	s_waitcnt vmcnt(0)
	v_mul_f64 v[4:5], s[38:39], v[4:5]
	s_branch .LBB195_325
.LBB195_324:
	v_mov_b32_e32 v4, 0
	v_mov_b32_e32 v5, 0
.LBB195_325:
	s_waitcnt vmcnt(0)
	v_add_f64 v[0:1], v[0:1], v[4:5]
	v_add_co_u32 v2, vcc_lo, v68, v2
	v_add_co_ci_u32_e64 v3, null, v69, v3, vcc_lo
	global_store_dwordx2 v[2:3], v[0:1], off
	s_or_b32 exec_lo, exec_lo, s4
	s_and_b32 s5, s13, s24
	s_and_saveexec_b32 s4, s5
	s_cbranch_execz .LBB195_237
.LBB195_326:
	s_clause 0x1
	buffer_load_dword v0, off, s[0:3], 0 offset:408
	buffer_load_dword v1, off, s[0:3], 0 offset:412
	v_cmp_ne_u32_e32 vcc_lo, 1, v70
	v_lshlrev_b64 v[2:3], 3, v[38:39]
	s_cbranch_vccnz .LBB195_328
; %bb.327:
	v_add_co_u32 v4, vcc_lo, v71, v2
	v_add_co_ci_u32_e64 v5, null, v72, v3, vcc_lo
	global_load_dwordx2 v[4:5], v[4:5], off
	s_waitcnt vmcnt(0)
	v_mul_f64 v[4:5], s[38:39], v[4:5]
	s_branch .LBB195_329
.LBB195_328:
	v_mov_b32_e32 v4, 0
	v_mov_b32_e32 v5, 0
.LBB195_329:
	s_waitcnt vmcnt(0)
	v_add_f64 v[0:1], v[0:1], v[4:5]
	v_add_co_u32 v2, vcc_lo, v68, v2
	v_add_co_ci_u32_e64 v3, null, v69, v3, vcc_lo
	global_store_dwordx2 v[2:3], v[0:1], off
	s_or_b32 exec_lo, exec_lo, s4
	s_and_b32 s5, s13, s25
	s_and_saveexec_b32 s4, s5
	s_cbranch_execz .LBB195_238
.LBB195_330:
	s_clause 0x1
	buffer_load_dword v0, off, s[0:3], 0 offset:416
	buffer_load_dword v1, off, s[0:3], 0 offset:420
	v_cmp_ne_u32_e32 vcc_lo, 1, v70
	v_lshlrev_b64 v[2:3], 3, v[40:41]
	s_cbranch_vccnz .LBB195_332
; %bb.331:
	v_add_co_u32 v4, vcc_lo, v71, v2
	v_add_co_ci_u32_e64 v5, null, v72, v3, vcc_lo
	global_load_dwordx2 v[4:5], v[4:5], off
	s_waitcnt vmcnt(0)
	v_mul_f64 v[4:5], s[38:39], v[4:5]
	s_branch .LBB195_333
.LBB195_332:
	v_mov_b32_e32 v4, 0
	v_mov_b32_e32 v5, 0
.LBB195_333:
	s_waitcnt vmcnt(0)
	v_add_f64 v[0:1], v[0:1], v[4:5]
	v_add_co_u32 v2, vcc_lo, v68, v2
	v_add_co_ci_u32_e64 v3, null, v69, v3, vcc_lo
	global_store_dwordx2 v[2:3], v[0:1], off
	s_or_b32 exec_lo, exec_lo, s4
	s_and_b32 s5, s13, s26
	s_and_saveexec_b32 s4, s5
	s_cbranch_execz .LBB195_239
.LBB195_334:
	s_clause 0x1
	buffer_load_dword v0, off, s[0:3], 0 offset:424
	buffer_load_dword v1, off, s[0:3], 0 offset:428
	v_cmp_ne_u32_e32 vcc_lo, 1, v70
	v_lshlrev_b64 v[2:3], 3, v[42:43]
	s_cbranch_vccnz .LBB195_336
; %bb.335:
	v_add_co_u32 v4, vcc_lo, v71, v2
	v_add_co_ci_u32_e64 v5, null, v72, v3, vcc_lo
	global_load_dwordx2 v[4:5], v[4:5], off
	s_waitcnt vmcnt(0)
	v_mul_f64 v[4:5], s[38:39], v[4:5]
	s_branch .LBB195_337
.LBB195_336:
	v_mov_b32_e32 v4, 0
	v_mov_b32_e32 v5, 0
.LBB195_337:
	s_waitcnt vmcnt(0)
	v_add_f64 v[0:1], v[0:1], v[4:5]
	v_add_co_u32 v2, vcc_lo, v68, v2
	v_add_co_ci_u32_e64 v3, null, v69, v3, vcc_lo
	global_store_dwordx2 v[2:3], v[0:1], off
	s_or_b32 exec_lo, exec_lo, s4
	s_and_b32 s5, s13, s27
	s_and_saveexec_b32 s4, s5
	s_cbranch_execz .LBB195_240
.LBB195_338:
	s_clause 0x1
	buffer_load_dword v0, off, s[0:3], 0 offset:432
	buffer_load_dword v1, off, s[0:3], 0 offset:436
	v_cmp_ne_u32_e32 vcc_lo, 1, v70
	v_lshlrev_b64 v[2:3], 3, v[44:45]
	s_cbranch_vccnz .LBB195_340
; %bb.339:
	v_add_co_u32 v4, vcc_lo, v71, v2
	v_add_co_ci_u32_e64 v5, null, v72, v3, vcc_lo
	global_load_dwordx2 v[4:5], v[4:5], off
	s_waitcnt vmcnt(0)
	v_mul_f64 v[4:5], s[38:39], v[4:5]
	s_branch .LBB195_341
.LBB195_340:
	v_mov_b32_e32 v4, 0
	v_mov_b32_e32 v5, 0
.LBB195_341:
	s_waitcnt vmcnt(0)
	v_add_f64 v[0:1], v[0:1], v[4:5]
	v_add_co_u32 v2, vcc_lo, v68, v2
	v_add_co_ci_u32_e64 v3, null, v69, v3, vcc_lo
	global_store_dwordx2 v[2:3], v[0:1], off
	s_or_b32 exec_lo, exec_lo, s4
	s_and_b32 s5, s13, s28
	s_and_saveexec_b32 s4, s5
	s_cbranch_execz .LBB195_241
.LBB195_342:
	s_clause 0x1
	buffer_load_dword v0, off, s[0:3], 0 offset:440
	buffer_load_dword v1, off, s[0:3], 0 offset:444
	v_cmp_ne_u32_e32 vcc_lo, 1, v70
	v_lshlrev_b64 v[2:3], 3, v[46:47]
	s_cbranch_vccnz .LBB195_344
; %bb.343:
	v_add_co_u32 v4, vcc_lo, v71, v2
	v_add_co_ci_u32_e64 v5, null, v72, v3, vcc_lo
	global_load_dwordx2 v[4:5], v[4:5], off
	s_waitcnt vmcnt(0)
	v_mul_f64 v[4:5], s[38:39], v[4:5]
	s_branch .LBB195_345
.LBB195_344:
	v_mov_b32_e32 v4, 0
	v_mov_b32_e32 v5, 0
.LBB195_345:
	s_waitcnt vmcnt(0)
	v_add_f64 v[0:1], v[0:1], v[4:5]
	v_add_co_u32 v2, vcc_lo, v68, v2
	v_add_co_ci_u32_e64 v3, null, v69, v3, vcc_lo
	global_store_dwordx2 v[2:3], v[0:1], off
	s_or_b32 exec_lo, exec_lo, s4
	s_and_b32 s5, s13, s29
	s_and_saveexec_b32 s4, s5
	s_cbranch_execz .LBB195_242
.LBB195_346:
	s_clause 0x1
	buffer_load_dword v0, off, s[0:3], 0 offset:448
	buffer_load_dword v1, off, s[0:3], 0 offset:452
	v_cmp_ne_u32_e32 vcc_lo, 1, v70
	v_lshlrev_b64 v[2:3], 3, v[48:49]
	s_cbranch_vccnz .LBB195_348
; %bb.347:
	v_add_co_u32 v4, vcc_lo, v71, v2
	v_add_co_ci_u32_e64 v5, null, v72, v3, vcc_lo
	global_load_dwordx2 v[4:5], v[4:5], off
	s_waitcnt vmcnt(0)
	v_mul_f64 v[4:5], s[38:39], v[4:5]
	s_branch .LBB195_349
.LBB195_348:
	v_mov_b32_e32 v4, 0
	v_mov_b32_e32 v5, 0
.LBB195_349:
	s_waitcnt vmcnt(0)
	v_add_f64 v[0:1], v[0:1], v[4:5]
	v_add_co_u32 v2, vcc_lo, v68, v2
	v_add_co_ci_u32_e64 v3, null, v69, v3, vcc_lo
	global_store_dwordx2 v[2:3], v[0:1], off
	s_or_b32 exec_lo, exec_lo, s4
	s_and_b32 s5, s13, s30
	s_and_saveexec_b32 s4, s5
	s_cbranch_execz .LBB195_243
.LBB195_350:
	s_clause 0x1
	buffer_load_dword v0, off, s[0:3], 0 offset:456
	buffer_load_dword v1, off, s[0:3], 0 offset:460
	v_cmp_ne_u32_e32 vcc_lo, 1, v70
	v_lshlrev_b64 v[2:3], 3, v[50:51]
	s_cbranch_vccnz .LBB195_352
; %bb.351:
	v_add_co_u32 v4, vcc_lo, v71, v2
	v_add_co_ci_u32_e64 v5, null, v72, v3, vcc_lo
	global_load_dwordx2 v[4:5], v[4:5], off
	s_waitcnt vmcnt(0)
	v_mul_f64 v[4:5], s[38:39], v[4:5]
	s_branch .LBB195_353
.LBB195_352:
	v_mov_b32_e32 v4, 0
	v_mov_b32_e32 v5, 0
.LBB195_353:
	s_waitcnt vmcnt(0)
	v_add_f64 v[0:1], v[0:1], v[4:5]
	v_add_co_u32 v2, vcc_lo, v68, v2
	v_add_co_ci_u32_e64 v3, null, v69, v3, vcc_lo
	global_store_dwordx2 v[2:3], v[0:1], off
	s_or_b32 exec_lo, exec_lo, s4
	s_and_b32 s5, s13, s31
	s_and_saveexec_b32 s4, s5
	s_cbranch_execz .LBB195_244
.LBB195_354:
	s_clause 0x1
	buffer_load_dword v0, off, s[0:3], 0 offset:464
	buffer_load_dword v1, off, s[0:3], 0 offset:468
	v_cmp_ne_u32_e32 vcc_lo, 1, v70
	v_lshlrev_b64 v[2:3], 3, v[52:53]
	s_cbranch_vccnz .LBB195_356
; %bb.355:
	v_add_co_u32 v4, vcc_lo, v71, v2
	v_add_co_ci_u32_e64 v5, null, v72, v3, vcc_lo
	global_load_dwordx2 v[4:5], v[4:5], off
	s_waitcnt vmcnt(0)
	v_mul_f64 v[4:5], s[38:39], v[4:5]
	s_branch .LBB195_357
.LBB195_356:
	v_mov_b32_e32 v4, 0
	v_mov_b32_e32 v5, 0
.LBB195_357:
	s_waitcnt vmcnt(0)
	v_add_f64 v[0:1], v[0:1], v[4:5]
	v_add_co_u32 v2, vcc_lo, v68, v2
	v_add_co_ci_u32_e64 v3, null, v69, v3, vcc_lo
	global_store_dwordx2 v[2:3], v[0:1], off
	s_or_b32 exec_lo, exec_lo, s4
	s_and_b32 s5, s13, s33
	s_and_saveexec_b32 s4, s5
	s_cbranch_execz .LBB195_245
.LBB195_358:
	s_clause 0x1
	buffer_load_dword v0, off, s[0:3], 0 offset:472
	buffer_load_dword v1, off, s[0:3], 0 offset:476
	v_cmp_ne_u32_e32 vcc_lo, 1, v70
	v_lshlrev_b64 v[2:3], 3, v[54:55]
	s_cbranch_vccnz .LBB195_360
; %bb.359:
	v_add_co_u32 v4, vcc_lo, v71, v2
	v_add_co_ci_u32_e64 v5, null, v72, v3, vcc_lo
	global_load_dwordx2 v[4:5], v[4:5], off
	s_waitcnt vmcnt(0)
	v_mul_f64 v[4:5], s[38:39], v[4:5]
	s_branch .LBB195_361
.LBB195_360:
	v_mov_b32_e32 v4, 0
	v_mov_b32_e32 v5, 0
.LBB195_361:
	s_waitcnt vmcnt(0)
	v_add_f64 v[0:1], v[0:1], v[4:5]
	v_add_co_u32 v2, vcc_lo, v68, v2
	v_add_co_ci_u32_e64 v3, null, v69, v3, vcc_lo
	global_store_dwordx2 v[2:3], v[0:1], off
	s_or_b32 exec_lo, exec_lo, s4
	s_and_b32 s5, s13, s34
	s_and_saveexec_b32 s4, s5
	s_cbranch_execz .LBB195_246
.LBB195_362:
	s_clause 0x1
	buffer_load_dword v0, off, s[0:3], 0 offset:480
	buffer_load_dword v1, off, s[0:3], 0 offset:484
	v_cmp_ne_u32_e32 vcc_lo, 1, v70
	v_lshlrev_b64 v[2:3], 3, v[56:57]
	s_cbranch_vccnz .LBB195_364
; %bb.363:
	v_add_co_u32 v4, vcc_lo, v71, v2
	v_add_co_ci_u32_e64 v5, null, v72, v3, vcc_lo
	global_load_dwordx2 v[4:5], v[4:5], off
	s_waitcnt vmcnt(0)
	v_mul_f64 v[4:5], s[38:39], v[4:5]
	s_branch .LBB195_365
.LBB195_364:
	v_mov_b32_e32 v4, 0
	v_mov_b32_e32 v5, 0
.LBB195_365:
	s_waitcnt vmcnt(0)
	v_add_f64 v[0:1], v[0:1], v[4:5]
	v_add_co_u32 v2, vcc_lo, v68, v2
	v_add_co_ci_u32_e64 v3, null, v69, v3, vcc_lo
	global_store_dwordx2 v[2:3], v[0:1], off
	s_or_b32 exec_lo, exec_lo, s4
	s_and_b32 s5, s13, s35
	s_and_saveexec_b32 s4, s5
	s_cbranch_execz .LBB195_247
.LBB195_366:
	s_clause 0x1
	buffer_load_dword v0, off, s[0:3], 0 offset:488
	buffer_load_dword v1, off, s[0:3], 0 offset:492
	v_cmp_ne_u32_e32 vcc_lo, 1, v70
	v_lshlrev_b64 v[2:3], 3, v[58:59]
	s_cbranch_vccnz .LBB195_368
; %bb.367:
	v_add_co_u32 v4, vcc_lo, v71, v2
	v_add_co_ci_u32_e64 v5, null, v72, v3, vcc_lo
	global_load_dwordx2 v[4:5], v[4:5], off
	s_waitcnt vmcnt(0)
	v_mul_f64 v[4:5], s[38:39], v[4:5]
	s_branch .LBB195_369
.LBB195_368:
	v_mov_b32_e32 v4, 0
	v_mov_b32_e32 v5, 0
.LBB195_369:
	s_waitcnt vmcnt(0)
	v_add_f64 v[0:1], v[0:1], v[4:5]
	v_add_co_u32 v2, vcc_lo, v68, v2
	v_add_co_ci_u32_e64 v3, null, v69, v3, vcc_lo
	global_store_dwordx2 v[2:3], v[0:1], off
	s_or_b32 exec_lo, exec_lo, s4
	s_and_b32 s5, s13, s36
	s_and_saveexec_b32 s4, s5
	s_cbranch_execz .LBB195_248
.LBB195_370:
	s_clause 0x1
	buffer_load_dword v0, off, s[0:3], 0 offset:496
	buffer_load_dword v1, off, s[0:3], 0 offset:500
	v_cmp_ne_u32_e32 vcc_lo, 1, v70
	v_lshlrev_b64 v[2:3], 3, v[60:61]
	s_cbranch_vccnz .LBB195_372
; %bb.371:
	v_add_co_u32 v4, vcc_lo, v71, v2
	v_add_co_ci_u32_e64 v5, null, v72, v3, vcc_lo
	global_load_dwordx2 v[4:5], v[4:5], off
	s_waitcnt vmcnt(0)
	v_mul_f64 v[4:5], s[38:39], v[4:5]
	s_branch .LBB195_373
.LBB195_372:
	v_mov_b32_e32 v4, 0
	v_mov_b32_e32 v5, 0
.LBB195_373:
	s_waitcnt vmcnt(0)
	v_add_f64 v[0:1], v[0:1], v[4:5]
	v_add_co_u32 v2, vcc_lo, v68, v2
	v_add_co_ci_u32_e64 v3, null, v69, v3, vcc_lo
	global_store_dwordx2 v[2:3], v[0:1], off
	s_or_b32 exec_lo, exec_lo, s4
	s_and_b32 s4, s13, s37
	s_and_saveexec_b32 s5, s4
	s_cbranch_execz .LBB195_249
.LBB195_374:
	s_clause 0x1
	buffer_load_dword v0, off, s[0:3], 0 offset:504
	buffer_load_dword v1, off, s[0:3], 0 offset:508
	v_cmp_ne_u32_e32 vcc_lo, 1, v70
	v_lshlrev_b64 v[2:3], 3, v[62:63]
	s_cbranch_vccnz .LBB195_376
; %bb.375:
	v_add_co_u32 v4, vcc_lo, v71, v2
	v_add_co_ci_u32_e64 v5, null, v72, v3, vcc_lo
	global_load_dwordx2 v[4:5], v[4:5], off
	s_waitcnt vmcnt(0)
	v_mul_f64 v[4:5], s[38:39], v[4:5]
	s_branch .LBB195_377
.LBB195_376:
	v_mov_b32_e32 v4, 0
	v_mov_b32_e32 v5, 0
.LBB195_377:
	s_waitcnt vmcnt(0)
	v_add_f64 v[0:1], v[0:1], v[4:5]
	v_add_co_u32 v2, vcc_lo, v68, v2
	v_add_co_ci_u32_e64 v3, null, v69, v3, vcc_lo
	global_store_dwordx2 v[2:3], v[0:1], off
	s_endpgm
	.section	.rodata,"a",@progbits
	.p2align	6, 0x0
	.amdhsa_kernel _ZN12_GLOBAL__N_120geam_min_plus_kernelIdddLi4ELi64ELi128ELi128ELi4ELi64ELi4ELi64ELi4ELc78ELc84ELb0ELb1ELb0EPKdS1_dEEviiiT16_PT17_ilS5_ilS3_S5_ilPT18_ili26rocblas_geam_ex_operation_
		.amdhsa_group_segment_fixed_size 16384
		.amdhsa_private_segment_fixed_size 528
		.amdhsa_kernarg_size 136
		.amdhsa_user_sgpr_count 6
		.amdhsa_user_sgpr_private_segment_buffer 1
		.amdhsa_user_sgpr_dispatch_ptr 0
		.amdhsa_user_sgpr_queue_ptr 0
		.amdhsa_user_sgpr_kernarg_segment_ptr 1
		.amdhsa_user_sgpr_dispatch_id 0
		.amdhsa_user_sgpr_flat_scratch_init 0
		.amdhsa_user_sgpr_private_segment_size 0
		.amdhsa_wavefront_size32 1
		.amdhsa_uses_dynamic_stack 0
		.amdhsa_system_sgpr_private_segment_wavefront_offset 1
		.amdhsa_system_sgpr_workgroup_id_x 1
		.amdhsa_system_sgpr_workgroup_id_y 0
		.amdhsa_system_sgpr_workgroup_id_z 1
		.amdhsa_system_sgpr_workgroup_info 0
		.amdhsa_system_vgpr_workitem_id 1
		.amdhsa_next_free_vgpr 110
		.amdhsa_next_free_sgpr 50
		.amdhsa_reserve_vcc 1
		.amdhsa_reserve_flat_scratch 0
		.amdhsa_float_round_mode_32 0
		.amdhsa_float_round_mode_16_64 0
		.amdhsa_float_denorm_mode_32 3
		.amdhsa_float_denorm_mode_16_64 3
		.amdhsa_dx10_clamp 1
		.amdhsa_ieee_mode 1
		.amdhsa_fp16_overflow 0
		.amdhsa_workgroup_processor_mode 1
		.amdhsa_memory_ordered 1
		.amdhsa_forward_progress 1
		.amdhsa_shared_vgpr_count 0
		.amdhsa_exception_fp_ieee_invalid_op 0
		.amdhsa_exception_fp_denorm_src 0
		.amdhsa_exception_fp_ieee_div_zero 0
		.amdhsa_exception_fp_ieee_overflow 0
		.amdhsa_exception_fp_ieee_underflow 0
		.amdhsa_exception_fp_ieee_inexact 0
		.amdhsa_exception_int_div_zero 0
	.end_amdhsa_kernel
	.section	.text._ZN12_GLOBAL__N_120geam_min_plus_kernelIdddLi4ELi64ELi128ELi128ELi4ELi64ELi4ELi64ELi4ELc78ELc84ELb0ELb1ELb0EPKdS1_dEEviiiT16_PT17_ilS5_ilS3_S5_ilPT18_ili26rocblas_geam_ex_operation_,"axG",@progbits,_ZN12_GLOBAL__N_120geam_min_plus_kernelIdddLi4ELi64ELi128ELi128ELi4ELi64ELi4ELi64ELi4ELc78ELc84ELb0ELb1ELb0EPKdS1_dEEviiiT16_PT17_ilS5_ilS3_S5_ilPT18_ili26rocblas_geam_ex_operation_,comdat
.Lfunc_end195:
	.size	_ZN12_GLOBAL__N_120geam_min_plus_kernelIdddLi4ELi64ELi128ELi128ELi4ELi64ELi4ELi64ELi4ELc78ELc84ELb0ELb1ELb0EPKdS1_dEEviiiT16_PT17_ilS5_ilS3_S5_ilPT18_ili26rocblas_geam_ex_operation_, .Lfunc_end195-_ZN12_GLOBAL__N_120geam_min_plus_kernelIdddLi4ELi64ELi128ELi128ELi4ELi64ELi4ELi64ELi4ELc78ELc84ELb0ELb1ELb0EPKdS1_dEEviiiT16_PT17_ilS5_ilS3_S5_ilPT18_ili26rocblas_geam_ex_operation_
                                        ; -- End function
	.set _ZN12_GLOBAL__N_120geam_min_plus_kernelIdddLi4ELi64ELi128ELi128ELi4ELi64ELi4ELi64ELi4ELc78ELc84ELb0ELb1ELb0EPKdS1_dEEviiiT16_PT17_ilS5_ilS3_S5_ilPT18_ili26rocblas_geam_ex_operation_.num_vgpr, 110
	.set _ZN12_GLOBAL__N_120geam_min_plus_kernelIdddLi4ELi64ELi128ELi128ELi4ELi64ELi4ELi64ELi4ELc78ELc84ELb0ELb1ELb0EPKdS1_dEEviiiT16_PT17_ilS5_ilS3_S5_ilPT18_ili26rocblas_geam_ex_operation_.num_agpr, 0
	.set _ZN12_GLOBAL__N_120geam_min_plus_kernelIdddLi4ELi64ELi128ELi128ELi4ELi64ELi4ELi64ELi4ELc78ELc84ELb0ELb1ELb0EPKdS1_dEEviiiT16_PT17_ilS5_ilS3_S5_ilPT18_ili26rocblas_geam_ex_operation_.numbered_sgpr, 50
	.set _ZN12_GLOBAL__N_120geam_min_plus_kernelIdddLi4ELi64ELi128ELi128ELi4ELi64ELi4ELi64ELi4ELc78ELc84ELb0ELb1ELb0EPKdS1_dEEviiiT16_PT17_ilS5_ilS3_S5_ilPT18_ili26rocblas_geam_ex_operation_.num_named_barrier, 0
	.set _ZN12_GLOBAL__N_120geam_min_plus_kernelIdddLi4ELi64ELi128ELi128ELi4ELi64ELi4ELi64ELi4ELc78ELc84ELb0ELb1ELb0EPKdS1_dEEviiiT16_PT17_ilS5_ilS3_S5_ilPT18_ili26rocblas_geam_ex_operation_.private_seg_size, 528
	.set _ZN12_GLOBAL__N_120geam_min_plus_kernelIdddLi4ELi64ELi128ELi128ELi4ELi64ELi4ELi64ELi4ELc78ELc84ELb0ELb1ELb0EPKdS1_dEEviiiT16_PT17_ilS5_ilS3_S5_ilPT18_ili26rocblas_geam_ex_operation_.uses_vcc, 1
	.set _ZN12_GLOBAL__N_120geam_min_plus_kernelIdddLi4ELi64ELi128ELi128ELi4ELi64ELi4ELi64ELi4ELc78ELc84ELb0ELb1ELb0EPKdS1_dEEviiiT16_PT17_ilS5_ilS3_S5_ilPT18_ili26rocblas_geam_ex_operation_.uses_flat_scratch, 0
	.set _ZN12_GLOBAL__N_120geam_min_plus_kernelIdddLi4ELi64ELi128ELi128ELi4ELi64ELi4ELi64ELi4ELc78ELc84ELb0ELb1ELb0EPKdS1_dEEviiiT16_PT17_ilS5_ilS3_S5_ilPT18_ili26rocblas_geam_ex_operation_.has_dyn_sized_stack, 0
	.set _ZN12_GLOBAL__N_120geam_min_plus_kernelIdddLi4ELi64ELi128ELi128ELi4ELi64ELi4ELi64ELi4ELc78ELc84ELb0ELb1ELb0EPKdS1_dEEviiiT16_PT17_ilS5_ilS3_S5_ilPT18_ili26rocblas_geam_ex_operation_.has_recursion, 0
	.set _ZN12_GLOBAL__N_120geam_min_plus_kernelIdddLi4ELi64ELi128ELi128ELi4ELi64ELi4ELi64ELi4ELc78ELc84ELb0ELb1ELb0EPKdS1_dEEviiiT16_PT17_ilS5_ilS3_S5_ilPT18_ili26rocblas_geam_ex_operation_.has_indirect_call, 0
	.section	.AMDGPU.csdata,"",@progbits
; Kernel info:
; codeLenInByte = 22312
; TotalNumSgprs: 52
; NumVgprs: 110
; ScratchSize: 528
; MemoryBound: 0
; FloatMode: 240
; IeeeMode: 1
; LDSByteSize: 16384 bytes/workgroup (compile time only)
; SGPRBlocks: 0
; VGPRBlocks: 13
; NumSGPRsForWavesPerEU: 52
; NumVGPRsForWavesPerEU: 110
; Occupancy: 9
; WaveLimiterHint : 0
; COMPUTE_PGM_RSRC2:SCRATCH_EN: 1
; COMPUTE_PGM_RSRC2:USER_SGPR: 6
; COMPUTE_PGM_RSRC2:TRAP_HANDLER: 0
; COMPUTE_PGM_RSRC2:TGID_X_EN: 1
; COMPUTE_PGM_RSRC2:TGID_Y_EN: 0
; COMPUTE_PGM_RSRC2:TGID_Z_EN: 1
; COMPUTE_PGM_RSRC2:TIDIG_COMP_CNT: 1
	.section	.text._ZN12_GLOBAL__N_120geam_min_plus_kernelIdddLi4ELi64ELi128ELi128ELi4ELi64ELi4ELi64ELi4ELc78ELc84ELb1ELb1ELb0EdKddEEviiiT16_PT17_ilS4_ilS2_S4_ilPT18_ili26rocblas_geam_ex_operation_,"axG",@progbits,_ZN12_GLOBAL__N_120geam_min_plus_kernelIdddLi4ELi64ELi128ELi128ELi4ELi64ELi4ELi64ELi4ELc78ELc84ELb1ELb1ELb0EdKddEEviiiT16_PT17_ilS4_ilS2_S4_ilPT18_ili26rocblas_geam_ex_operation_,comdat
	.globl	_ZN12_GLOBAL__N_120geam_min_plus_kernelIdddLi4ELi64ELi128ELi128ELi4ELi64ELi4ELi64ELi4ELc78ELc84ELb1ELb1ELb0EdKddEEviiiT16_PT17_ilS4_ilS2_S4_ilPT18_ili26rocblas_geam_ex_operation_ ; -- Begin function _ZN12_GLOBAL__N_120geam_min_plus_kernelIdddLi4ELi64ELi128ELi128ELi4ELi64ELi4ELi64ELi4ELc78ELc84ELb1ELb1ELb0EdKddEEviiiT16_PT17_ilS4_ilS2_S4_ilPT18_ili26rocblas_geam_ex_operation_
	.p2align	8
	.type	_ZN12_GLOBAL__N_120geam_min_plus_kernelIdddLi4ELi64ELi128ELi128ELi4ELi64ELi4ELi64ELi4ELc78ELc84ELb1ELb1ELb0EdKddEEviiiT16_PT17_ilS4_ilS2_S4_ilPT18_ili26rocblas_geam_ex_operation_,@function
_ZN12_GLOBAL__N_120geam_min_plus_kernelIdddLi4ELi64ELi128ELi128ELi4ELi64ELi4ELi64ELi4ELc78ELc84ELb1ELb1ELb0EdKddEEviiiT16_PT17_ilS4_ilS2_S4_ilPT18_ili26rocblas_geam_ex_operation_: ; @_ZN12_GLOBAL__N_120geam_min_plus_kernelIdddLi4ELi64ELi128ELi128ELi4ELi64ELi4ELi64ELi4ELc78ELc84ELb1ELb1ELb0EdKddEEviiiT16_PT17_ilS4_ilS2_S4_ilPT18_ili26rocblas_geam_ex_operation_
; %bb.0:
	s_add_u32 s0, s0, s8
	s_clause 0x1
	s_load_dwordx4 s[12:15], s[4:5], 0x10
	s_load_dwordx4 s[8:11], s[4:5], 0x28
	s_addc_u32 s1, s1, 0
	s_mov_b64 s[16:17], 0
	s_waitcnt lgkmcnt(0)
	v_cmp_eq_f64_e64 s12, s[12:13], 0
	s_and_b32 vcc_lo, exec_lo, s12
	s_cbranch_vccnz .LBB196_2
; %bb.1:
	s_mul_i32 s9, s9, s7
	s_mul_hi_u32 s13, s8, s7
	s_mul_i32 s8, s8, s7
	s_add_i32 s9, s13, s9
	s_lshl_b64 s[8:9], s[8:9], 3
	s_add_u32 s16, s14, s8
	s_addc_u32 s17, s15, s9
.LBB196_2:
	s_clause 0x1
	s_load_dwordx4 s[36:39], s[4:5], 0x40
	s_load_dwordx2 s[8:9], s[4:5], 0x50
	s_andn2_b32 vcc_lo, exec_lo, s12
	s_mov_b32 s12, -1
	s_cbranch_vccnz .LBB196_4
; %bb.3:
	s_mov_b32 s12, 0
.LBB196_4:
	s_mov_b64 s[44:45], 0
	s_andn2_b32 vcc_lo, exec_lo, s12
	s_mov_b64 s[18:19], 0
	s_cbranch_vccnz .LBB196_6
; %bb.5:
	s_waitcnt lgkmcnt(0)
	s_mul_i32 s12, s37, s7
	s_mul_hi_u32 s13, s36, s7
	s_add_i32 s13, s13, s12
	s_mul_i32 s12, s36, s7
	s_lshl_b64 s[12:13], s[12:13], 3
	s_add_u32 s18, s10, s12
	s_addc_u32 s19, s11, s13
.LBB196_6:
	s_waitcnt lgkmcnt(0)
	v_cmp_eq_f64_e64 s10, s[38:39], 0
	v_cmp_neq_f64_e64 s46, s[38:39], 0
	s_load_dwordx4 s[12:15], s[4:5], 0x60
	s_and_b32 vcc_lo, exec_lo, s10
	s_cbranch_vccnz .LBB196_8
; %bb.7:
	s_waitcnt lgkmcnt(0)
	s_mul_i32 s10, s13, s7
	s_mul_hi_u32 s11, s12, s7
	s_add_i32 s11, s11, s10
	s_mul_i32 s10, s12, s7
	s_lshl_b64 s[10:11], s[10:11], 3
	s_add_u32 s44, s8, s10
	s_addc_u32 s45, s9, s11
.LBB196_8:
	s_clause 0x1
	s_load_dwordx4 s[40:43], s[4:5], 0x0
	s_load_dword s21, s[4:5], 0x20
	v_lshl_add_u32 v2, v1, 2, v0
	v_mov_b32_e32 v4, 0
	v_mov_b32_e32 v10, 0
	;; [unrolled: 1-line block ×3, first 2 shown]
	buffer_store_dword v10, off, s[0:3], 0 offset:4
	buffer_store_dword v10, off, s[0:3], 0
	buffer_store_dword v10, off, s[0:3], 0 offset:12
	buffer_store_dword v10, off, s[0:3], 0 offset:8
	buffer_store_dword v10, off, s[0:3], 0 offset:20
	buffer_store_dword v10, off, s[0:3], 0 offset:16
	buffer_store_dword v10, off, s[0:3], 0 offset:28
	buffer_store_dword v10, off, s[0:3], 0 offset:24
	buffer_store_dword v10, off, s[0:3], 0 offset:36
	buffer_store_dword v10, off, s[0:3], 0 offset:32
	buffer_store_dword v10, off, s[0:3], 0 offset:44
	buffer_store_dword v10, off, s[0:3], 0 offset:40
	buffer_store_dword v10, off, s[0:3], 0 offset:52
	buffer_store_dword v10, off, s[0:3], 0 offset:48
	v_and_b32_e32 v22, 63, v2
	v_lshrrev_b32_e32 v82, 6, v2
	buffer_store_dword v10, off, s[0:3], 0 offset:60
	buffer_store_dword v10, off, s[0:3], 0 offset:56
	;; [unrolled: 1-line block ×19, first 2 shown]
	s_waitcnt lgkmcnt(0)
	s_add_i32 s8, s40, -1
	v_cmp_le_i32_e32 vcc_lo, s42, v82
	s_ashr_i32 s9, s8, 31
	buffer_store_dword v10, off, s[0:3], 0 offset:128
	buffer_store_dword v10, off, s[0:3], 0 offset:140
	;; [unrolled: 1-line block ×4, first 2 shown]
	s_lshr_b32 s9, s9, 25
	buffer_store_dword v10, off, s[0:3], 0 offset:144
	buffer_store_dword v10, off, s[0:3], 0 offset:156
	;; [unrolled: 1-line block ×4, first 2 shown]
	s_add_i32 s8, s8, s9
	buffer_store_dword v10, off, s[0:3], 0 offset:160
	buffer_store_dword v10, off, s[0:3], 0 offset:172
	s_ashr_i32 s8, s8, 7
	buffer_store_dword v10, off, s[0:3], 0 offset:168
	s_add_i32 s9, s8, 1
	s_not_b32 s8, s8
	v_cvt_f32_u32_e32 v2, s9
	buffer_store_dword v10, off, s[0:3], 0 offset:180
	buffer_store_dword v10, off, s[0:3], 0 offset:176
	;; [unrolled: 1-line block ×4, first 2 shown]
	v_rcp_iflag_f32_e32 v2, v2
	buffer_store_dword v10, off, s[0:3], 0 offset:196
	buffer_store_dword v10, off, s[0:3], 0 offset:192
	;; [unrolled: 1-line block ×77, first 2 shown]
	v_mul_f32_e32 v2, 0x4f7ffffe, v2
	buffer_store_dword v10, off, s[0:3], 0 offset:496
	buffer_store_dword v10, off, s[0:3], 0 offset:508
	;; [unrolled: 1-line block ×3, first 2 shown]
	v_cvt_u32_f32_e32 v2, v2
	v_readfirstlane_b32 s10, v2
	v_mad_i64_i32 v[2:3], null, s21, v82, 0
	s_mul_i32 s8, s8, s10
	s_mul_hi_u32 s8, s10, s8
	v_lshlrev_b64 v[2:3], 3, v[2:3]
	s_add_i32 s10, s10, s8
	s_mul_hi_u32 s8, s6, s10
	s_mul_i32 s10, s8, s9
	s_add_i32 s11, s8, 1
	s_sub_i32 s10, s6, s10
	s_sub_i32 s12, s10, s9
	s_cmp_ge_u32 s10, s9
	s_cselect_b32 s8, s11, s8
	s_cselect_b32 s10, s12, s10
	s_add_i32 s11, s8, 1
	s_cmp_ge_u32 s10, s9
	s_cselect_b32 s10, s11, s8
	s_mul_i32 s8, s10, s9
	s_sub_i32 s6, s6, s8
	s_lshl_b32 s12, s6, 7
	v_add_co_u32 v8, s6, s16, v2
	v_or_b32_e32 v6, s12, v22
	v_add_co_ci_u32_e64 v9, null, s17, v3, s6
	v_mov_b32_e32 v2, 0
	v_mov_b32_e32 v3, 0
	v_cmp_le_i32_e64 s6, s40, v6
	v_ashrrev_i32_e32 v7, 31, v6
	s_nor_b32 s8, s6, vcc_lo
	s_and_saveexec_b32 s9, s8
	s_cbranch_execz .LBB196_10
; %bb.9:
	v_lshlrev_b64 v[4:5], 3, v[6:7]
	v_add_co_u32 v4, s8, v8, v4
	v_add_co_ci_u32_e64 v5, null, v9, v5, s8
	global_load_dwordx2 v[4:5], v[4:5], off
.LBB196_10:
	s_or_b32 exec_lo, exec_lo, s9
	v_or_b32_e32 v10, 64, v6
	s_ashr_i32 s22, s21, 31
	v_cmp_le_i32_e64 s8, s40, v10
	s_nor_b32 s9, s8, vcc_lo
	s_and_saveexec_b32 s11, s9
	s_cbranch_execz .LBB196_12
; %bb.11:
	v_lshlrev_b64 v[2:3], 3, v[6:7]
	v_add_co_u32 v2, s9, v8, v2
	v_add_co_ci_u32_e64 v3, null, v9, v3, s9
	global_load_dwordx2 v[2:3], v[2:3], off offset:512
.LBB196_12:
	s_or_b32 exec_lo, exec_lo, s11
	s_load_dword s23, s[4:5], 0x38
	s_lshl_b32 s13, s10, 7
	v_mov_b32_e32 v18, 0
	v_mov_b32_e32 v20, 0
	;; [unrolled: 1-line block ×4, first 2 shown]
	s_waitcnt lgkmcnt(0)
	v_mad_u64_u32 v[9:10], null, s23, v82, 0
	s_ashr_i32 s24, s23, 31
	v_mov_b32_e32 v8, v10
	v_mad_u64_u32 v[10:11], null, s24, v82, v[8:9]
	v_or_b32_e32 v8, s13, v22
	v_cmp_le_i32_e64 s9, s41, v8
	v_lshlrev_b64 v[10:11], 3, v[9:10]
	v_ashrrev_i32_e32 v9, 31, v8
	v_add_co_u32 v10, s10, s18, v10
	v_add_co_ci_u32_e64 v11, null, s19, v11, s10
	s_nor_b32 s10, s9, vcc_lo
	s_and_saveexec_b32 s11, s10
	s_cbranch_execz .LBB196_14
; %bb.13:
	v_lshlrev_b64 v[12:13], 3, v[8:9]
	v_add_co_u32 v12, s10, v10, v12
	v_add_co_ci_u32_e64 v13, null, v11, v13, s10
	global_load_dwordx2 v[20:21], v[12:13], off
.LBB196_14:
	s_or_b32 exec_lo, exec_lo, s11
	v_or_b32_e32 v12, 64, v8
	v_cmp_le_i32_e64 s10, s41, v12
	s_nor_b32 s20, s10, vcc_lo
	s_and_saveexec_b32 s11, s20
	s_cbranch_execz .LBB196_16
; %bb.15:
	v_lshlrev_b64 v[12:13], 3, v[8:9]
	v_add_co_u32 v10, vcc_lo, v10, v12
	v_add_co_ci_u32_e64 v11, null, v11, v13, vcc_lo
	global_load_dwordx2 v[18:19], v[10:11], off offset:512
.LBB196_16:
	s_or_b32 exec_lo, exec_lo, s11
	v_add_nc_u32_e32 v14, 4, v82
	v_mad_u64_u32 v[10:11], null, s21, v14, 0
	v_cmp_le_i32_e32 vcc_lo, s42, v14
	v_mad_u64_u32 v[11:12], null, s22, v14, v[11:12]
	v_mov_b32_e32 v12, 0
	v_mov_b32_e32 v13, 0
	v_lshlrev_b64 v[15:16], 3, v[10:11]
	v_mov_b32_e32 v10, 0
	v_mov_b32_e32 v11, 0
	v_add_co_u32 v15, s11, s16, v15
	v_add_co_ci_u32_e64 v16, null, s17, v16, s11
	s_nor_b32 s11, s6, vcc_lo
	s_and_saveexec_b32 s20, s11
	s_cbranch_execz .LBB196_18
; %bb.17:
	v_lshlrev_b64 v[12:13], 3, v[6:7]
	v_add_co_u32 v12, s11, v15, v12
	v_add_co_ci_u32_e64 v13, null, v16, v13, s11
	global_load_dwordx2 v[12:13], v[12:13], off
.LBB196_18:
	s_or_b32 exec_lo, exec_lo, s20
	s_nor_b32 s11, s8, vcc_lo
	s_and_saveexec_b32 s20, s11
	s_cbranch_execz .LBB196_20
; %bb.19:
	v_lshlrev_b64 v[10:11], 3, v[6:7]
	v_add_co_u32 v10, s11, v15, v10
	v_add_co_ci_u32_e64 v11, null, v16, v11, s11
	global_load_dwordx2 v[10:11], v[10:11], off offset:512
.LBB196_20:
	s_or_b32 exec_lo, exec_lo, s20
	v_mad_u64_u32 v[15:16], null, s23, v14, 0
	v_mad_u64_u32 v[16:17], null, s24, v14, v[16:17]
	v_lshlrev_b64 v[23:24], 3, v[15:16]
	v_mov_b32_e32 v14, 0
	v_mov_b32_e32 v16, 0
	;; [unrolled: 1-line block ×4, first 2 shown]
	v_add_co_u32 v23, s11, s18, v23
	v_add_co_ci_u32_e64 v24, null, s19, v24, s11
	s_nor_b32 s11, s9, vcc_lo
	s_and_saveexec_b32 s20, s11
	s_cbranch_execz .LBB196_22
; %bb.21:
	v_lshlrev_b64 v[16:17], 3, v[8:9]
	v_add_co_u32 v16, s11, v23, v16
	v_add_co_ci_u32_e64 v17, null, v24, v17, s11
	global_load_dwordx2 v[16:17], v[16:17], off
.LBB196_22:
	s_or_b32 exec_lo, exec_lo, s20
	s_nor_b32 s20, s10, vcc_lo
	s_and_saveexec_b32 s11, s20
	s_cbranch_execz .LBB196_24
; %bb.23:
	v_lshlrev_b64 v[14:15], 3, v[8:9]
	v_add_co_u32 v14, vcc_lo, v23, v14
	v_add_co_ci_u32_e64 v15, null, v24, v15, vcc_lo
	global_load_dwordx2 v[14:15], v[14:15], off offset:512
.LBB196_24:
	s_or_b32 exec_lo, exec_lo, s11
	v_lshlrev_b32_e32 v22, 5, v22
	v_lshlrev_b32_e32 v84, 5, v0
	v_lshl_or_b32 v86, v1, 5, 0x2000
	s_mov_b32 s20, 0
	s_mov_b32 s11, 0
	v_lshl_add_u32 v83, v82, 3, v22
	s_addk_i32 s20, 0x100
	v_add_nc_u32_e32 v85, 0x2000, v83
	s_waitcnt vmcnt(0)
	ds_write2st64_b64 v83, v[4:5], v[2:3] offset1:4
	ds_write2st64_b64 v83, v[20:21], v[18:19] offset0:16 offset1:20
	s_waitcnt lgkmcnt(0)
	s_waitcnt_vscnt null, 0x0
	s_barrier
	buffer_gl0_inv
.LBB196_25:                             ; =>This Loop Header: Depth=1
                                        ;     Child Loop BB196_26 Depth 2
	s_lshl_b32 s25, s11, 3
	s_mov_b32 s26, 0
	v_add_nc_u32_e32 v18, s25, v84
	v_add_nc_u32_e32 v87, s25, v86
	s_mov_b32 s25, -1
	ds_read2_b64 v[2:5], v18 offset1:16
	ds_read2_b64 v[22:25], v18 offset0:32 offset1:48
	ds_read2_b64 v[26:29], v18 offset0:64 offset1:80
	;; [unrolled: 1-line block ×4, first 2 shown]
	v_add_nc_u32_e32 v78, 0x800, v18
	ds_read2_b64 v[38:41], v18 offset0:160 offset1:176
	ds_read2_b64 v[42:45], v18 offset0:192 offset1:208
	;; [unrolled: 1-line block ×3, first 2 shown]
	ds_read2_b64 v[50:53], v78 offset1:16
	ds_read2_b64 v[54:57], v78 offset0:32 offset1:48
	ds_read2_b64 v[58:61], v78 offset0:64 offset1:80
	ds_read2_b64 v[62:65], v78 offset0:96 offset1:112
	ds_read2_b64 v[66:69], v78 offset0:128 offset1:144
	ds_read2_b64 v[70:73], v78 offset0:160 offset1:176
	ds_read2_b64 v[74:77], v78 offset0:192 offset1:208
	s_waitcnt lgkmcnt(9)
	v_max_f64 v[38:39], v[38:39], v[38:39]
	v_max_f64 v[40:41], v[40:41], v[40:41]
	;; [unrolled: 1-line block ×4, first 2 shown]
	ds_read2_b64 v[2:5], v78 offset0:224 offset1:240
	v_max_f64 v[22:23], v[22:23], v[22:23]
	v_max_f64 v[24:25], v[24:25], v[24:25]
	;; [unrolled: 1-line block ×8, first 2 shown]
	s_waitcnt lgkmcnt(9)
	v_max_f64 v[42:43], v[42:43], v[42:43]
	v_max_f64 v[44:45], v[44:45], v[44:45]
	s_waitcnt lgkmcnt(8)
	v_max_f64 v[46:47], v[46:47], v[46:47]
	v_max_f64 v[48:49], v[48:49], v[48:49]
	;; [unrolled: 3-line block ×10, first 2 shown]
	ds_read2st64_b64 v[2:5], v87 offset1:4
.LBB196_26:                             ;   Parent Loop BB196_25 Depth=1
                                        ; =>  This Inner Loop Header: Depth=2
	v_mov_b32_e32 v87, s26
	s_waitcnt lgkmcnt(0)
	v_max_f64 v[2:3], v[2:3], v[2:3]
	s_and_b32 vcc_lo, exec_lo, s25
	s_mov_b32 s25, 0
	s_mov_b32 s26, s20
	s_clause 0xf
	buffer_load_dword v90, v87, s[0:3], 0 offen
	buffer_load_dword v91, v87, s[0:3], 0 offen offset:4
	buffer_load_dword v92, v87, s[0:3], 0 offen offset:8
	;; [unrolled: 1-line block ×15, first 2 shown]
	v_min_f64 v[88:89], v[18:19], v[2:3]
	s_waitcnt vmcnt(14)
	v_add_f64 v[88:89], v[88:89], v[90:91]
	buffer_store_dword v88, v87, s[0:3], 0 offen
	buffer_store_dword v89, v87, s[0:3], 0 offen offset:4
	v_min_f64 v[88:89], v[20:21], v[2:3]
	s_waitcnt vmcnt(12)
	v_add_f64 v[88:89], v[88:89], v[92:93]
	buffer_store_dword v88, v87, s[0:3], 0 offen offset:8
	buffer_store_dword v89, v87, s[0:3], 0 offen offset:12
	v_min_f64 v[88:89], v[22:23], v[2:3]
	s_waitcnt vmcnt(10)
	v_add_f64 v[88:89], v[88:89], v[94:95]
	buffer_store_dword v88, v87, s[0:3], 0 offen offset:16
	;; [unrolled: 5-line block ×7, first 2 shown]
	buffer_store_dword v89, v87, s[0:3], 0 offen offset:60
	s_clause 0x1
	buffer_load_dword v91, v87, s[0:3], 0 offen offset:68
	buffer_load_dword v90, v87, s[0:3], 0 offen offset:64
	v_min_f64 v[88:89], v[34:35], v[2:3]
	s_waitcnt vmcnt(0)
	v_add_f64 v[88:89], v[88:89], v[90:91]
	buffer_store_dword v89, v87, s[0:3], 0 offen offset:68
	buffer_store_dword v88, v87, s[0:3], 0 offen offset:64
	s_clause 0x1
	buffer_load_dword v90, v87, s[0:3], 0 offen offset:72
	buffer_load_dword v91, v87, s[0:3], 0 offen offset:76
	v_min_f64 v[88:89], v[36:37], v[2:3]
	s_waitcnt vmcnt(0)
	v_add_f64 v[88:89], v[88:89], v[90:91]
	buffer_store_dword v89, v87, s[0:3], 0 offen offset:76
	;; [unrolled: 8-line block ×22, first 2 shown]
	buffer_store_dword v88, v87, s[0:3], 0 offen offset:232
	s_clause 0x1
	buffer_load_dword v90, v87, s[0:3], 0 offen offset:240
	buffer_load_dword v91, v87, s[0:3], 0 offen offset:244
	v_min_f64 v[88:89], v[78:79], v[2:3]
	v_min_f64 v[2:3], v[80:81], v[2:3]
	s_waitcnt vmcnt(0)
	v_add_f64 v[88:89], v[88:89], v[90:91]
	buffer_store_dword v89, v87, s[0:3], 0 offen offset:244
	buffer_store_dword v88, v87, s[0:3], 0 offen offset:240
	s_clause 0x1
	buffer_load_dword v88, v87, s[0:3], 0 offen offset:248
	buffer_load_dword v89, v87, s[0:3], 0 offen offset:252
	s_waitcnt vmcnt(0)
	v_add_f64 v[2:3], v[2:3], v[88:89]
	buffer_store_dword v3, v87, s[0:3], 0 offen offset:252
	buffer_store_dword v2, v87, s[0:3], 0 offen offset:248
	v_mov_b32_e32 v2, v4
	v_mov_b32_e32 v3, v5
	s_cbranch_vccnz .LBB196_26
; %bb.27:                               ;   in Loop: Header=BB196_25 Depth=1
	s_add_i32 s11, s11, 1
	s_cmp_eq_u32 s11, 4
	s_cbranch_scc0 .LBB196_25
; %bb.28:
	v_lshl_add_u32 v87, v0, 5, 0x1000
	v_lshl_add_u32 v88, v1, 5, 0x3000
	s_cmp_lt_i32 s42, 9
	ds_write2st64_b64 v83, v[12:13], v[10:11] offset0:8 offset1:12
	ds_write2st64_b64 v83, v[16:17], v[14:15] offset0:24 offset1:28
	s_waitcnt lgkmcnt(0)
	s_waitcnt_vscnt null, 0x0
	s_barrier
	buffer_gl0_inv
	s_cbranch_scc1 .LBB196_55
; %bb.29:
	v_lshlrev_b64 v[70:71], 3, v[6:7]
	v_lshlrev_b64 v[72:73], 3, v[8:9]
	v_add_nc_u32_e32 v89, 0x1000, v83
	v_add_nc_u32_e32 v90, 0x3000, v83
	s_add_i32 s25, s42, -8
	s_mov_b32 s26, 8
	s_mov_b32 s27, 0
.LBB196_30:                             ; =>This Loop Header: Depth=1
                                        ;     Child Loop BB196_39 Depth 2
                                        ;       Child Loop BB196_40 Depth 3
                                        ;     Child Loop BB196_51 Depth 2
                                        ;       Child Loop BB196_52 Depth 3
	v_add_nc_u32_e32 v2, s26, v82
	v_mov_b32_e32 v6, 0
	v_mov_b32_e32 v8, 0
	;; [unrolled: 1-line block ×4, first 2 shown]
	v_mad_u64_u32 v[3:4], null, v2, s21, 0
	v_cmp_le_i32_e32 vcc_lo, s42, v2
	v_mad_u64_u32 v[4:5], null, v2, s22, v[4:5]
	v_lshlrev_b64 v[3:4], 3, v[3:4]
	v_add_co_u32 v3, s11, s16, v3
	v_add_co_ci_u32_e64 v4, null, s17, v4, s11
	s_nor_b32 s11, s6, vcc_lo
	s_and_saveexec_b32 s28, s11
	s_cbranch_execz .LBB196_32
; %bb.31:                               ;   in Loop: Header=BB196_30 Depth=1
	v_add_co_u32 v8, s11, v3, v70
	v_add_co_ci_u32_e64 v9, null, v4, v71, s11
	global_load_dwordx2 v[8:9], v[8:9], off
.LBB196_32:                             ;   in Loop: Header=BB196_30 Depth=1
	s_or_b32 exec_lo, exec_lo, s28
	s_nor_b32 s11, s8, vcc_lo
	s_and_saveexec_b32 s28, s11
	s_cbranch_execz .LBB196_34
; %bb.33:                               ;   in Loop: Header=BB196_30 Depth=1
	v_add_co_u32 v3, s11, v3, v70
	v_add_co_ci_u32_e64 v4, null, v4, v71, s11
	global_load_dwordx2 v[6:7], v[3:4], off offset:512
.LBB196_34:                             ;   in Loop: Header=BB196_30 Depth=1
	s_or_b32 exec_lo, exec_lo, s28
	v_mad_u64_u32 v[3:4], null, v2, s23, 0
	v_mov_b32_e32 v10, 0
	v_mov_b32_e32 v12, 0
	;; [unrolled: 1-line block ×4, first 2 shown]
	v_mad_u64_u32 v[4:5], null, v2, s24, v[4:5]
	v_lshlrev_b64 v[2:3], 3, v[3:4]
	v_add_co_u32 v2, s11, s18, v2
	v_add_co_ci_u32_e64 v3, null, s19, v3, s11
	s_nor_b32 s11, s9, vcc_lo
	s_and_saveexec_b32 s28, s11
	s_cbranch_execz .LBB196_36
; %bb.35:                               ;   in Loop: Header=BB196_30 Depth=1
	v_add_co_u32 v4, s11, v2, v72
	v_add_co_ci_u32_e64 v5, null, v3, v73, s11
	global_load_dwordx2 v[12:13], v[4:5], off
.LBB196_36:                             ;   in Loop: Header=BB196_30 Depth=1
	s_or_b32 exec_lo, exec_lo, s28
	s_nor_b32 s28, s10, vcc_lo
	s_and_saveexec_b32 s11, s28
	s_cbranch_execz .LBB196_38
; %bb.37:                               ;   in Loop: Header=BB196_30 Depth=1
	v_add_co_u32 v2, vcc_lo, v2, v72
	v_add_co_ci_u32_e64 v3, null, v3, v73, vcc_lo
	global_load_dwordx2 v[10:11], v[2:3], off offset:512
.LBB196_38:                             ;   in Loop: Header=BB196_30 Depth=1
	s_or_b32 exec_lo, exec_lo, s11
	s_mov_b32 s11, 0
.LBB196_39:                             ;   Parent Loop BB196_30 Depth=1
                                        ; =>  This Loop Header: Depth=2
                                        ;       Child Loop BB196_40 Depth 3
	s_lshl_b32 s28, s11, 3
	s_mov_b32 s29, 0
	v_add_nc_u32_e32 v14, s28, v87
	v_add_nc_u32_e32 v91, s28, v88
	s_mov_b32 s28, -1
	ds_read2_b64 v[2:5], v14 offset1:16
	ds_read2_b64 v[18:21], v14 offset0:32 offset1:48
	ds_read2_b64 v[22:25], v14 offset0:64 offset1:80
	v_add_nc_u32_e32 v15, 0x800, v14
	ds_read2_b64 v[26:29], v14 offset0:96 offset1:112
	ds_read2_b64 v[30:33], v14 offset0:128 offset1:144
	;; [unrolled: 1-line block ×5, first 2 shown]
	ds_read2_b64 v[46:49], v15 offset1:16
	ds_read2_b64 v[50:53], v15 offset0:32 offset1:48
	ds_read2_b64 v[54:57], v15 offset0:64 offset1:80
	;; [unrolled: 1-line block ×7, first 2 shown]
	s_waitcnt lgkmcnt(11)
	v_max_f64 v[30:31], v[30:31], v[30:31]
	v_max_f64 v[32:33], v[32:33], v[32:33]
	s_waitcnt lgkmcnt(10)
	v_max_f64 v[34:35], v[34:35], v[34:35]
	v_max_f64 v[36:37], v[36:37], v[36:37]
	;; [unrolled: 3-line block ×3, first 2 shown]
	v_max_f64 v[14:15], v[2:3], v[2:3]
	v_max_f64 v[16:17], v[4:5], v[4:5]
	;; [unrolled: 1-line block ×8, first 2 shown]
	s_waitcnt lgkmcnt(8)
	v_max_f64 v[42:43], v[42:43], v[42:43]
	v_max_f64 v[44:45], v[44:45], v[44:45]
	s_waitcnt lgkmcnt(7)
	v_max_f64 v[46:47], v[46:47], v[46:47]
	v_max_f64 v[48:49], v[48:49], v[48:49]
	;; [unrolled: 3-line block ×9, first 2 shown]
	ds_read2st64_b64 v[2:5], v91 offset1:4
.LBB196_40:                             ;   Parent Loop BB196_30 Depth=1
                                        ;     Parent Loop BB196_39 Depth=2
                                        ; =>    This Inner Loop Header: Depth=3
	v_mov_b32_e32 v91, s29
	s_waitcnt lgkmcnt(0)
	v_max_f64 v[2:3], v[2:3], v[2:3]
	s_and_b32 vcc_lo, exec_lo, s28
	s_mov_b32 s28, 0
	s_mov_b32 s29, s20
	s_clause 0xf
	buffer_load_dword v94, v91, s[0:3], 0 offen
	buffer_load_dword v95, v91, s[0:3], 0 offen offset:4
	buffer_load_dword v96, v91, s[0:3], 0 offen offset:8
	;; [unrolled: 1-line block ×15, first 2 shown]
	v_min_f64 v[92:93], v[14:15], v[2:3]
	s_waitcnt vmcnt(14)
	v_add_f64 v[92:93], v[92:93], v[94:95]
	buffer_store_dword v92, v91, s[0:3], 0 offen
	buffer_store_dword v93, v91, s[0:3], 0 offen offset:4
	v_min_f64 v[92:93], v[16:17], v[2:3]
	s_waitcnt vmcnt(12)
	v_add_f64 v[92:93], v[92:93], v[96:97]
	buffer_store_dword v92, v91, s[0:3], 0 offen offset:8
	buffer_store_dword v93, v91, s[0:3], 0 offen offset:12
	v_min_f64 v[92:93], v[18:19], v[2:3]
	s_waitcnt vmcnt(10)
	v_add_f64 v[92:93], v[92:93], v[98:99]
	buffer_store_dword v92, v91, s[0:3], 0 offen offset:16
	;; [unrolled: 5-line block ×7, first 2 shown]
	buffer_store_dword v93, v91, s[0:3], 0 offen offset:60
	s_clause 0x1
	buffer_load_dword v95, v91, s[0:3], 0 offen offset:68
	buffer_load_dword v94, v91, s[0:3], 0 offen offset:64
	v_min_f64 v[92:93], v[30:31], v[2:3]
	s_waitcnt vmcnt(0)
	v_add_f64 v[92:93], v[92:93], v[94:95]
	buffer_store_dword v93, v91, s[0:3], 0 offen offset:68
	buffer_store_dword v92, v91, s[0:3], 0 offen offset:64
	s_clause 0x1
	buffer_load_dword v94, v91, s[0:3], 0 offen offset:72
	buffer_load_dword v95, v91, s[0:3], 0 offen offset:76
	v_min_f64 v[92:93], v[32:33], v[2:3]
	s_waitcnt vmcnt(0)
	v_add_f64 v[92:93], v[92:93], v[94:95]
	buffer_store_dword v93, v91, s[0:3], 0 offen offset:76
	;; [unrolled: 8-line block ×22, first 2 shown]
	buffer_store_dword v92, v91, s[0:3], 0 offen offset:232
	s_clause 0x1
	buffer_load_dword v94, v91, s[0:3], 0 offen offset:240
	buffer_load_dword v95, v91, s[0:3], 0 offen offset:244
	v_min_f64 v[92:93], v[78:79], v[2:3]
	v_min_f64 v[2:3], v[80:81], v[2:3]
	s_waitcnt vmcnt(0)
	v_add_f64 v[92:93], v[92:93], v[94:95]
	buffer_store_dword v93, v91, s[0:3], 0 offen offset:244
	buffer_store_dword v92, v91, s[0:3], 0 offen offset:240
	s_clause 0x1
	buffer_load_dword v92, v91, s[0:3], 0 offen offset:248
	buffer_load_dword v93, v91, s[0:3], 0 offen offset:252
	s_waitcnt vmcnt(0)
	v_add_f64 v[2:3], v[2:3], v[92:93]
	buffer_store_dword v3, v91, s[0:3], 0 offen offset:252
	buffer_store_dword v2, v91, s[0:3], 0 offen offset:248
	v_mov_b32_e32 v2, v4
	v_mov_b32_e32 v3, v5
	s_cbranch_vccnz .LBB196_40
; %bb.41:                               ;   in Loop: Header=BB196_39 Depth=2
	s_add_i32 s11, s11, 1
	s_cmp_eq_u32 s11, 4
	s_cbranch_scc0 .LBB196_39
; %bb.42:                               ;   in Loop: Header=BB196_30 Depth=1
	v_add3_u32 v2, v82, s26, 4
	v_mov_b32_e32 v74, 0
	v_mov_b32_e32 v76, 0
	;; [unrolled: 1-line block ×4, first 2 shown]
	v_mad_u64_u32 v[3:4], null, v2, s21, 0
	v_cmp_le_i32_e32 vcc_lo, s42, v2
	ds_write2st64_b64 v83, v[8:9], v[6:7] offset1:4
	ds_write2st64_b64 v85, v[12:13], v[10:11] offset1:4
	s_waitcnt lgkmcnt(0)
	s_waitcnt_vscnt null, 0x0
	s_barrier
	buffer_gl0_inv
	v_mad_u64_u32 v[4:5], null, v2, s22, v[4:5]
	v_lshlrev_b64 v[3:4], 3, v[3:4]
	v_add_co_u32 v3, s11, s16, v3
	v_add_co_ci_u32_e64 v4, null, s17, v4, s11
	s_nor_b32 s11, s6, vcc_lo
	s_and_saveexec_b32 s28, s11
	s_cbranch_execz .LBB196_44
; %bb.43:                               ;   in Loop: Header=BB196_30 Depth=1
	v_add_co_u32 v5, s11, v3, v70
	v_add_co_ci_u32_e64 v6, null, v4, v71, s11
	global_load_dwordx2 v[76:77], v[5:6], off
.LBB196_44:                             ;   in Loop: Header=BB196_30 Depth=1
	s_or_b32 exec_lo, exec_lo, s28
	s_nor_b32 s11, s8, vcc_lo
	s_and_saveexec_b32 s28, s11
	s_cbranch_execz .LBB196_46
; %bb.45:                               ;   in Loop: Header=BB196_30 Depth=1
	v_add_co_u32 v3, s11, v3, v70
	v_add_co_ci_u32_e64 v4, null, v4, v71, s11
	global_load_dwordx2 v[74:75], v[3:4], off offset:512
.LBB196_46:                             ;   in Loop: Header=BB196_30 Depth=1
	s_or_b32 exec_lo, exec_lo, s28
	v_mad_u64_u32 v[3:4], null, v2, s23, 0
	v_mov_b32_e32 v78, 0
	v_mov_b32_e32 v80, 0
	;; [unrolled: 1-line block ×4, first 2 shown]
	v_mad_u64_u32 v[4:5], null, v2, s24, v[4:5]
	v_lshlrev_b64 v[2:3], 3, v[3:4]
	v_add_co_u32 v2, s11, s18, v2
	v_add_co_ci_u32_e64 v3, null, s19, v3, s11
	s_nor_b32 s11, s9, vcc_lo
	s_and_saveexec_b32 s28, s11
	s_cbranch_execz .LBB196_48
; %bb.47:                               ;   in Loop: Header=BB196_30 Depth=1
	v_add_co_u32 v4, s11, v2, v72
	v_add_co_ci_u32_e64 v5, null, v3, v73, s11
	global_load_dwordx2 v[80:81], v[4:5], off
.LBB196_48:                             ;   in Loop: Header=BB196_30 Depth=1
	s_or_b32 exec_lo, exec_lo, s28
	s_nor_b32 s28, s10, vcc_lo
	s_and_saveexec_b32 s11, s28
	s_cbranch_execz .LBB196_50
; %bb.49:                               ;   in Loop: Header=BB196_30 Depth=1
	v_add_co_u32 v2, vcc_lo, v2, v72
	v_add_co_ci_u32_e64 v3, null, v3, v73, vcc_lo
	global_load_dwordx2 v[78:79], v[2:3], off offset:512
.LBB196_50:                             ;   in Loop: Header=BB196_30 Depth=1
	s_or_b32 exec_lo, exec_lo, s11
	s_mov_b32 s11, 0
.LBB196_51:                             ;   Parent Loop BB196_30 Depth=1
                                        ; =>  This Loop Header: Depth=2
                                        ;       Child Loop BB196_52 Depth 3
	s_lshl_b32 s28, s11, 3
	s_mov_b32 s29, 0
	v_add_nc_u32_e32 v30, s28, v84
	v_add_nc_u32_e32 v66, s28, v86
	s_mov_b32 s28, -1
	ds_read2_b64 v[2:5], v30 offset1:16
	ds_read2_b64 v[6:9], v30 offset0:32 offset1:48
	ds_read2_b64 v[10:13], v30 offset0:64 offset1:80
	;; [unrolled: 1-line block ×3, first 2 shown]
	v_add_nc_u32_e32 v62, 0x800, v30
	ds_read2_b64 v[18:21], v30 offset0:128 offset1:144
	ds_read2_b64 v[22:25], v30 offset0:160 offset1:176
	;; [unrolled: 1-line block ×4, first 2 shown]
	ds_read2_b64 v[34:37], v62 offset1:16
	ds_read2_b64 v[38:41], v62 offset0:32 offset1:48
	ds_read2_b64 v[42:45], v62 offset0:64 offset1:80
	;; [unrolled: 1-line block ×7, first 2 shown]
	ds_read2st64_b64 v[66:69], v66 offset1:4
.LBB196_52:                             ;   Parent Loop BB196_30 Depth=1
                                        ;     Parent Loop BB196_51 Depth=2
                                        ; =>    This Inner Loop Header: Depth=3
	s_waitcnt lgkmcnt(16)
	v_max_f64 v[91:92], v[2:3], v[2:3]
	s_waitcnt lgkmcnt(0)
	v_max_f64 v[66:67], v[66:67], v[66:67]
	s_and_b32 vcc_lo, exec_lo, s28
	s_mov_b32 s28, 0
	v_min_f64 v[92:93], v[91:92], v[66:67]
	v_mov_b32_e32 v91, s29
	s_mov_b32 s29, s20
	s_clause 0xf
	buffer_load_dword v94, v91, s[0:3], 0 offen
	buffer_load_dword v95, v91, s[0:3], 0 offen offset:4
	buffer_load_dword v96, v91, s[0:3], 0 offen offset:8
	;; [unrolled: 1-line block ×15, first 2 shown]
	s_waitcnt vmcnt(14)
	v_add_f64 v[92:93], v[92:93], v[94:95]
	buffer_store_dword v92, v91, s[0:3], 0 offen
	buffer_store_dword v93, v91, s[0:3], 0 offen offset:4
	v_max_f64 v[92:93], v[4:5], v[4:5]
	v_min_f64 v[92:93], v[92:93], v[66:67]
	s_waitcnt vmcnt(12)
	v_add_f64 v[92:93], v[92:93], v[96:97]
	buffer_store_dword v92, v91, s[0:3], 0 offen offset:8
	buffer_store_dword v93, v91, s[0:3], 0 offen offset:12
	v_max_f64 v[92:93], v[6:7], v[6:7]
	v_min_f64 v[92:93], v[92:93], v[66:67]
	s_waitcnt vmcnt(10)
	v_add_f64 v[92:93], v[92:93], v[98:99]
	buffer_store_dword v92, v91, s[0:3], 0 offen offset:16
	;; [unrolled: 6-line block ×7, first 2 shown]
	buffer_store_dword v93, v91, s[0:3], 0 offen offset:60
	s_clause 0x1
	buffer_load_dword v95, v91, s[0:3], 0 offen offset:68
	buffer_load_dword v94, v91, s[0:3], 0 offen offset:64
	v_max_f64 v[92:93], v[18:19], v[18:19]
	v_min_f64 v[92:93], v[92:93], v[66:67]
	s_waitcnt vmcnt(0)
	v_add_f64 v[92:93], v[92:93], v[94:95]
	buffer_store_dword v93, v91, s[0:3], 0 offen offset:68
	buffer_store_dword v92, v91, s[0:3], 0 offen offset:64
	s_clause 0x1
	buffer_load_dword v94, v91, s[0:3], 0 offen offset:72
	buffer_load_dword v95, v91, s[0:3], 0 offen offset:76
	v_max_f64 v[92:93], v[20:21], v[20:21]
	v_min_f64 v[92:93], v[92:93], v[66:67]
	s_waitcnt vmcnt(0)
	v_add_f64 v[92:93], v[92:93], v[94:95]
	buffer_store_dword v93, v91, s[0:3], 0 offen offset:76
	;; [unrolled: 9-line block ×23, first 2 shown]
	buffer_store_dword v92, v91, s[0:3], 0 offen offset:240
	v_max_f64 v[92:93], v[64:65], v[64:65]
	v_min_f64 v[66:67], v[92:93], v[66:67]
	s_clause 0x1
	buffer_load_dword v92, v91, s[0:3], 0 offen offset:248
	buffer_load_dword v93, v91, s[0:3], 0 offen offset:252
	s_waitcnt vmcnt(0)
	v_add_f64 v[66:67], v[66:67], v[92:93]
	buffer_store_dword v67, v91, s[0:3], 0 offen offset:252
	buffer_store_dword v66, v91, s[0:3], 0 offen offset:248
	v_mov_b32_e32 v66, v68
	v_mov_b32_e32 v67, v69
	s_cbranch_vccnz .LBB196_52
; %bb.53:                               ;   in Loop: Header=BB196_51 Depth=2
	s_add_i32 s11, s11, 1
	s_cmp_eq_u32 s11, 4
	s_cbranch_scc0 .LBB196_51
; %bb.54:                               ;   in Loop: Header=BB196_30 Depth=1
	s_add_i32 s27, s27, 8
	s_add_i32 s26, s26, 8
	s_cmp_ge_i32 s27, s25
	ds_write2st64_b64 v89, v[76:77], v[74:75] offset1:4
	ds_write2st64_b64 v90, v[80:81], v[78:79] offset1:4
	s_waitcnt lgkmcnt(0)
	s_waitcnt_vscnt null, 0x0
	s_barrier
	buffer_gl0_inv
	s_cbranch_scc0 .LBB196_30
.LBB196_55:
	s_mov_b32 s6, 0
.LBB196_56:                             ; =>This Loop Header: Depth=1
                                        ;     Child Loop BB196_57 Depth 2
	s_lshl_b32 s8, s6, 3
	s_mov_b32 s9, 0
	v_add_nc_u32_e32 v6, s8, v87
	v_add_nc_u32_e32 v70, s8, v88
	s_mov_b32 s8, -1
	ds_read2_b64 v[2:5], v6 offset1:16
	ds_read2_b64 v[10:13], v6 offset0:32 offset1:48
	ds_read2_b64 v[14:17], v6 offset0:64 offset1:80
	v_add_nc_u32_e32 v7, 0x800, v6
	ds_read2_b64 v[18:21], v6 offset0:96 offset1:112
	ds_read2_b64 v[22:25], v6 offset0:128 offset1:144
	;; [unrolled: 1-line block ×5, first 2 shown]
	ds_read2_b64 v[38:41], v7 offset1:16
	ds_read2_b64 v[42:45], v7 offset0:32 offset1:48
	ds_read2_b64 v[46:49], v7 offset0:64 offset1:80
	ds_read2_b64 v[50:53], v7 offset0:96 offset1:112
	ds_read2_b64 v[54:57], v7 offset0:128 offset1:144
	ds_read2_b64 v[58:61], v7 offset0:160 offset1:176
	ds_read2_b64 v[62:65], v7 offset0:192 offset1:208
	ds_read2_b64 v[66:69], v7 offset0:224 offset1:240
	s_waitcnt lgkmcnt(11)
	v_max_f64 v[22:23], v[22:23], v[22:23]
	v_max_f64 v[24:25], v[24:25], v[24:25]
	s_waitcnt lgkmcnt(10)
	v_max_f64 v[26:27], v[26:27], v[26:27]
	v_max_f64 v[28:29], v[28:29], v[28:29]
	;; [unrolled: 3-line block ×3, first 2 shown]
	v_max_f64 v[6:7], v[2:3], v[2:3]
	v_max_f64 v[8:9], v[4:5], v[4:5]
	;; [unrolled: 1-line block ×8, first 2 shown]
	s_waitcnt lgkmcnt(8)
	v_max_f64 v[34:35], v[34:35], v[34:35]
	v_max_f64 v[36:37], v[36:37], v[36:37]
	s_waitcnt lgkmcnt(7)
	v_max_f64 v[38:39], v[38:39], v[38:39]
	v_max_f64 v[40:41], v[40:41], v[40:41]
	;; [unrolled: 3-line block ×9, first 2 shown]
	ds_read2st64_b64 v[2:5], v70 offset1:4
.LBB196_57:                             ;   Parent Loop BB196_56 Depth=1
                                        ; =>  This Inner Loop Header: Depth=2
	v_mov_b32_e32 v70, s9
	s_waitcnt lgkmcnt(0)
	v_max_f64 v[2:3], v[2:3], v[2:3]
	s_and_b32 vcc_lo, exec_lo, s8
	s_mov_b32 s8, 0
	s_mov_b32 s9, s20
	s_clause 0xf
	buffer_load_dword v73, v70, s[0:3], 0 offen
	buffer_load_dword v74, v70, s[0:3], 0 offen offset:4
	buffer_load_dword v75, v70, s[0:3], 0 offen offset:8
	;; [unrolled: 1-line block ×15, first 2 shown]
	v_min_f64 v[71:72], v[6:7], v[2:3]
	s_waitcnt vmcnt(14)
	v_add_f64 v[71:72], v[71:72], v[73:74]
	buffer_store_dword v71, v70, s[0:3], 0 offen
	buffer_store_dword v72, v70, s[0:3], 0 offen offset:4
	v_min_f64 v[71:72], v[8:9], v[2:3]
	s_waitcnt vmcnt(12)
	v_add_f64 v[71:72], v[71:72], v[75:76]
	buffer_store_dword v71, v70, s[0:3], 0 offen offset:8
	buffer_store_dword v72, v70, s[0:3], 0 offen offset:12
	v_min_f64 v[71:72], v[10:11], v[2:3]
	s_waitcnt vmcnt(10)
	v_add_f64 v[71:72], v[71:72], v[77:78]
	buffer_store_dword v71, v70, s[0:3], 0 offen offset:16
	;; [unrolled: 5-line block ×7, first 2 shown]
	buffer_store_dword v72, v70, s[0:3], 0 offen offset:60
	s_clause 0x1
	buffer_load_dword v74, v70, s[0:3], 0 offen offset:68
	buffer_load_dword v73, v70, s[0:3], 0 offen offset:64
	v_min_f64 v[71:72], v[22:23], v[2:3]
	s_waitcnt vmcnt(0)
	v_add_f64 v[71:72], v[71:72], v[73:74]
	buffer_store_dword v72, v70, s[0:3], 0 offen offset:68
	buffer_store_dword v71, v70, s[0:3], 0 offen offset:64
	s_clause 0x1
	buffer_load_dword v73, v70, s[0:3], 0 offen offset:72
	buffer_load_dword v74, v70, s[0:3], 0 offen offset:76
	v_min_f64 v[71:72], v[24:25], v[2:3]
	s_waitcnt vmcnt(0)
	v_add_f64 v[71:72], v[71:72], v[73:74]
	buffer_store_dword v72, v70, s[0:3], 0 offen offset:76
	;; [unrolled: 8-line block ×22, first 2 shown]
	buffer_store_dword v71, v70, s[0:3], 0 offen offset:232
	s_clause 0x1
	buffer_load_dword v73, v70, s[0:3], 0 offen offset:240
	buffer_load_dword v74, v70, s[0:3], 0 offen offset:244
	v_min_f64 v[71:72], v[66:67], v[2:3]
	v_min_f64 v[2:3], v[68:69], v[2:3]
	s_waitcnt vmcnt(0)
	v_add_f64 v[71:72], v[71:72], v[73:74]
	buffer_store_dword v72, v70, s[0:3], 0 offen offset:244
	buffer_store_dword v71, v70, s[0:3], 0 offen offset:240
	s_clause 0x1
	buffer_load_dword v71, v70, s[0:3], 0 offen offset:248
	buffer_load_dword v72, v70, s[0:3], 0 offen offset:252
	s_waitcnt vmcnt(0)
	v_add_f64 v[2:3], v[2:3], v[71:72]
	buffer_store_dword v3, v70, s[0:3], 0 offen offset:252
	buffer_store_dword v2, v70, s[0:3], 0 offen offset:248
	v_mov_b32_e32 v2, v4
	v_mov_b32_e32 v3, v5
	s_cbranch_vccnz .LBB196_57
; %bb.58:                               ;   in Loop: Header=BB196_56 Depth=1
	s_add_i32 s6, s6, 1
	s_cmp_eq_u32 s6, 4
	s_cbranch_scc0 .LBB196_56
; %bb.59:
	s_clause 0x2
	s_load_dwordx2 s[8:9], s[4:5], 0x78
	s_load_dword s43, s[4:5], 0x58
	s_load_dword s42, s[4:5], 0x70
	v_add_nc_u32_e32 v71, s13, v1
	v_add_nc_u32_e32 v0, s12, v0
	v_cndmask_b32_e64 v70, 0, 1, s46
	v_cmp_gt_i32_e64 s13, s41, v71
	s_waitcnt lgkmcnt(0)
	s_mul_i32 s4, s9, s7
	v_mad_i64_i32 v[1:2], null, v71, s43, 0
	v_mad_i64_i32 v[3:4], null, v71, s42, 0
	s_mul_hi_u32 s5, s8, s7
	s_mul_i32 s6, s8, s7
	s_add_i32 s7, s5, s4
	v_cmp_gt_i32_e64 s4, s40, v0
	v_lshlrev_b64 v[5:6], 3, v[1:2]
	s_lshl_b64 s[6:7], s[6:7], 3
	v_lshlrev_b64 v[2:3], 3, v[3:4]
	s_add_u32 s47, s14, s6
	s_addc_u32 s48, s15, s7
	v_ashrrev_i32_e32 v1, 31, v0
	v_add_co_u32 v68, vcc_lo, s44, v5
	v_add_co_ci_u32_e64 v69, null, s45, v6, vcc_lo
	v_add_co_u32 v72, vcc_lo, s47, v2
	v_add_co_ci_u32_e64 v73, null, s48, v3, vcc_lo
	s_and_b32 s6, s13, s4
	s_and_saveexec_b32 s5, s6
	s_cbranch_execz .LBB196_64
; %bb.60:
	s_clause 0x1
	buffer_load_dword v2, off, s[0:3], 0
	buffer_load_dword v3, off, s[0:3], 0 offset:4
	v_lshlrev_b64 v[4:5], 3, v[0:1]
	s_andn2_b32 vcc_lo, exec_lo, s46
	s_cbranch_vccnz .LBB196_62
; %bb.61:
	v_add_co_u32 v6, vcc_lo, v68, v4
	v_add_co_ci_u32_e64 v7, null, v69, v5, vcc_lo
	global_load_dwordx2 v[6:7], v[6:7], off
	s_waitcnt vmcnt(0)
	v_mul_f64 v[6:7], s[38:39], v[6:7]
	s_branch .LBB196_63
.LBB196_62:
	v_mov_b32_e32 v6, 0
	v_mov_b32_e32 v7, 0
.LBB196_63:
	s_waitcnt vmcnt(0)
	v_add_f64 v[2:3], v[2:3], v[6:7]
	v_add_co_u32 v4, vcc_lo, v72, v4
	v_add_co_ci_u32_e64 v5, null, v73, v5, vcc_lo
	global_store_dwordx2 v[4:5], v[2:3], off
.LBB196_64:
	s_or_b32 exec_lo, exec_lo, s5
	v_add_nc_u32_e32 v2, 4, v0
	v_cmp_gt_i32_e64 s5, s40, v2
	v_ashrrev_i32_e32 v3, 31, v2
	s_and_b32 s7, s13, s5
	s_and_saveexec_b32 s6, s7
	s_cbranch_execz .LBB196_69
; %bb.65:
	s_clause 0x1
	buffer_load_dword v4, off, s[0:3], 0 offset:8
	buffer_load_dword v5, off, s[0:3], 0 offset:12
	v_lshlrev_b64 v[6:7], 3, v[2:3]
	s_andn2_b32 vcc_lo, exec_lo, s46
	s_cbranch_vccnz .LBB196_67
; %bb.66:
	v_add_co_u32 v8, vcc_lo, v68, v6
	v_add_co_ci_u32_e64 v9, null, v69, v7, vcc_lo
	global_load_dwordx2 v[8:9], v[8:9], off
	s_waitcnt vmcnt(0)
	v_mul_f64 v[8:9], s[38:39], v[8:9]
	s_branch .LBB196_68
.LBB196_67:
	v_mov_b32_e32 v8, 0
	v_mov_b32_e32 v9, 0
.LBB196_68:
	s_waitcnt vmcnt(0)
	v_add_f64 v[4:5], v[4:5], v[8:9]
	v_add_co_u32 v6, vcc_lo, v72, v6
	v_add_co_ci_u32_e64 v7, null, v73, v7, vcc_lo
	global_store_dwordx2 v[6:7], v[4:5], off
.LBB196_69:
	s_or_b32 exec_lo, exec_lo, s6
	v_add_nc_u32_e32 v4, 8, v0
	v_cmp_gt_i32_e64 s6, s40, v4
	v_ashrrev_i32_e32 v5, 31, v4
	s_and_b32 s8, s13, s6
	s_and_saveexec_b32 s7, s8
	s_cbranch_execz .LBB196_74
; %bb.70:
	s_clause 0x1
	buffer_load_dword v6, off, s[0:3], 0 offset:16
	buffer_load_dword v7, off, s[0:3], 0 offset:20
	v_lshlrev_b64 v[8:9], 3, v[4:5]
	s_andn2_b32 vcc_lo, exec_lo, s46
	s_cbranch_vccnz .LBB196_72
; %bb.71:
	v_add_co_u32 v10, vcc_lo, v68, v8
	v_add_co_ci_u32_e64 v11, null, v69, v9, vcc_lo
	global_load_dwordx2 v[10:11], v[10:11], off
	s_waitcnt vmcnt(0)
	v_mul_f64 v[10:11], s[38:39], v[10:11]
	s_branch .LBB196_73
.LBB196_72:
	v_mov_b32_e32 v10, 0
	v_mov_b32_e32 v11, 0
.LBB196_73:
	s_waitcnt vmcnt(0)
	v_add_f64 v[6:7], v[6:7], v[10:11]
	v_add_co_u32 v8, vcc_lo, v72, v8
	v_add_co_ci_u32_e64 v9, null, v73, v9, vcc_lo
	global_store_dwordx2 v[8:9], v[6:7], off
.LBB196_74:
	;; [unrolled: 31-line block ×31, first 2 shown]
	s_or_b32 exec_lo, exec_lo, s13
	v_add_nc_u32_e32 v68, 64, v71
	v_mad_i64_i32 v[64:65], null, v68, s43, 0
	v_mad_i64_i32 v[66:67], null, v68, s42, 0
	v_cmp_gt_i32_e64 s13, s41, v68
	v_lshlrev_b64 v[64:65], 3, v[64:65]
	s_and_b32 s4, s13, s4
	v_lshlrev_b64 v[66:67], 3, v[66:67]
	v_add_co_u32 v71, vcc_lo, s44, v64
	v_add_co_ci_u32_e64 v72, null, s45, v65, vcc_lo
	v_add_co_u32 v68, vcc_lo, s47, v66
	v_add_co_ci_u32_e64 v69, null, s48, v67, vcc_lo
	s_and_saveexec_b32 s40, s4
	s_xor_b32 s4, exec_lo, s40
	s_cbranch_execnz .LBB196_252
; %bb.220:
	s_or_b32 exec_lo, exec_lo, s4
	s_and_b32 s5, s13, s5
	s_and_saveexec_b32 s4, s5
	s_cbranch_execnz .LBB196_256
.LBB196_221:
	s_or_b32 exec_lo, exec_lo, s4
	s_and_b32 s5, s13, s6
	s_and_saveexec_b32 s4, s5
	s_cbranch_execnz .LBB196_260
.LBB196_222:
	s_or_b32 exec_lo, exec_lo, s4
	s_and_b32 s5, s13, s7
	s_and_saveexec_b32 s4, s5
	s_cbranch_execnz .LBB196_264
.LBB196_223:
	s_or_b32 exec_lo, exec_lo, s4
	s_and_b32 s5, s13, s8
	s_and_saveexec_b32 s4, s5
	s_cbranch_execnz .LBB196_268
.LBB196_224:
	s_or_b32 exec_lo, exec_lo, s4
	s_and_b32 s5, s13, s9
	s_and_saveexec_b32 s4, s5
	s_cbranch_execnz .LBB196_272
.LBB196_225:
	s_or_b32 exec_lo, exec_lo, s4
	s_and_b32 s5, s13, s10
	s_and_saveexec_b32 s4, s5
	s_cbranch_execnz .LBB196_276
.LBB196_226:
	s_or_b32 exec_lo, exec_lo, s4
	s_and_b32 s5, s13, s11
	s_and_saveexec_b32 s4, s5
	s_cbranch_execnz .LBB196_280
.LBB196_227:
	s_or_b32 exec_lo, exec_lo, s4
	s_and_b32 s5, s13, s12
	s_and_saveexec_b32 s4, s5
	s_cbranch_execnz .LBB196_284
.LBB196_228:
	s_or_b32 exec_lo, exec_lo, s4
	s_and_b32 s5, s13, s14
	s_and_saveexec_b32 s4, s5
	s_cbranch_execnz .LBB196_288
.LBB196_229:
	s_or_b32 exec_lo, exec_lo, s4
	s_and_b32 s5, s13, s15
	s_and_saveexec_b32 s4, s5
	s_cbranch_execnz .LBB196_292
.LBB196_230:
	s_or_b32 exec_lo, exec_lo, s4
	s_and_b32 s5, s13, s16
	s_and_saveexec_b32 s4, s5
	s_cbranch_execnz .LBB196_296
.LBB196_231:
	s_or_b32 exec_lo, exec_lo, s4
	s_and_b32 s5, s13, s17
	s_and_saveexec_b32 s4, s5
	s_cbranch_execnz .LBB196_300
.LBB196_232:
	s_or_b32 exec_lo, exec_lo, s4
	s_and_b32 s5, s13, s18
	s_and_saveexec_b32 s4, s5
	s_cbranch_execnz .LBB196_304
.LBB196_233:
	s_or_b32 exec_lo, exec_lo, s4
	s_and_b32 s5, s13, s19
	s_and_saveexec_b32 s4, s5
	s_cbranch_execnz .LBB196_308
.LBB196_234:
	s_or_b32 exec_lo, exec_lo, s4
	s_and_b32 s5, s13, s20
	s_and_saveexec_b32 s4, s5
	s_cbranch_execnz .LBB196_312
.LBB196_235:
	s_or_b32 exec_lo, exec_lo, s4
	s_and_b32 s5, s13, s21
	s_and_saveexec_b32 s4, s5
	s_cbranch_execnz .LBB196_316
.LBB196_236:
	s_or_b32 exec_lo, exec_lo, s4
	s_and_b32 s5, s13, s22
	s_and_saveexec_b32 s4, s5
	s_cbranch_execnz .LBB196_320
.LBB196_237:
	s_or_b32 exec_lo, exec_lo, s4
	s_and_b32 s5, s13, s23
	s_and_saveexec_b32 s4, s5
	s_cbranch_execnz .LBB196_324
.LBB196_238:
	s_or_b32 exec_lo, exec_lo, s4
	s_and_b32 s5, s13, s24
	s_and_saveexec_b32 s4, s5
	s_cbranch_execnz .LBB196_328
.LBB196_239:
	s_or_b32 exec_lo, exec_lo, s4
	s_and_b32 s5, s13, s25
	s_and_saveexec_b32 s4, s5
	s_cbranch_execnz .LBB196_332
.LBB196_240:
	s_or_b32 exec_lo, exec_lo, s4
	s_and_b32 s5, s13, s26
	s_and_saveexec_b32 s4, s5
	s_cbranch_execnz .LBB196_336
.LBB196_241:
	s_or_b32 exec_lo, exec_lo, s4
	s_and_b32 s5, s13, s27
	s_and_saveexec_b32 s4, s5
	s_cbranch_execnz .LBB196_340
.LBB196_242:
	s_or_b32 exec_lo, exec_lo, s4
	s_and_b32 s5, s13, s28
	s_and_saveexec_b32 s4, s5
	s_cbranch_execnz .LBB196_344
.LBB196_243:
	s_or_b32 exec_lo, exec_lo, s4
	s_and_b32 s5, s13, s29
	s_and_saveexec_b32 s4, s5
	s_cbranch_execnz .LBB196_348
.LBB196_244:
	s_or_b32 exec_lo, exec_lo, s4
	s_and_b32 s5, s13, s30
	s_and_saveexec_b32 s4, s5
	s_cbranch_execnz .LBB196_352
.LBB196_245:
	s_or_b32 exec_lo, exec_lo, s4
	s_and_b32 s5, s13, s31
	s_and_saveexec_b32 s4, s5
	s_cbranch_execnz .LBB196_356
.LBB196_246:
	s_or_b32 exec_lo, exec_lo, s4
	s_and_b32 s5, s13, s33
	s_and_saveexec_b32 s4, s5
	s_cbranch_execnz .LBB196_360
.LBB196_247:
	s_or_b32 exec_lo, exec_lo, s4
	s_and_b32 s5, s13, s34
	s_and_saveexec_b32 s4, s5
	s_cbranch_execnz .LBB196_364
.LBB196_248:
	s_or_b32 exec_lo, exec_lo, s4
	s_and_b32 s5, s13, s35
	s_and_saveexec_b32 s4, s5
	s_cbranch_execnz .LBB196_368
.LBB196_249:
	s_or_b32 exec_lo, exec_lo, s4
	s_and_b32 s5, s13, s36
	s_and_saveexec_b32 s4, s5
	s_cbranch_execnz .LBB196_372
.LBB196_250:
	s_or_b32 exec_lo, exec_lo, s4
	s_and_b32 s4, s13, s37
	s_and_saveexec_b32 s5, s4
	s_cbranch_execnz .LBB196_376
.LBB196_251:
	s_endpgm
.LBB196_252:
	s_clause 0x1
	buffer_load_dword v64, off, s[0:3], 0 offset:256
	buffer_load_dword v65, off, s[0:3], 0 offset:260
	v_lshlrev_b64 v[0:1], 3, v[0:1]
	s_andn2_b32 vcc_lo, exec_lo, s46
	s_cbranch_vccnz .LBB196_254
; %bb.253:
	v_add_co_u32 v66, vcc_lo, v71, v0
	v_add_co_ci_u32_e64 v67, null, v72, v1, vcc_lo
	global_load_dwordx2 v[66:67], v[66:67], off
	s_waitcnt vmcnt(0)
	v_mul_f64 v[66:67], s[38:39], v[66:67]
	s_branch .LBB196_255
.LBB196_254:
	v_mov_b32_e32 v66, 0
	v_mov_b32_e32 v67, 0
.LBB196_255:
	s_waitcnt vmcnt(0)
	v_add_f64 v[64:65], v[64:65], v[66:67]
	v_add_co_u32 v0, vcc_lo, v68, v0
	v_add_co_ci_u32_e64 v1, null, v69, v1, vcc_lo
	global_store_dwordx2 v[0:1], v[64:65], off
	s_or_b32 exec_lo, exec_lo, s4
	s_and_b32 s5, s13, s5
	s_and_saveexec_b32 s4, s5
	s_cbranch_execz .LBB196_221
.LBB196_256:
	s_clause 0x1
	buffer_load_dword v0, off, s[0:3], 0 offset:264
	buffer_load_dword v1, off, s[0:3], 0 offset:268
	v_cmp_ne_u32_e32 vcc_lo, 1, v70
	v_lshlrev_b64 v[2:3], 3, v[2:3]
	s_cbranch_vccnz .LBB196_258
; %bb.257:
	v_add_co_u32 v64, vcc_lo, v71, v2
	v_add_co_ci_u32_e64 v65, null, v72, v3, vcc_lo
	global_load_dwordx2 v[64:65], v[64:65], off
	s_waitcnt vmcnt(0)
	v_mul_f64 v[64:65], s[38:39], v[64:65]
	s_branch .LBB196_259
.LBB196_258:
	v_mov_b32_e32 v64, 0
	v_mov_b32_e32 v65, 0
.LBB196_259:
	s_waitcnt vmcnt(0)
	v_add_f64 v[0:1], v[0:1], v[64:65]
	v_add_co_u32 v2, vcc_lo, v68, v2
	v_add_co_ci_u32_e64 v3, null, v69, v3, vcc_lo
	global_store_dwordx2 v[2:3], v[0:1], off
	s_or_b32 exec_lo, exec_lo, s4
	s_and_b32 s5, s13, s6
	s_and_saveexec_b32 s4, s5
	s_cbranch_execz .LBB196_222
.LBB196_260:
	s_clause 0x1
	buffer_load_dword v0, off, s[0:3], 0 offset:272
	buffer_load_dword v1, off, s[0:3], 0 offset:276
	v_cmp_ne_u32_e32 vcc_lo, 1, v70
	v_lshlrev_b64 v[2:3], 3, v[4:5]
	s_cbranch_vccnz .LBB196_262
; %bb.261:
	v_add_co_u32 v4, vcc_lo, v71, v2
	v_add_co_ci_u32_e64 v5, null, v72, v3, vcc_lo
	global_load_dwordx2 v[4:5], v[4:5], off
	s_waitcnt vmcnt(0)
	v_mul_f64 v[4:5], s[38:39], v[4:5]
	s_branch .LBB196_263
.LBB196_262:
	v_mov_b32_e32 v4, 0
	v_mov_b32_e32 v5, 0
.LBB196_263:
	s_waitcnt vmcnt(0)
	v_add_f64 v[0:1], v[0:1], v[4:5]
	v_add_co_u32 v2, vcc_lo, v68, v2
	v_add_co_ci_u32_e64 v3, null, v69, v3, vcc_lo
	global_store_dwordx2 v[2:3], v[0:1], off
	s_or_b32 exec_lo, exec_lo, s4
	s_and_b32 s5, s13, s7
	s_and_saveexec_b32 s4, s5
	s_cbranch_execz .LBB196_223
.LBB196_264:
	s_clause 0x1
	buffer_load_dword v0, off, s[0:3], 0 offset:280
	buffer_load_dword v1, off, s[0:3], 0 offset:284
	v_cmp_ne_u32_e32 vcc_lo, 1, v70
	v_lshlrev_b64 v[2:3], 3, v[6:7]
	s_cbranch_vccnz .LBB196_266
; %bb.265:
	v_add_co_u32 v4, vcc_lo, v71, v2
	v_add_co_ci_u32_e64 v5, null, v72, v3, vcc_lo
	global_load_dwordx2 v[4:5], v[4:5], off
	s_waitcnt vmcnt(0)
	v_mul_f64 v[4:5], s[38:39], v[4:5]
	s_branch .LBB196_267
.LBB196_266:
	v_mov_b32_e32 v4, 0
	v_mov_b32_e32 v5, 0
.LBB196_267:
	s_waitcnt vmcnt(0)
	v_add_f64 v[0:1], v[0:1], v[4:5]
	v_add_co_u32 v2, vcc_lo, v68, v2
	v_add_co_ci_u32_e64 v3, null, v69, v3, vcc_lo
	global_store_dwordx2 v[2:3], v[0:1], off
	s_or_b32 exec_lo, exec_lo, s4
	s_and_b32 s5, s13, s8
	s_and_saveexec_b32 s4, s5
	s_cbranch_execz .LBB196_224
.LBB196_268:
	s_clause 0x1
	buffer_load_dword v0, off, s[0:3], 0 offset:288
	buffer_load_dword v1, off, s[0:3], 0 offset:292
	v_cmp_ne_u32_e32 vcc_lo, 1, v70
	v_lshlrev_b64 v[2:3], 3, v[8:9]
	s_cbranch_vccnz .LBB196_270
; %bb.269:
	v_add_co_u32 v4, vcc_lo, v71, v2
	v_add_co_ci_u32_e64 v5, null, v72, v3, vcc_lo
	global_load_dwordx2 v[4:5], v[4:5], off
	s_waitcnt vmcnt(0)
	v_mul_f64 v[4:5], s[38:39], v[4:5]
	s_branch .LBB196_271
.LBB196_270:
	v_mov_b32_e32 v4, 0
	v_mov_b32_e32 v5, 0
.LBB196_271:
	s_waitcnt vmcnt(0)
	v_add_f64 v[0:1], v[0:1], v[4:5]
	v_add_co_u32 v2, vcc_lo, v68, v2
	v_add_co_ci_u32_e64 v3, null, v69, v3, vcc_lo
	global_store_dwordx2 v[2:3], v[0:1], off
	s_or_b32 exec_lo, exec_lo, s4
	s_and_b32 s5, s13, s9
	s_and_saveexec_b32 s4, s5
	s_cbranch_execz .LBB196_225
.LBB196_272:
	s_clause 0x1
	buffer_load_dword v0, off, s[0:3], 0 offset:296
	buffer_load_dword v1, off, s[0:3], 0 offset:300
	v_cmp_ne_u32_e32 vcc_lo, 1, v70
	v_lshlrev_b64 v[2:3], 3, v[10:11]
	s_cbranch_vccnz .LBB196_274
; %bb.273:
	v_add_co_u32 v4, vcc_lo, v71, v2
	v_add_co_ci_u32_e64 v5, null, v72, v3, vcc_lo
	global_load_dwordx2 v[4:5], v[4:5], off
	s_waitcnt vmcnt(0)
	v_mul_f64 v[4:5], s[38:39], v[4:5]
	s_branch .LBB196_275
.LBB196_274:
	v_mov_b32_e32 v4, 0
	v_mov_b32_e32 v5, 0
.LBB196_275:
	s_waitcnt vmcnt(0)
	v_add_f64 v[0:1], v[0:1], v[4:5]
	v_add_co_u32 v2, vcc_lo, v68, v2
	v_add_co_ci_u32_e64 v3, null, v69, v3, vcc_lo
	global_store_dwordx2 v[2:3], v[0:1], off
	s_or_b32 exec_lo, exec_lo, s4
	s_and_b32 s5, s13, s10
	s_and_saveexec_b32 s4, s5
	s_cbranch_execz .LBB196_226
.LBB196_276:
	s_clause 0x1
	buffer_load_dword v0, off, s[0:3], 0 offset:304
	buffer_load_dword v1, off, s[0:3], 0 offset:308
	v_cmp_ne_u32_e32 vcc_lo, 1, v70
	v_lshlrev_b64 v[2:3], 3, v[12:13]
	s_cbranch_vccnz .LBB196_278
; %bb.277:
	v_add_co_u32 v4, vcc_lo, v71, v2
	v_add_co_ci_u32_e64 v5, null, v72, v3, vcc_lo
	global_load_dwordx2 v[4:5], v[4:5], off
	s_waitcnt vmcnt(0)
	v_mul_f64 v[4:5], s[38:39], v[4:5]
	s_branch .LBB196_279
.LBB196_278:
	v_mov_b32_e32 v4, 0
	v_mov_b32_e32 v5, 0
.LBB196_279:
	s_waitcnt vmcnt(0)
	v_add_f64 v[0:1], v[0:1], v[4:5]
	v_add_co_u32 v2, vcc_lo, v68, v2
	v_add_co_ci_u32_e64 v3, null, v69, v3, vcc_lo
	global_store_dwordx2 v[2:3], v[0:1], off
	s_or_b32 exec_lo, exec_lo, s4
	s_and_b32 s5, s13, s11
	s_and_saveexec_b32 s4, s5
	s_cbranch_execz .LBB196_227
.LBB196_280:
	s_clause 0x1
	buffer_load_dword v0, off, s[0:3], 0 offset:312
	buffer_load_dword v1, off, s[0:3], 0 offset:316
	v_cmp_ne_u32_e32 vcc_lo, 1, v70
	v_lshlrev_b64 v[2:3], 3, v[14:15]
	s_cbranch_vccnz .LBB196_282
; %bb.281:
	v_add_co_u32 v4, vcc_lo, v71, v2
	v_add_co_ci_u32_e64 v5, null, v72, v3, vcc_lo
	global_load_dwordx2 v[4:5], v[4:5], off
	s_waitcnt vmcnt(0)
	v_mul_f64 v[4:5], s[38:39], v[4:5]
	s_branch .LBB196_283
.LBB196_282:
	v_mov_b32_e32 v4, 0
	v_mov_b32_e32 v5, 0
.LBB196_283:
	s_waitcnt vmcnt(0)
	v_add_f64 v[0:1], v[0:1], v[4:5]
	v_add_co_u32 v2, vcc_lo, v68, v2
	v_add_co_ci_u32_e64 v3, null, v69, v3, vcc_lo
	global_store_dwordx2 v[2:3], v[0:1], off
	s_or_b32 exec_lo, exec_lo, s4
	s_and_b32 s5, s13, s12
	s_and_saveexec_b32 s4, s5
	s_cbranch_execz .LBB196_228
.LBB196_284:
	s_clause 0x1
	buffer_load_dword v0, off, s[0:3], 0 offset:320
	buffer_load_dword v1, off, s[0:3], 0 offset:324
	v_cmp_ne_u32_e32 vcc_lo, 1, v70
	v_lshlrev_b64 v[2:3], 3, v[16:17]
	s_cbranch_vccnz .LBB196_286
; %bb.285:
	v_add_co_u32 v4, vcc_lo, v71, v2
	v_add_co_ci_u32_e64 v5, null, v72, v3, vcc_lo
	global_load_dwordx2 v[4:5], v[4:5], off
	s_waitcnt vmcnt(0)
	v_mul_f64 v[4:5], s[38:39], v[4:5]
	s_branch .LBB196_287
.LBB196_286:
	v_mov_b32_e32 v4, 0
	v_mov_b32_e32 v5, 0
.LBB196_287:
	s_waitcnt vmcnt(0)
	v_add_f64 v[0:1], v[0:1], v[4:5]
	v_add_co_u32 v2, vcc_lo, v68, v2
	v_add_co_ci_u32_e64 v3, null, v69, v3, vcc_lo
	global_store_dwordx2 v[2:3], v[0:1], off
	s_or_b32 exec_lo, exec_lo, s4
	s_and_b32 s5, s13, s14
	s_and_saveexec_b32 s4, s5
	s_cbranch_execz .LBB196_229
.LBB196_288:
	s_clause 0x1
	buffer_load_dword v0, off, s[0:3], 0 offset:328
	buffer_load_dword v1, off, s[0:3], 0 offset:332
	v_cmp_ne_u32_e32 vcc_lo, 1, v70
	v_lshlrev_b64 v[2:3], 3, v[18:19]
	s_cbranch_vccnz .LBB196_290
; %bb.289:
	v_add_co_u32 v4, vcc_lo, v71, v2
	v_add_co_ci_u32_e64 v5, null, v72, v3, vcc_lo
	global_load_dwordx2 v[4:5], v[4:5], off
	s_waitcnt vmcnt(0)
	v_mul_f64 v[4:5], s[38:39], v[4:5]
	s_branch .LBB196_291
.LBB196_290:
	v_mov_b32_e32 v4, 0
	v_mov_b32_e32 v5, 0
.LBB196_291:
	s_waitcnt vmcnt(0)
	v_add_f64 v[0:1], v[0:1], v[4:5]
	v_add_co_u32 v2, vcc_lo, v68, v2
	v_add_co_ci_u32_e64 v3, null, v69, v3, vcc_lo
	global_store_dwordx2 v[2:3], v[0:1], off
	s_or_b32 exec_lo, exec_lo, s4
	s_and_b32 s5, s13, s15
	s_and_saveexec_b32 s4, s5
	s_cbranch_execz .LBB196_230
.LBB196_292:
	s_clause 0x1
	buffer_load_dword v0, off, s[0:3], 0 offset:336
	buffer_load_dword v1, off, s[0:3], 0 offset:340
	v_cmp_ne_u32_e32 vcc_lo, 1, v70
	v_lshlrev_b64 v[2:3], 3, v[20:21]
	s_cbranch_vccnz .LBB196_294
; %bb.293:
	v_add_co_u32 v4, vcc_lo, v71, v2
	v_add_co_ci_u32_e64 v5, null, v72, v3, vcc_lo
	global_load_dwordx2 v[4:5], v[4:5], off
	s_waitcnt vmcnt(0)
	v_mul_f64 v[4:5], s[38:39], v[4:5]
	s_branch .LBB196_295
.LBB196_294:
	v_mov_b32_e32 v4, 0
	v_mov_b32_e32 v5, 0
.LBB196_295:
	s_waitcnt vmcnt(0)
	v_add_f64 v[0:1], v[0:1], v[4:5]
	v_add_co_u32 v2, vcc_lo, v68, v2
	v_add_co_ci_u32_e64 v3, null, v69, v3, vcc_lo
	global_store_dwordx2 v[2:3], v[0:1], off
	s_or_b32 exec_lo, exec_lo, s4
	s_and_b32 s5, s13, s16
	s_and_saveexec_b32 s4, s5
	s_cbranch_execz .LBB196_231
.LBB196_296:
	s_clause 0x1
	buffer_load_dword v0, off, s[0:3], 0 offset:344
	buffer_load_dword v1, off, s[0:3], 0 offset:348
	v_cmp_ne_u32_e32 vcc_lo, 1, v70
	v_lshlrev_b64 v[2:3], 3, v[22:23]
	s_cbranch_vccnz .LBB196_298
; %bb.297:
	v_add_co_u32 v4, vcc_lo, v71, v2
	v_add_co_ci_u32_e64 v5, null, v72, v3, vcc_lo
	global_load_dwordx2 v[4:5], v[4:5], off
	s_waitcnt vmcnt(0)
	v_mul_f64 v[4:5], s[38:39], v[4:5]
	s_branch .LBB196_299
.LBB196_298:
	v_mov_b32_e32 v4, 0
	v_mov_b32_e32 v5, 0
.LBB196_299:
	s_waitcnt vmcnt(0)
	v_add_f64 v[0:1], v[0:1], v[4:5]
	v_add_co_u32 v2, vcc_lo, v68, v2
	v_add_co_ci_u32_e64 v3, null, v69, v3, vcc_lo
	global_store_dwordx2 v[2:3], v[0:1], off
	s_or_b32 exec_lo, exec_lo, s4
	s_and_b32 s5, s13, s17
	s_and_saveexec_b32 s4, s5
	s_cbranch_execz .LBB196_232
.LBB196_300:
	s_clause 0x1
	buffer_load_dword v0, off, s[0:3], 0 offset:352
	buffer_load_dword v1, off, s[0:3], 0 offset:356
	v_cmp_ne_u32_e32 vcc_lo, 1, v70
	v_lshlrev_b64 v[2:3], 3, v[24:25]
	s_cbranch_vccnz .LBB196_302
; %bb.301:
	v_add_co_u32 v4, vcc_lo, v71, v2
	v_add_co_ci_u32_e64 v5, null, v72, v3, vcc_lo
	global_load_dwordx2 v[4:5], v[4:5], off
	s_waitcnt vmcnt(0)
	v_mul_f64 v[4:5], s[38:39], v[4:5]
	s_branch .LBB196_303
.LBB196_302:
	v_mov_b32_e32 v4, 0
	v_mov_b32_e32 v5, 0
.LBB196_303:
	s_waitcnt vmcnt(0)
	v_add_f64 v[0:1], v[0:1], v[4:5]
	v_add_co_u32 v2, vcc_lo, v68, v2
	v_add_co_ci_u32_e64 v3, null, v69, v3, vcc_lo
	global_store_dwordx2 v[2:3], v[0:1], off
	s_or_b32 exec_lo, exec_lo, s4
	s_and_b32 s5, s13, s18
	s_and_saveexec_b32 s4, s5
	s_cbranch_execz .LBB196_233
.LBB196_304:
	s_clause 0x1
	buffer_load_dword v0, off, s[0:3], 0 offset:360
	buffer_load_dword v1, off, s[0:3], 0 offset:364
	v_cmp_ne_u32_e32 vcc_lo, 1, v70
	v_lshlrev_b64 v[2:3], 3, v[26:27]
	s_cbranch_vccnz .LBB196_306
; %bb.305:
	v_add_co_u32 v4, vcc_lo, v71, v2
	v_add_co_ci_u32_e64 v5, null, v72, v3, vcc_lo
	global_load_dwordx2 v[4:5], v[4:5], off
	s_waitcnt vmcnt(0)
	v_mul_f64 v[4:5], s[38:39], v[4:5]
	s_branch .LBB196_307
.LBB196_306:
	v_mov_b32_e32 v4, 0
	v_mov_b32_e32 v5, 0
.LBB196_307:
	s_waitcnt vmcnt(0)
	v_add_f64 v[0:1], v[0:1], v[4:5]
	v_add_co_u32 v2, vcc_lo, v68, v2
	v_add_co_ci_u32_e64 v3, null, v69, v3, vcc_lo
	global_store_dwordx2 v[2:3], v[0:1], off
	s_or_b32 exec_lo, exec_lo, s4
	s_and_b32 s5, s13, s19
	s_and_saveexec_b32 s4, s5
	s_cbranch_execz .LBB196_234
.LBB196_308:
	s_clause 0x1
	buffer_load_dword v0, off, s[0:3], 0 offset:368
	buffer_load_dword v1, off, s[0:3], 0 offset:372
	v_cmp_ne_u32_e32 vcc_lo, 1, v70
	v_lshlrev_b64 v[2:3], 3, v[28:29]
	s_cbranch_vccnz .LBB196_310
; %bb.309:
	v_add_co_u32 v4, vcc_lo, v71, v2
	v_add_co_ci_u32_e64 v5, null, v72, v3, vcc_lo
	global_load_dwordx2 v[4:5], v[4:5], off
	s_waitcnt vmcnt(0)
	v_mul_f64 v[4:5], s[38:39], v[4:5]
	s_branch .LBB196_311
.LBB196_310:
	v_mov_b32_e32 v4, 0
	v_mov_b32_e32 v5, 0
.LBB196_311:
	s_waitcnt vmcnt(0)
	v_add_f64 v[0:1], v[0:1], v[4:5]
	v_add_co_u32 v2, vcc_lo, v68, v2
	v_add_co_ci_u32_e64 v3, null, v69, v3, vcc_lo
	global_store_dwordx2 v[2:3], v[0:1], off
	s_or_b32 exec_lo, exec_lo, s4
	s_and_b32 s5, s13, s20
	s_and_saveexec_b32 s4, s5
	s_cbranch_execz .LBB196_235
.LBB196_312:
	s_clause 0x1
	buffer_load_dword v0, off, s[0:3], 0 offset:376
	buffer_load_dword v1, off, s[0:3], 0 offset:380
	v_cmp_ne_u32_e32 vcc_lo, 1, v70
	v_lshlrev_b64 v[2:3], 3, v[30:31]
	s_cbranch_vccnz .LBB196_314
; %bb.313:
	v_add_co_u32 v4, vcc_lo, v71, v2
	v_add_co_ci_u32_e64 v5, null, v72, v3, vcc_lo
	global_load_dwordx2 v[4:5], v[4:5], off
	s_waitcnt vmcnt(0)
	v_mul_f64 v[4:5], s[38:39], v[4:5]
	s_branch .LBB196_315
.LBB196_314:
	v_mov_b32_e32 v4, 0
	v_mov_b32_e32 v5, 0
.LBB196_315:
	s_waitcnt vmcnt(0)
	v_add_f64 v[0:1], v[0:1], v[4:5]
	v_add_co_u32 v2, vcc_lo, v68, v2
	v_add_co_ci_u32_e64 v3, null, v69, v3, vcc_lo
	global_store_dwordx2 v[2:3], v[0:1], off
	s_or_b32 exec_lo, exec_lo, s4
	s_and_b32 s5, s13, s21
	s_and_saveexec_b32 s4, s5
	s_cbranch_execz .LBB196_236
.LBB196_316:
	s_clause 0x1
	buffer_load_dword v0, off, s[0:3], 0 offset:384
	buffer_load_dword v1, off, s[0:3], 0 offset:388
	v_cmp_ne_u32_e32 vcc_lo, 1, v70
	v_lshlrev_b64 v[2:3], 3, v[32:33]
	s_cbranch_vccnz .LBB196_318
; %bb.317:
	v_add_co_u32 v4, vcc_lo, v71, v2
	v_add_co_ci_u32_e64 v5, null, v72, v3, vcc_lo
	global_load_dwordx2 v[4:5], v[4:5], off
	s_waitcnt vmcnt(0)
	v_mul_f64 v[4:5], s[38:39], v[4:5]
	s_branch .LBB196_319
.LBB196_318:
	v_mov_b32_e32 v4, 0
	v_mov_b32_e32 v5, 0
.LBB196_319:
	s_waitcnt vmcnt(0)
	v_add_f64 v[0:1], v[0:1], v[4:5]
	v_add_co_u32 v2, vcc_lo, v68, v2
	v_add_co_ci_u32_e64 v3, null, v69, v3, vcc_lo
	global_store_dwordx2 v[2:3], v[0:1], off
	s_or_b32 exec_lo, exec_lo, s4
	s_and_b32 s5, s13, s22
	s_and_saveexec_b32 s4, s5
	s_cbranch_execz .LBB196_237
.LBB196_320:
	s_clause 0x1
	buffer_load_dword v0, off, s[0:3], 0 offset:392
	buffer_load_dword v1, off, s[0:3], 0 offset:396
	v_cmp_ne_u32_e32 vcc_lo, 1, v70
	v_lshlrev_b64 v[2:3], 3, v[34:35]
	s_cbranch_vccnz .LBB196_322
; %bb.321:
	v_add_co_u32 v4, vcc_lo, v71, v2
	v_add_co_ci_u32_e64 v5, null, v72, v3, vcc_lo
	global_load_dwordx2 v[4:5], v[4:5], off
	s_waitcnt vmcnt(0)
	v_mul_f64 v[4:5], s[38:39], v[4:5]
	s_branch .LBB196_323
.LBB196_322:
	v_mov_b32_e32 v4, 0
	v_mov_b32_e32 v5, 0
.LBB196_323:
	s_waitcnt vmcnt(0)
	v_add_f64 v[0:1], v[0:1], v[4:5]
	v_add_co_u32 v2, vcc_lo, v68, v2
	v_add_co_ci_u32_e64 v3, null, v69, v3, vcc_lo
	global_store_dwordx2 v[2:3], v[0:1], off
	s_or_b32 exec_lo, exec_lo, s4
	s_and_b32 s5, s13, s23
	s_and_saveexec_b32 s4, s5
	s_cbranch_execz .LBB196_238
.LBB196_324:
	s_clause 0x1
	buffer_load_dword v0, off, s[0:3], 0 offset:400
	buffer_load_dword v1, off, s[0:3], 0 offset:404
	v_cmp_ne_u32_e32 vcc_lo, 1, v70
	v_lshlrev_b64 v[2:3], 3, v[36:37]
	s_cbranch_vccnz .LBB196_326
; %bb.325:
	v_add_co_u32 v4, vcc_lo, v71, v2
	v_add_co_ci_u32_e64 v5, null, v72, v3, vcc_lo
	global_load_dwordx2 v[4:5], v[4:5], off
	s_waitcnt vmcnt(0)
	v_mul_f64 v[4:5], s[38:39], v[4:5]
	s_branch .LBB196_327
.LBB196_326:
	v_mov_b32_e32 v4, 0
	v_mov_b32_e32 v5, 0
.LBB196_327:
	s_waitcnt vmcnt(0)
	v_add_f64 v[0:1], v[0:1], v[4:5]
	v_add_co_u32 v2, vcc_lo, v68, v2
	v_add_co_ci_u32_e64 v3, null, v69, v3, vcc_lo
	global_store_dwordx2 v[2:3], v[0:1], off
	s_or_b32 exec_lo, exec_lo, s4
	s_and_b32 s5, s13, s24
	s_and_saveexec_b32 s4, s5
	s_cbranch_execz .LBB196_239
.LBB196_328:
	s_clause 0x1
	buffer_load_dword v0, off, s[0:3], 0 offset:408
	buffer_load_dword v1, off, s[0:3], 0 offset:412
	v_cmp_ne_u32_e32 vcc_lo, 1, v70
	v_lshlrev_b64 v[2:3], 3, v[38:39]
	s_cbranch_vccnz .LBB196_330
; %bb.329:
	v_add_co_u32 v4, vcc_lo, v71, v2
	v_add_co_ci_u32_e64 v5, null, v72, v3, vcc_lo
	global_load_dwordx2 v[4:5], v[4:5], off
	s_waitcnt vmcnt(0)
	v_mul_f64 v[4:5], s[38:39], v[4:5]
	s_branch .LBB196_331
.LBB196_330:
	v_mov_b32_e32 v4, 0
	v_mov_b32_e32 v5, 0
.LBB196_331:
	s_waitcnt vmcnt(0)
	v_add_f64 v[0:1], v[0:1], v[4:5]
	v_add_co_u32 v2, vcc_lo, v68, v2
	v_add_co_ci_u32_e64 v3, null, v69, v3, vcc_lo
	global_store_dwordx2 v[2:3], v[0:1], off
	s_or_b32 exec_lo, exec_lo, s4
	s_and_b32 s5, s13, s25
	s_and_saveexec_b32 s4, s5
	s_cbranch_execz .LBB196_240
.LBB196_332:
	s_clause 0x1
	buffer_load_dword v0, off, s[0:3], 0 offset:416
	buffer_load_dword v1, off, s[0:3], 0 offset:420
	v_cmp_ne_u32_e32 vcc_lo, 1, v70
	v_lshlrev_b64 v[2:3], 3, v[40:41]
	s_cbranch_vccnz .LBB196_334
; %bb.333:
	v_add_co_u32 v4, vcc_lo, v71, v2
	v_add_co_ci_u32_e64 v5, null, v72, v3, vcc_lo
	global_load_dwordx2 v[4:5], v[4:5], off
	s_waitcnt vmcnt(0)
	v_mul_f64 v[4:5], s[38:39], v[4:5]
	s_branch .LBB196_335
.LBB196_334:
	v_mov_b32_e32 v4, 0
	v_mov_b32_e32 v5, 0
.LBB196_335:
	s_waitcnt vmcnt(0)
	v_add_f64 v[0:1], v[0:1], v[4:5]
	v_add_co_u32 v2, vcc_lo, v68, v2
	v_add_co_ci_u32_e64 v3, null, v69, v3, vcc_lo
	global_store_dwordx2 v[2:3], v[0:1], off
	s_or_b32 exec_lo, exec_lo, s4
	s_and_b32 s5, s13, s26
	s_and_saveexec_b32 s4, s5
	s_cbranch_execz .LBB196_241
.LBB196_336:
	s_clause 0x1
	buffer_load_dword v0, off, s[0:3], 0 offset:424
	buffer_load_dword v1, off, s[0:3], 0 offset:428
	v_cmp_ne_u32_e32 vcc_lo, 1, v70
	v_lshlrev_b64 v[2:3], 3, v[42:43]
	s_cbranch_vccnz .LBB196_338
; %bb.337:
	v_add_co_u32 v4, vcc_lo, v71, v2
	v_add_co_ci_u32_e64 v5, null, v72, v3, vcc_lo
	global_load_dwordx2 v[4:5], v[4:5], off
	s_waitcnt vmcnt(0)
	v_mul_f64 v[4:5], s[38:39], v[4:5]
	s_branch .LBB196_339
.LBB196_338:
	v_mov_b32_e32 v4, 0
	v_mov_b32_e32 v5, 0
.LBB196_339:
	s_waitcnt vmcnt(0)
	v_add_f64 v[0:1], v[0:1], v[4:5]
	v_add_co_u32 v2, vcc_lo, v68, v2
	v_add_co_ci_u32_e64 v3, null, v69, v3, vcc_lo
	global_store_dwordx2 v[2:3], v[0:1], off
	s_or_b32 exec_lo, exec_lo, s4
	s_and_b32 s5, s13, s27
	s_and_saveexec_b32 s4, s5
	s_cbranch_execz .LBB196_242
.LBB196_340:
	s_clause 0x1
	buffer_load_dword v0, off, s[0:3], 0 offset:432
	buffer_load_dword v1, off, s[0:3], 0 offset:436
	v_cmp_ne_u32_e32 vcc_lo, 1, v70
	v_lshlrev_b64 v[2:3], 3, v[44:45]
	s_cbranch_vccnz .LBB196_342
; %bb.341:
	v_add_co_u32 v4, vcc_lo, v71, v2
	v_add_co_ci_u32_e64 v5, null, v72, v3, vcc_lo
	global_load_dwordx2 v[4:5], v[4:5], off
	s_waitcnt vmcnt(0)
	v_mul_f64 v[4:5], s[38:39], v[4:5]
	s_branch .LBB196_343
.LBB196_342:
	v_mov_b32_e32 v4, 0
	v_mov_b32_e32 v5, 0
.LBB196_343:
	s_waitcnt vmcnt(0)
	v_add_f64 v[0:1], v[0:1], v[4:5]
	v_add_co_u32 v2, vcc_lo, v68, v2
	v_add_co_ci_u32_e64 v3, null, v69, v3, vcc_lo
	global_store_dwordx2 v[2:3], v[0:1], off
	s_or_b32 exec_lo, exec_lo, s4
	s_and_b32 s5, s13, s28
	s_and_saveexec_b32 s4, s5
	s_cbranch_execz .LBB196_243
.LBB196_344:
	s_clause 0x1
	buffer_load_dword v0, off, s[0:3], 0 offset:440
	buffer_load_dword v1, off, s[0:3], 0 offset:444
	v_cmp_ne_u32_e32 vcc_lo, 1, v70
	v_lshlrev_b64 v[2:3], 3, v[46:47]
	s_cbranch_vccnz .LBB196_346
; %bb.345:
	v_add_co_u32 v4, vcc_lo, v71, v2
	v_add_co_ci_u32_e64 v5, null, v72, v3, vcc_lo
	global_load_dwordx2 v[4:5], v[4:5], off
	s_waitcnt vmcnt(0)
	v_mul_f64 v[4:5], s[38:39], v[4:5]
	s_branch .LBB196_347
.LBB196_346:
	v_mov_b32_e32 v4, 0
	v_mov_b32_e32 v5, 0
.LBB196_347:
	s_waitcnt vmcnt(0)
	v_add_f64 v[0:1], v[0:1], v[4:5]
	v_add_co_u32 v2, vcc_lo, v68, v2
	v_add_co_ci_u32_e64 v3, null, v69, v3, vcc_lo
	global_store_dwordx2 v[2:3], v[0:1], off
	s_or_b32 exec_lo, exec_lo, s4
	s_and_b32 s5, s13, s29
	s_and_saveexec_b32 s4, s5
	s_cbranch_execz .LBB196_244
.LBB196_348:
	s_clause 0x1
	buffer_load_dword v0, off, s[0:3], 0 offset:448
	buffer_load_dword v1, off, s[0:3], 0 offset:452
	v_cmp_ne_u32_e32 vcc_lo, 1, v70
	v_lshlrev_b64 v[2:3], 3, v[48:49]
	s_cbranch_vccnz .LBB196_350
; %bb.349:
	v_add_co_u32 v4, vcc_lo, v71, v2
	v_add_co_ci_u32_e64 v5, null, v72, v3, vcc_lo
	global_load_dwordx2 v[4:5], v[4:5], off
	s_waitcnt vmcnt(0)
	v_mul_f64 v[4:5], s[38:39], v[4:5]
	s_branch .LBB196_351
.LBB196_350:
	v_mov_b32_e32 v4, 0
	v_mov_b32_e32 v5, 0
.LBB196_351:
	s_waitcnt vmcnt(0)
	v_add_f64 v[0:1], v[0:1], v[4:5]
	v_add_co_u32 v2, vcc_lo, v68, v2
	v_add_co_ci_u32_e64 v3, null, v69, v3, vcc_lo
	global_store_dwordx2 v[2:3], v[0:1], off
	s_or_b32 exec_lo, exec_lo, s4
	s_and_b32 s5, s13, s30
	s_and_saveexec_b32 s4, s5
	s_cbranch_execz .LBB196_245
.LBB196_352:
	s_clause 0x1
	buffer_load_dword v0, off, s[0:3], 0 offset:456
	buffer_load_dword v1, off, s[0:3], 0 offset:460
	v_cmp_ne_u32_e32 vcc_lo, 1, v70
	v_lshlrev_b64 v[2:3], 3, v[50:51]
	s_cbranch_vccnz .LBB196_354
; %bb.353:
	v_add_co_u32 v4, vcc_lo, v71, v2
	v_add_co_ci_u32_e64 v5, null, v72, v3, vcc_lo
	global_load_dwordx2 v[4:5], v[4:5], off
	s_waitcnt vmcnt(0)
	v_mul_f64 v[4:5], s[38:39], v[4:5]
	s_branch .LBB196_355
.LBB196_354:
	v_mov_b32_e32 v4, 0
	v_mov_b32_e32 v5, 0
.LBB196_355:
	s_waitcnt vmcnt(0)
	v_add_f64 v[0:1], v[0:1], v[4:5]
	v_add_co_u32 v2, vcc_lo, v68, v2
	v_add_co_ci_u32_e64 v3, null, v69, v3, vcc_lo
	global_store_dwordx2 v[2:3], v[0:1], off
	s_or_b32 exec_lo, exec_lo, s4
	s_and_b32 s5, s13, s31
	s_and_saveexec_b32 s4, s5
	s_cbranch_execz .LBB196_246
.LBB196_356:
	s_clause 0x1
	buffer_load_dword v0, off, s[0:3], 0 offset:464
	buffer_load_dword v1, off, s[0:3], 0 offset:468
	v_cmp_ne_u32_e32 vcc_lo, 1, v70
	v_lshlrev_b64 v[2:3], 3, v[52:53]
	s_cbranch_vccnz .LBB196_358
; %bb.357:
	v_add_co_u32 v4, vcc_lo, v71, v2
	v_add_co_ci_u32_e64 v5, null, v72, v3, vcc_lo
	global_load_dwordx2 v[4:5], v[4:5], off
	s_waitcnt vmcnt(0)
	v_mul_f64 v[4:5], s[38:39], v[4:5]
	s_branch .LBB196_359
.LBB196_358:
	v_mov_b32_e32 v4, 0
	v_mov_b32_e32 v5, 0
.LBB196_359:
	s_waitcnt vmcnt(0)
	v_add_f64 v[0:1], v[0:1], v[4:5]
	v_add_co_u32 v2, vcc_lo, v68, v2
	v_add_co_ci_u32_e64 v3, null, v69, v3, vcc_lo
	global_store_dwordx2 v[2:3], v[0:1], off
	s_or_b32 exec_lo, exec_lo, s4
	s_and_b32 s5, s13, s33
	s_and_saveexec_b32 s4, s5
	s_cbranch_execz .LBB196_247
.LBB196_360:
	s_clause 0x1
	buffer_load_dword v0, off, s[0:3], 0 offset:472
	buffer_load_dword v1, off, s[0:3], 0 offset:476
	v_cmp_ne_u32_e32 vcc_lo, 1, v70
	v_lshlrev_b64 v[2:3], 3, v[54:55]
	s_cbranch_vccnz .LBB196_362
; %bb.361:
	v_add_co_u32 v4, vcc_lo, v71, v2
	v_add_co_ci_u32_e64 v5, null, v72, v3, vcc_lo
	global_load_dwordx2 v[4:5], v[4:5], off
	s_waitcnt vmcnt(0)
	v_mul_f64 v[4:5], s[38:39], v[4:5]
	s_branch .LBB196_363
.LBB196_362:
	v_mov_b32_e32 v4, 0
	v_mov_b32_e32 v5, 0
.LBB196_363:
	s_waitcnt vmcnt(0)
	v_add_f64 v[0:1], v[0:1], v[4:5]
	v_add_co_u32 v2, vcc_lo, v68, v2
	v_add_co_ci_u32_e64 v3, null, v69, v3, vcc_lo
	global_store_dwordx2 v[2:3], v[0:1], off
	s_or_b32 exec_lo, exec_lo, s4
	s_and_b32 s5, s13, s34
	s_and_saveexec_b32 s4, s5
	s_cbranch_execz .LBB196_248
.LBB196_364:
	s_clause 0x1
	buffer_load_dword v0, off, s[0:3], 0 offset:480
	buffer_load_dword v1, off, s[0:3], 0 offset:484
	v_cmp_ne_u32_e32 vcc_lo, 1, v70
	v_lshlrev_b64 v[2:3], 3, v[56:57]
	s_cbranch_vccnz .LBB196_366
; %bb.365:
	v_add_co_u32 v4, vcc_lo, v71, v2
	v_add_co_ci_u32_e64 v5, null, v72, v3, vcc_lo
	global_load_dwordx2 v[4:5], v[4:5], off
	s_waitcnt vmcnt(0)
	v_mul_f64 v[4:5], s[38:39], v[4:5]
	s_branch .LBB196_367
.LBB196_366:
	v_mov_b32_e32 v4, 0
	v_mov_b32_e32 v5, 0
.LBB196_367:
	s_waitcnt vmcnt(0)
	v_add_f64 v[0:1], v[0:1], v[4:5]
	v_add_co_u32 v2, vcc_lo, v68, v2
	v_add_co_ci_u32_e64 v3, null, v69, v3, vcc_lo
	global_store_dwordx2 v[2:3], v[0:1], off
	s_or_b32 exec_lo, exec_lo, s4
	s_and_b32 s5, s13, s35
	s_and_saveexec_b32 s4, s5
	s_cbranch_execz .LBB196_249
.LBB196_368:
	s_clause 0x1
	buffer_load_dword v0, off, s[0:3], 0 offset:488
	buffer_load_dword v1, off, s[0:3], 0 offset:492
	v_cmp_ne_u32_e32 vcc_lo, 1, v70
	v_lshlrev_b64 v[2:3], 3, v[58:59]
	s_cbranch_vccnz .LBB196_370
; %bb.369:
	v_add_co_u32 v4, vcc_lo, v71, v2
	v_add_co_ci_u32_e64 v5, null, v72, v3, vcc_lo
	global_load_dwordx2 v[4:5], v[4:5], off
	s_waitcnt vmcnt(0)
	v_mul_f64 v[4:5], s[38:39], v[4:5]
	s_branch .LBB196_371
.LBB196_370:
	v_mov_b32_e32 v4, 0
	v_mov_b32_e32 v5, 0
.LBB196_371:
	s_waitcnt vmcnt(0)
	v_add_f64 v[0:1], v[0:1], v[4:5]
	v_add_co_u32 v2, vcc_lo, v68, v2
	v_add_co_ci_u32_e64 v3, null, v69, v3, vcc_lo
	global_store_dwordx2 v[2:3], v[0:1], off
	s_or_b32 exec_lo, exec_lo, s4
	s_and_b32 s5, s13, s36
	s_and_saveexec_b32 s4, s5
	s_cbranch_execz .LBB196_250
.LBB196_372:
	s_clause 0x1
	buffer_load_dword v0, off, s[0:3], 0 offset:496
	buffer_load_dword v1, off, s[0:3], 0 offset:500
	v_cmp_ne_u32_e32 vcc_lo, 1, v70
	v_lshlrev_b64 v[2:3], 3, v[60:61]
	s_cbranch_vccnz .LBB196_374
; %bb.373:
	v_add_co_u32 v4, vcc_lo, v71, v2
	v_add_co_ci_u32_e64 v5, null, v72, v3, vcc_lo
	global_load_dwordx2 v[4:5], v[4:5], off
	s_waitcnt vmcnt(0)
	v_mul_f64 v[4:5], s[38:39], v[4:5]
	s_branch .LBB196_375
.LBB196_374:
	v_mov_b32_e32 v4, 0
	v_mov_b32_e32 v5, 0
.LBB196_375:
	s_waitcnt vmcnt(0)
	v_add_f64 v[0:1], v[0:1], v[4:5]
	v_add_co_u32 v2, vcc_lo, v68, v2
	v_add_co_ci_u32_e64 v3, null, v69, v3, vcc_lo
	global_store_dwordx2 v[2:3], v[0:1], off
	s_or_b32 exec_lo, exec_lo, s4
	s_and_b32 s4, s13, s37
	s_and_saveexec_b32 s5, s4
	s_cbranch_execz .LBB196_251
.LBB196_376:
	s_clause 0x1
	buffer_load_dword v0, off, s[0:3], 0 offset:504
	buffer_load_dword v1, off, s[0:3], 0 offset:508
	v_cmp_ne_u32_e32 vcc_lo, 1, v70
	v_lshlrev_b64 v[2:3], 3, v[62:63]
	s_cbranch_vccnz .LBB196_378
; %bb.377:
	v_add_co_u32 v4, vcc_lo, v71, v2
	v_add_co_ci_u32_e64 v5, null, v72, v3, vcc_lo
	global_load_dwordx2 v[4:5], v[4:5], off
	s_waitcnt vmcnt(0)
	v_mul_f64 v[4:5], s[38:39], v[4:5]
	s_branch .LBB196_379
.LBB196_378:
	v_mov_b32_e32 v4, 0
	v_mov_b32_e32 v5, 0
.LBB196_379:
	s_waitcnt vmcnt(0)
	v_add_f64 v[0:1], v[0:1], v[4:5]
	v_add_co_u32 v2, vcc_lo, v68, v2
	v_add_co_ci_u32_e64 v3, null, v69, v3, vcc_lo
	global_store_dwordx2 v[2:3], v[0:1], off
	s_endpgm
	.section	.rodata,"a",@progbits
	.p2align	6, 0x0
	.amdhsa_kernel _ZN12_GLOBAL__N_120geam_min_plus_kernelIdddLi4ELi64ELi128ELi128ELi4ELi64ELi4ELi64ELi4ELc78ELc84ELb1ELb1ELb0EdKddEEviiiT16_PT17_ilS4_ilS2_S4_ilPT18_ili26rocblas_geam_ex_operation_
		.amdhsa_group_segment_fixed_size 16384
		.amdhsa_private_segment_fixed_size 528
		.amdhsa_kernarg_size 136
		.amdhsa_user_sgpr_count 6
		.amdhsa_user_sgpr_private_segment_buffer 1
		.amdhsa_user_sgpr_dispatch_ptr 0
		.amdhsa_user_sgpr_queue_ptr 0
		.amdhsa_user_sgpr_kernarg_segment_ptr 1
		.amdhsa_user_sgpr_dispatch_id 0
		.amdhsa_user_sgpr_flat_scratch_init 0
		.amdhsa_user_sgpr_private_segment_size 0
		.amdhsa_wavefront_size32 1
		.amdhsa_uses_dynamic_stack 0
		.amdhsa_system_sgpr_private_segment_wavefront_offset 1
		.amdhsa_system_sgpr_workgroup_id_x 1
		.amdhsa_system_sgpr_workgroup_id_y 0
		.amdhsa_system_sgpr_workgroup_id_z 1
		.amdhsa_system_sgpr_workgroup_info 0
		.amdhsa_system_vgpr_workitem_id 1
		.amdhsa_next_free_vgpr 110
		.amdhsa_next_free_sgpr 50
		.amdhsa_reserve_vcc 1
		.amdhsa_reserve_flat_scratch 0
		.amdhsa_float_round_mode_32 0
		.amdhsa_float_round_mode_16_64 0
		.amdhsa_float_denorm_mode_32 3
		.amdhsa_float_denorm_mode_16_64 3
		.amdhsa_dx10_clamp 1
		.amdhsa_ieee_mode 1
		.amdhsa_fp16_overflow 0
		.amdhsa_workgroup_processor_mode 1
		.amdhsa_memory_ordered 1
		.amdhsa_forward_progress 1
		.amdhsa_shared_vgpr_count 0
		.amdhsa_exception_fp_ieee_invalid_op 0
		.amdhsa_exception_fp_denorm_src 0
		.amdhsa_exception_fp_ieee_div_zero 0
		.amdhsa_exception_fp_ieee_overflow 0
		.amdhsa_exception_fp_ieee_underflow 0
		.amdhsa_exception_fp_ieee_inexact 0
		.amdhsa_exception_int_div_zero 0
	.end_amdhsa_kernel
	.section	.text._ZN12_GLOBAL__N_120geam_min_plus_kernelIdddLi4ELi64ELi128ELi128ELi4ELi64ELi4ELi64ELi4ELc78ELc84ELb1ELb1ELb0EdKddEEviiiT16_PT17_ilS4_ilS2_S4_ilPT18_ili26rocblas_geam_ex_operation_,"axG",@progbits,_ZN12_GLOBAL__N_120geam_min_plus_kernelIdddLi4ELi64ELi128ELi128ELi4ELi64ELi4ELi64ELi4ELc78ELc84ELb1ELb1ELb0EdKddEEviiiT16_PT17_ilS4_ilS2_S4_ilPT18_ili26rocblas_geam_ex_operation_,comdat
.Lfunc_end196:
	.size	_ZN12_GLOBAL__N_120geam_min_plus_kernelIdddLi4ELi64ELi128ELi128ELi4ELi64ELi4ELi64ELi4ELc78ELc84ELb1ELb1ELb0EdKddEEviiiT16_PT17_ilS4_ilS2_S4_ilPT18_ili26rocblas_geam_ex_operation_, .Lfunc_end196-_ZN12_GLOBAL__N_120geam_min_plus_kernelIdddLi4ELi64ELi128ELi128ELi4ELi64ELi4ELi64ELi4ELc78ELc84ELb1ELb1ELb0EdKddEEviiiT16_PT17_ilS4_ilS2_S4_ilPT18_ili26rocblas_geam_ex_operation_
                                        ; -- End function
	.set _ZN12_GLOBAL__N_120geam_min_plus_kernelIdddLi4ELi64ELi128ELi128ELi4ELi64ELi4ELi64ELi4ELc78ELc84ELb1ELb1ELb0EdKddEEviiiT16_PT17_ilS4_ilS2_S4_ilPT18_ili26rocblas_geam_ex_operation_.num_vgpr, 110
	.set _ZN12_GLOBAL__N_120geam_min_plus_kernelIdddLi4ELi64ELi128ELi128ELi4ELi64ELi4ELi64ELi4ELc78ELc84ELb1ELb1ELb0EdKddEEviiiT16_PT17_ilS4_ilS2_S4_ilPT18_ili26rocblas_geam_ex_operation_.num_agpr, 0
	.set _ZN12_GLOBAL__N_120geam_min_plus_kernelIdddLi4ELi64ELi128ELi128ELi4ELi64ELi4ELi64ELi4ELc78ELc84ELb1ELb1ELb0EdKddEEviiiT16_PT17_ilS4_ilS2_S4_ilPT18_ili26rocblas_geam_ex_operation_.numbered_sgpr, 50
	.set _ZN12_GLOBAL__N_120geam_min_plus_kernelIdddLi4ELi64ELi128ELi128ELi4ELi64ELi4ELi64ELi4ELc78ELc84ELb1ELb1ELb0EdKddEEviiiT16_PT17_ilS4_ilS2_S4_ilPT18_ili26rocblas_geam_ex_operation_.num_named_barrier, 0
	.set _ZN12_GLOBAL__N_120geam_min_plus_kernelIdddLi4ELi64ELi128ELi128ELi4ELi64ELi4ELi64ELi4ELc78ELc84ELb1ELb1ELb0EdKddEEviiiT16_PT17_ilS4_ilS2_S4_ilPT18_ili26rocblas_geam_ex_operation_.private_seg_size, 528
	.set _ZN12_GLOBAL__N_120geam_min_plus_kernelIdddLi4ELi64ELi128ELi128ELi4ELi64ELi4ELi64ELi4ELc78ELc84ELb1ELb1ELb0EdKddEEviiiT16_PT17_ilS4_ilS2_S4_ilPT18_ili26rocblas_geam_ex_operation_.uses_vcc, 1
	.set _ZN12_GLOBAL__N_120geam_min_plus_kernelIdddLi4ELi64ELi128ELi128ELi4ELi64ELi4ELi64ELi4ELc78ELc84ELb1ELb1ELb0EdKddEEviiiT16_PT17_ilS4_ilS2_S4_ilPT18_ili26rocblas_geam_ex_operation_.uses_flat_scratch, 0
	.set _ZN12_GLOBAL__N_120geam_min_plus_kernelIdddLi4ELi64ELi128ELi128ELi4ELi64ELi4ELi64ELi4ELc78ELc84ELb1ELb1ELb0EdKddEEviiiT16_PT17_ilS4_ilS2_S4_ilPT18_ili26rocblas_geam_ex_operation_.has_dyn_sized_stack, 0
	.set _ZN12_GLOBAL__N_120geam_min_plus_kernelIdddLi4ELi64ELi128ELi128ELi4ELi64ELi4ELi64ELi4ELc78ELc84ELb1ELb1ELb0EdKddEEviiiT16_PT17_ilS4_ilS2_S4_ilPT18_ili26rocblas_geam_ex_operation_.has_recursion, 0
	.set _ZN12_GLOBAL__N_120geam_min_plus_kernelIdddLi4ELi64ELi128ELi128ELi4ELi64ELi4ELi64ELi4ELc78ELc84ELb1ELb1ELb0EdKddEEviiiT16_PT17_ilS4_ilS2_S4_ilPT18_ili26rocblas_geam_ex_operation_.has_indirect_call, 0
	.section	.AMDGPU.csdata,"",@progbits
; Kernel info:
; codeLenInByte = 22068
; TotalNumSgprs: 52
; NumVgprs: 110
; ScratchSize: 528
; MemoryBound: 0
; FloatMode: 240
; IeeeMode: 1
; LDSByteSize: 16384 bytes/workgroup (compile time only)
; SGPRBlocks: 0
; VGPRBlocks: 13
; NumSGPRsForWavesPerEU: 52
; NumVGPRsForWavesPerEU: 110
; Occupancy: 9
; WaveLimiterHint : 0
; COMPUTE_PGM_RSRC2:SCRATCH_EN: 1
; COMPUTE_PGM_RSRC2:USER_SGPR: 6
; COMPUTE_PGM_RSRC2:TRAP_HANDLER: 0
; COMPUTE_PGM_RSRC2:TGID_X_EN: 1
; COMPUTE_PGM_RSRC2:TGID_Y_EN: 0
; COMPUTE_PGM_RSRC2:TGID_Z_EN: 1
; COMPUTE_PGM_RSRC2:TIDIG_COMP_CNT: 1
	.section	.text._ZN12_GLOBAL__N_120geam_min_plus_kernelIdddLi4ELi64ELi128ELi128ELi4ELi64ELi4ELi64ELi4ELc78ELc84ELb0ELb1ELb0EdKddEEviiiT16_PT17_ilS4_ilS2_S4_ilPT18_ili26rocblas_geam_ex_operation_,"axG",@progbits,_ZN12_GLOBAL__N_120geam_min_plus_kernelIdddLi4ELi64ELi128ELi128ELi4ELi64ELi4ELi64ELi4ELc78ELc84ELb0ELb1ELb0EdKddEEviiiT16_PT17_ilS4_ilS2_S4_ilPT18_ili26rocblas_geam_ex_operation_,comdat
	.globl	_ZN12_GLOBAL__N_120geam_min_plus_kernelIdddLi4ELi64ELi128ELi128ELi4ELi64ELi4ELi64ELi4ELc78ELc84ELb0ELb1ELb0EdKddEEviiiT16_PT17_ilS4_ilS2_S4_ilPT18_ili26rocblas_geam_ex_operation_ ; -- Begin function _ZN12_GLOBAL__N_120geam_min_plus_kernelIdddLi4ELi64ELi128ELi128ELi4ELi64ELi4ELi64ELi4ELc78ELc84ELb0ELb1ELb0EdKddEEviiiT16_PT17_ilS4_ilS2_S4_ilPT18_ili26rocblas_geam_ex_operation_
	.p2align	8
	.type	_ZN12_GLOBAL__N_120geam_min_plus_kernelIdddLi4ELi64ELi128ELi128ELi4ELi64ELi4ELi64ELi4ELc78ELc84ELb0ELb1ELb0EdKddEEviiiT16_PT17_ilS4_ilS2_S4_ilPT18_ili26rocblas_geam_ex_operation_,@function
_ZN12_GLOBAL__N_120geam_min_plus_kernelIdddLi4ELi64ELi128ELi128ELi4ELi64ELi4ELi64ELi4ELc78ELc84ELb0ELb1ELb0EdKddEEviiiT16_PT17_ilS4_ilS2_S4_ilPT18_ili26rocblas_geam_ex_operation_: ; @_ZN12_GLOBAL__N_120geam_min_plus_kernelIdddLi4ELi64ELi128ELi128ELi4ELi64ELi4ELi64ELi4ELc78ELc84ELb0ELb1ELb0EdKddEEviiiT16_PT17_ilS4_ilS2_S4_ilPT18_ili26rocblas_geam_ex_operation_
; %bb.0:
	s_add_u32 s0, s0, s8
	s_clause 0x1
	s_load_dwordx4 s[16:19], s[4:5], 0x10
	s_load_dwordx4 s[8:11], s[4:5], 0x28
	s_addc_u32 s1, s1, 0
	s_mov_b64 s[20:21], 0
	s_waitcnt lgkmcnt(0)
	v_cmp_eq_f64_e64 s12, s[16:17], 0
	s_and_b32 vcc_lo, exec_lo, s12
	s_cbranch_vccnz .LBB197_2
; %bb.1:
	s_mul_i32 s9, s9, s7
	s_mul_hi_u32 s13, s8, s7
	s_mul_i32 s8, s8, s7
	s_add_i32 s9, s13, s9
	s_lshl_b64 s[8:9], s[8:9], 3
	s_add_u32 s20, s18, s8
	s_addc_u32 s21, s19, s9
.LBB197_2:
	s_clause 0x1
	s_load_dwordx4 s[36:39], s[4:5], 0x40
	s_load_dwordx2 s[8:9], s[4:5], 0x50
	s_andn2_b32 vcc_lo, exec_lo, s12
	s_mov_b32 s12, -1
	s_cbranch_vccnz .LBB197_4
; %bb.3:
	s_mov_b32 s12, 0
.LBB197_4:
	s_mov_b64 s[44:45], 0
	s_andn2_b32 vcc_lo, exec_lo, s12
	s_mov_b64 s[18:19], 0
	s_cbranch_vccnz .LBB197_6
; %bb.5:
	s_waitcnt lgkmcnt(0)
	s_mul_i32 s12, s37, s7
	s_mul_hi_u32 s13, s36, s7
	s_add_i32 s13, s13, s12
	s_mul_i32 s12, s36, s7
	s_lshl_b64 s[12:13], s[12:13], 3
	s_add_u32 s18, s10, s12
	s_addc_u32 s19, s11, s13
.LBB197_6:
	s_waitcnt lgkmcnt(0)
	v_cmp_eq_f64_e64 s10, s[38:39], 0
	v_cmp_neq_f64_e64 s46, s[38:39], 0
	s_load_dwordx4 s[12:15], s[4:5], 0x60
	s_and_b32 vcc_lo, exec_lo, s10
	s_cbranch_vccnz .LBB197_8
; %bb.7:
	s_waitcnt lgkmcnt(0)
	s_mul_i32 s10, s13, s7
	s_mul_hi_u32 s11, s12, s7
	s_add_i32 s11, s11, s10
	s_mul_i32 s10, s12, s7
	s_lshl_b64 s[10:11], s[10:11], 3
	s_add_u32 s44, s8, s10
	s_addc_u32 s45, s9, s11
.LBB197_8:
	s_clause 0x1
	s_load_dwordx4 s[40:43], s[4:5], 0x0
	s_load_dword s23, s[4:5], 0x20
	v_lshl_add_u32 v2, v1, 2, v0
	v_cmp_eq_f64_e64 s25, s[16:17], 0
	v_mov_b32_e32 v11, 0
	buffer_store_dword v11, off, s[0:3], 0 offset:4
	buffer_store_dword v11, off, s[0:3], 0
	buffer_store_dword v11, off, s[0:3], 0 offset:12
	buffer_store_dword v11, off, s[0:3], 0 offset:8
	;; [unrolled: 1-line block ×12, first 2 shown]
	v_and_b32_e32 v22, 63, v2
	v_lshrrev_b32_e32 v82, 6, v2
	buffer_store_dword v11, off, s[0:3], 0 offset:60
	buffer_store_dword v11, off, s[0:3], 0 offset:56
	;; [unrolled: 1-line block ×19, first 2 shown]
	s_waitcnt lgkmcnt(0)
	s_add_i32 s8, s40, -1
	v_cmp_le_i32_e32 vcc_lo, s42, v82
	s_ashr_i32 s9, s8, 31
	buffer_store_dword v11, off, s[0:3], 0 offset:128
	buffer_store_dword v11, off, s[0:3], 0 offset:140
	;; [unrolled: 1-line block ×4, first 2 shown]
	s_lshr_b32 s9, s9, 25
	buffer_store_dword v11, off, s[0:3], 0 offset:144
	buffer_store_dword v11, off, s[0:3], 0 offset:156
	;; [unrolled: 1-line block ×4, first 2 shown]
	s_add_i32 s8, s8, s9
	buffer_store_dword v11, off, s[0:3], 0 offset:160
	buffer_store_dword v11, off, s[0:3], 0 offset:172
	s_ashr_i32 s8, s8, 7
	buffer_store_dword v11, off, s[0:3], 0 offset:168
	s_add_i32 s9, s8, 1
	s_not_b32 s8, s8
	v_cvt_f32_u32_e32 v2, s9
	buffer_store_dword v11, off, s[0:3], 0 offset:180
	buffer_store_dword v11, off, s[0:3], 0 offset:176
	;; [unrolled: 1-line block ×4, first 2 shown]
	v_rcp_iflag_f32_e32 v2, v2
	buffer_store_dword v11, off, s[0:3], 0 offset:196
	buffer_store_dword v11, off, s[0:3], 0 offset:192
	;; [unrolled: 1-line block ×71, first 2 shown]
	v_mul_f32_e32 v2, 0x4f7ffffe, v2
	buffer_store_dword v11, off, s[0:3], 0 offset:472
	buffer_store_dword v11, off, s[0:3], 0 offset:484
	;; [unrolled: 1-line block ×9, first 2 shown]
	v_cvt_u32_f32_e32 v2, v2
	v_readfirstlane_b32 s10, v2
	s_mul_i32 s8, s8, s10
	s_mul_hi_u32 s8, s10, s8
	s_add_i32 s10, s10, s8
	s_mul_hi_u32 s8, s6, s10
	s_mul_i32 s10, s8, s9
	s_add_i32 s11, s8, 1
	s_sub_i32 s10, s6, s10
	s_sub_i32 s12, s10, s9
	s_cmp_ge_u32 s10, s9
	s_cselect_b32 s8, s11, s8
	s_cselect_b32 s10, s12, s10
	s_add_i32 s11, s8, 1
	s_cmp_ge_u32 s10, s9
	s_cselect_b32 s10, s11, s8
	s_add_i32 s24, s42, -1
	s_mul_i32 s8, s10, s9
	v_min_i32_e32 v8, s24, v82
	s_sub_i32 s6, s6, s8
	s_lshl_b32 s12, s6, 7
	v_mad_i64_i32 v[2:3], null, s23, v8, 0
	v_or_b32_e32 v6, s12, v22
	v_cmp_le_i32_e64 s6, s40, v6
	v_lshlrev_b64 v[4:5], 3, v[2:3]
	v_mov_b32_e32 v2, 0
	v_mov_b32_e32 v3, 0
	v_ashrrev_i32_e32 v7, 31, v6
	v_add_co_u32 v9, s8, s20, v4
	v_add_co_ci_u32_e64 v10, null, s21, v5, s8
	v_mov_b32_e32 v4, 0
	v_mov_b32_e32 v5, 0
	s_or_b32 s8, s6, vcc_lo
	s_nor_b32 s8, s25, s8
	s_and_saveexec_b32 s9, s8
	s_cbranch_execz .LBB197_10
; %bb.9:
	v_lshlrev_b64 v[4:5], 3, v[6:7]
	v_add_co_u32 v4, s8, v9, v4
	v_add_co_ci_u32_e64 v5, null, v10, v5, s8
	global_load_dwordx2 v[4:5], v[4:5], off
	s_waitcnt vmcnt(0)
	v_mul_f64 v[4:5], s[16:17], v[4:5]
.LBB197_10:
	s_or_b32 exec_lo, exec_lo, s9
	v_or_b32_e32 v11, 64, v6
	v_cmp_le_i32_e64 s8, s40, v11
	s_or_b32 s9, s8, vcc_lo
	s_nor_b32 s9, s25, s9
	s_and_saveexec_b32 s11, s9
	s_cbranch_execz .LBB197_12
; %bb.11:
	v_lshlrev_b64 v[2:3], 3, v[6:7]
	v_add_co_u32 v2, s9, v9, v2
	v_add_co_ci_u32_e64 v3, null, v10, v3, s9
	global_load_dwordx2 v[2:3], v[2:3], off offset:512
	s_waitcnt vmcnt(0)
	v_mul_f64 v[2:3], s[16:17], v[2:3]
.LBB197_12:
	s_or_b32 exec_lo, exec_lo, s11
	s_load_dword s26, s[4:5], 0x38
	s_lshl_b32 s13, s10, 7
	v_mov_b32_e32 v18, 0
	v_mov_b32_e32 v20, 0
	;; [unrolled: 1-line block ×4, first 2 shown]
	s_waitcnt lgkmcnt(0)
	v_mad_i64_i32 v[9:10], null, s26, v8, 0
	v_or_b32_e32 v8, s13, v22
	v_cmp_le_i32_e64 s9, s41, v8
	v_lshlrev_b64 v[10:11], 3, v[9:10]
	v_ashrrev_i32_e32 v9, 31, v8
	v_add_co_u32 v10, s10, s18, v10
	v_add_co_ci_u32_e64 v11, null, s19, v11, s10
	s_or_b32 s10, s9, vcc_lo
	s_nor_b32 s10, s25, s10
	s_and_saveexec_b32 s11, s10
	s_cbranch_execz .LBB197_14
; %bb.13:
	v_lshlrev_b64 v[12:13], 3, v[8:9]
	v_add_co_u32 v12, s10, v10, v12
	v_add_co_ci_u32_e64 v13, null, v11, v13, s10
	global_load_dwordx2 v[12:13], v[12:13], off
	s_waitcnt vmcnt(0)
	v_mul_f64 v[20:21], s[16:17], v[12:13]
.LBB197_14:
	s_or_b32 exec_lo, exec_lo, s11
	v_or_b32_e32 v12, 64, v8
	v_cmp_le_i32_e64 s10, s41, v12
	s_or_b32 s11, s10, vcc_lo
	s_nor_b32 s22, s25, s11
	s_and_saveexec_b32 s11, s22
	s_cbranch_execz .LBB197_16
; %bb.15:
	v_lshlrev_b64 v[12:13], 3, v[8:9]
	v_add_co_u32 v10, vcc_lo, v10, v12
	v_add_co_ci_u32_e64 v11, null, v11, v13, vcc_lo
	global_load_dwordx2 v[10:11], v[10:11], off offset:512
	s_waitcnt vmcnt(0)
	v_mul_f64 v[18:19], s[16:17], v[10:11]
.LBB197_16:
	s_or_b32 exec_lo, exec_lo, s11
	v_add_nc_u32_e32 v17, 4, v82
	v_mov_b32_e32 v12, 0
	v_mov_b32_e32 v13, 0
	v_min_i32_e32 v14, s24, v17
	v_cmp_le_i32_e32 vcc_lo, s42, v17
	v_mad_i64_i32 v[10:11], null, s23, v14, 0
	v_lshlrev_b64 v[15:16], 3, v[10:11]
	v_mov_b32_e32 v10, 0
	v_mov_b32_e32 v11, 0
	v_add_co_u32 v15, s11, s20, v15
	v_add_co_ci_u32_e64 v16, null, s21, v16, s11
	s_or_b32 s11, s6, vcc_lo
	s_nor_b32 s11, s25, s11
	s_and_saveexec_b32 s22, s11
	s_cbranch_execz .LBB197_18
; %bb.17:
	v_lshlrev_b64 v[12:13], 3, v[6:7]
	v_add_co_u32 v12, s11, v15, v12
	v_add_co_ci_u32_e64 v13, null, v16, v13, s11
	global_load_dwordx2 v[12:13], v[12:13], off
	s_waitcnt vmcnt(0)
	v_mul_f64 v[12:13], s[16:17], v[12:13]
.LBB197_18:
	s_or_b32 exec_lo, exec_lo, s22
	s_or_b32 s11, s8, vcc_lo
	s_nor_b32 s11, s25, s11
	s_and_saveexec_b32 s22, s11
	s_cbranch_execz .LBB197_20
; %bb.19:
	v_lshlrev_b64 v[10:11], 3, v[6:7]
	v_add_co_u32 v10, s11, v15, v10
	v_add_co_ci_u32_e64 v11, null, v16, v11, s11
	global_load_dwordx2 v[10:11], v[10:11], off offset:512
	s_waitcnt vmcnt(0)
	v_mul_f64 v[10:11], s[16:17], v[10:11]
.LBB197_20:
	s_or_b32 exec_lo, exec_lo, s22
	v_mad_i64_i32 v[14:15], null, s26, v14, 0
	v_mov_b32_e32 v16, 0
	v_mov_b32_e32 v17, 0
	v_lshlrev_b64 v[23:24], 3, v[14:15]
	v_mov_b32_e32 v14, 0
	v_mov_b32_e32 v15, 0
	v_add_co_u32 v23, s11, s18, v23
	v_add_co_ci_u32_e64 v24, null, s19, v24, s11
	s_or_b32 s11, s9, vcc_lo
	s_nor_b32 s11, s25, s11
	s_and_saveexec_b32 s22, s11
	s_cbranch_execz .LBB197_22
; %bb.21:
	v_lshlrev_b64 v[16:17], 3, v[8:9]
	v_add_co_u32 v16, s11, v23, v16
	v_add_co_ci_u32_e64 v17, null, v24, v17, s11
	global_load_dwordx2 v[16:17], v[16:17], off
	s_waitcnt vmcnt(0)
	v_mul_f64 v[16:17], s[16:17], v[16:17]
.LBB197_22:
	s_or_b32 exec_lo, exec_lo, s22
	s_or_b32 s11, s10, vcc_lo
	s_nor_b32 s22, s25, s11
	s_and_saveexec_b32 s11, s22
	s_cbranch_execz .LBB197_24
; %bb.23:
	v_lshlrev_b64 v[14:15], 3, v[8:9]
	v_add_co_u32 v14, vcc_lo, v23, v14
	v_add_co_ci_u32_e64 v15, null, v24, v15, vcc_lo
	global_load_dwordx2 v[14:15], v[14:15], off offset:512
	s_waitcnt vmcnt(0)
	v_mul_f64 v[14:15], s[16:17], v[14:15]
.LBB197_24:
	s_or_b32 exec_lo, exec_lo, s11
	v_lshlrev_b32_e32 v22, 5, v22
	v_lshlrev_b32_e32 v84, 5, v0
	v_lshl_or_b32 v86, v1, 5, 0x2000
	s_mov_b32 s22, 0
	s_mov_b32 s11, 0
	v_lshl_add_u32 v83, v82, 3, v22
	s_addk_i32 s22, 0x100
	v_add_nc_u32_e32 v85, 0x2000, v83
	ds_write2st64_b64 v83, v[4:5], v[2:3] offset1:4
	ds_write2st64_b64 v83, v[20:21], v[18:19] offset0:16 offset1:20
	s_waitcnt lgkmcnt(0)
	s_waitcnt_vscnt null, 0x0
	s_barrier
	buffer_gl0_inv
.LBB197_25:                             ; =>This Loop Header: Depth=1
                                        ;     Child Loop BB197_26 Depth 2
	s_lshl_b32 s27, s11, 3
	s_mov_b32 s28, 0
	v_add_nc_u32_e32 v18, s27, v84
	v_add_nc_u32_e32 v87, s27, v86
	s_mov_b32 s27, -1
	ds_read2_b64 v[2:5], v18 offset1:16
	ds_read2_b64 v[22:25], v18 offset0:32 offset1:48
	ds_read2_b64 v[26:29], v18 offset0:64 offset1:80
	;; [unrolled: 1-line block ×4, first 2 shown]
	v_add_nc_u32_e32 v78, 0x800, v18
	ds_read2_b64 v[38:41], v18 offset0:160 offset1:176
	ds_read2_b64 v[42:45], v18 offset0:192 offset1:208
	;; [unrolled: 1-line block ×3, first 2 shown]
	ds_read2_b64 v[50:53], v78 offset1:16
	ds_read2_b64 v[54:57], v78 offset0:32 offset1:48
	ds_read2_b64 v[58:61], v78 offset0:64 offset1:80
	;; [unrolled: 1-line block ×6, first 2 shown]
	s_waitcnt lgkmcnt(9)
	v_max_f64 v[38:39], v[38:39], v[38:39]
	v_max_f64 v[40:41], v[40:41], v[40:41]
	;; [unrolled: 1-line block ×4, first 2 shown]
	ds_read2_b64 v[2:5], v78 offset0:224 offset1:240
	v_max_f64 v[22:23], v[22:23], v[22:23]
	v_max_f64 v[24:25], v[24:25], v[24:25]
	;; [unrolled: 1-line block ×8, first 2 shown]
	s_waitcnt lgkmcnt(9)
	v_max_f64 v[42:43], v[42:43], v[42:43]
	v_max_f64 v[44:45], v[44:45], v[44:45]
	s_waitcnt lgkmcnt(8)
	v_max_f64 v[46:47], v[46:47], v[46:47]
	v_max_f64 v[48:49], v[48:49], v[48:49]
	;; [unrolled: 3-line block ×10, first 2 shown]
	ds_read2st64_b64 v[2:5], v87 offset1:4
.LBB197_26:                             ;   Parent Loop BB197_25 Depth=1
                                        ; =>  This Inner Loop Header: Depth=2
	v_mov_b32_e32 v87, s28
	s_waitcnt lgkmcnt(0)
	v_max_f64 v[2:3], v[2:3], v[2:3]
	s_and_b32 vcc_lo, exec_lo, s27
	s_mov_b32 s27, 0
	s_mov_b32 s28, s22
	s_clause 0xf
	buffer_load_dword v90, v87, s[0:3], 0 offen
	buffer_load_dword v91, v87, s[0:3], 0 offen offset:4
	buffer_load_dword v92, v87, s[0:3], 0 offen offset:8
	;; [unrolled: 1-line block ×15, first 2 shown]
	v_min_f64 v[88:89], v[18:19], v[2:3]
	s_waitcnt vmcnt(14)
	v_add_f64 v[88:89], v[88:89], v[90:91]
	buffer_store_dword v88, v87, s[0:3], 0 offen
	buffer_store_dword v89, v87, s[0:3], 0 offen offset:4
	v_min_f64 v[88:89], v[20:21], v[2:3]
	s_waitcnt vmcnt(12)
	v_add_f64 v[88:89], v[88:89], v[92:93]
	buffer_store_dword v88, v87, s[0:3], 0 offen offset:8
	buffer_store_dword v89, v87, s[0:3], 0 offen offset:12
	v_min_f64 v[88:89], v[22:23], v[2:3]
	s_waitcnt vmcnt(10)
	v_add_f64 v[88:89], v[88:89], v[94:95]
	buffer_store_dword v88, v87, s[0:3], 0 offen offset:16
	buffer_store_dword v89, v87, s[0:3], 0 offen offset:20
	v_min_f64 v[88:89], v[24:25], v[2:3]
	s_waitcnt vmcnt(8)
	v_add_f64 v[88:89], v[88:89], v[96:97]
	buffer_store_dword v88, v87, s[0:3], 0 offen offset:24
	buffer_store_dword v89, v87, s[0:3], 0 offen offset:28
	v_min_f64 v[88:89], v[26:27], v[2:3]
	s_waitcnt vmcnt(6)
	v_add_f64 v[88:89], v[88:89], v[98:99]
	buffer_store_dword v88, v87, s[0:3], 0 offen offset:32
	buffer_store_dword v89, v87, s[0:3], 0 offen offset:36
	v_min_f64 v[88:89], v[28:29], v[2:3]
	s_waitcnt vmcnt(4)
	v_add_f64 v[88:89], v[88:89], v[100:101]
	buffer_store_dword v88, v87, s[0:3], 0 offen offset:40
	buffer_store_dword v89, v87, s[0:3], 0 offen offset:44
	v_min_f64 v[88:89], v[30:31], v[2:3]
	s_waitcnt vmcnt(2)
	v_add_f64 v[88:89], v[88:89], v[102:103]
	buffer_store_dword v88, v87, s[0:3], 0 offen offset:48
	buffer_store_dword v89, v87, s[0:3], 0 offen offset:52
	v_min_f64 v[88:89], v[32:33], v[2:3]
	s_waitcnt vmcnt(0)
	v_add_f64 v[88:89], v[88:89], v[104:105]
	buffer_store_dword v88, v87, s[0:3], 0 offen offset:56
	buffer_store_dword v89, v87, s[0:3], 0 offen offset:60
	s_clause 0x1
	buffer_load_dword v91, v87, s[0:3], 0 offen offset:68
	buffer_load_dword v90, v87, s[0:3], 0 offen offset:64
	v_min_f64 v[88:89], v[34:35], v[2:3]
	s_waitcnt vmcnt(0)
	v_add_f64 v[88:89], v[88:89], v[90:91]
	buffer_store_dword v89, v87, s[0:3], 0 offen offset:68
	buffer_store_dword v88, v87, s[0:3], 0 offen offset:64
	s_clause 0x1
	buffer_load_dword v90, v87, s[0:3], 0 offen offset:72
	buffer_load_dword v91, v87, s[0:3], 0 offen offset:76
	v_min_f64 v[88:89], v[36:37], v[2:3]
	s_waitcnt vmcnt(0)
	v_add_f64 v[88:89], v[88:89], v[90:91]
	buffer_store_dword v89, v87, s[0:3], 0 offen offset:76
	;; [unrolled: 8-line block ×22, first 2 shown]
	buffer_store_dword v88, v87, s[0:3], 0 offen offset:232
	s_clause 0x1
	buffer_load_dword v90, v87, s[0:3], 0 offen offset:240
	buffer_load_dword v91, v87, s[0:3], 0 offen offset:244
	v_min_f64 v[88:89], v[78:79], v[2:3]
	v_min_f64 v[2:3], v[80:81], v[2:3]
	s_waitcnt vmcnt(0)
	v_add_f64 v[88:89], v[88:89], v[90:91]
	buffer_store_dword v89, v87, s[0:3], 0 offen offset:244
	buffer_store_dword v88, v87, s[0:3], 0 offen offset:240
	s_clause 0x1
	buffer_load_dword v88, v87, s[0:3], 0 offen offset:248
	buffer_load_dword v89, v87, s[0:3], 0 offen offset:252
	s_waitcnt vmcnt(0)
	v_add_f64 v[2:3], v[2:3], v[88:89]
	buffer_store_dword v3, v87, s[0:3], 0 offen offset:252
	buffer_store_dword v2, v87, s[0:3], 0 offen offset:248
	v_mov_b32_e32 v2, v4
	v_mov_b32_e32 v3, v5
	s_cbranch_vccnz .LBB197_26
; %bb.27:                               ;   in Loop: Header=BB197_25 Depth=1
	s_add_i32 s11, s11, 1
	s_cmp_eq_u32 s11, 4
	s_cbranch_scc0 .LBB197_25
; %bb.28:
	v_lshl_add_u32 v87, v0, 5, 0x1000
	v_lshl_add_u32 v88, v1, 5, 0x3000
	s_cmp_lt_i32 s42, 9
	ds_write2st64_b64 v83, v[12:13], v[10:11] offset0:8 offset1:12
	ds_write2st64_b64 v83, v[16:17], v[14:15] offset0:24 offset1:28
	s_waitcnt lgkmcnt(0)
	s_waitcnt_vscnt null, 0x0
	s_barrier
	buffer_gl0_inv
	s_cbranch_scc1 .LBB197_55
; %bb.29:
	v_lshlrev_b64 v[70:71], 3, v[6:7]
	v_lshlrev_b64 v[72:73], 3, v[8:9]
	v_add_nc_u32_e32 v89, 0x1000, v83
	v_add_nc_u32_e32 v90, 0x3000, v83
	s_add_i32 s27, s42, -8
	s_mov_b32 s28, 8
	s_mov_b32 s29, 0
.LBB197_30:                             ; =>This Loop Header: Depth=1
                                        ;     Child Loop BB197_39 Depth 2
                                        ;       Child Loop BB197_40 Depth 3
                                        ;     Child Loop BB197_51 Depth 2
                                        ;       Child Loop BB197_52 Depth 3
	v_add_nc_u32_e32 v5, s28, v82
	v_mov_b32_e32 v6, 0
	v_mov_b32_e32 v8, 0
	;; [unrolled: 1-line block ×4, first 2 shown]
	v_min_i32_e32 v2, s24, v5
	v_cmp_le_i32_e32 vcc_lo, s42, v5
	v_mad_i64_i32 v[3:4], null, v2, s23, 0
	v_lshlrev_b64 v[3:4], 3, v[3:4]
	v_add_co_u32 v3, s11, s20, v3
	v_add_co_ci_u32_e64 v4, null, s21, v4, s11
	s_or_b32 s11, s6, vcc_lo
	s_nor_b32 s11, s25, s11
	s_and_saveexec_b32 s30, s11
	s_cbranch_execz .LBB197_32
; %bb.31:                               ;   in Loop: Header=BB197_30 Depth=1
	v_add_co_u32 v8, s11, v3, v70
	v_add_co_ci_u32_e64 v9, null, v4, v71, s11
	global_load_dwordx2 v[8:9], v[8:9], off
	s_waitcnt vmcnt(0)
	v_mul_f64 v[8:9], s[16:17], v[8:9]
.LBB197_32:                             ;   in Loop: Header=BB197_30 Depth=1
	s_or_b32 exec_lo, exec_lo, s30
	s_or_b32 s11, s8, vcc_lo
	s_nor_b32 s11, s25, s11
	s_and_saveexec_b32 s30, s11
	s_cbranch_execz .LBB197_34
; %bb.33:                               ;   in Loop: Header=BB197_30 Depth=1
	v_add_co_u32 v3, s11, v3, v70
	v_add_co_ci_u32_e64 v4, null, v4, v71, s11
	global_load_dwordx2 v[3:4], v[3:4], off offset:512
	s_waitcnt vmcnt(0)
	v_mul_f64 v[6:7], s[16:17], v[3:4]
.LBB197_34:                             ;   in Loop: Header=BB197_30 Depth=1
	s_or_b32 exec_lo, exec_lo, s30
	v_mad_i64_i32 v[2:3], null, v2, s26, 0
	v_mov_b32_e32 v10, 0
	v_mov_b32_e32 v12, 0
	;; [unrolled: 1-line block ×4, first 2 shown]
	v_lshlrev_b64 v[2:3], 3, v[2:3]
	v_add_co_u32 v2, s11, s18, v2
	v_add_co_ci_u32_e64 v3, null, s19, v3, s11
	s_or_b32 s11, s9, vcc_lo
	s_nor_b32 s11, s25, s11
	s_and_saveexec_b32 s30, s11
	s_cbranch_execz .LBB197_36
; %bb.35:                               ;   in Loop: Header=BB197_30 Depth=1
	v_add_co_u32 v4, s11, v2, v72
	v_add_co_ci_u32_e64 v5, null, v3, v73, s11
	global_load_dwordx2 v[4:5], v[4:5], off
	s_waitcnt vmcnt(0)
	v_mul_f64 v[12:13], s[16:17], v[4:5]
.LBB197_36:                             ;   in Loop: Header=BB197_30 Depth=1
	s_or_b32 exec_lo, exec_lo, s30
	s_or_b32 s11, s10, vcc_lo
	s_nor_b32 s30, s25, s11
	s_and_saveexec_b32 s11, s30
	s_cbranch_execz .LBB197_38
; %bb.37:                               ;   in Loop: Header=BB197_30 Depth=1
	v_add_co_u32 v2, vcc_lo, v2, v72
	v_add_co_ci_u32_e64 v3, null, v3, v73, vcc_lo
	global_load_dwordx2 v[2:3], v[2:3], off offset:512
	s_waitcnt vmcnt(0)
	v_mul_f64 v[10:11], s[16:17], v[2:3]
.LBB197_38:                             ;   in Loop: Header=BB197_30 Depth=1
	s_or_b32 exec_lo, exec_lo, s11
	s_mov_b32 s11, 0
.LBB197_39:                             ;   Parent Loop BB197_30 Depth=1
                                        ; =>  This Loop Header: Depth=2
                                        ;       Child Loop BB197_40 Depth 3
	s_lshl_b32 s30, s11, 3
	s_mov_b32 s31, 0
	v_add_nc_u32_e32 v14, s30, v87
	v_add_nc_u32_e32 v91, s30, v88
	s_mov_b32 s30, -1
	ds_read2_b64 v[2:5], v14 offset1:16
	ds_read2_b64 v[18:21], v14 offset0:32 offset1:48
	ds_read2_b64 v[22:25], v14 offset0:64 offset1:80
	v_add_nc_u32_e32 v15, 0x800, v14
	ds_read2_b64 v[26:29], v14 offset0:96 offset1:112
	ds_read2_b64 v[30:33], v14 offset0:128 offset1:144
	;; [unrolled: 1-line block ×5, first 2 shown]
	ds_read2_b64 v[46:49], v15 offset1:16
	ds_read2_b64 v[50:53], v15 offset0:32 offset1:48
	ds_read2_b64 v[54:57], v15 offset0:64 offset1:80
	;; [unrolled: 1-line block ×7, first 2 shown]
	s_waitcnt lgkmcnt(11)
	v_max_f64 v[30:31], v[30:31], v[30:31]
	v_max_f64 v[32:33], v[32:33], v[32:33]
	s_waitcnt lgkmcnt(10)
	v_max_f64 v[34:35], v[34:35], v[34:35]
	v_max_f64 v[36:37], v[36:37], v[36:37]
	;; [unrolled: 3-line block ×3, first 2 shown]
	v_max_f64 v[14:15], v[2:3], v[2:3]
	v_max_f64 v[16:17], v[4:5], v[4:5]
	;; [unrolled: 1-line block ×8, first 2 shown]
	s_waitcnt lgkmcnt(8)
	v_max_f64 v[42:43], v[42:43], v[42:43]
	v_max_f64 v[44:45], v[44:45], v[44:45]
	s_waitcnt lgkmcnt(7)
	v_max_f64 v[46:47], v[46:47], v[46:47]
	v_max_f64 v[48:49], v[48:49], v[48:49]
	;; [unrolled: 3-line block ×9, first 2 shown]
	ds_read2st64_b64 v[2:5], v91 offset1:4
.LBB197_40:                             ;   Parent Loop BB197_30 Depth=1
                                        ;     Parent Loop BB197_39 Depth=2
                                        ; =>    This Inner Loop Header: Depth=3
	v_mov_b32_e32 v91, s31
	s_waitcnt lgkmcnt(0)
	v_max_f64 v[2:3], v[2:3], v[2:3]
	s_and_b32 vcc_lo, exec_lo, s30
	s_mov_b32 s30, 0
	s_mov_b32 s31, s22
	s_clause 0xf
	buffer_load_dword v94, v91, s[0:3], 0 offen
	buffer_load_dword v95, v91, s[0:3], 0 offen offset:4
	buffer_load_dword v96, v91, s[0:3], 0 offen offset:8
	;; [unrolled: 1-line block ×15, first 2 shown]
	v_min_f64 v[92:93], v[14:15], v[2:3]
	s_waitcnt vmcnt(14)
	v_add_f64 v[92:93], v[92:93], v[94:95]
	buffer_store_dword v92, v91, s[0:3], 0 offen
	buffer_store_dword v93, v91, s[0:3], 0 offen offset:4
	v_min_f64 v[92:93], v[16:17], v[2:3]
	s_waitcnt vmcnt(12)
	v_add_f64 v[92:93], v[92:93], v[96:97]
	buffer_store_dword v92, v91, s[0:3], 0 offen offset:8
	buffer_store_dword v93, v91, s[0:3], 0 offen offset:12
	v_min_f64 v[92:93], v[18:19], v[2:3]
	s_waitcnt vmcnt(10)
	v_add_f64 v[92:93], v[92:93], v[98:99]
	buffer_store_dword v92, v91, s[0:3], 0 offen offset:16
	;; [unrolled: 5-line block ×7, first 2 shown]
	buffer_store_dword v93, v91, s[0:3], 0 offen offset:60
	s_clause 0x1
	buffer_load_dword v95, v91, s[0:3], 0 offen offset:68
	buffer_load_dword v94, v91, s[0:3], 0 offen offset:64
	v_min_f64 v[92:93], v[30:31], v[2:3]
	s_waitcnt vmcnt(0)
	v_add_f64 v[92:93], v[92:93], v[94:95]
	buffer_store_dword v93, v91, s[0:3], 0 offen offset:68
	buffer_store_dword v92, v91, s[0:3], 0 offen offset:64
	s_clause 0x1
	buffer_load_dword v94, v91, s[0:3], 0 offen offset:72
	buffer_load_dword v95, v91, s[0:3], 0 offen offset:76
	v_min_f64 v[92:93], v[32:33], v[2:3]
	s_waitcnt vmcnt(0)
	v_add_f64 v[92:93], v[92:93], v[94:95]
	buffer_store_dword v93, v91, s[0:3], 0 offen offset:76
	;; [unrolled: 8-line block ×22, first 2 shown]
	buffer_store_dword v92, v91, s[0:3], 0 offen offset:232
	s_clause 0x1
	buffer_load_dword v94, v91, s[0:3], 0 offen offset:240
	buffer_load_dword v95, v91, s[0:3], 0 offen offset:244
	v_min_f64 v[92:93], v[78:79], v[2:3]
	v_min_f64 v[2:3], v[80:81], v[2:3]
	s_waitcnt vmcnt(0)
	v_add_f64 v[92:93], v[92:93], v[94:95]
	buffer_store_dword v93, v91, s[0:3], 0 offen offset:244
	buffer_store_dword v92, v91, s[0:3], 0 offen offset:240
	s_clause 0x1
	buffer_load_dword v92, v91, s[0:3], 0 offen offset:248
	buffer_load_dword v93, v91, s[0:3], 0 offen offset:252
	s_waitcnt vmcnt(0)
	v_add_f64 v[2:3], v[2:3], v[92:93]
	buffer_store_dword v3, v91, s[0:3], 0 offen offset:252
	buffer_store_dword v2, v91, s[0:3], 0 offen offset:248
	v_mov_b32_e32 v2, v4
	v_mov_b32_e32 v3, v5
	s_cbranch_vccnz .LBB197_40
; %bb.41:                               ;   in Loop: Header=BB197_39 Depth=2
	s_add_i32 s11, s11, 1
	s_cmp_eq_u32 s11, 4
	s_cbranch_scc0 .LBB197_39
; %bb.42:                               ;   in Loop: Header=BB197_30 Depth=1
	v_add3_u32 v5, v82, s28, 4
	v_mov_b32_e32 v74, 0
	v_mov_b32_e32 v76, 0
	;; [unrolled: 1-line block ×4, first 2 shown]
	v_min_i32_e32 v2, s24, v5
	v_cmp_le_i32_e32 vcc_lo, s42, v5
	ds_write2st64_b64 v83, v[8:9], v[6:7] offset1:4
	ds_write2st64_b64 v85, v[12:13], v[10:11] offset1:4
	s_waitcnt lgkmcnt(0)
	s_waitcnt_vscnt null, 0x0
	s_barrier
	v_mad_i64_i32 v[3:4], null, v2, s23, 0
	buffer_gl0_inv
	v_lshlrev_b64 v[3:4], 3, v[3:4]
	v_add_co_u32 v3, s11, s20, v3
	v_add_co_ci_u32_e64 v4, null, s21, v4, s11
	s_or_b32 s11, s6, vcc_lo
	s_nor_b32 s11, s25, s11
	s_and_saveexec_b32 s30, s11
	s_cbranch_execz .LBB197_44
; %bb.43:                               ;   in Loop: Header=BB197_30 Depth=1
	v_add_co_u32 v5, s11, v3, v70
	v_add_co_ci_u32_e64 v6, null, v4, v71, s11
	global_load_dwordx2 v[5:6], v[5:6], off
	s_waitcnt vmcnt(0)
	v_mul_f64 v[76:77], s[16:17], v[5:6]
.LBB197_44:                             ;   in Loop: Header=BB197_30 Depth=1
	s_or_b32 exec_lo, exec_lo, s30
	s_or_b32 s11, s8, vcc_lo
	s_nor_b32 s11, s25, s11
	s_and_saveexec_b32 s30, s11
	s_cbranch_execz .LBB197_46
; %bb.45:                               ;   in Loop: Header=BB197_30 Depth=1
	v_add_co_u32 v3, s11, v3, v70
	v_add_co_ci_u32_e64 v4, null, v4, v71, s11
	global_load_dwordx2 v[3:4], v[3:4], off offset:512
	s_waitcnt vmcnt(0)
	v_mul_f64 v[74:75], s[16:17], v[3:4]
.LBB197_46:                             ;   in Loop: Header=BB197_30 Depth=1
	s_or_b32 exec_lo, exec_lo, s30
	v_mad_i64_i32 v[2:3], null, v2, s26, 0
	v_mov_b32_e32 v78, 0
	v_mov_b32_e32 v80, 0
	v_mov_b32_e32 v79, 0
	v_mov_b32_e32 v81, 0
	v_lshlrev_b64 v[2:3], 3, v[2:3]
	v_add_co_u32 v2, s11, s18, v2
	v_add_co_ci_u32_e64 v3, null, s19, v3, s11
	s_or_b32 s11, s9, vcc_lo
	s_nor_b32 s11, s25, s11
	s_and_saveexec_b32 s30, s11
	s_cbranch_execz .LBB197_48
; %bb.47:                               ;   in Loop: Header=BB197_30 Depth=1
	v_add_co_u32 v4, s11, v2, v72
	v_add_co_ci_u32_e64 v5, null, v3, v73, s11
	global_load_dwordx2 v[4:5], v[4:5], off
	s_waitcnt vmcnt(0)
	v_mul_f64 v[80:81], s[16:17], v[4:5]
.LBB197_48:                             ;   in Loop: Header=BB197_30 Depth=1
	s_or_b32 exec_lo, exec_lo, s30
	s_or_b32 s11, s10, vcc_lo
	s_nor_b32 s30, s25, s11
	s_and_saveexec_b32 s11, s30
	s_cbranch_execz .LBB197_50
; %bb.49:                               ;   in Loop: Header=BB197_30 Depth=1
	v_add_co_u32 v2, vcc_lo, v2, v72
	v_add_co_ci_u32_e64 v3, null, v3, v73, vcc_lo
	global_load_dwordx2 v[2:3], v[2:3], off offset:512
	s_waitcnt vmcnt(0)
	v_mul_f64 v[78:79], s[16:17], v[2:3]
.LBB197_50:                             ;   in Loop: Header=BB197_30 Depth=1
	s_or_b32 exec_lo, exec_lo, s11
	s_mov_b32 s11, 0
.LBB197_51:                             ;   Parent Loop BB197_30 Depth=1
                                        ; =>  This Loop Header: Depth=2
                                        ;       Child Loop BB197_52 Depth 3
	s_lshl_b32 s30, s11, 3
	s_mov_b32 s31, 0
	v_add_nc_u32_e32 v30, s30, v84
	v_add_nc_u32_e32 v66, s30, v86
	s_mov_b32 s30, -1
	ds_read2_b64 v[2:5], v30 offset1:16
	ds_read2_b64 v[6:9], v30 offset0:32 offset1:48
	ds_read2_b64 v[10:13], v30 offset0:64 offset1:80
	;; [unrolled: 1-line block ×3, first 2 shown]
	v_add_nc_u32_e32 v62, 0x800, v30
	ds_read2_b64 v[18:21], v30 offset0:128 offset1:144
	ds_read2_b64 v[22:25], v30 offset0:160 offset1:176
	;; [unrolled: 1-line block ×4, first 2 shown]
	ds_read2_b64 v[34:37], v62 offset1:16
	ds_read2_b64 v[38:41], v62 offset0:32 offset1:48
	ds_read2_b64 v[42:45], v62 offset0:64 offset1:80
	;; [unrolled: 1-line block ×7, first 2 shown]
	ds_read2st64_b64 v[66:69], v66 offset1:4
.LBB197_52:                             ;   Parent Loop BB197_30 Depth=1
                                        ;     Parent Loop BB197_51 Depth=2
                                        ; =>    This Inner Loop Header: Depth=3
	s_waitcnt lgkmcnt(16)
	v_max_f64 v[91:92], v[2:3], v[2:3]
	s_waitcnt lgkmcnt(0)
	v_max_f64 v[66:67], v[66:67], v[66:67]
	s_and_b32 vcc_lo, exec_lo, s30
	s_mov_b32 s30, 0
	v_min_f64 v[92:93], v[91:92], v[66:67]
	v_mov_b32_e32 v91, s31
	s_mov_b32 s31, s22
	s_clause 0xf
	buffer_load_dword v94, v91, s[0:3], 0 offen
	buffer_load_dword v95, v91, s[0:3], 0 offen offset:4
	buffer_load_dword v96, v91, s[0:3], 0 offen offset:8
	;; [unrolled: 1-line block ×15, first 2 shown]
	s_waitcnt vmcnt(14)
	v_add_f64 v[92:93], v[92:93], v[94:95]
	buffer_store_dword v92, v91, s[0:3], 0 offen
	buffer_store_dword v93, v91, s[0:3], 0 offen offset:4
	v_max_f64 v[92:93], v[4:5], v[4:5]
	v_min_f64 v[92:93], v[92:93], v[66:67]
	s_waitcnt vmcnt(12)
	v_add_f64 v[92:93], v[92:93], v[96:97]
	buffer_store_dword v92, v91, s[0:3], 0 offen offset:8
	buffer_store_dword v93, v91, s[0:3], 0 offen offset:12
	v_max_f64 v[92:93], v[6:7], v[6:7]
	v_min_f64 v[92:93], v[92:93], v[66:67]
	s_waitcnt vmcnt(10)
	v_add_f64 v[92:93], v[92:93], v[98:99]
	buffer_store_dword v92, v91, s[0:3], 0 offen offset:16
	;; [unrolled: 6-line block ×7, first 2 shown]
	buffer_store_dword v93, v91, s[0:3], 0 offen offset:60
	s_clause 0x1
	buffer_load_dword v95, v91, s[0:3], 0 offen offset:68
	buffer_load_dword v94, v91, s[0:3], 0 offen offset:64
	v_max_f64 v[92:93], v[18:19], v[18:19]
	v_min_f64 v[92:93], v[92:93], v[66:67]
	s_waitcnt vmcnt(0)
	v_add_f64 v[92:93], v[92:93], v[94:95]
	buffer_store_dword v93, v91, s[0:3], 0 offen offset:68
	buffer_store_dword v92, v91, s[0:3], 0 offen offset:64
	s_clause 0x1
	buffer_load_dword v94, v91, s[0:3], 0 offen offset:72
	buffer_load_dword v95, v91, s[0:3], 0 offen offset:76
	v_max_f64 v[92:93], v[20:21], v[20:21]
	v_min_f64 v[92:93], v[92:93], v[66:67]
	s_waitcnt vmcnt(0)
	v_add_f64 v[92:93], v[92:93], v[94:95]
	buffer_store_dword v93, v91, s[0:3], 0 offen offset:76
	;; [unrolled: 9-line block ×23, first 2 shown]
	buffer_store_dword v92, v91, s[0:3], 0 offen offset:240
	v_max_f64 v[92:93], v[64:65], v[64:65]
	v_min_f64 v[66:67], v[92:93], v[66:67]
	s_clause 0x1
	buffer_load_dword v92, v91, s[0:3], 0 offen offset:248
	buffer_load_dword v93, v91, s[0:3], 0 offen offset:252
	s_waitcnt vmcnt(0)
	v_add_f64 v[66:67], v[66:67], v[92:93]
	buffer_store_dword v67, v91, s[0:3], 0 offen offset:252
	buffer_store_dword v66, v91, s[0:3], 0 offen offset:248
	v_mov_b32_e32 v66, v68
	v_mov_b32_e32 v67, v69
	s_cbranch_vccnz .LBB197_52
; %bb.53:                               ;   in Loop: Header=BB197_51 Depth=2
	s_add_i32 s11, s11, 1
	s_cmp_eq_u32 s11, 4
	s_cbranch_scc0 .LBB197_51
; %bb.54:                               ;   in Loop: Header=BB197_30 Depth=1
	s_add_i32 s29, s29, 8
	s_add_i32 s28, s28, 8
	s_cmp_ge_i32 s29, s27
	ds_write2st64_b64 v89, v[76:77], v[74:75] offset1:4
	ds_write2st64_b64 v90, v[80:81], v[78:79] offset1:4
	s_waitcnt lgkmcnt(0)
	s_waitcnt_vscnt null, 0x0
	s_barrier
	buffer_gl0_inv
	s_cbranch_scc0 .LBB197_30
.LBB197_55:
	s_mov_b32 s6, 0
.LBB197_56:                             ; =>This Loop Header: Depth=1
                                        ;     Child Loop BB197_57 Depth 2
	s_lshl_b32 s8, s6, 3
	s_mov_b32 s9, 0
	v_add_nc_u32_e32 v6, s8, v87
	v_add_nc_u32_e32 v70, s8, v88
	s_mov_b32 s8, -1
	ds_read2_b64 v[2:5], v6 offset1:16
	ds_read2_b64 v[10:13], v6 offset0:32 offset1:48
	ds_read2_b64 v[14:17], v6 offset0:64 offset1:80
	v_add_nc_u32_e32 v7, 0x800, v6
	ds_read2_b64 v[18:21], v6 offset0:96 offset1:112
	ds_read2_b64 v[22:25], v6 offset0:128 offset1:144
	;; [unrolled: 1-line block ×5, first 2 shown]
	ds_read2_b64 v[38:41], v7 offset1:16
	ds_read2_b64 v[42:45], v7 offset0:32 offset1:48
	ds_read2_b64 v[46:49], v7 offset0:64 offset1:80
	;; [unrolled: 1-line block ×7, first 2 shown]
	s_waitcnt lgkmcnt(11)
	v_max_f64 v[22:23], v[22:23], v[22:23]
	v_max_f64 v[24:25], v[24:25], v[24:25]
	s_waitcnt lgkmcnt(10)
	v_max_f64 v[26:27], v[26:27], v[26:27]
	v_max_f64 v[28:29], v[28:29], v[28:29]
	;; [unrolled: 3-line block ×3, first 2 shown]
	v_max_f64 v[6:7], v[2:3], v[2:3]
	v_max_f64 v[8:9], v[4:5], v[4:5]
	;; [unrolled: 1-line block ×8, first 2 shown]
	s_waitcnt lgkmcnt(8)
	v_max_f64 v[34:35], v[34:35], v[34:35]
	v_max_f64 v[36:37], v[36:37], v[36:37]
	s_waitcnt lgkmcnt(7)
	v_max_f64 v[38:39], v[38:39], v[38:39]
	v_max_f64 v[40:41], v[40:41], v[40:41]
	;; [unrolled: 3-line block ×9, first 2 shown]
	ds_read2st64_b64 v[2:5], v70 offset1:4
.LBB197_57:                             ;   Parent Loop BB197_56 Depth=1
                                        ; =>  This Inner Loop Header: Depth=2
	v_mov_b32_e32 v70, s9
	s_waitcnt lgkmcnt(0)
	v_max_f64 v[2:3], v[2:3], v[2:3]
	s_and_b32 vcc_lo, exec_lo, s8
	s_mov_b32 s8, 0
	s_mov_b32 s9, s22
	s_clause 0xf
	buffer_load_dword v73, v70, s[0:3], 0 offen
	buffer_load_dword v74, v70, s[0:3], 0 offen offset:4
	buffer_load_dword v75, v70, s[0:3], 0 offen offset:8
	;; [unrolled: 1-line block ×15, first 2 shown]
	v_min_f64 v[71:72], v[6:7], v[2:3]
	s_waitcnt vmcnt(14)
	v_add_f64 v[71:72], v[71:72], v[73:74]
	buffer_store_dword v71, v70, s[0:3], 0 offen
	buffer_store_dword v72, v70, s[0:3], 0 offen offset:4
	v_min_f64 v[71:72], v[8:9], v[2:3]
	s_waitcnt vmcnt(12)
	v_add_f64 v[71:72], v[71:72], v[75:76]
	buffer_store_dword v71, v70, s[0:3], 0 offen offset:8
	buffer_store_dword v72, v70, s[0:3], 0 offen offset:12
	v_min_f64 v[71:72], v[10:11], v[2:3]
	s_waitcnt vmcnt(10)
	v_add_f64 v[71:72], v[71:72], v[77:78]
	buffer_store_dword v71, v70, s[0:3], 0 offen offset:16
	;; [unrolled: 5-line block ×7, first 2 shown]
	buffer_store_dword v72, v70, s[0:3], 0 offen offset:60
	s_clause 0x1
	buffer_load_dword v74, v70, s[0:3], 0 offen offset:68
	buffer_load_dword v73, v70, s[0:3], 0 offen offset:64
	v_min_f64 v[71:72], v[22:23], v[2:3]
	s_waitcnt vmcnt(0)
	v_add_f64 v[71:72], v[71:72], v[73:74]
	buffer_store_dword v72, v70, s[0:3], 0 offen offset:68
	buffer_store_dword v71, v70, s[0:3], 0 offen offset:64
	s_clause 0x1
	buffer_load_dword v73, v70, s[0:3], 0 offen offset:72
	buffer_load_dword v74, v70, s[0:3], 0 offen offset:76
	v_min_f64 v[71:72], v[24:25], v[2:3]
	s_waitcnt vmcnt(0)
	v_add_f64 v[71:72], v[71:72], v[73:74]
	buffer_store_dword v72, v70, s[0:3], 0 offen offset:76
	;; [unrolled: 8-line block ×22, first 2 shown]
	buffer_store_dword v71, v70, s[0:3], 0 offen offset:232
	s_clause 0x1
	buffer_load_dword v73, v70, s[0:3], 0 offen offset:240
	buffer_load_dword v74, v70, s[0:3], 0 offen offset:244
	v_min_f64 v[71:72], v[66:67], v[2:3]
	v_min_f64 v[2:3], v[68:69], v[2:3]
	s_waitcnt vmcnt(0)
	v_add_f64 v[71:72], v[71:72], v[73:74]
	buffer_store_dword v72, v70, s[0:3], 0 offen offset:244
	buffer_store_dword v71, v70, s[0:3], 0 offen offset:240
	s_clause 0x1
	buffer_load_dword v71, v70, s[0:3], 0 offen offset:248
	buffer_load_dword v72, v70, s[0:3], 0 offen offset:252
	s_waitcnt vmcnt(0)
	v_add_f64 v[2:3], v[2:3], v[71:72]
	buffer_store_dword v3, v70, s[0:3], 0 offen offset:252
	buffer_store_dword v2, v70, s[0:3], 0 offen offset:248
	v_mov_b32_e32 v2, v4
	v_mov_b32_e32 v3, v5
	s_cbranch_vccnz .LBB197_57
; %bb.58:                               ;   in Loop: Header=BB197_56 Depth=1
	s_add_i32 s6, s6, 1
	s_cmp_eq_u32 s6, 4
	s_cbranch_scc0 .LBB197_56
; %bb.59:
	s_clause 0x2
	s_load_dwordx2 s[8:9], s[4:5], 0x78
	s_load_dword s43, s[4:5], 0x58
	s_load_dword s42, s[4:5], 0x70
	v_add_nc_u32_e32 v71, s13, v1
	v_add_nc_u32_e32 v0, s12, v0
	v_cndmask_b32_e64 v70, 0, 1, s46
	v_cmp_gt_i32_e64 s13, s41, v71
	s_waitcnt lgkmcnt(0)
	s_mul_i32 s4, s9, s7
	v_mad_i64_i32 v[1:2], null, v71, s43, 0
	v_mad_i64_i32 v[3:4], null, v71, s42, 0
	s_mul_hi_u32 s5, s8, s7
	s_mul_i32 s6, s8, s7
	s_add_i32 s7, s5, s4
	v_cmp_gt_i32_e64 s4, s40, v0
	v_lshlrev_b64 v[5:6], 3, v[1:2]
	s_lshl_b64 s[6:7], s[6:7], 3
	v_lshlrev_b64 v[2:3], 3, v[3:4]
	s_add_u32 s47, s14, s6
	s_addc_u32 s48, s15, s7
	v_ashrrev_i32_e32 v1, 31, v0
	v_add_co_u32 v68, vcc_lo, s44, v5
	v_add_co_ci_u32_e64 v69, null, s45, v6, vcc_lo
	v_add_co_u32 v72, vcc_lo, s47, v2
	v_add_co_ci_u32_e64 v73, null, s48, v3, vcc_lo
	s_and_b32 s6, s13, s4
	s_and_saveexec_b32 s5, s6
	s_cbranch_execz .LBB197_64
; %bb.60:
	s_clause 0x1
	buffer_load_dword v2, off, s[0:3], 0
	buffer_load_dword v3, off, s[0:3], 0 offset:4
	v_lshlrev_b64 v[4:5], 3, v[0:1]
	s_andn2_b32 vcc_lo, exec_lo, s46
	s_cbranch_vccnz .LBB197_62
; %bb.61:
	v_add_co_u32 v6, vcc_lo, v68, v4
	v_add_co_ci_u32_e64 v7, null, v69, v5, vcc_lo
	global_load_dwordx2 v[6:7], v[6:7], off
	s_waitcnt vmcnt(0)
	v_mul_f64 v[6:7], s[38:39], v[6:7]
	s_branch .LBB197_63
.LBB197_62:
	v_mov_b32_e32 v6, 0
	v_mov_b32_e32 v7, 0
.LBB197_63:
	s_waitcnt vmcnt(0)
	v_add_f64 v[2:3], v[2:3], v[6:7]
	v_add_co_u32 v4, vcc_lo, v72, v4
	v_add_co_ci_u32_e64 v5, null, v73, v5, vcc_lo
	global_store_dwordx2 v[4:5], v[2:3], off
.LBB197_64:
	s_or_b32 exec_lo, exec_lo, s5
	v_add_nc_u32_e32 v2, 4, v0
	v_cmp_gt_i32_e64 s5, s40, v2
	v_ashrrev_i32_e32 v3, 31, v2
	s_and_b32 s7, s13, s5
	s_and_saveexec_b32 s6, s7
	s_cbranch_execz .LBB197_69
; %bb.65:
	s_clause 0x1
	buffer_load_dword v4, off, s[0:3], 0 offset:8
	buffer_load_dword v5, off, s[0:3], 0 offset:12
	v_lshlrev_b64 v[6:7], 3, v[2:3]
	s_andn2_b32 vcc_lo, exec_lo, s46
	s_cbranch_vccnz .LBB197_67
; %bb.66:
	v_add_co_u32 v8, vcc_lo, v68, v6
	v_add_co_ci_u32_e64 v9, null, v69, v7, vcc_lo
	global_load_dwordx2 v[8:9], v[8:9], off
	s_waitcnt vmcnt(0)
	v_mul_f64 v[8:9], s[38:39], v[8:9]
	s_branch .LBB197_68
.LBB197_67:
	v_mov_b32_e32 v8, 0
	v_mov_b32_e32 v9, 0
.LBB197_68:
	s_waitcnt vmcnt(0)
	v_add_f64 v[4:5], v[4:5], v[8:9]
	v_add_co_u32 v6, vcc_lo, v72, v6
	v_add_co_ci_u32_e64 v7, null, v73, v7, vcc_lo
	global_store_dwordx2 v[6:7], v[4:5], off
.LBB197_69:
	s_or_b32 exec_lo, exec_lo, s6
	v_add_nc_u32_e32 v4, 8, v0
	v_cmp_gt_i32_e64 s6, s40, v4
	v_ashrrev_i32_e32 v5, 31, v4
	s_and_b32 s8, s13, s6
	s_and_saveexec_b32 s7, s8
	s_cbranch_execz .LBB197_74
; %bb.70:
	s_clause 0x1
	buffer_load_dword v6, off, s[0:3], 0 offset:16
	buffer_load_dword v7, off, s[0:3], 0 offset:20
	v_lshlrev_b64 v[8:9], 3, v[4:5]
	s_andn2_b32 vcc_lo, exec_lo, s46
	s_cbranch_vccnz .LBB197_72
; %bb.71:
	v_add_co_u32 v10, vcc_lo, v68, v8
	v_add_co_ci_u32_e64 v11, null, v69, v9, vcc_lo
	global_load_dwordx2 v[10:11], v[10:11], off
	s_waitcnt vmcnt(0)
	v_mul_f64 v[10:11], s[38:39], v[10:11]
	s_branch .LBB197_73
.LBB197_72:
	v_mov_b32_e32 v10, 0
	v_mov_b32_e32 v11, 0
.LBB197_73:
	s_waitcnt vmcnt(0)
	v_add_f64 v[6:7], v[6:7], v[10:11]
	v_add_co_u32 v8, vcc_lo, v72, v8
	v_add_co_ci_u32_e64 v9, null, v73, v9, vcc_lo
	global_store_dwordx2 v[8:9], v[6:7], off
.LBB197_74:
	;; [unrolled: 31-line block ×31, first 2 shown]
	s_or_b32 exec_lo, exec_lo, s13
	v_add_nc_u32_e32 v68, 64, v71
	v_mad_i64_i32 v[64:65], null, v68, s43, 0
	v_mad_i64_i32 v[66:67], null, v68, s42, 0
	v_cmp_gt_i32_e64 s13, s41, v68
	v_lshlrev_b64 v[64:65], 3, v[64:65]
	s_and_b32 s4, s13, s4
	v_lshlrev_b64 v[66:67], 3, v[66:67]
	v_add_co_u32 v71, vcc_lo, s44, v64
	v_add_co_ci_u32_e64 v72, null, s45, v65, vcc_lo
	v_add_co_u32 v68, vcc_lo, s47, v66
	v_add_co_ci_u32_e64 v69, null, s48, v67, vcc_lo
	s_and_saveexec_b32 s40, s4
	s_xor_b32 s4, exec_lo, s40
	s_cbranch_execnz .LBB197_252
; %bb.220:
	s_or_b32 exec_lo, exec_lo, s4
	s_and_b32 s5, s13, s5
	s_and_saveexec_b32 s4, s5
	s_cbranch_execnz .LBB197_256
.LBB197_221:
	s_or_b32 exec_lo, exec_lo, s4
	s_and_b32 s5, s13, s6
	s_and_saveexec_b32 s4, s5
	s_cbranch_execnz .LBB197_260
.LBB197_222:
	s_or_b32 exec_lo, exec_lo, s4
	s_and_b32 s5, s13, s7
	s_and_saveexec_b32 s4, s5
	s_cbranch_execnz .LBB197_264
.LBB197_223:
	s_or_b32 exec_lo, exec_lo, s4
	s_and_b32 s5, s13, s8
	s_and_saveexec_b32 s4, s5
	s_cbranch_execnz .LBB197_268
.LBB197_224:
	s_or_b32 exec_lo, exec_lo, s4
	s_and_b32 s5, s13, s9
	s_and_saveexec_b32 s4, s5
	s_cbranch_execnz .LBB197_272
.LBB197_225:
	s_or_b32 exec_lo, exec_lo, s4
	s_and_b32 s5, s13, s10
	s_and_saveexec_b32 s4, s5
	s_cbranch_execnz .LBB197_276
.LBB197_226:
	s_or_b32 exec_lo, exec_lo, s4
	s_and_b32 s5, s13, s11
	s_and_saveexec_b32 s4, s5
	s_cbranch_execnz .LBB197_280
.LBB197_227:
	s_or_b32 exec_lo, exec_lo, s4
	s_and_b32 s5, s13, s12
	s_and_saveexec_b32 s4, s5
	s_cbranch_execnz .LBB197_284
.LBB197_228:
	s_or_b32 exec_lo, exec_lo, s4
	s_and_b32 s5, s13, s14
	s_and_saveexec_b32 s4, s5
	s_cbranch_execnz .LBB197_288
.LBB197_229:
	s_or_b32 exec_lo, exec_lo, s4
	s_and_b32 s5, s13, s15
	s_and_saveexec_b32 s4, s5
	s_cbranch_execnz .LBB197_292
.LBB197_230:
	s_or_b32 exec_lo, exec_lo, s4
	s_and_b32 s5, s13, s16
	s_and_saveexec_b32 s4, s5
	s_cbranch_execnz .LBB197_296
.LBB197_231:
	s_or_b32 exec_lo, exec_lo, s4
	s_and_b32 s5, s13, s17
	s_and_saveexec_b32 s4, s5
	s_cbranch_execnz .LBB197_300
.LBB197_232:
	s_or_b32 exec_lo, exec_lo, s4
	s_and_b32 s5, s13, s18
	s_and_saveexec_b32 s4, s5
	s_cbranch_execnz .LBB197_304
.LBB197_233:
	s_or_b32 exec_lo, exec_lo, s4
	s_and_b32 s5, s13, s19
	s_and_saveexec_b32 s4, s5
	s_cbranch_execnz .LBB197_308
.LBB197_234:
	s_or_b32 exec_lo, exec_lo, s4
	s_and_b32 s5, s13, s20
	s_and_saveexec_b32 s4, s5
	s_cbranch_execnz .LBB197_312
.LBB197_235:
	s_or_b32 exec_lo, exec_lo, s4
	s_and_b32 s5, s13, s21
	s_and_saveexec_b32 s4, s5
	s_cbranch_execnz .LBB197_316
.LBB197_236:
	s_or_b32 exec_lo, exec_lo, s4
	s_and_b32 s5, s13, s22
	s_and_saveexec_b32 s4, s5
	s_cbranch_execnz .LBB197_320
.LBB197_237:
	s_or_b32 exec_lo, exec_lo, s4
	s_and_b32 s5, s13, s23
	s_and_saveexec_b32 s4, s5
	s_cbranch_execnz .LBB197_324
.LBB197_238:
	s_or_b32 exec_lo, exec_lo, s4
	s_and_b32 s5, s13, s24
	s_and_saveexec_b32 s4, s5
	s_cbranch_execnz .LBB197_328
.LBB197_239:
	s_or_b32 exec_lo, exec_lo, s4
	s_and_b32 s5, s13, s25
	s_and_saveexec_b32 s4, s5
	s_cbranch_execnz .LBB197_332
.LBB197_240:
	s_or_b32 exec_lo, exec_lo, s4
	s_and_b32 s5, s13, s26
	s_and_saveexec_b32 s4, s5
	s_cbranch_execnz .LBB197_336
.LBB197_241:
	s_or_b32 exec_lo, exec_lo, s4
	s_and_b32 s5, s13, s27
	s_and_saveexec_b32 s4, s5
	s_cbranch_execnz .LBB197_340
.LBB197_242:
	s_or_b32 exec_lo, exec_lo, s4
	s_and_b32 s5, s13, s28
	s_and_saveexec_b32 s4, s5
	s_cbranch_execnz .LBB197_344
.LBB197_243:
	s_or_b32 exec_lo, exec_lo, s4
	s_and_b32 s5, s13, s29
	s_and_saveexec_b32 s4, s5
	s_cbranch_execnz .LBB197_348
.LBB197_244:
	s_or_b32 exec_lo, exec_lo, s4
	s_and_b32 s5, s13, s30
	s_and_saveexec_b32 s4, s5
	s_cbranch_execnz .LBB197_352
.LBB197_245:
	s_or_b32 exec_lo, exec_lo, s4
	s_and_b32 s5, s13, s31
	s_and_saveexec_b32 s4, s5
	s_cbranch_execnz .LBB197_356
.LBB197_246:
	s_or_b32 exec_lo, exec_lo, s4
	s_and_b32 s5, s13, s33
	s_and_saveexec_b32 s4, s5
	s_cbranch_execnz .LBB197_360
.LBB197_247:
	s_or_b32 exec_lo, exec_lo, s4
	s_and_b32 s5, s13, s34
	s_and_saveexec_b32 s4, s5
	s_cbranch_execnz .LBB197_364
.LBB197_248:
	s_or_b32 exec_lo, exec_lo, s4
	s_and_b32 s5, s13, s35
	s_and_saveexec_b32 s4, s5
	s_cbranch_execnz .LBB197_368
.LBB197_249:
	s_or_b32 exec_lo, exec_lo, s4
	s_and_b32 s5, s13, s36
	s_and_saveexec_b32 s4, s5
	s_cbranch_execnz .LBB197_372
.LBB197_250:
	s_or_b32 exec_lo, exec_lo, s4
	s_and_b32 s4, s13, s37
	s_and_saveexec_b32 s5, s4
	s_cbranch_execnz .LBB197_376
.LBB197_251:
	s_endpgm
.LBB197_252:
	s_clause 0x1
	buffer_load_dword v64, off, s[0:3], 0 offset:256
	buffer_load_dword v65, off, s[0:3], 0 offset:260
	v_lshlrev_b64 v[0:1], 3, v[0:1]
	s_andn2_b32 vcc_lo, exec_lo, s46
	s_cbranch_vccnz .LBB197_254
; %bb.253:
	v_add_co_u32 v66, vcc_lo, v71, v0
	v_add_co_ci_u32_e64 v67, null, v72, v1, vcc_lo
	global_load_dwordx2 v[66:67], v[66:67], off
	s_waitcnt vmcnt(0)
	v_mul_f64 v[66:67], s[38:39], v[66:67]
	s_branch .LBB197_255
.LBB197_254:
	v_mov_b32_e32 v66, 0
	v_mov_b32_e32 v67, 0
.LBB197_255:
	s_waitcnt vmcnt(0)
	v_add_f64 v[64:65], v[64:65], v[66:67]
	v_add_co_u32 v0, vcc_lo, v68, v0
	v_add_co_ci_u32_e64 v1, null, v69, v1, vcc_lo
	global_store_dwordx2 v[0:1], v[64:65], off
	s_or_b32 exec_lo, exec_lo, s4
	s_and_b32 s5, s13, s5
	s_and_saveexec_b32 s4, s5
	s_cbranch_execz .LBB197_221
.LBB197_256:
	s_clause 0x1
	buffer_load_dword v0, off, s[0:3], 0 offset:264
	buffer_load_dword v1, off, s[0:3], 0 offset:268
	v_cmp_ne_u32_e32 vcc_lo, 1, v70
	v_lshlrev_b64 v[2:3], 3, v[2:3]
	s_cbranch_vccnz .LBB197_258
; %bb.257:
	v_add_co_u32 v64, vcc_lo, v71, v2
	v_add_co_ci_u32_e64 v65, null, v72, v3, vcc_lo
	global_load_dwordx2 v[64:65], v[64:65], off
	s_waitcnt vmcnt(0)
	v_mul_f64 v[64:65], s[38:39], v[64:65]
	s_branch .LBB197_259
.LBB197_258:
	v_mov_b32_e32 v64, 0
	v_mov_b32_e32 v65, 0
.LBB197_259:
	s_waitcnt vmcnt(0)
	v_add_f64 v[0:1], v[0:1], v[64:65]
	v_add_co_u32 v2, vcc_lo, v68, v2
	v_add_co_ci_u32_e64 v3, null, v69, v3, vcc_lo
	global_store_dwordx2 v[2:3], v[0:1], off
	s_or_b32 exec_lo, exec_lo, s4
	s_and_b32 s5, s13, s6
	s_and_saveexec_b32 s4, s5
	s_cbranch_execz .LBB197_222
.LBB197_260:
	s_clause 0x1
	buffer_load_dword v0, off, s[0:3], 0 offset:272
	buffer_load_dword v1, off, s[0:3], 0 offset:276
	v_cmp_ne_u32_e32 vcc_lo, 1, v70
	v_lshlrev_b64 v[2:3], 3, v[4:5]
	s_cbranch_vccnz .LBB197_262
; %bb.261:
	v_add_co_u32 v4, vcc_lo, v71, v2
	v_add_co_ci_u32_e64 v5, null, v72, v3, vcc_lo
	global_load_dwordx2 v[4:5], v[4:5], off
	s_waitcnt vmcnt(0)
	v_mul_f64 v[4:5], s[38:39], v[4:5]
	s_branch .LBB197_263
.LBB197_262:
	v_mov_b32_e32 v4, 0
	v_mov_b32_e32 v5, 0
.LBB197_263:
	s_waitcnt vmcnt(0)
	v_add_f64 v[0:1], v[0:1], v[4:5]
	v_add_co_u32 v2, vcc_lo, v68, v2
	v_add_co_ci_u32_e64 v3, null, v69, v3, vcc_lo
	global_store_dwordx2 v[2:3], v[0:1], off
	s_or_b32 exec_lo, exec_lo, s4
	s_and_b32 s5, s13, s7
	s_and_saveexec_b32 s4, s5
	s_cbranch_execz .LBB197_223
.LBB197_264:
	s_clause 0x1
	buffer_load_dword v0, off, s[0:3], 0 offset:280
	buffer_load_dword v1, off, s[0:3], 0 offset:284
	v_cmp_ne_u32_e32 vcc_lo, 1, v70
	v_lshlrev_b64 v[2:3], 3, v[6:7]
	s_cbranch_vccnz .LBB197_266
; %bb.265:
	v_add_co_u32 v4, vcc_lo, v71, v2
	v_add_co_ci_u32_e64 v5, null, v72, v3, vcc_lo
	global_load_dwordx2 v[4:5], v[4:5], off
	s_waitcnt vmcnt(0)
	v_mul_f64 v[4:5], s[38:39], v[4:5]
	s_branch .LBB197_267
.LBB197_266:
	v_mov_b32_e32 v4, 0
	v_mov_b32_e32 v5, 0
.LBB197_267:
	s_waitcnt vmcnt(0)
	v_add_f64 v[0:1], v[0:1], v[4:5]
	v_add_co_u32 v2, vcc_lo, v68, v2
	v_add_co_ci_u32_e64 v3, null, v69, v3, vcc_lo
	global_store_dwordx2 v[2:3], v[0:1], off
	s_or_b32 exec_lo, exec_lo, s4
	s_and_b32 s5, s13, s8
	s_and_saveexec_b32 s4, s5
	s_cbranch_execz .LBB197_224
.LBB197_268:
	s_clause 0x1
	buffer_load_dword v0, off, s[0:3], 0 offset:288
	buffer_load_dword v1, off, s[0:3], 0 offset:292
	v_cmp_ne_u32_e32 vcc_lo, 1, v70
	v_lshlrev_b64 v[2:3], 3, v[8:9]
	s_cbranch_vccnz .LBB197_270
; %bb.269:
	v_add_co_u32 v4, vcc_lo, v71, v2
	v_add_co_ci_u32_e64 v5, null, v72, v3, vcc_lo
	global_load_dwordx2 v[4:5], v[4:5], off
	s_waitcnt vmcnt(0)
	v_mul_f64 v[4:5], s[38:39], v[4:5]
	s_branch .LBB197_271
.LBB197_270:
	v_mov_b32_e32 v4, 0
	v_mov_b32_e32 v5, 0
.LBB197_271:
	s_waitcnt vmcnt(0)
	v_add_f64 v[0:1], v[0:1], v[4:5]
	v_add_co_u32 v2, vcc_lo, v68, v2
	v_add_co_ci_u32_e64 v3, null, v69, v3, vcc_lo
	global_store_dwordx2 v[2:3], v[0:1], off
	s_or_b32 exec_lo, exec_lo, s4
	s_and_b32 s5, s13, s9
	s_and_saveexec_b32 s4, s5
	s_cbranch_execz .LBB197_225
.LBB197_272:
	s_clause 0x1
	buffer_load_dword v0, off, s[0:3], 0 offset:296
	buffer_load_dword v1, off, s[0:3], 0 offset:300
	v_cmp_ne_u32_e32 vcc_lo, 1, v70
	v_lshlrev_b64 v[2:3], 3, v[10:11]
	s_cbranch_vccnz .LBB197_274
; %bb.273:
	v_add_co_u32 v4, vcc_lo, v71, v2
	v_add_co_ci_u32_e64 v5, null, v72, v3, vcc_lo
	global_load_dwordx2 v[4:5], v[4:5], off
	s_waitcnt vmcnt(0)
	v_mul_f64 v[4:5], s[38:39], v[4:5]
	s_branch .LBB197_275
.LBB197_274:
	v_mov_b32_e32 v4, 0
	v_mov_b32_e32 v5, 0
.LBB197_275:
	s_waitcnt vmcnt(0)
	v_add_f64 v[0:1], v[0:1], v[4:5]
	v_add_co_u32 v2, vcc_lo, v68, v2
	v_add_co_ci_u32_e64 v3, null, v69, v3, vcc_lo
	global_store_dwordx2 v[2:3], v[0:1], off
	s_or_b32 exec_lo, exec_lo, s4
	s_and_b32 s5, s13, s10
	s_and_saveexec_b32 s4, s5
	s_cbranch_execz .LBB197_226
.LBB197_276:
	s_clause 0x1
	buffer_load_dword v0, off, s[0:3], 0 offset:304
	buffer_load_dword v1, off, s[0:3], 0 offset:308
	v_cmp_ne_u32_e32 vcc_lo, 1, v70
	v_lshlrev_b64 v[2:3], 3, v[12:13]
	s_cbranch_vccnz .LBB197_278
; %bb.277:
	v_add_co_u32 v4, vcc_lo, v71, v2
	v_add_co_ci_u32_e64 v5, null, v72, v3, vcc_lo
	global_load_dwordx2 v[4:5], v[4:5], off
	s_waitcnt vmcnt(0)
	v_mul_f64 v[4:5], s[38:39], v[4:5]
	s_branch .LBB197_279
.LBB197_278:
	v_mov_b32_e32 v4, 0
	v_mov_b32_e32 v5, 0
.LBB197_279:
	s_waitcnt vmcnt(0)
	v_add_f64 v[0:1], v[0:1], v[4:5]
	v_add_co_u32 v2, vcc_lo, v68, v2
	v_add_co_ci_u32_e64 v3, null, v69, v3, vcc_lo
	global_store_dwordx2 v[2:3], v[0:1], off
	s_or_b32 exec_lo, exec_lo, s4
	s_and_b32 s5, s13, s11
	s_and_saveexec_b32 s4, s5
	s_cbranch_execz .LBB197_227
.LBB197_280:
	s_clause 0x1
	buffer_load_dword v0, off, s[0:3], 0 offset:312
	buffer_load_dword v1, off, s[0:3], 0 offset:316
	v_cmp_ne_u32_e32 vcc_lo, 1, v70
	v_lshlrev_b64 v[2:3], 3, v[14:15]
	s_cbranch_vccnz .LBB197_282
; %bb.281:
	v_add_co_u32 v4, vcc_lo, v71, v2
	v_add_co_ci_u32_e64 v5, null, v72, v3, vcc_lo
	global_load_dwordx2 v[4:5], v[4:5], off
	s_waitcnt vmcnt(0)
	v_mul_f64 v[4:5], s[38:39], v[4:5]
	s_branch .LBB197_283
.LBB197_282:
	v_mov_b32_e32 v4, 0
	v_mov_b32_e32 v5, 0
.LBB197_283:
	s_waitcnt vmcnt(0)
	v_add_f64 v[0:1], v[0:1], v[4:5]
	v_add_co_u32 v2, vcc_lo, v68, v2
	v_add_co_ci_u32_e64 v3, null, v69, v3, vcc_lo
	global_store_dwordx2 v[2:3], v[0:1], off
	s_or_b32 exec_lo, exec_lo, s4
	s_and_b32 s5, s13, s12
	s_and_saveexec_b32 s4, s5
	s_cbranch_execz .LBB197_228
.LBB197_284:
	s_clause 0x1
	buffer_load_dword v0, off, s[0:3], 0 offset:320
	buffer_load_dword v1, off, s[0:3], 0 offset:324
	v_cmp_ne_u32_e32 vcc_lo, 1, v70
	v_lshlrev_b64 v[2:3], 3, v[16:17]
	s_cbranch_vccnz .LBB197_286
; %bb.285:
	v_add_co_u32 v4, vcc_lo, v71, v2
	v_add_co_ci_u32_e64 v5, null, v72, v3, vcc_lo
	global_load_dwordx2 v[4:5], v[4:5], off
	s_waitcnt vmcnt(0)
	v_mul_f64 v[4:5], s[38:39], v[4:5]
	s_branch .LBB197_287
.LBB197_286:
	v_mov_b32_e32 v4, 0
	v_mov_b32_e32 v5, 0
.LBB197_287:
	s_waitcnt vmcnt(0)
	v_add_f64 v[0:1], v[0:1], v[4:5]
	v_add_co_u32 v2, vcc_lo, v68, v2
	v_add_co_ci_u32_e64 v3, null, v69, v3, vcc_lo
	global_store_dwordx2 v[2:3], v[0:1], off
	s_or_b32 exec_lo, exec_lo, s4
	s_and_b32 s5, s13, s14
	s_and_saveexec_b32 s4, s5
	s_cbranch_execz .LBB197_229
.LBB197_288:
	s_clause 0x1
	buffer_load_dword v0, off, s[0:3], 0 offset:328
	buffer_load_dword v1, off, s[0:3], 0 offset:332
	v_cmp_ne_u32_e32 vcc_lo, 1, v70
	v_lshlrev_b64 v[2:3], 3, v[18:19]
	s_cbranch_vccnz .LBB197_290
; %bb.289:
	v_add_co_u32 v4, vcc_lo, v71, v2
	v_add_co_ci_u32_e64 v5, null, v72, v3, vcc_lo
	global_load_dwordx2 v[4:5], v[4:5], off
	s_waitcnt vmcnt(0)
	v_mul_f64 v[4:5], s[38:39], v[4:5]
	s_branch .LBB197_291
.LBB197_290:
	v_mov_b32_e32 v4, 0
	v_mov_b32_e32 v5, 0
.LBB197_291:
	s_waitcnt vmcnt(0)
	v_add_f64 v[0:1], v[0:1], v[4:5]
	v_add_co_u32 v2, vcc_lo, v68, v2
	v_add_co_ci_u32_e64 v3, null, v69, v3, vcc_lo
	global_store_dwordx2 v[2:3], v[0:1], off
	s_or_b32 exec_lo, exec_lo, s4
	s_and_b32 s5, s13, s15
	s_and_saveexec_b32 s4, s5
	s_cbranch_execz .LBB197_230
.LBB197_292:
	s_clause 0x1
	buffer_load_dword v0, off, s[0:3], 0 offset:336
	buffer_load_dword v1, off, s[0:3], 0 offset:340
	v_cmp_ne_u32_e32 vcc_lo, 1, v70
	v_lshlrev_b64 v[2:3], 3, v[20:21]
	s_cbranch_vccnz .LBB197_294
; %bb.293:
	v_add_co_u32 v4, vcc_lo, v71, v2
	v_add_co_ci_u32_e64 v5, null, v72, v3, vcc_lo
	global_load_dwordx2 v[4:5], v[4:5], off
	s_waitcnt vmcnt(0)
	v_mul_f64 v[4:5], s[38:39], v[4:5]
	s_branch .LBB197_295
.LBB197_294:
	v_mov_b32_e32 v4, 0
	v_mov_b32_e32 v5, 0
.LBB197_295:
	s_waitcnt vmcnt(0)
	v_add_f64 v[0:1], v[0:1], v[4:5]
	v_add_co_u32 v2, vcc_lo, v68, v2
	v_add_co_ci_u32_e64 v3, null, v69, v3, vcc_lo
	global_store_dwordx2 v[2:3], v[0:1], off
	s_or_b32 exec_lo, exec_lo, s4
	s_and_b32 s5, s13, s16
	s_and_saveexec_b32 s4, s5
	s_cbranch_execz .LBB197_231
.LBB197_296:
	s_clause 0x1
	buffer_load_dword v0, off, s[0:3], 0 offset:344
	buffer_load_dword v1, off, s[0:3], 0 offset:348
	v_cmp_ne_u32_e32 vcc_lo, 1, v70
	v_lshlrev_b64 v[2:3], 3, v[22:23]
	s_cbranch_vccnz .LBB197_298
; %bb.297:
	v_add_co_u32 v4, vcc_lo, v71, v2
	v_add_co_ci_u32_e64 v5, null, v72, v3, vcc_lo
	global_load_dwordx2 v[4:5], v[4:5], off
	s_waitcnt vmcnt(0)
	v_mul_f64 v[4:5], s[38:39], v[4:5]
	s_branch .LBB197_299
.LBB197_298:
	v_mov_b32_e32 v4, 0
	v_mov_b32_e32 v5, 0
.LBB197_299:
	s_waitcnt vmcnt(0)
	v_add_f64 v[0:1], v[0:1], v[4:5]
	v_add_co_u32 v2, vcc_lo, v68, v2
	v_add_co_ci_u32_e64 v3, null, v69, v3, vcc_lo
	global_store_dwordx2 v[2:3], v[0:1], off
	s_or_b32 exec_lo, exec_lo, s4
	s_and_b32 s5, s13, s17
	s_and_saveexec_b32 s4, s5
	s_cbranch_execz .LBB197_232
.LBB197_300:
	s_clause 0x1
	buffer_load_dword v0, off, s[0:3], 0 offset:352
	buffer_load_dword v1, off, s[0:3], 0 offset:356
	v_cmp_ne_u32_e32 vcc_lo, 1, v70
	v_lshlrev_b64 v[2:3], 3, v[24:25]
	s_cbranch_vccnz .LBB197_302
; %bb.301:
	v_add_co_u32 v4, vcc_lo, v71, v2
	v_add_co_ci_u32_e64 v5, null, v72, v3, vcc_lo
	global_load_dwordx2 v[4:5], v[4:5], off
	s_waitcnt vmcnt(0)
	v_mul_f64 v[4:5], s[38:39], v[4:5]
	s_branch .LBB197_303
.LBB197_302:
	v_mov_b32_e32 v4, 0
	v_mov_b32_e32 v5, 0
.LBB197_303:
	s_waitcnt vmcnt(0)
	v_add_f64 v[0:1], v[0:1], v[4:5]
	v_add_co_u32 v2, vcc_lo, v68, v2
	v_add_co_ci_u32_e64 v3, null, v69, v3, vcc_lo
	global_store_dwordx2 v[2:3], v[0:1], off
	s_or_b32 exec_lo, exec_lo, s4
	s_and_b32 s5, s13, s18
	s_and_saveexec_b32 s4, s5
	s_cbranch_execz .LBB197_233
.LBB197_304:
	s_clause 0x1
	buffer_load_dword v0, off, s[0:3], 0 offset:360
	buffer_load_dword v1, off, s[0:3], 0 offset:364
	v_cmp_ne_u32_e32 vcc_lo, 1, v70
	v_lshlrev_b64 v[2:3], 3, v[26:27]
	s_cbranch_vccnz .LBB197_306
; %bb.305:
	v_add_co_u32 v4, vcc_lo, v71, v2
	v_add_co_ci_u32_e64 v5, null, v72, v3, vcc_lo
	global_load_dwordx2 v[4:5], v[4:5], off
	s_waitcnt vmcnt(0)
	v_mul_f64 v[4:5], s[38:39], v[4:5]
	s_branch .LBB197_307
.LBB197_306:
	v_mov_b32_e32 v4, 0
	v_mov_b32_e32 v5, 0
.LBB197_307:
	s_waitcnt vmcnt(0)
	v_add_f64 v[0:1], v[0:1], v[4:5]
	v_add_co_u32 v2, vcc_lo, v68, v2
	v_add_co_ci_u32_e64 v3, null, v69, v3, vcc_lo
	global_store_dwordx2 v[2:3], v[0:1], off
	s_or_b32 exec_lo, exec_lo, s4
	s_and_b32 s5, s13, s19
	s_and_saveexec_b32 s4, s5
	s_cbranch_execz .LBB197_234
.LBB197_308:
	s_clause 0x1
	buffer_load_dword v0, off, s[0:3], 0 offset:368
	buffer_load_dword v1, off, s[0:3], 0 offset:372
	v_cmp_ne_u32_e32 vcc_lo, 1, v70
	v_lshlrev_b64 v[2:3], 3, v[28:29]
	s_cbranch_vccnz .LBB197_310
; %bb.309:
	v_add_co_u32 v4, vcc_lo, v71, v2
	v_add_co_ci_u32_e64 v5, null, v72, v3, vcc_lo
	global_load_dwordx2 v[4:5], v[4:5], off
	s_waitcnt vmcnt(0)
	v_mul_f64 v[4:5], s[38:39], v[4:5]
	s_branch .LBB197_311
.LBB197_310:
	v_mov_b32_e32 v4, 0
	v_mov_b32_e32 v5, 0
.LBB197_311:
	s_waitcnt vmcnt(0)
	v_add_f64 v[0:1], v[0:1], v[4:5]
	v_add_co_u32 v2, vcc_lo, v68, v2
	v_add_co_ci_u32_e64 v3, null, v69, v3, vcc_lo
	global_store_dwordx2 v[2:3], v[0:1], off
	s_or_b32 exec_lo, exec_lo, s4
	s_and_b32 s5, s13, s20
	s_and_saveexec_b32 s4, s5
	s_cbranch_execz .LBB197_235
.LBB197_312:
	s_clause 0x1
	buffer_load_dword v0, off, s[0:3], 0 offset:376
	buffer_load_dword v1, off, s[0:3], 0 offset:380
	v_cmp_ne_u32_e32 vcc_lo, 1, v70
	v_lshlrev_b64 v[2:3], 3, v[30:31]
	s_cbranch_vccnz .LBB197_314
; %bb.313:
	v_add_co_u32 v4, vcc_lo, v71, v2
	v_add_co_ci_u32_e64 v5, null, v72, v3, vcc_lo
	global_load_dwordx2 v[4:5], v[4:5], off
	s_waitcnt vmcnt(0)
	v_mul_f64 v[4:5], s[38:39], v[4:5]
	s_branch .LBB197_315
.LBB197_314:
	v_mov_b32_e32 v4, 0
	v_mov_b32_e32 v5, 0
.LBB197_315:
	s_waitcnt vmcnt(0)
	v_add_f64 v[0:1], v[0:1], v[4:5]
	v_add_co_u32 v2, vcc_lo, v68, v2
	v_add_co_ci_u32_e64 v3, null, v69, v3, vcc_lo
	global_store_dwordx2 v[2:3], v[0:1], off
	s_or_b32 exec_lo, exec_lo, s4
	s_and_b32 s5, s13, s21
	s_and_saveexec_b32 s4, s5
	s_cbranch_execz .LBB197_236
.LBB197_316:
	s_clause 0x1
	buffer_load_dword v0, off, s[0:3], 0 offset:384
	buffer_load_dword v1, off, s[0:3], 0 offset:388
	v_cmp_ne_u32_e32 vcc_lo, 1, v70
	v_lshlrev_b64 v[2:3], 3, v[32:33]
	s_cbranch_vccnz .LBB197_318
; %bb.317:
	v_add_co_u32 v4, vcc_lo, v71, v2
	v_add_co_ci_u32_e64 v5, null, v72, v3, vcc_lo
	global_load_dwordx2 v[4:5], v[4:5], off
	s_waitcnt vmcnt(0)
	v_mul_f64 v[4:5], s[38:39], v[4:5]
	s_branch .LBB197_319
.LBB197_318:
	v_mov_b32_e32 v4, 0
	v_mov_b32_e32 v5, 0
.LBB197_319:
	s_waitcnt vmcnt(0)
	v_add_f64 v[0:1], v[0:1], v[4:5]
	v_add_co_u32 v2, vcc_lo, v68, v2
	v_add_co_ci_u32_e64 v3, null, v69, v3, vcc_lo
	global_store_dwordx2 v[2:3], v[0:1], off
	s_or_b32 exec_lo, exec_lo, s4
	s_and_b32 s5, s13, s22
	s_and_saveexec_b32 s4, s5
	s_cbranch_execz .LBB197_237
.LBB197_320:
	s_clause 0x1
	buffer_load_dword v0, off, s[0:3], 0 offset:392
	buffer_load_dword v1, off, s[0:3], 0 offset:396
	v_cmp_ne_u32_e32 vcc_lo, 1, v70
	v_lshlrev_b64 v[2:3], 3, v[34:35]
	s_cbranch_vccnz .LBB197_322
; %bb.321:
	v_add_co_u32 v4, vcc_lo, v71, v2
	v_add_co_ci_u32_e64 v5, null, v72, v3, vcc_lo
	global_load_dwordx2 v[4:5], v[4:5], off
	s_waitcnt vmcnt(0)
	v_mul_f64 v[4:5], s[38:39], v[4:5]
	s_branch .LBB197_323
.LBB197_322:
	v_mov_b32_e32 v4, 0
	v_mov_b32_e32 v5, 0
.LBB197_323:
	s_waitcnt vmcnt(0)
	v_add_f64 v[0:1], v[0:1], v[4:5]
	v_add_co_u32 v2, vcc_lo, v68, v2
	v_add_co_ci_u32_e64 v3, null, v69, v3, vcc_lo
	global_store_dwordx2 v[2:3], v[0:1], off
	s_or_b32 exec_lo, exec_lo, s4
	s_and_b32 s5, s13, s23
	s_and_saveexec_b32 s4, s5
	s_cbranch_execz .LBB197_238
.LBB197_324:
	s_clause 0x1
	buffer_load_dword v0, off, s[0:3], 0 offset:400
	buffer_load_dword v1, off, s[0:3], 0 offset:404
	v_cmp_ne_u32_e32 vcc_lo, 1, v70
	v_lshlrev_b64 v[2:3], 3, v[36:37]
	s_cbranch_vccnz .LBB197_326
; %bb.325:
	v_add_co_u32 v4, vcc_lo, v71, v2
	v_add_co_ci_u32_e64 v5, null, v72, v3, vcc_lo
	global_load_dwordx2 v[4:5], v[4:5], off
	s_waitcnt vmcnt(0)
	v_mul_f64 v[4:5], s[38:39], v[4:5]
	s_branch .LBB197_327
.LBB197_326:
	v_mov_b32_e32 v4, 0
	v_mov_b32_e32 v5, 0
.LBB197_327:
	s_waitcnt vmcnt(0)
	v_add_f64 v[0:1], v[0:1], v[4:5]
	v_add_co_u32 v2, vcc_lo, v68, v2
	v_add_co_ci_u32_e64 v3, null, v69, v3, vcc_lo
	global_store_dwordx2 v[2:3], v[0:1], off
	s_or_b32 exec_lo, exec_lo, s4
	s_and_b32 s5, s13, s24
	s_and_saveexec_b32 s4, s5
	s_cbranch_execz .LBB197_239
.LBB197_328:
	s_clause 0x1
	buffer_load_dword v0, off, s[0:3], 0 offset:408
	buffer_load_dword v1, off, s[0:3], 0 offset:412
	v_cmp_ne_u32_e32 vcc_lo, 1, v70
	v_lshlrev_b64 v[2:3], 3, v[38:39]
	s_cbranch_vccnz .LBB197_330
; %bb.329:
	v_add_co_u32 v4, vcc_lo, v71, v2
	v_add_co_ci_u32_e64 v5, null, v72, v3, vcc_lo
	global_load_dwordx2 v[4:5], v[4:5], off
	s_waitcnt vmcnt(0)
	v_mul_f64 v[4:5], s[38:39], v[4:5]
	s_branch .LBB197_331
.LBB197_330:
	v_mov_b32_e32 v4, 0
	v_mov_b32_e32 v5, 0
.LBB197_331:
	s_waitcnt vmcnt(0)
	v_add_f64 v[0:1], v[0:1], v[4:5]
	v_add_co_u32 v2, vcc_lo, v68, v2
	v_add_co_ci_u32_e64 v3, null, v69, v3, vcc_lo
	global_store_dwordx2 v[2:3], v[0:1], off
	s_or_b32 exec_lo, exec_lo, s4
	s_and_b32 s5, s13, s25
	s_and_saveexec_b32 s4, s5
	s_cbranch_execz .LBB197_240
.LBB197_332:
	s_clause 0x1
	buffer_load_dword v0, off, s[0:3], 0 offset:416
	buffer_load_dword v1, off, s[0:3], 0 offset:420
	v_cmp_ne_u32_e32 vcc_lo, 1, v70
	v_lshlrev_b64 v[2:3], 3, v[40:41]
	s_cbranch_vccnz .LBB197_334
; %bb.333:
	v_add_co_u32 v4, vcc_lo, v71, v2
	v_add_co_ci_u32_e64 v5, null, v72, v3, vcc_lo
	global_load_dwordx2 v[4:5], v[4:5], off
	s_waitcnt vmcnt(0)
	v_mul_f64 v[4:5], s[38:39], v[4:5]
	s_branch .LBB197_335
.LBB197_334:
	v_mov_b32_e32 v4, 0
	v_mov_b32_e32 v5, 0
.LBB197_335:
	s_waitcnt vmcnt(0)
	v_add_f64 v[0:1], v[0:1], v[4:5]
	v_add_co_u32 v2, vcc_lo, v68, v2
	v_add_co_ci_u32_e64 v3, null, v69, v3, vcc_lo
	global_store_dwordx2 v[2:3], v[0:1], off
	s_or_b32 exec_lo, exec_lo, s4
	s_and_b32 s5, s13, s26
	s_and_saveexec_b32 s4, s5
	s_cbranch_execz .LBB197_241
.LBB197_336:
	s_clause 0x1
	buffer_load_dword v0, off, s[0:3], 0 offset:424
	buffer_load_dword v1, off, s[0:3], 0 offset:428
	v_cmp_ne_u32_e32 vcc_lo, 1, v70
	v_lshlrev_b64 v[2:3], 3, v[42:43]
	s_cbranch_vccnz .LBB197_338
; %bb.337:
	v_add_co_u32 v4, vcc_lo, v71, v2
	v_add_co_ci_u32_e64 v5, null, v72, v3, vcc_lo
	global_load_dwordx2 v[4:5], v[4:5], off
	s_waitcnt vmcnt(0)
	v_mul_f64 v[4:5], s[38:39], v[4:5]
	s_branch .LBB197_339
.LBB197_338:
	v_mov_b32_e32 v4, 0
	v_mov_b32_e32 v5, 0
.LBB197_339:
	s_waitcnt vmcnt(0)
	v_add_f64 v[0:1], v[0:1], v[4:5]
	v_add_co_u32 v2, vcc_lo, v68, v2
	v_add_co_ci_u32_e64 v3, null, v69, v3, vcc_lo
	global_store_dwordx2 v[2:3], v[0:1], off
	s_or_b32 exec_lo, exec_lo, s4
	s_and_b32 s5, s13, s27
	s_and_saveexec_b32 s4, s5
	s_cbranch_execz .LBB197_242
.LBB197_340:
	s_clause 0x1
	buffer_load_dword v0, off, s[0:3], 0 offset:432
	buffer_load_dword v1, off, s[0:3], 0 offset:436
	v_cmp_ne_u32_e32 vcc_lo, 1, v70
	v_lshlrev_b64 v[2:3], 3, v[44:45]
	s_cbranch_vccnz .LBB197_342
; %bb.341:
	v_add_co_u32 v4, vcc_lo, v71, v2
	v_add_co_ci_u32_e64 v5, null, v72, v3, vcc_lo
	global_load_dwordx2 v[4:5], v[4:5], off
	s_waitcnt vmcnt(0)
	v_mul_f64 v[4:5], s[38:39], v[4:5]
	s_branch .LBB197_343
.LBB197_342:
	v_mov_b32_e32 v4, 0
	v_mov_b32_e32 v5, 0
.LBB197_343:
	s_waitcnt vmcnt(0)
	v_add_f64 v[0:1], v[0:1], v[4:5]
	v_add_co_u32 v2, vcc_lo, v68, v2
	v_add_co_ci_u32_e64 v3, null, v69, v3, vcc_lo
	global_store_dwordx2 v[2:3], v[0:1], off
	s_or_b32 exec_lo, exec_lo, s4
	s_and_b32 s5, s13, s28
	s_and_saveexec_b32 s4, s5
	s_cbranch_execz .LBB197_243
.LBB197_344:
	s_clause 0x1
	buffer_load_dword v0, off, s[0:3], 0 offset:440
	buffer_load_dword v1, off, s[0:3], 0 offset:444
	v_cmp_ne_u32_e32 vcc_lo, 1, v70
	v_lshlrev_b64 v[2:3], 3, v[46:47]
	s_cbranch_vccnz .LBB197_346
; %bb.345:
	v_add_co_u32 v4, vcc_lo, v71, v2
	v_add_co_ci_u32_e64 v5, null, v72, v3, vcc_lo
	global_load_dwordx2 v[4:5], v[4:5], off
	s_waitcnt vmcnt(0)
	v_mul_f64 v[4:5], s[38:39], v[4:5]
	s_branch .LBB197_347
.LBB197_346:
	v_mov_b32_e32 v4, 0
	v_mov_b32_e32 v5, 0
.LBB197_347:
	s_waitcnt vmcnt(0)
	v_add_f64 v[0:1], v[0:1], v[4:5]
	v_add_co_u32 v2, vcc_lo, v68, v2
	v_add_co_ci_u32_e64 v3, null, v69, v3, vcc_lo
	global_store_dwordx2 v[2:3], v[0:1], off
	s_or_b32 exec_lo, exec_lo, s4
	s_and_b32 s5, s13, s29
	s_and_saveexec_b32 s4, s5
	s_cbranch_execz .LBB197_244
.LBB197_348:
	s_clause 0x1
	buffer_load_dword v0, off, s[0:3], 0 offset:448
	buffer_load_dword v1, off, s[0:3], 0 offset:452
	v_cmp_ne_u32_e32 vcc_lo, 1, v70
	v_lshlrev_b64 v[2:3], 3, v[48:49]
	s_cbranch_vccnz .LBB197_350
; %bb.349:
	v_add_co_u32 v4, vcc_lo, v71, v2
	v_add_co_ci_u32_e64 v5, null, v72, v3, vcc_lo
	global_load_dwordx2 v[4:5], v[4:5], off
	s_waitcnt vmcnt(0)
	v_mul_f64 v[4:5], s[38:39], v[4:5]
	s_branch .LBB197_351
.LBB197_350:
	v_mov_b32_e32 v4, 0
	v_mov_b32_e32 v5, 0
.LBB197_351:
	s_waitcnt vmcnt(0)
	v_add_f64 v[0:1], v[0:1], v[4:5]
	v_add_co_u32 v2, vcc_lo, v68, v2
	v_add_co_ci_u32_e64 v3, null, v69, v3, vcc_lo
	global_store_dwordx2 v[2:3], v[0:1], off
	s_or_b32 exec_lo, exec_lo, s4
	s_and_b32 s5, s13, s30
	s_and_saveexec_b32 s4, s5
	s_cbranch_execz .LBB197_245
.LBB197_352:
	s_clause 0x1
	buffer_load_dword v0, off, s[0:3], 0 offset:456
	buffer_load_dword v1, off, s[0:3], 0 offset:460
	v_cmp_ne_u32_e32 vcc_lo, 1, v70
	v_lshlrev_b64 v[2:3], 3, v[50:51]
	s_cbranch_vccnz .LBB197_354
; %bb.353:
	v_add_co_u32 v4, vcc_lo, v71, v2
	v_add_co_ci_u32_e64 v5, null, v72, v3, vcc_lo
	global_load_dwordx2 v[4:5], v[4:5], off
	s_waitcnt vmcnt(0)
	v_mul_f64 v[4:5], s[38:39], v[4:5]
	s_branch .LBB197_355
.LBB197_354:
	v_mov_b32_e32 v4, 0
	v_mov_b32_e32 v5, 0
.LBB197_355:
	s_waitcnt vmcnt(0)
	v_add_f64 v[0:1], v[0:1], v[4:5]
	v_add_co_u32 v2, vcc_lo, v68, v2
	v_add_co_ci_u32_e64 v3, null, v69, v3, vcc_lo
	global_store_dwordx2 v[2:3], v[0:1], off
	s_or_b32 exec_lo, exec_lo, s4
	s_and_b32 s5, s13, s31
	s_and_saveexec_b32 s4, s5
	s_cbranch_execz .LBB197_246
.LBB197_356:
	s_clause 0x1
	buffer_load_dword v0, off, s[0:3], 0 offset:464
	buffer_load_dword v1, off, s[0:3], 0 offset:468
	v_cmp_ne_u32_e32 vcc_lo, 1, v70
	v_lshlrev_b64 v[2:3], 3, v[52:53]
	s_cbranch_vccnz .LBB197_358
; %bb.357:
	v_add_co_u32 v4, vcc_lo, v71, v2
	v_add_co_ci_u32_e64 v5, null, v72, v3, vcc_lo
	global_load_dwordx2 v[4:5], v[4:5], off
	s_waitcnt vmcnt(0)
	v_mul_f64 v[4:5], s[38:39], v[4:5]
	s_branch .LBB197_359
.LBB197_358:
	v_mov_b32_e32 v4, 0
	v_mov_b32_e32 v5, 0
.LBB197_359:
	s_waitcnt vmcnt(0)
	v_add_f64 v[0:1], v[0:1], v[4:5]
	v_add_co_u32 v2, vcc_lo, v68, v2
	v_add_co_ci_u32_e64 v3, null, v69, v3, vcc_lo
	global_store_dwordx2 v[2:3], v[0:1], off
	s_or_b32 exec_lo, exec_lo, s4
	s_and_b32 s5, s13, s33
	s_and_saveexec_b32 s4, s5
	s_cbranch_execz .LBB197_247
.LBB197_360:
	s_clause 0x1
	buffer_load_dword v0, off, s[0:3], 0 offset:472
	buffer_load_dword v1, off, s[0:3], 0 offset:476
	v_cmp_ne_u32_e32 vcc_lo, 1, v70
	v_lshlrev_b64 v[2:3], 3, v[54:55]
	s_cbranch_vccnz .LBB197_362
; %bb.361:
	v_add_co_u32 v4, vcc_lo, v71, v2
	v_add_co_ci_u32_e64 v5, null, v72, v3, vcc_lo
	global_load_dwordx2 v[4:5], v[4:5], off
	s_waitcnt vmcnt(0)
	v_mul_f64 v[4:5], s[38:39], v[4:5]
	s_branch .LBB197_363
.LBB197_362:
	v_mov_b32_e32 v4, 0
	v_mov_b32_e32 v5, 0
.LBB197_363:
	s_waitcnt vmcnt(0)
	v_add_f64 v[0:1], v[0:1], v[4:5]
	v_add_co_u32 v2, vcc_lo, v68, v2
	v_add_co_ci_u32_e64 v3, null, v69, v3, vcc_lo
	global_store_dwordx2 v[2:3], v[0:1], off
	s_or_b32 exec_lo, exec_lo, s4
	s_and_b32 s5, s13, s34
	s_and_saveexec_b32 s4, s5
	s_cbranch_execz .LBB197_248
.LBB197_364:
	s_clause 0x1
	buffer_load_dword v0, off, s[0:3], 0 offset:480
	buffer_load_dword v1, off, s[0:3], 0 offset:484
	v_cmp_ne_u32_e32 vcc_lo, 1, v70
	v_lshlrev_b64 v[2:3], 3, v[56:57]
	s_cbranch_vccnz .LBB197_366
; %bb.365:
	v_add_co_u32 v4, vcc_lo, v71, v2
	v_add_co_ci_u32_e64 v5, null, v72, v3, vcc_lo
	global_load_dwordx2 v[4:5], v[4:5], off
	s_waitcnt vmcnt(0)
	v_mul_f64 v[4:5], s[38:39], v[4:5]
	s_branch .LBB197_367
.LBB197_366:
	v_mov_b32_e32 v4, 0
	v_mov_b32_e32 v5, 0
.LBB197_367:
	s_waitcnt vmcnt(0)
	v_add_f64 v[0:1], v[0:1], v[4:5]
	v_add_co_u32 v2, vcc_lo, v68, v2
	v_add_co_ci_u32_e64 v3, null, v69, v3, vcc_lo
	global_store_dwordx2 v[2:3], v[0:1], off
	s_or_b32 exec_lo, exec_lo, s4
	s_and_b32 s5, s13, s35
	s_and_saveexec_b32 s4, s5
	s_cbranch_execz .LBB197_249
.LBB197_368:
	s_clause 0x1
	buffer_load_dword v0, off, s[0:3], 0 offset:488
	buffer_load_dword v1, off, s[0:3], 0 offset:492
	v_cmp_ne_u32_e32 vcc_lo, 1, v70
	v_lshlrev_b64 v[2:3], 3, v[58:59]
	s_cbranch_vccnz .LBB197_370
; %bb.369:
	v_add_co_u32 v4, vcc_lo, v71, v2
	v_add_co_ci_u32_e64 v5, null, v72, v3, vcc_lo
	global_load_dwordx2 v[4:5], v[4:5], off
	s_waitcnt vmcnt(0)
	v_mul_f64 v[4:5], s[38:39], v[4:5]
	s_branch .LBB197_371
.LBB197_370:
	v_mov_b32_e32 v4, 0
	v_mov_b32_e32 v5, 0
.LBB197_371:
	s_waitcnt vmcnt(0)
	v_add_f64 v[0:1], v[0:1], v[4:5]
	v_add_co_u32 v2, vcc_lo, v68, v2
	v_add_co_ci_u32_e64 v3, null, v69, v3, vcc_lo
	global_store_dwordx2 v[2:3], v[0:1], off
	s_or_b32 exec_lo, exec_lo, s4
	s_and_b32 s5, s13, s36
	s_and_saveexec_b32 s4, s5
	s_cbranch_execz .LBB197_250
.LBB197_372:
	s_clause 0x1
	buffer_load_dword v0, off, s[0:3], 0 offset:496
	buffer_load_dword v1, off, s[0:3], 0 offset:500
	v_cmp_ne_u32_e32 vcc_lo, 1, v70
	v_lshlrev_b64 v[2:3], 3, v[60:61]
	s_cbranch_vccnz .LBB197_374
; %bb.373:
	v_add_co_u32 v4, vcc_lo, v71, v2
	v_add_co_ci_u32_e64 v5, null, v72, v3, vcc_lo
	global_load_dwordx2 v[4:5], v[4:5], off
	s_waitcnt vmcnt(0)
	v_mul_f64 v[4:5], s[38:39], v[4:5]
	s_branch .LBB197_375
.LBB197_374:
	v_mov_b32_e32 v4, 0
	v_mov_b32_e32 v5, 0
.LBB197_375:
	s_waitcnt vmcnt(0)
	v_add_f64 v[0:1], v[0:1], v[4:5]
	v_add_co_u32 v2, vcc_lo, v68, v2
	v_add_co_ci_u32_e64 v3, null, v69, v3, vcc_lo
	global_store_dwordx2 v[2:3], v[0:1], off
	s_or_b32 exec_lo, exec_lo, s4
	s_and_b32 s4, s13, s37
	s_and_saveexec_b32 s5, s4
	s_cbranch_execz .LBB197_251
.LBB197_376:
	s_clause 0x1
	buffer_load_dword v0, off, s[0:3], 0 offset:504
	buffer_load_dword v1, off, s[0:3], 0 offset:508
	v_cmp_ne_u32_e32 vcc_lo, 1, v70
	v_lshlrev_b64 v[2:3], 3, v[62:63]
	s_cbranch_vccnz .LBB197_378
; %bb.377:
	v_add_co_u32 v4, vcc_lo, v71, v2
	v_add_co_ci_u32_e64 v5, null, v72, v3, vcc_lo
	global_load_dwordx2 v[4:5], v[4:5], off
	s_waitcnt vmcnt(0)
	v_mul_f64 v[4:5], s[38:39], v[4:5]
	s_branch .LBB197_379
.LBB197_378:
	v_mov_b32_e32 v4, 0
	v_mov_b32_e32 v5, 0
.LBB197_379:
	s_waitcnt vmcnt(0)
	v_add_f64 v[0:1], v[0:1], v[4:5]
	v_add_co_u32 v2, vcc_lo, v68, v2
	v_add_co_ci_u32_e64 v3, null, v69, v3, vcc_lo
	global_store_dwordx2 v[2:3], v[0:1], off
	s_endpgm
	.section	.rodata,"a",@progbits
	.p2align	6, 0x0
	.amdhsa_kernel _ZN12_GLOBAL__N_120geam_min_plus_kernelIdddLi4ELi64ELi128ELi128ELi4ELi64ELi4ELi64ELi4ELc78ELc84ELb0ELb1ELb0EdKddEEviiiT16_PT17_ilS4_ilS2_S4_ilPT18_ili26rocblas_geam_ex_operation_
		.amdhsa_group_segment_fixed_size 16384
		.amdhsa_private_segment_fixed_size 528
		.amdhsa_kernarg_size 136
		.amdhsa_user_sgpr_count 6
		.amdhsa_user_sgpr_private_segment_buffer 1
		.amdhsa_user_sgpr_dispatch_ptr 0
		.amdhsa_user_sgpr_queue_ptr 0
		.amdhsa_user_sgpr_kernarg_segment_ptr 1
		.amdhsa_user_sgpr_dispatch_id 0
		.amdhsa_user_sgpr_flat_scratch_init 0
		.amdhsa_user_sgpr_private_segment_size 0
		.amdhsa_wavefront_size32 1
		.amdhsa_uses_dynamic_stack 0
		.amdhsa_system_sgpr_private_segment_wavefront_offset 1
		.amdhsa_system_sgpr_workgroup_id_x 1
		.amdhsa_system_sgpr_workgroup_id_y 0
		.amdhsa_system_sgpr_workgroup_id_z 1
		.amdhsa_system_sgpr_workgroup_info 0
		.amdhsa_system_vgpr_workitem_id 1
		.amdhsa_next_free_vgpr 110
		.amdhsa_next_free_sgpr 50
		.amdhsa_reserve_vcc 1
		.amdhsa_reserve_flat_scratch 0
		.amdhsa_float_round_mode_32 0
		.amdhsa_float_round_mode_16_64 0
		.amdhsa_float_denorm_mode_32 3
		.amdhsa_float_denorm_mode_16_64 3
		.amdhsa_dx10_clamp 1
		.amdhsa_ieee_mode 1
		.amdhsa_fp16_overflow 0
		.amdhsa_workgroup_processor_mode 1
		.amdhsa_memory_ordered 1
		.amdhsa_forward_progress 1
		.amdhsa_shared_vgpr_count 0
		.amdhsa_exception_fp_ieee_invalid_op 0
		.amdhsa_exception_fp_denorm_src 0
		.amdhsa_exception_fp_ieee_div_zero 0
		.amdhsa_exception_fp_ieee_overflow 0
		.amdhsa_exception_fp_ieee_underflow 0
		.amdhsa_exception_fp_ieee_inexact 0
		.amdhsa_exception_int_div_zero 0
	.end_amdhsa_kernel
	.section	.text._ZN12_GLOBAL__N_120geam_min_plus_kernelIdddLi4ELi64ELi128ELi128ELi4ELi64ELi4ELi64ELi4ELc78ELc84ELb0ELb1ELb0EdKddEEviiiT16_PT17_ilS4_ilS2_S4_ilPT18_ili26rocblas_geam_ex_operation_,"axG",@progbits,_ZN12_GLOBAL__N_120geam_min_plus_kernelIdddLi4ELi64ELi128ELi128ELi4ELi64ELi4ELi64ELi4ELc78ELc84ELb0ELb1ELb0EdKddEEviiiT16_PT17_ilS4_ilS2_S4_ilPT18_ili26rocblas_geam_ex_operation_,comdat
.Lfunc_end197:
	.size	_ZN12_GLOBAL__N_120geam_min_plus_kernelIdddLi4ELi64ELi128ELi128ELi4ELi64ELi4ELi64ELi4ELc78ELc84ELb0ELb1ELb0EdKddEEviiiT16_PT17_ilS4_ilS2_S4_ilPT18_ili26rocblas_geam_ex_operation_, .Lfunc_end197-_ZN12_GLOBAL__N_120geam_min_plus_kernelIdddLi4ELi64ELi128ELi128ELi4ELi64ELi4ELi64ELi4ELc78ELc84ELb0ELb1ELb0EdKddEEviiiT16_PT17_ilS4_ilS2_S4_ilPT18_ili26rocblas_geam_ex_operation_
                                        ; -- End function
	.set _ZN12_GLOBAL__N_120geam_min_plus_kernelIdddLi4ELi64ELi128ELi128ELi4ELi64ELi4ELi64ELi4ELc78ELc84ELb0ELb1ELb0EdKddEEviiiT16_PT17_ilS4_ilS2_S4_ilPT18_ili26rocblas_geam_ex_operation_.num_vgpr, 110
	.set _ZN12_GLOBAL__N_120geam_min_plus_kernelIdddLi4ELi64ELi128ELi128ELi4ELi64ELi4ELi64ELi4ELc78ELc84ELb0ELb1ELb0EdKddEEviiiT16_PT17_ilS4_ilS2_S4_ilPT18_ili26rocblas_geam_ex_operation_.num_agpr, 0
	.set _ZN12_GLOBAL__N_120geam_min_plus_kernelIdddLi4ELi64ELi128ELi128ELi4ELi64ELi4ELi64ELi4ELc78ELc84ELb0ELb1ELb0EdKddEEviiiT16_PT17_ilS4_ilS2_S4_ilPT18_ili26rocblas_geam_ex_operation_.numbered_sgpr, 50
	.set _ZN12_GLOBAL__N_120geam_min_plus_kernelIdddLi4ELi64ELi128ELi128ELi4ELi64ELi4ELi64ELi4ELc78ELc84ELb0ELb1ELb0EdKddEEviiiT16_PT17_ilS4_ilS2_S4_ilPT18_ili26rocblas_geam_ex_operation_.num_named_barrier, 0
	.set _ZN12_GLOBAL__N_120geam_min_plus_kernelIdddLi4ELi64ELi128ELi128ELi4ELi64ELi4ELi64ELi4ELc78ELc84ELb0ELb1ELb0EdKddEEviiiT16_PT17_ilS4_ilS2_S4_ilPT18_ili26rocblas_geam_ex_operation_.private_seg_size, 528
	.set _ZN12_GLOBAL__N_120geam_min_plus_kernelIdddLi4ELi64ELi128ELi128ELi4ELi64ELi4ELi64ELi4ELc78ELc84ELb0ELb1ELb0EdKddEEviiiT16_PT17_ilS4_ilS2_S4_ilPT18_ili26rocblas_geam_ex_operation_.uses_vcc, 1
	.set _ZN12_GLOBAL__N_120geam_min_plus_kernelIdddLi4ELi64ELi128ELi128ELi4ELi64ELi4ELi64ELi4ELc78ELc84ELb0ELb1ELb0EdKddEEviiiT16_PT17_ilS4_ilS2_S4_ilPT18_ili26rocblas_geam_ex_operation_.uses_flat_scratch, 0
	.set _ZN12_GLOBAL__N_120geam_min_plus_kernelIdddLi4ELi64ELi128ELi128ELi4ELi64ELi4ELi64ELi4ELc78ELc84ELb0ELb1ELb0EdKddEEviiiT16_PT17_ilS4_ilS2_S4_ilPT18_ili26rocblas_geam_ex_operation_.has_dyn_sized_stack, 0
	.set _ZN12_GLOBAL__N_120geam_min_plus_kernelIdddLi4ELi64ELi128ELi128ELi4ELi64ELi4ELi64ELi4ELc78ELc84ELb0ELb1ELb0EdKddEEviiiT16_PT17_ilS4_ilS2_S4_ilPT18_ili26rocblas_geam_ex_operation_.has_recursion, 0
	.set _ZN12_GLOBAL__N_120geam_min_plus_kernelIdddLi4ELi64ELi128ELi128ELi4ELi64ELi4ELi64ELi4ELc78ELc84ELb0ELb1ELb0EdKddEEviiiT16_PT17_ilS4_ilS2_S4_ilPT18_ili26rocblas_geam_ex_operation_.has_indirect_call, 0
	.section	.AMDGPU.csdata,"",@progbits
; Kernel info:
; codeLenInByte = 22280
; TotalNumSgprs: 52
; NumVgprs: 110
; ScratchSize: 528
; MemoryBound: 0
; FloatMode: 240
; IeeeMode: 1
; LDSByteSize: 16384 bytes/workgroup (compile time only)
; SGPRBlocks: 0
; VGPRBlocks: 13
; NumSGPRsForWavesPerEU: 52
; NumVGPRsForWavesPerEU: 110
; Occupancy: 9
; WaveLimiterHint : 0
; COMPUTE_PGM_RSRC2:SCRATCH_EN: 1
; COMPUTE_PGM_RSRC2:USER_SGPR: 6
; COMPUTE_PGM_RSRC2:TRAP_HANDLER: 0
; COMPUTE_PGM_RSRC2:TGID_X_EN: 1
; COMPUTE_PGM_RSRC2:TGID_Y_EN: 0
; COMPUTE_PGM_RSRC2:TGID_Z_EN: 1
; COMPUTE_PGM_RSRC2:TIDIG_COMP_CNT: 1
	.section	.text._ZN12_GLOBAL__N_120geam_min_plus_kernelIdddLi4ELi64ELi128ELi128ELi4ELi4ELi64ELi64ELi4ELc84ELc84ELb0ELb0ELb0EPKdS1_dEEviiiT16_PT17_ilS5_ilS3_S5_ilPT18_ili26rocblas_geam_ex_operation_,"axG",@progbits,_ZN12_GLOBAL__N_120geam_min_plus_kernelIdddLi4ELi64ELi128ELi128ELi4ELi4ELi64ELi64ELi4ELc84ELc84ELb0ELb0ELb0EPKdS1_dEEviiiT16_PT17_ilS5_ilS3_S5_ilPT18_ili26rocblas_geam_ex_operation_,comdat
	.globl	_ZN12_GLOBAL__N_120geam_min_plus_kernelIdddLi4ELi64ELi128ELi128ELi4ELi4ELi64ELi64ELi4ELc84ELc84ELb0ELb0ELb0EPKdS1_dEEviiiT16_PT17_ilS5_ilS3_S5_ilPT18_ili26rocblas_geam_ex_operation_ ; -- Begin function _ZN12_GLOBAL__N_120geam_min_plus_kernelIdddLi4ELi64ELi128ELi128ELi4ELi4ELi64ELi64ELi4ELc84ELc84ELb0ELb0ELb0EPKdS1_dEEviiiT16_PT17_ilS5_ilS3_S5_ilPT18_ili26rocblas_geam_ex_operation_
	.p2align	8
	.type	_ZN12_GLOBAL__N_120geam_min_plus_kernelIdddLi4ELi64ELi128ELi128ELi4ELi4ELi64ELi64ELi4ELc84ELc84ELb0ELb0ELb0EPKdS1_dEEviiiT16_PT17_ilS5_ilS3_S5_ilPT18_ili26rocblas_geam_ex_operation_,@function
_ZN12_GLOBAL__N_120geam_min_plus_kernelIdddLi4ELi64ELi128ELi128ELi4ELi4ELi64ELi64ELi4ELc84ELc84ELb0ELb0ELb0EPKdS1_dEEviiiT16_PT17_ilS5_ilS3_S5_ilPT18_ili26rocblas_geam_ex_operation_: ; @_ZN12_GLOBAL__N_120geam_min_plus_kernelIdddLi4ELi64ELi128ELi128ELi4ELi4ELi64ELi64ELi4ELc84ELc84ELb0ELb0ELb0EPKdS1_dEEviiiT16_PT17_ilS5_ilS3_S5_ilPT18_ili26rocblas_geam_ex_operation_
; %bb.0:
	s_load_dwordx4 s[16:19], s[4:5], 0x10
	s_mov_b32 s20, s7
	s_mov_b32 s21, 0
	s_add_u32 s0, s0, s8
	s_addc_u32 s1, s1, 0
	s_lshl_b64 s[22:23], s[20:21], 3
	s_clause 0x1
	s_load_dwordx4 s[8:11], s[4:5], 0x28
	s_load_dwordx2 s[26:27], s[4:5], 0x50
	s_mov_b64 s[24:25], 0
	s_waitcnt lgkmcnt(0)
	s_add_u32 s12, s16, s22
	s_addc_u32 s13, s17, s23
	s_load_dwordx2 s[16:17], s[12:13], 0x0
	s_load_dwordx4 s[12:15], s[4:5], 0x40
	s_waitcnt lgkmcnt(0)
	v_cmp_eq_f64_e64 s7, s[16:17], 0
	v_cmp_neq_f64_e64 s21, s[16:17], 0
	s_add_u32 s14, s14, s22
	s_addc_u32 s15, s15, s23
	s_mov_b64 s[22:23], 0
	s_and_b32 vcc_lo, exec_lo, s7
	s_cbranch_vccnz .LBB198_2
; %bb.1:
	s_mul_i32 s7, s9, s20
	s_mul_hi_u32 s9, s8, s20
	s_mul_i32 s8, s8, s20
	s_add_i32 s9, s9, s7
	s_lshl_b64 s[8:9], s[8:9], 3
	s_add_u32 s22, s18, s8
	s_addc_u32 s23, s19, s9
.LBB198_2:
	s_load_dwordx2 s[14:15], s[14:15], 0x0
	v_cndmask_b32_e64 v2, 0, 1, s21
	s_andn2_b32 vcc_lo, exec_lo, s21
	v_cmp_ne_u32_e64 s7, 1, v2
	s_cbranch_vccnz .LBB198_4
; %bb.3:
	s_mul_i32 s8, s13, s20
	s_mul_hi_u32 s9, s12, s20
	s_add_i32 s9, s9, s8
	s_mul_i32 s8, s12, s20
	s_lshl_b64 s[8:9], s[8:9], 3
	s_add_u32 s24, s10, s8
	s_addc_u32 s25, s11, s9
.LBB198_4:
	s_waitcnt lgkmcnt(0)
	v_cmp_eq_f64_e64 s12, s[14:15], 0
	s_load_dwordx4 s[8:11], s[4:5], 0x60
	s_and_b32 vcc_lo, exec_lo, s12
	s_mov_b64 s[12:13], 0
	s_cbranch_vccnz .LBB198_6
; %bb.5:
	s_waitcnt lgkmcnt(0)
	s_mul_i32 s9, s9, s20
	s_mul_hi_u32 s12, s8, s20
	s_mul_i32 s8, s8, s20
	s_add_i32 s9, s12, s9
	s_lshl_b64 s[8:9], s[8:9], 3
	s_add_u32 s12, s26, s8
	s_addc_u32 s13, s27, s9
.LBB198_6:
	s_waitcnt lgkmcnt(0)
	s_clause 0x1
	s_load_dword s8, s[4:5], 0x0
	s_load_dword s26, s[4:5], 0x20
	v_and_b32_e32 v84, 3, v0
	v_lshl_add_u32 v7, v1, 2, v0
	v_mov_b32_e32 v4, 0
	v_mov_b32_e32 v6, 0
	v_mov_b32_e32 v5, 0
	v_lshlrev_b32_e32 v82, 3, v84
	v_lshrrev_b32_e32 v80, 2, v7
	buffer_store_dword v6, off, s[0:3], 0 offset:4
	buffer_store_dword v6, off, s[0:3], 0
	buffer_store_dword v6, off, s[0:3], 0 offset:12
	buffer_store_dword v6, off, s[0:3], 0 offset:8
	;; [unrolled: 1-line block ×35, first 2 shown]
	s_waitcnt lgkmcnt(0)
	s_add_i32 s8, s8, -1
	buffer_store_dword v6, off, s[0:3], 0 offset:144
	buffer_store_dword v6, off, s[0:3], 0 offset:156
	;; [unrolled: 1-line block ×4, first 2 shown]
	s_ashr_i32 s9, s8, 31
	buffer_store_dword v6, off, s[0:3], 0 offset:160
	buffer_store_dword v6, off, s[0:3], 0 offset:172
	s_lshr_b32 s9, s9, 25
	buffer_store_dword v6, off, s[0:3], 0 offset:168
	s_add_i32 s8, s8, s9
	buffer_store_dword v6, off, s[0:3], 0 offset:180
	s_ashr_i32 s8, s8, 7
	buffer_store_dword v6, off, s[0:3], 0 offset:176
	s_add_i32 s9, s8, 1
	s_not_b32 s8, s8
	v_cvt_f32_u32_e32 v2, s9
	buffer_store_dword v6, off, s[0:3], 0 offset:188
	buffer_store_dword v6, off, s[0:3], 0 offset:184
	;; [unrolled: 1-line block ×4, first 2 shown]
	v_rcp_iflag_f32_e32 v2, v2
	buffer_store_dword v6, off, s[0:3], 0 offset:204
	buffer_store_dword v6, off, s[0:3], 0 offset:200
	;; [unrolled: 1-line block ×78, first 2 shown]
	v_mul_f32_e32 v2, 0x4f7ffffe, v2
	v_cvt_u32_f32_e32 v2, v2
	v_readfirstlane_b32 s18, v2
	v_mov_b32_e32 v2, 0
	v_mov_b32_e32 v3, 0
	s_mul_i32 s8, s8, s18
	s_mul_hi_u32 s8, s18, s8
	s_add_i32 s18, s18, s8
	s_mul_hi_u32 s8, s6, s18
	s_mul_i32 s18, s8, s9
	s_add_i32 s19, s8, 1
	s_sub_i32 s18, s6, s18
	s_sub_i32 s21, s18, s9
	s_cmp_ge_u32 s18, s9
	s_cselect_b32 s8, s19, s8
	s_cselect_b32 s18, s21, s18
	s_add_i32 s19, s8, 1
	s_cmp_ge_u32 s18, s9
	s_cselect_b32 s8, s19, s8
	s_and_b32 vcc_lo, exec_lo, s7
	s_mul_i32 s9, s8, s9
	s_sub_i32 s6, s6, s9
	v_add_co_u32 v21, s9, s22, v82
	s_lshl_b32 s6, s6, 7
	v_add_co_ci_u32_e64 v22, null, s23, 0, s9
	v_add_nc_u32_e32 v81, s6, v80
	s_cbranch_vccnz .LBB198_8
; %bb.7:
	v_mad_i64_i32 v[2:3], null, v81, s26, 0
	v_lshlrev_b64 v[2:3], 3, v[2:3]
	v_add_co_u32 v2, vcc_lo, v21, v2
	v_add_co_ci_u32_e64 v3, null, v22, v3, vcc_lo
	global_load_dwordx2 v[2:3], v[2:3], off
	s_waitcnt vmcnt(0)
	v_mul_f64 v[2:3], s[16:17], v[2:3]
.LBB198_8:
	s_load_dword s19, s[4:5], 0x38
	v_and_b32_e32 v20, 63, v7
	s_lshl_b32 s8, s8, 7
	v_mov_b32_e32 v16, 0
	v_mov_b32_e32 v18, 0
	v_lshrrev_b32_e32 v85, 6, v7
	v_or_b32_e32 v6, s8, v20
	v_add_nc_u32_e32 v83, 64, v81
	v_mov_b32_e32 v17, 0
	v_mov_b32_e32 v19, 0
	s_and_b32 vcc_lo, exec_lo, s7
	v_ashrrev_i32_e32 v7, 31, v6
	s_waitcnt lgkmcnt(0)
	s_ashr_i32 s21, s19, 31
	s_cbranch_vccnz .LBB198_10
; %bb.9:
	v_mad_i64_i32 v[4:5], null, s19, v85, 0
	v_mad_i64_i32 v[8:9], null, v83, s26, 0
	v_lshlrev_b64 v[10:11], 3, v[6:7]
	v_lshlrev_b64 v[4:5], 3, v[4:5]
	;; [unrolled: 1-line block ×3, first 2 shown]
	v_add_co_u32 v12, vcc_lo, s24, v4
	v_add_co_ci_u32_e64 v13, null, s25, v5, vcc_lo
	v_add_co_u32 v4, vcc_lo, v21, v8
	v_add_co_ci_u32_e64 v5, null, v22, v9, vcc_lo
	;; [unrolled: 2-line block ×3, first 2 shown]
	global_load_dwordx2 v[4:5], v[4:5], off
	s_clause 0x1
	global_load_dwordx2 v[10:11], v[8:9], off
	global_load_dwordx2 v[8:9], v[8:9], off offset:512
	s_waitcnt vmcnt(2)
	v_mul_f64 v[4:5], s[16:17], v[4:5]
	s_waitcnt vmcnt(1)
	v_mul_f64 v[16:17], s[16:17], v[10:11]
	;; [unrolled: 2-line block ×3, first 2 shown]
.LBB198_10:
	v_mov_b32_e32 v10, 0
	v_mov_b32_e32 v8, 0
	;; [unrolled: 1-line block ×4, first 2 shown]
	s_and_b32 vcc_lo, exec_lo, s7
	s_cbranch_vccnz .LBB198_12
; %bb.11:
	v_mad_i64_i32 v[8:9], null, v81, s26, 0
	v_lshlrev_b64 v[8:9], 3, v[8:9]
	v_add_co_u32 v8, vcc_lo, v21, v8
	v_add_co_ci_u32_e64 v9, null, v22, v9, vcc_lo
	global_load_dwordx2 v[8:9], v[8:9], off offset:32
	s_waitcnt vmcnt(0)
	v_mul_f64 v[8:9], s[16:17], v[8:9]
.LBB198_12:
	v_mov_b32_e32 v12, 0
	v_mov_b32_e32 v14, 0
	;; [unrolled: 1-line block ×4, first 2 shown]
	v_add_nc_u32_e32 v86, 4, v85
	s_and_b32 vcc_lo, exec_lo, s7
	s_cbranch_vccnz .LBB198_14
; %bb.13:
	v_mad_i64_i32 v[10:11], null, s19, v86, 0
	v_mad_i64_i32 v[12:13], null, v83, s26, 0
	v_lshlrev_b64 v[14:15], 3, v[6:7]
	v_lshlrev_b64 v[10:11], 3, v[10:11]
	;; [unrolled: 1-line block ×3, first 2 shown]
	v_add_co_u32 v23, vcc_lo, s24, v10
	v_add_co_ci_u32_e64 v24, null, s25, v11, vcc_lo
	v_add_co_u32 v10, vcc_lo, v21, v12
	v_add_co_ci_u32_e64 v11, null, v22, v13, vcc_lo
	;; [unrolled: 2-line block ×3, first 2 shown]
	global_load_dwordx2 v[10:11], v[10:11], off offset:32
	s_clause 0x1
	global_load_dwordx2 v[14:15], v[12:13], off
	global_load_dwordx2 v[21:22], v[12:13], off offset:512
	s_waitcnt vmcnt(2)
	v_mul_f64 v[10:11], s[16:17], v[10:11]
	s_waitcnt vmcnt(1)
	v_mul_f64 v[12:13], s[16:17], v[14:15]
	;; [unrolled: 2-line block ×3, first 2 shown]
.LBB198_14:
	v_cmp_neq_f64_e64 s9, s[14:15], 0
	v_lshlrev_b32_e32 v22, 3, v85
	v_lshlrev_b32_e32 v21, 5, v80
	v_lshlrev_b32_e32 v89, 5, v0
	v_lshl_or_b32 v90, v1, 5, 0x2000
	s_mov_b32 s18, 0
	v_lshl_add_u32 v94, v20, 5, v22
	v_lshl_or_b32 v87, v84, 3, v21
	s_addk_i32 s18, 0x100
	s_mov_b32 s27, 0
	v_or_b32_e32 v88, 0x2000, v94
	ds_write2st64_b64 v87, v[2:3], v[4:5] offset1:4
	ds_write2st64_b64 v94, v[16:17], v[18:19] offset0:16 offset1:20
	s_waitcnt lgkmcnt(0)
	s_waitcnt_vscnt null, 0x0
	s_barrier
	buffer_gl0_inv
.LBB198_15:                             ; =>This Loop Header: Depth=1
                                        ;     Child Loop BB198_16 Depth 2
	s_lshl_b32 s28, s27, 3
	s_mov_b32 s29, 0
	v_add_nc_u32_e32 v16, s28, v89
	v_add_nc_u32_e32 v91, s28, v90
	s_mov_b32 s28, -1
	ds_read2_b64 v[2:5], v16 offset1:16
	ds_read2_b64 v[20:23], v16 offset0:32 offset1:48
	ds_read2_b64 v[24:27], v16 offset0:64 offset1:80
	;; [unrolled: 1-line block ×4, first 2 shown]
	v_add_nc_u32_e32 v76, 0x800, v16
	ds_read2_b64 v[36:39], v16 offset0:160 offset1:176
	ds_read2_b64 v[40:43], v16 offset0:192 offset1:208
	;; [unrolled: 1-line block ×3, first 2 shown]
	ds_read2_b64 v[48:51], v76 offset1:16
	ds_read2_b64 v[52:55], v76 offset0:32 offset1:48
	ds_read2_b64 v[56:59], v76 offset0:64 offset1:80
	ds_read2_b64 v[60:63], v76 offset0:96 offset1:112
	ds_read2_b64 v[64:67], v76 offset0:128 offset1:144
	ds_read2_b64 v[68:71], v76 offset0:160 offset1:176
	ds_read2_b64 v[72:75], v76 offset0:192 offset1:208
	s_waitcnt lgkmcnt(9)
	v_max_f64 v[36:37], v[36:37], v[36:37]
	v_max_f64 v[38:39], v[38:39], v[38:39]
	;; [unrolled: 1-line block ×4, first 2 shown]
	ds_read2_b64 v[2:5], v76 offset0:224 offset1:240
	v_max_f64 v[20:21], v[20:21], v[20:21]
	v_max_f64 v[22:23], v[22:23], v[22:23]
	;; [unrolled: 1-line block ×8, first 2 shown]
	s_waitcnt lgkmcnt(9)
	v_max_f64 v[40:41], v[40:41], v[40:41]
	v_max_f64 v[42:43], v[42:43], v[42:43]
	s_waitcnt lgkmcnt(8)
	v_max_f64 v[44:45], v[44:45], v[44:45]
	v_max_f64 v[46:47], v[46:47], v[46:47]
	s_waitcnt lgkmcnt(7)
	v_max_f64 v[48:49], v[48:49], v[48:49]
	v_max_f64 v[50:51], v[50:51], v[50:51]
	s_waitcnt lgkmcnt(6)
	v_max_f64 v[52:53], v[52:53], v[52:53]
	v_max_f64 v[54:55], v[54:55], v[54:55]
	s_waitcnt lgkmcnt(5)
	v_max_f64 v[56:57], v[56:57], v[56:57]
	v_max_f64 v[58:59], v[58:59], v[58:59]
	s_waitcnt lgkmcnt(4)
	v_max_f64 v[60:61], v[60:61], v[60:61]
	v_max_f64 v[62:63], v[62:63], v[62:63]
	s_waitcnt lgkmcnt(3)
	v_max_f64 v[64:65], v[64:65], v[64:65]
	v_max_f64 v[66:67], v[66:67], v[66:67]
	s_waitcnt lgkmcnt(2)
	v_max_f64 v[68:69], v[68:69], v[68:69]
	v_max_f64 v[70:71], v[70:71], v[70:71]
	s_waitcnt lgkmcnt(1)
	v_max_f64 v[72:73], v[72:73], v[72:73]
	v_max_f64 v[74:75], v[74:75], v[74:75]
	s_waitcnt lgkmcnt(0)
	v_max_f64 v[76:77], v[2:3], v[2:3]
	v_max_f64 v[78:79], v[4:5], v[4:5]
	ds_read2st64_b64 v[2:5], v91 offset1:4
.LBB198_16:                             ;   Parent Loop BB198_15 Depth=1
                                        ; =>  This Inner Loop Header: Depth=2
	v_mov_b32_e32 v93, s29
	s_waitcnt lgkmcnt(0)
	v_max_f64 v[157:158], v[2:3], v[2:3]
	v_mov_b32_e32 v2, v4
	v_mov_b32_e32 v3, v5
	s_and_b32 vcc_lo, exec_lo, s28
	s_clause 0x3e
	buffer_load_dword v91, v93, s[0:3], 0 offen
	buffer_load_dword v92, v93, s[0:3], 0 offen offset:4
	buffer_load_dword v95, v93, s[0:3], 0 offen offset:8
	;; [unrolled: 1-line block ×63, first 2 shown]
	s_mov_b32 s28, 0
	s_mov_b32 s29, s18
	v_min_f64 v[159:160], v[16:17], v[157:158]
	v_min_f64 v[161:162], v[18:19], v[157:158]
	;; [unrolled: 1-line block ×32, first 2 shown]
	s_waitcnt vmcnt(62)
	v_add_f64 v[91:92], v[159:160], v[91:92]
	s_waitcnt vmcnt(60)
	v_add_f64 v[95:96], v[161:162], v[95:96]
	;; [unrolled: 2-line block ×32, first 2 shown]
	buffer_store_dword v91, v93, s[0:3], 0 offen
	buffer_store_dword v92, v93, s[0:3], 0 offen offset:4
	buffer_store_dword v95, v93, s[0:3], 0 offen offset:8
	buffer_store_dword v96, v93, s[0:3], 0 offen offset:12
	buffer_store_dword v97, v93, s[0:3], 0 offen offset:16
	buffer_store_dword v98, v93, s[0:3], 0 offen offset:20
	buffer_store_dword v99, v93, s[0:3], 0 offen offset:24
	buffer_store_dword v100, v93, s[0:3], 0 offen offset:28
	buffer_store_dword v101, v93, s[0:3], 0 offen offset:32
	buffer_store_dword v102, v93, s[0:3], 0 offen offset:36
	buffer_store_dword v103, v93, s[0:3], 0 offen offset:40
	buffer_store_dword v104, v93, s[0:3], 0 offen offset:44
	buffer_store_dword v105, v93, s[0:3], 0 offen offset:48
	buffer_store_dword v106, v93, s[0:3], 0 offen offset:52
	buffer_store_dword v107, v93, s[0:3], 0 offen offset:56
	buffer_store_dword v108, v93, s[0:3], 0 offen offset:60
	buffer_store_dword v116, v93, s[0:3], 0 offen offset:68
	buffer_store_dword v115, v93, s[0:3], 0 offen offset:64
	buffer_store_dword v110, v93, s[0:3], 0 offen offset:76
	buffer_store_dword v109, v93, s[0:3], 0 offen offset:72
	buffer_store_dword v112, v93, s[0:3], 0 offen offset:84
	buffer_store_dword v111, v93, s[0:3], 0 offen offset:80
	buffer_store_dword v114, v93, s[0:3], 0 offen offset:92
	buffer_store_dword v113, v93, s[0:3], 0 offen offset:88
	buffer_store_dword v118, v93, s[0:3], 0 offen offset:100
	buffer_store_dword v117, v93, s[0:3], 0 offen offset:96
	buffer_store_dword v120, v93, s[0:3], 0 offen offset:108
	buffer_store_dword v119, v93, s[0:3], 0 offen offset:104
	buffer_store_dword v122, v93, s[0:3], 0 offen offset:116
	buffer_store_dword v121, v93, s[0:3], 0 offen offset:112
	buffer_store_dword v124, v93, s[0:3], 0 offen offset:124
	buffer_store_dword v123, v93, s[0:3], 0 offen offset:120
	buffer_store_dword v126, v93, s[0:3], 0 offen offset:132
	buffer_store_dword v125, v93, s[0:3], 0 offen offset:128
	buffer_store_dword v128, v93, s[0:3], 0 offen offset:140
	buffer_store_dword v127, v93, s[0:3], 0 offen offset:136
	buffer_store_dword v130, v93, s[0:3], 0 offen offset:148
	buffer_store_dword v129, v93, s[0:3], 0 offen offset:144
	buffer_store_dword v132, v93, s[0:3], 0 offen offset:156
	buffer_store_dword v131, v93, s[0:3], 0 offen offset:152
	buffer_store_dword v134, v93, s[0:3], 0 offen offset:164
	buffer_store_dword v133, v93, s[0:3], 0 offen offset:160
	buffer_store_dword v136, v93, s[0:3], 0 offen offset:172
	buffer_store_dword v135, v93, s[0:3], 0 offen offset:168
	buffer_store_dword v138, v93, s[0:3], 0 offen offset:180
	buffer_store_dword v137, v93, s[0:3], 0 offen offset:176
	buffer_store_dword v140, v93, s[0:3], 0 offen offset:188
	buffer_store_dword v139, v93, s[0:3], 0 offen offset:184
	buffer_store_dword v142, v93, s[0:3], 0 offen offset:196
	buffer_store_dword v141, v93, s[0:3], 0 offen offset:192
	buffer_store_dword v144, v93, s[0:3], 0 offen offset:204
	buffer_store_dword v143, v93, s[0:3], 0 offen offset:200
	buffer_store_dword v146, v93, s[0:3], 0 offen offset:212
	buffer_store_dword v145, v93, s[0:3], 0 offen offset:208
	buffer_store_dword v148, v93, s[0:3], 0 offen offset:220
	buffer_store_dword v147, v93, s[0:3], 0 offen offset:216
	buffer_store_dword v150, v93, s[0:3], 0 offen offset:228
	buffer_store_dword v149, v93, s[0:3], 0 offen offset:224
	buffer_store_dword v152, v93, s[0:3], 0 offen offset:236
	buffer_store_dword v151, v93, s[0:3], 0 offen offset:232
	buffer_store_dword v154, v93, s[0:3], 0 offen offset:244
	buffer_store_dword v153, v93, s[0:3], 0 offen offset:240
	buffer_store_dword v156, v93, s[0:3], 0 offen offset:252
	buffer_store_dword v155, v93, s[0:3], 0 offen offset:248
	s_cbranch_vccnz .LBB198_16
; %bb.17:                               ;   in Loop: Header=BB198_15 Depth=1
	s_add_i32 s27, s27, 1
	s_cmp_eq_u32 s27, 4
	s_cbranch_scc0 .LBB198_15
; %bb.18:
	s_load_dword s27, s[4:5], 0x8
	v_lshl_or_b32 v2, v80, 5, v82
	v_lshl_add_u32 v91, v0, 5, 0x1000
	v_lshl_add_u32 v92, v1, 5, 0x3000
	ds_write2st64_b64 v2, v[8:9], v[10:11] offset0:8 offset1:12
	ds_write2st64_b64 v94, v[12:13], v[14:15] offset0:24 offset1:28
	s_waitcnt lgkmcnt(0)
	s_waitcnt_vscnt null, 0x0
	s_barrier
	buffer_gl0_inv
	s_cmp_lt_i32 s27, 9
	s_cbranch_scc1 .LBB198_37
; %bb.19:
	v_mad_i64_i32 v[3:4], null, v81, s26, 0
	v_lshlrev_b64 v[5:6], 3, v[6:7]
	v_mad_i64_i32 v[7:8], null, v83, s26, 0
	v_add_nc_u32_e32 v93, 0x1000, v2
	v_or_b32_e32 v94, 0x3000, v94
	v_mov_b32_e32 v75, 0
	v_add_co_u32 v95, vcc_lo, s24, v5
	v_lshlrev_b64 v[70:71], 3, v[3:4]
	v_lshlrev_b64 v[72:73], 3, v[7:8]
	v_add_co_ci_u32_e64 v96, null, s25, v6, vcc_lo
	s_add_i32 s24, s27, -8
	s_mov_b32 s25, 8
	s_mov_b32 s26, 0
.LBB198_20:                             ; =>This Loop Header: Depth=1
                                        ;     Child Loop BB198_25 Depth 2
                                        ;       Child Loop BB198_26 Depth 3
                                        ;     Child Loop BB198_33 Depth 2
                                        ;       Child Loop BB198_34 Depth 3
	v_or_b32_e32 v74, s25, v84
	v_mov_b32_e32 v8, 0
	v_mov_b32_e32 v6, 0
	;; [unrolled: 1-line block ×4, first 2 shown]
	v_lshlrev_b64 v[2:3], 3, v[74:75]
	v_add_co_u32 v74, vcc_lo, s22, v2
	v_add_co_ci_u32_e64 v97, null, s23, v3, vcc_lo
	s_and_b32 vcc_lo, exec_lo, s7
	s_cbranch_vccnz .LBB198_22
; %bb.21:                               ;   in Loop: Header=BB198_20 Depth=1
	v_add_co_u32 v2, vcc_lo, v74, v70
	v_add_co_ci_u32_e64 v3, null, v97, v71, vcc_lo
	global_load_dwordx2 v[2:3], v[2:3], off
	s_waitcnt vmcnt(0)
	v_mul_f64 v[6:7], s[16:17], v[2:3]
.LBB198_22:                             ;   in Loop: Header=BB198_20 Depth=1
	v_mov_b32_e32 v10, 0
	v_mov_b32_e32 v12, 0
	;; [unrolled: 1-line block ×4, first 2 shown]
	s_and_b32 vcc_lo, exec_lo, s7
	s_cbranch_vccnz .LBB198_24
; %bb.23:                               ;   in Loop: Header=BB198_20 Depth=1
	v_add_nc_u32_e32 v4, s25, v85
	v_mad_u64_u32 v[2:3], null, v4, s19, 0
	v_mad_u64_u32 v[3:4], null, v4, s21, v[3:4]
	v_add_co_u32 v4, vcc_lo, v74, v72
	v_add_co_ci_u32_e64 v5, null, v97, v73, vcc_lo
	v_lshlrev_b64 v[2:3], 3, v[2:3]
	v_add_co_u32 v2, vcc_lo, v95, v2
	v_add_co_ci_u32_e64 v3, null, v96, v3, vcc_lo
	global_load_dwordx2 v[4:5], v[4:5], off
	s_clause 0x1
	global_load_dwordx2 v[10:11], v[2:3], off
	global_load_dwordx2 v[2:3], v[2:3], off offset:512
	s_waitcnt vmcnt(2)
	v_mul_f64 v[8:9], s[16:17], v[4:5]
	s_waitcnt vmcnt(1)
	v_mul_f64 v[10:11], s[16:17], v[10:11]
	;; [unrolled: 2-line block ×3, first 2 shown]
.LBB198_24:                             ;   in Loop: Header=BB198_20 Depth=1
	s_mov_b32 s27, 0
.LBB198_25:                             ;   Parent Loop BB198_20 Depth=1
                                        ; =>  This Loop Header: Depth=2
                                        ;       Child Loop BB198_26 Depth 3
	s_lshl_b32 s28, s27, 3
	s_mov_b32 s29, 0
	v_add_nc_u32_e32 v14, s28, v91
	v_add_nc_u32_e32 v98, s28, v92
	s_mov_b32 s28, -1
	ds_read2_b64 v[2:5], v14 offset1:16
	ds_read2_b64 v[18:21], v14 offset0:32 offset1:48
	ds_read2_b64 v[22:25], v14 offset0:64 offset1:80
	v_add_nc_u32_e32 v15, 0x800, v14
	ds_read2_b64 v[26:29], v14 offset0:96 offset1:112
	ds_read2_b64 v[30:33], v14 offset0:128 offset1:144
	;; [unrolled: 1-line block ×5, first 2 shown]
	ds_read2_b64 v[46:49], v15 offset1:16
	ds_read2_b64 v[50:53], v15 offset0:32 offset1:48
	ds_read2_b64 v[54:57], v15 offset0:64 offset1:80
	ds_read2_b64 v[58:61], v15 offset0:96 offset1:112
	ds_read2_b64 v[62:65], v15 offset0:128 offset1:144
	ds_read2_b64 v[66:69], v15 offset0:160 offset1:176
	ds_read2_b64 v[76:79], v15 offset0:192 offset1:208
	ds_read2_b64 v[80:83], v15 offset0:224 offset1:240
	s_waitcnt lgkmcnt(11)
	v_max_f64 v[30:31], v[30:31], v[30:31]
	v_max_f64 v[32:33], v[32:33], v[32:33]
	s_waitcnt lgkmcnt(10)
	v_max_f64 v[34:35], v[34:35], v[34:35]
	v_max_f64 v[36:37], v[36:37], v[36:37]
	;; [unrolled: 3-line block ×3, first 2 shown]
	v_max_f64 v[14:15], v[2:3], v[2:3]
	v_max_f64 v[16:17], v[4:5], v[4:5]
	;; [unrolled: 1-line block ×8, first 2 shown]
	s_waitcnt lgkmcnt(8)
	v_max_f64 v[42:43], v[42:43], v[42:43]
	v_max_f64 v[44:45], v[44:45], v[44:45]
	s_waitcnt lgkmcnt(7)
	v_max_f64 v[46:47], v[46:47], v[46:47]
	v_max_f64 v[48:49], v[48:49], v[48:49]
	;; [unrolled: 3-line block ×9, first 2 shown]
	ds_read2st64_b64 v[2:5], v98 offset1:4
.LBB198_26:                             ;   Parent Loop BB198_20 Depth=1
                                        ;     Parent Loop BB198_25 Depth=2
                                        ; =>    This Inner Loop Header: Depth=3
	v_mov_b32_e32 v226, s29
	s_waitcnt lgkmcnt(0)
	v_max_f64 v[162:163], v[2:3], v[2:3]
	v_mov_b32_e32 v2, v4
	v_mov_b32_e32 v3, v5
	s_and_b32 vcc_lo, exec_lo, s28
	s_clause 0x3e
	buffer_load_dword v98, v226, s[0:3], 0 offen
	buffer_load_dword v99, v226, s[0:3], 0 offen offset:4
	buffer_load_dword v100, v226, s[0:3], 0 offen offset:8
	;; [unrolled: 1-line block ×63, first 2 shown]
	s_mov_b32 s28, 0
	s_mov_b32 s29, s18
	v_min_f64 v[164:165], v[14:15], v[162:163]
	v_min_f64 v[166:167], v[16:17], v[162:163]
	;; [unrolled: 1-line block ×32, first 2 shown]
	s_waitcnt vmcnt(62)
	v_add_f64 v[98:99], v[164:165], v[98:99]
	s_waitcnt vmcnt(60)
	v_add_f64 v[100:101], v[166:167], v[100:101]
	;; [unrolled: 2-line block ×32, first 2 shown]
	buffer_store_dword v98, v226, s[0:3], 0 offen
	buffer_store_dword v99, v226, s[0:3], 0 offen offset:4
	buffer_store_dword v100, v226, s[0:3], 0 offen offset:8
	;; [unrolled: 1-line block ×63, first 2 shown]
	s_cbranch_vccnz .LBB198_26
; %bb.27:                               ;   in Loop: Header=BB198_25 Depth=2
	s_add_i32 s27, s27, 1
	s_cmp_eq_u32 s27, 4
	s_cbranch_scc0 .LBB198_25
; %bb.28:                               ;   in Loop: Header=BB198_20 Depth=1
	v_mov_b32_e32 v78, 0
	v_mov_b32_e32 v76, 0
	;; [unrolled: 1-line block ×4, first 2 shown]
	s_and_b32 vcc_lo, exec_lo, s7
	ds_write2st64_b64 v87, v[6:7], v[8:9] offset1:4
	ds_write2st64_b64 v88, v[10:11], v[12:13] offset1:4
	s_waitcnt lgkmcnt(0)
	s_waitcnt_vscnt null, 0x0
	s_barrier
	buffer_gl0_inv
	s_cbranch_vccnz .LBB198_30
; %bb.29:                               ;   in Loop: Header=BB198_20 Depth=1
	v_add_co_u32 v2, vcc_lo, v74, v70
	v_add_co_ci_u32_e64 v3, null, v97, v71, vcc_lo
	global_load_dwordx2 v[2:3], v[2:3], off offset:32
	s_waitcnt vmcnt(0)
	v_mul_f64 v[76:77], s[16:17], v[2:3]
.LBB198_30:                             ;   in Loop: Header=BB198_20 Depth=1
	v_mov_b32_e32 v80, 0
	v_mov_b32_e32 v82, 0
	;; [unrolled: 1-line block ×4, first 2 shown]
	s_and_b32 vcc_lo, exec_lo, s7
	s_cbranch_vccnz .LBB198_32
; %bb.31:                               ;   in Loop: Header=BB198_20 Depth=1
	v_add_nc_u32_e32 v4, s25, v86
	v_mad_u64_u32 v[2:3], null, v4, s19, 0
	v_mad_u64_u32 v[3:4], null, v4, s21, v[3:4]
	v_add_co_u32 v4, vcc_lo, v74, v72
	v_add_co_ci_u32_e64 v5, null, v97, v73, vcc_lo
	v_lshlrev_b64 v[2:3], 3, v[2:3]
	v_add_co_u32 v2, vcc_lo, v95, v2
	v_add_co_ci_u32_e64 v3, null, v96, v3, vcc_lo
	global_load_dwordx2 v[4:5], v[4:5], off offset:32
	s_clause 0x1
	global_load_dwordx2 v[6:7], v[2:3], off
	global_load_dwordx2 v[2:3], v[2:3], off offset:512
	s_waitcnt vmcnt(2)
	v_mul_f64 v[78:79], s[16:17], v[4:5]
	s_waitcnt vmcnt(1)
	v_mul_f64 v[80:81], s[16:17], v[6:7]
	s_waitcnt vmcnt(0)
	v_mul_f64 v[82:83], s[16:17], v[2:3]
.LBB198_32:                             ;   in Loop: Header=BB198_20 Depth=1
	s_mov_b32 s27, 0
.LBB198_33:                             ;   Parent Loop BB198_20 Depth=1
                                        ; =>  This Loop Header: Depth=2
                                        ;       Child Loop BB198_34 Depth 3
	s_lshl_b32 s28, s27, 3
	s_mov_b32 s29, 0
	v_add_nc_u32_e32 v30, s28, v89
	v_add_nc_u32_e32 v66, s28, v90
	s_mov_b32 s28, -1
	ds_read2_b64 v[2:5], v30 offset1:16
	ds_read2_b64 v[6:9], v30 offset0:32 offset1:48
	ds_read2_b64 v[10:13], v30 offset0:64 offset1:80
	;; [unrolled: 1-line block ×3, first 2 shown]
	v_add_nc_u32_e32 v62, 0x800, v30
	ds_read2_b64 v[18:21], v30 offset0:128 offset1:144
	ds_read2_b64 v[22:25], v30 offset0:160 offset1:176
	;; [unrolled: 1-line block ×4, first 2 shown]
	ds_read2_b64 v[34:37], v62 offset1:16
	ds_read2_b64 v[38:41], v62 offset0:32 offset1:48
	ds_read2_b64 v[42:45], v62 offset0:64 offset1:80
	;; [unrolled: 1-line block ×7, first 2 shown]
	ds_read2st64_b64 v[66:69], v66 offset1:4
.LBB198_34:                             ;   Parent Loop BB198_20 Depth=1
                                        ;     Parent Loop BB198_33 Depth=2
                                        ; =>    This Inner Loop Header: Depth=3
	v_mov_b32_e32 v74, s29
	s_waitcnt lgkmcnt(16)
	v_max_f64 v[161:162], v[2:3], v[2:3]
	s_waitcnt lgkmcnt(0)
	v_max_f64 v[163:164], v[66:67], v[66:67]
	v_max_f64 v[165:166], v[4:5], v[4:5]
	;; [unrolled: 1-line block ×3, first 2 shown]
	s_clause 0x3e
	buffer_load_dword v97, v74, s[0:3], 0 offen
	buffer_load_dword v98, v74, s[0:3], 0 offen offset:4
	buffer_load_dword v99, v74, s[0:3], 0 offen offset:8
	;; [unrolled: 1-line block ×63, first 2 shown]
	v_max_f64 v[169:170], v[8:9], v[8:9]
	v_max_f64 v[171:172], v[10:11], v[10:11]
	;; [unrolled: 1-line block ×29, first 2 shown]
	v_min_f64 v[161:162], v[161:162], v[163:164]
	v_min_f64 v[165:166], v[165:166], v[163:164]
	v_min_f64 v[167:168], v[167:168], v[163:164]
	v_min_f64 v[169:170], v[169:170], v[163:164]
	v_min_f64 v[171:172], v[171:172], v[163:164]
	v_min_f64 v[173:174], v[173:174], v[163:164]
	v_min_f64 v[175:176], v[175:176], v[163:164]
	v_min_f64 v[177:178], v[177:178], v[163:164]
	v_min_f64 v[179:180], v[179:180], v[163:164]
	v_min_f64 v[181:182], v[181:182], v[163:164]
	v_min_f64 v[183:184], v[183:184], v[163:164]
	v_min_f64 v[185:186], v[185:186], v[163:164]
	v_min_f64 v[187:188], v[187:188], v[163:164]
	v_min_f64 v[189:190], v[189:190], v[163:164]
	v_min_f64 v[191:192], v[191:192], v[163:164]
	v_min_f64 v[193:194], v[193:194], v[163:164]
	v_min_f64 v[195:196], v[195:196], v[163:164]
	v_min_f64 v[197:198], v[197:198], v[163:164]
	v_min_f64 v[199:200], v[199:200], v[163:164]
	v_min_f64 v[201:202], v[201:202], v[163:164]
	v_min_f64 v[203:204], v[203:204], v[163:164]
	v_min_f64 v[205:206], v[205:206], v[163:164]
	v_min_f64 v[207:208], v[207:208], v[163:164]
	v_min_f64 v[209:210], v[209:210], v[163:164]
	v_min_f64 v[211:212], v[211:212], v[163:164]
	v_min_f64 v[213:214], v[213:214], v[163:164]
	v_min_f64 v[215:216], v[215:216], v[163:164]
	v_min_f64 v[217:218], v[217:218], v[163:164]
	v_min_f64 v[219:220], v[219:220], v[163:164]
	v_min_f64 v[221:222], v[221:222], v[163:164]
	v_min_f64 v[223:224], v[223:224], v[163:164]
	v_min_f64 v[163:164], v[225:226], v[163:164]
	v_mov_b32_e32 v66, v68
	v_mov_b32_e32 v67, v69
	s_and_b32 vcc_lo, exec_lo, s28
	s_mov_b32 s28, 0
	s_mov_b32 s29, s18
	s_waitcnt vmcnt(62)
	v_add_f64 v[97:98], v[161:162], v[97:98]
	s_waitcnt vmcnt(60)
	v_add_f64 v[99:100], v[165:166], v[99:100]
	;; [unrolled: 2-line block ×32, first 2 shown]
	buffer_store_dword v97, v74, s[0:3], 0 offen
	buffer_store_dword v98, v74, s[0:3], 0 offen offset:4
	buffer_store_dword v99, v74, s[0:3], 0 offen offset:8
	;; [unrolled: 1-line block ×63, first 2 shown]
	s_cbranch_vccnz .LBB198_34
; %bb.35:                               ;   in Loop: Header=BB198_33 Depth=2
	s_add_i32 s27, s27, 1
	s_cmp_eq_u32 s27, 4
	s_cbranch_scc0 .LBB198_33
; %bb.36:                               ;   in Loop: Header=BB198_20 Depth=1
	s_add_i32 s26, s26, 8
	s_add_i32 s25, s25, 8
	s_cmp_ge_i32 s26, s24
	ds_write2st64_b64 v93, v[76:77], v[78:79] offset1:4
	ds_write2st64_b64 v94, v[80:81], v[82:83] offset1:4
	s_waitcnt lgkmcnt(0)
	s_waitcnt_vscnt null, 0x0
	s_barrier
	buffer_gl0_inv
	s_cbranch_scc0 .LBB198_20
.LBB198_37:
	s_mov_b32 s7, 0
.LBB198_38:                             ; =>This Loop Header: Depth=1
                                        ;     Child Loop BB198_39 Depth 2
	s_lshl_b32 s16, s7, 3
	s_mov_b32 s17, 0
	v_add_nc_u32_e32 v6, s16, v91
	v_add_nc_u32_e32 v70, s16, v92
	s_mov_b32 s16, -1
	ds_read2_b64 v[2:5], v6 offset1:16
	ds_read2_b64 v[10:13], v6 offset0:32 offset1:48
	ds_read2_b64 v[14:17], v6 offset0:64 offset1:80
	v_add_nc_u32_e32 v7, 0x800, v6
	ds_read2_b64 v[18:21], v6 offset0:96 offset1:112
	ds_read2_b64 v[22:25], v6 offset0:128 offset1:144
	ds_read2_b64 v[26:29], v6 offset0:160 offset1:176
	ds_read2_b64 v[30:33], v6 offset0:192 offset1:208
	ds_read2_b64 v[34:37], v6 offset0:224 offset1:240
	ds_read2_b64 v[38:41], v7 offset1:16
	ds_read2_b64 v[42:45], v7 offset0:32 offset1:48
	ds_read2_b64 v[46:49], v7 offset0:64 offset1:80
	;; [unrolled: 1-line block ×7, first 2 shown]
	s_waitcnt lgkmcnt(11)
	v_max_f64 v[22:23], v[22:23], v[22:23]
	v_max_f64 v[24:25], v[24:25], v[24:25]
	s_waitcnt lgkmcnt(10)
	v_max_f64 v[26:27], v[26:27], v[26:27]
	v_max_f64 v[28:29], v[28:29], v[28:29]
	;; [unrolled: 3-line block ×3, first 2 shown]
	v_max_f64 v[6:7], v[2:3], v[2:3]
	v_max_f64 v[8:9], v[4:5], v[4:5]
	;; [unrolled: 1-line block ×8, first 2 shown]
	s_waitcnt lgkmcnt(8)
	v_max_f64 v[34:35], v[34:35], v[34:35]
	v_max_f64 v[36:37], v[36:37], v[36:37]
	s_waitcnt lgkmcnt(7)
	v_max_f64 v[38:39], v[38:39], v[38:39]
	v_max_f64 v[40:41], v[40:41], v[40:41]
	;; [unrolled: 3-line block ×9, first 2 shown]
	ds_read2st64_b64 v[2:5], v70 offset1:4
.LBB198_39:                             ;   Parent Loop BB198_38 Depth=1
                                        ; =>  This Inner Loop Header: Depth=2
	v_mov_b32_e32 v90, s17
	s_waitcnt lgkmcnt(0)
	v_max_f64 v[137:138], v[2:3], v[2:3]
	v_mov_b32_e32 v2, v4
	v_mov_b32_e32 v3, v5
	s_and_b32 vcc_lo, exec_lo, s16
	s_clause 0x3e
	buffer_load_dword v70, v90, s[0:3], 0 offen
	buffer_load_dword v71, v90, s[0:3], 0 offen offset:4
	buffer_load_dword v72, v90, s[0:3], 0 offen offset:8
	;; [unrolled: 1-line block ×63, first 2 shown]
	s_mov_b32 s16, 0
	s_mov_b32 s17, s18
	v_min_f64 v[139:140], v[6:7], v[137:138]
	v_min_f64 v[141:142], v[8:9], v[137:138]
	;; [unrolled: 1-line block ×32, first 2 shown]
	s_waitcnt vmcnt(62)
	v_add_f64 v[70:71], v[139:140], v[70:71]
	s_waitcnt vmcnt(60)
	v_add_f64 v[72:73], v[141:142], v[72:73]
	;; [unrolled: 2-line block ×32, first 2 shown]
	buffer_store_dword v70, v90, s[0:3], 0 offen
	buffer_store_dword v71, v90, s[0:3], 0 offen offset:4
	buffer_store_dword v72, v90, s[0:3], 0 offen offset:8
	;; [unrolled: 1-line block ×63, first 2 shown]
	s_cbranch_vccnz .LBB198_39
; %bb.40:                               ;   in Loop: Header=BB198_38 Depth=1
	s_add_i32 s7, s7, 1
	s_cmp_eq_u32 s7, 4
	s_cbranch_scc0 .LBB198_38
; %bb.41:
	s_clause 0x1
	buffer_load_dword v2, off, s[0:3], 0
	buffer_load_dword v3, off, s[0:3], 0 offset:4
	s_load_dword s7, s[4:5], 0x58
	v_add_nc_u32_e32 v71, s8, v1
	v_add_nc_u32_e32 v12, s6, v0
	v_cndmask_b32_e64 v0, 0, 1, s9
	v_mov_b32_e32 v8, 0
	v_mov_b32_e32 v9, 0
	v_ashrrev_i32_e32 v13, 31, v12
	v_cmp_ne_u32_e64 s6, 1, v0
	v_lshlrev_b64 v[0:1], 3, v[12:13]
	s_waitcnt lgkmcnt(0)
	v_mad_i64_i32 v[4:5], null, v71, s7, 0
	v_lshlrev_b64 v[6:7], 3, v[4:5]
	v_mov_b32_e32 v4, 0
	v_mov_b32_e32 v5, 0
	v_add_co_u32 v72, vcc_lo, s12, v6
	v_add_co_ci_u32_e64 v73, null, s13, v7, vcc_lo
	s_andn2_b32 vcc_lo, exec_lo, s9
	s_cbranch_vccnz .LBB198_43
; %bb.42:
	v_add_co_u32 v6, vcc_lo, v72, v0
	v_add_co_ci_u32_e64 v7, null, v73, v1, vcc_lo
	global_load_dwordx2 v[6:7], v[6:7], off
	s_waitcnt vmcnt(0)
	v_mul_f64 v[8:9], s[14:15], v[6:7]
.LBB198_43:
	s_clause 0x1
	buffer_load_dword v6, off, s[0:3], 0 offset:8
	buffer_load_dword v7, off, s[0:3], 0 offset:12
	s_clause 0x1
	s_load_dwordx2 s[8:9], s[4:5], 0x78
	s_load_dword s4, s[4:5], 0x70
	s_waitcnt vmcnt(2)
	v_add_f64 v[8:9], v[2:3], v[8:9]
	s_waitcnt lgkmcnt(0)
	s_mul_i32 s5, s9, s20
	v_mad_i64_i32 v[10:11], null, v71, s4, 0
	s_mul_hi_u32 s9, s8, s20
	s_mul_i32 s8, s8, s20
	s_add_i32 s9, s9, s5
	s_lshl_b64 s[8:9], s[8:9], 3
	v_lshlrev_b64 v[2:3], 3, v[10:11]
	v_add_nc_u32_e32 v10, 4, v12
	s_add_u32 s5, s10, s8
	s_addc_u32 s8, s11, s9
	v_ashrrev_i32_e32 v11, 31, v10
	v_add_co_u32 v74, vcc_lo, s5, v2
	v_add_co_ci_u32_e64 v75, null, s8, v3, vcc_lo
	v_lshlrev_b64 v[2:3], 3, v[10:11]
	v_add_co_u32 v13, vcc_lo, v74, v0
	v_add_co_ci_u32_e64 v14, null, v75, v1, vcc_lo
	s_and_b32 vcc_lo, exec_lo, s6
	global_store_dwordx2 v[13:14], v[8:9], off
	s_cbranch_vccnz .LBB198_45
; %bb.44:
	v_add_co_u32 v4, vcc_lo, v72, v2
	v_add_co_ci_u32_e64 v5, null, v73, v3, vcc_lo
	global_load_dwordx2 v[4:5], v[4:5], off
	s_waitcnt vmcnt(0)
	v_mul_f64 v[4:5], s[14:15], v[4:5]
.LBB198_45:
	s_clause 0x1
	buffer_load_dword v10, off, s[0:3], 0 offset:16
	buffer_load_dword v11, off, s[0:3], 0 offset:20
	s_waitcnt vmcnt(2)
	v_add_f64 v[13:14], v[6:7], v[4:5]
	v_add_nc_u32_e32 v4, 8, v12
	v_add_co_u32 v15, vcc_lo, v74, v2
	v_mov_b32_e32 v8, 0
	v_mov_b32_e32 v6, 0
	v_ashrrev_i32_e32 v5, 31, v4
	v_add_co_ci_u32_e64 v16, null, v75, v3, vcc_lo
	v_mov_b32_e32 v9, 0
	v_mov_b32_e32 v7, 0
	v_lshlrev_b64 v[4:5], 3, v[4:5]
	s_and_b32 vcc_lo, exec_lo, s6
	global_store_dwordx2 v[15:16], v[13:14], off
	s_cbranch_vccnz .LBB198_47
; %bb.46:
	v_add_co_u32 v6, vcc_lo, v72, v4
	v_add_co_ci_u32_e64 v7, null, v73, v5, vcc_lo
	global_load_dwordx2 v[6:7], v[6:7], off
	s_waitcnt vmcnt(0)
	v_mul_f64 v[6:7], s[14:15], v[6:7]
.LBB198_47:
	s_clause 0x1
	buffer_load_dword v13, off, s[0:3], 0 offset:24
	buffer_load_dword v14, off, s[0:3], 0 offset:28
	s_waitcnt vmcnt(2)
	v_add_f64 v[10:11], v[10:11], v[6:7]
	v_add_nc_u32_e32 v6, 12, v12
	v_add_co_u32 v15, vcc_lo, v74, v4
	v_add_co_ci_u32_e64 v16, null, v75, v5, vcc_lo
	v_ashrrev_i32_e32 v7, 31, v6
	s_and_b32 vcc_lo, exec_lo, s6
	v_lshlrev_b64 v[6:7], 3, v[6:7]
	global_store_dwordx2 v[15:16], v[10:11], off
	s_cbranch_vccnz .LBB198_49
; %bb.48:
	v_add_co_u32 v8, vcc_lo, v72, v6
	v_add_co_ci_u32_e64 v9, null, v73, v7, vcc_lo
	global_load_dwordx2 v[8:9], v[8:9], off
	s_waitcnt vmcnt(0)
	v_mul_f64 v[8:9], s[14:15], v[8:9]
.LBB198_49:
	s_clause 0x1
	buffer_load_dword v10, off, s[0:3], 0 offset:32
	buffer_load_dword v11, off, s[0:3], 0 offset:36
	s_waitcnt vmcnt(2)
	v_add_f64 v[17:18], v[13:14], v[8:9]
	v_add_nc_u32_e32 v8, 16, v12
	v_add_co_u32 v19, vcc_lo, v74, v6
	v_mov_b32_e32 v13, 0
	v_mov_b32_e32 v15, 0
	v_ashrrev_i32_e32 v9, 31, v8
	v_add_co_ci_u32_e64 v20, null, v75, v7, vcc_lo
	v_mov_b32_e32 v14, 0
	v_mov_b32_e32 v16, 0
	v_lshlrev_b64 v[8:9], 3, v[8:9]
	s_and_b32 vcc_lo, exec_lo, s6
	global_store_dwordx2 v[19:20], v[17:18], off
	s_cbranch_vccnz .LBB198_51
; %bb.50:
	v_add_co_u32 v15, vcc_lo, v72, v8
	v_add_co_ci_u32_e64 v16, null, v73, v9, vcc_lo
	global_load_dwordx2 v[15:16], v[15:16], off
	s_waitcnt vmcnt(0)
	v_mul_f64 v[15:16], s[14:15], v[15:16]
.LBB198_51:
	s_clause 0x1
	buffer_load_dword v17, off, s[0:3], 0 offset:40
	buffer_load_dword v18, off, s[0:3], 0 offset:44
	s_waitcnt vmcnt(2)
	v_add_f64 v[15:16], v[10:11], v[15:16]
	v_add_nc_u32_e32 v10, 20, v12
	v_add_co_u32 v19, vcc_lo, v74, v8
	v_add_co_ci_u32_e64 v20, null, v75, v9, vcc_lo
	v_ashrrev_i32_e32 v11, 31, v10
	s_and_b32 vcc_lo, exec_lo, s6
	v_lshlrev_b64 v[10:11], 3, v[10:11]
	;; [unrolled: 44-line block ×15, first 2 shown]
	global_store_dwordx2 v[76:77], v[67:68], off
	s_cbranch_vccnz .LBB198_105
; %bb.104:
	v_add_co_u32 v65, vcc_lo, v72, v63
	v_add_co_ci_u32_e64 v66, null, v73, v64, vcc_lo
	global_load_dwordx2 v[65:66], v[65:66], off
	s_waitcnt vmcnt(0)
	v_mul_f64 v[65:66], s[14:15], v[65:66]
.LBB198_105:
	s_clause 0x1
	buffer_load_dword v67, off, s[0:3], 0 offset:256
	buffer_load_dword v68, off, s[0:3], 0 offset:260
	v_add_nc_u32_e32 v76, 64, v71
	s_waitcnt vmcnt(2)
	v_add_f64 v[69:70], v[69:70], v[65:66]
	v_add_co_u32 v74, vcc_lo, v74, v63
	v_add_co_ci_u32_e64 v75, null, v75, v64, vcc_lo
	v_mad_i64_i32 v[65:66], null, v76, s7, 0
	v_mov_b32_e32 v71, 0
	v_mov_b32_e32 v72, 0
	v_lshlrev_b64 v[77:78], 3, v[65:66]
	v_mov_b32_e32 v65, 0
	v_mov_b32_e32 v66, 0
	v_add_co_u32 v12, vcc_lo, s12, v77
	v_add_co_ci_u32_e64 v73, null, s13, v78, vcc_lo
	s_and_b32 vcc_lo, exec_lo, s6
	global_store_dwordx2 v[74:75], v[69:70], off
	s_cbranch_vccnz .LBB198_107
; %bb.106:
	v_add_co_u32 v69, vcc_lo, v12, v0
	v_add_co_ci_u32_e64 v70, null, v73, v1, vcc_lo
	global_load_dwordx2 v[69:70], v[69:70], off
	s_waitcnt vmcnt(0)
	v_mul_f64 v[71:72], s[14:15], v[69:70]
.LBB198_107:
	s_clause 0x1
	buffer_load_dword v69, off, s[0:3], 0 offset:264
	buffer_load_dword v70, off, s[0:3], 0 offset:268
	v_mad_i64_i32 v[74:75], null, v76, s4, 0
	s_waitcnt vmcnt(2)
	v_add_f64 v[67:68], v[67:68], v[71:72]
	v_lshlrev_b64 v[71:72], 3, v[74:75]
	v_add_co_u32 v71, vcc_lo, s5, v71
	v_add_co_ci_u32_e64 v72, null, s8, v72, vcc_lo
	v_add_co_u32 v0, vcc_lo, v71, v0
	v_add_co_ci_u32_e64 v1, null, v72, v1, vcc_lo
	s_and_b32 vcc_lo, exec_lo, s6
	global_store_dwordx2 v[0:1], v[67:68], off
	s_cbranch_vccnz .LBB198_109
; %bb.108:
	v_add_co_u32 v0, vcc_lo, v12, v2
	v_add_co_ci_u32_e64 v1, null, v73, v3, vcc_lo
	global_load_dwordx2 v[0:1], v[0:1], off
	s_waitcnt vmcnt(0)
	v_mul_f64 v[65:66], s[14:15], v[0:1]
.LBB198_109:
	s_clause 0x1
	buffer_load_dword v67, off, s[0:3], 0 offset:272
	buffer_load_dword v68, off, s[0:3], 0 offset:276
	s_waitcnt vmcnt(2)
	v_add_f64 v[65:66], v[69:70], v[65:66]
	v_add_co_u32 v69, vcc_lo, v71, v2
	v_add_co_ci_u32_e64 v70, null, v72, v3, vcc_lo
	v_mov_b32_e32 v0, 0
	v_mov_b32_e32 v2, 0
	;; [unrolled: 1-line block ×4, first 2 shown]
	s_and_b32 vcc_lo, exec_lo, s6
	global_store_dwordx2 v[69:70], v[65:66], off
	s_cbranch_vccnz .LBB198_111
; %bb.110:
	v_add_co_u32 v2, vcc_lo, v12, v4
	v_add_co_ci_u32_e64 v3, null, v73, v5, vcc_lo
	global_load_dwordx2 v[2:3], v[2:3], off
	s_waitcnt vmcnt(0)
	v_mul_f64 v[2:3], s[14:15], v[2:3]
.LBB198_111:
	s_clause 0x1
	buffer_load_dword v65, off, s[0:3], 0 offset:280
	buffer_load_dword v66, off, s[0:3], 0 offset:284
	s_waitcnt vmcnt(2)
	v_add_f64 v[2:3], v[67:68], v[2:3]
	v_add_co_u32 v4, vcc_lo, v71, v4
	v_add_co_ci_u32_e64 v5, null, v72, v5, vcc_lo
	s_and_b32 vcc_lo, exec_lo, s6
	global_store_dwordx2 v[4:5], v[2:3], off
	s_cbranch_vccnz .LBB198_113
; %bb.112:
	v_add_co_u32 v0, vcc_lo, v12, v6
	v_add_co_ci_u32_e64 v1, null, v73, v7, vcc_lo
	global_load_dwordx2 v[0:1], v[0:1], off
	s_waitcnt vmcnt(0)
	v_mul_f64 v[0:1], s[14:15], v[0:1]
.LBB198_113:
	s_clause 0x1
	buffer_load_dword v2, off, s[0:3], 0 offset:288
	buffer_load_dword v3, off, s[0:3], 0 offset:292
	s_waitcnt vmcnt(2)
	v_add_f64 v[4:5], v[65:66], v[0:1]
	v_add_co_u32 v65, vcc_lo, v71, v6
	v_add_co_ci_u32_e64 v66, null, v72, v7, vcc_lo
	v_mov_b32_e32 v0, 0
	v_mov_b32_e32 v6, 0
	;; [unrolled: 1-line block ×4, first 2 shown]
	s_and_b32 vcc_lo, exec_lo, s6
	global_store_dwordx2 v[65:66], v[4:5], off
	s_cbranch_vccnz .LBB198_115
; %bb.114:
	v_add_co_u32 v4, vcc_lo, v12, v8
	v_add_co_ci_u32_e64 v5, null, v73, v9, vcc_lo
	global_load_dwordx2 v[4:5], v[4:5], off
	s_waitcnt vmcnt(0)
	v_mul_f64 v[6:7], s[14:15], v[4:5]
.LBB198_115:
	s_clause 0x1
	buffer_load_dword v4, off, s[0:3], 0 offset:296
	buffer_load_dword v5, off, s[0:3], 0 offset:300
	s_waitcnt vmcnt(2)
	v_add_f64 v[2:3], v[2:3], v[6:7]
	v_add_co_u32 v6, vcc_lo, v71, v8
	v_add_co_ci_u32_e64 v7, null, v72, v9, vcc_lo
	s_and_b32 vcc_lo, exec_lo, s6
	global_store_dwordx2 v[6:7], v[2:3], off
	s_cbranch_vccnz .LBB198_117
; %bb.116:
	v_add_co_u32 v0, vcc_lo, v12, v10
	v_add_co_ci_u32_e64 v1, null, v73, v11, vcc_lo
	global_load_dwordx2 v[0:1], v[0:1], off
	s_waitcnt vmcnt(0)
	v_mul_f64 v[0:1], s[14:15], v[0:1]
.LBB198_117:
	s_clause 0x1
	buffer_load_dword v2, off, s[0:3], 0 offset:304
	buffer_load_dword v3, off, s[0:3], 0 offset:308
	s_waitcnt vmcnt(2)
	v_add_f64 v[4:5], v[4:5], v[0:1]
	v_add_co_u32 v8, vcc_lo, v71, v10
	v_mov_b32_e32 v0, 0
	v_mov_b32_e32 v6, 0
	v_add_co_ci_u32_e64 v9, null, v72, v11, vcc_lo
	v_mov_b32_e32 v1, 0
	v_mov_b32_e32 v7, 0
	s_and_b32 vcc_lo, exec_lo, s6
	global_store_dwordx2 v[8:9], v[4:5], off
	s_cbranch_vccnz .LBB198_119
; %bb.118:
	v_add_co_u32 v4, vcc_lo, v12, v13
	v_add_co_ci_u32_e64 v5, null, v73, v14, vcc_lo
	global_load_dwordx2 v[4:5], v[4:5], off
	s_waitcnt vmcnt(0)
	v_mul_f64 v[6:7], s[14:15], v[4:5]
.LBB198_119:
	s_clause 0x1
	buffer_load_dword v4, off, s[0:3], 0 offset:312
	buffer_load_dword v5, off, s[0:3], 0 offset:316
	s_waitcnt vmcnt(2)
	v_add_f64 v[2:3], v[2:3], v[6:7]
	v_add_co_u32 v6, vcc_lo, v71, v13
	v_add_co_ci_u32_e64 v7, null, v72, v14, vcc_lo
	s_and_b32 vcc_lo, exec_lo, s6
	global_store_dwordx2 v[6:7], v[2:3], off
	s_cbranch_vccnz .LBB198_121
; %bb.120:
	v_add_co_u32 v0, vcc_lo, v12, v15
	v_add_co_ci_u32_e64 v1, null, v73, v16, vcc_lo
	global_load_dwordx2 v[0:1], v[0:1], off
	s_waitcnt vmcnt(0)
	v_mul_f64 v[0:1], s[14:15], v[0:1]
.LBB198_121:
	s_clause 0x1
	buffer_load_dword v2, off, s[0:3], 0 offset:320
	buffer_load_dword v3, off, s[0:3], 0 offset:324
	s_waitcnt vmcnt(2)
	v_add_f64 v[4:5], v[4:5], v[0:1]
	v_add_co_u32 v8, vcc_lo, v71, v15
	v_mov_b32_e32 v0, 0
	v_mov_b32_e32 v6, 0
	v_add_co_ci_u32_e64 v9, null, v72, v16, vcc_lo
	v_mov_b32_e32 v1, 0
	v_mov_b32_e32 v7, 0
	s_and_b32 vcc_lo, exec_lo, s6
	global_store_dwordx2 v[8:9], v[4:5], off
	s_cbranch_vccnz .LBB198_123
; %bb.122:
	v_add_co_u32 v4, vcc_lo, v12, v17
	v_add_co_ci_u32_e64 v5, null, v73, v18, vcc_lo
	global_load_dwordx2 v[4:5], v[4:5], off
	s_waitcnt vmcnt(0)
	v_mul_f64 v[6:7], s[14:15], v[4:5]
.LBB198_123:
	s_clause 0x1
	buffer_load_dword v4, off, s[0:3], 0 offset:328
	buffer_load_dword v5, off, s[0:3], 0 offset:332
	s_waitcnt vmcnt(2)
	v_add_f64 v[2:3], v[2:3], v[6:7]
	v_add_co_u32 v6, vcc_lo, v71, v17
	v_add_co_ci_u32_e64 v7, null, v72, v18, vcc_lo
	s_and_b32 vcc_lo, exec_lo, s6
	global_store_dwordx2 v[6:7], v[2:3], off
	s_cbranch_vccnz .LBB198_125
; %bb.124:
	v_add_co_u32 v0, vcc_lo, v12, v19
	v_add_co_ci_u32_e64 v1, null, v73, v20, vcc_lo
	global_load_dwordx2 v[0:1], v[0:1], off
	s_waitcnt vmcnt(0)
	v_mul_f64 v[0:1], s[14:15], v[0:1]
.LBB198_125:
	s_clause 0x1
	buffer_load_dword v2, off, s[0:3], 0 offset:336
	buffer_load_dword v3, off, s[0:3], 0 offset:340
	s_waitcnt vmcnt(2)
	v_add_f64 v[4:5], v[4:5], v[0:1]
	v_add_co_u32 v8, vcc_lo, v71, v19
	v_mov_b32_e32 v0, 0
	v_mov_b32_e32 v6, 0
	v_add_co_ci_u32_e64 v9, null, v72, v20, vcc_lo
	v_mov_b32_e32 v1, 0
	v_mov_b32_e32 v7, 0
	s_and_b32 vcc_lo, exec_lo, s6
	global_store_dwordx2 v[8:9], v[4:5], off
	s_cbranch_vccnz .LBB198_127
; %bb.126:
	v_add_co_u32 v4, vcc_lo, v12, v21
	v_add_co_ci_u32_e64 v5, null, v73, v22, vcc_lo
	global_load_dwordx2 v[4:5], v[4:5], off
	s_waitcnt vmcnt(0)
	v_mul_f64 v[6:7], s[14:15], v[4:5]
.LBB198_127:
	s_clause 0x1
	buffer_load_dword v4, off, s[0:3], 0 offset:344
	buffer_load_dword v5, off, s[0:3], 0 offset:348
	s_waitcnt vmcnt(2)
	v_add_f64 v[2:3], v[2:3], v[6:7]
	v_add_co_u32 v6, vcc_lo, v71, v21
	v_add_co_ci_u32_e64 v7, null, v72, v22, vcc_lo
	s_and_b32 vcc_lo, exec_lo, s6
	global_store_dwordx2 v[6:7], v[2:3], off
	s_cbranch_vccnz .LBB198_129
; %bb.128:
	v_add_co_u32 v0, vcc_lo, v12, v23
	v_add_co_ci_u32_e64 v1, null, v73, v24, vcc_lo
	global_load_dwordx2 v[0:1], v[0:1], off
	s_waitcnt vmcnt(0)
	v_mul_f64 v[0:1], s[14:15], v[0:1]
.LBB198_129:
	s_clause 0x1
	buffer_load_dword v2, off, s[0:3], 0 offset:352
	buffer_load_dword v3, off, s[0:3], 0 offset:356
	s_waitcnt vmcnt(2)
	v_add_f64 v[4:5], v[4:5], v[0:1]
	v_add_co_u32 v8, vcc_lo, v71, v23
	v_mov_b32_e32 v0, 0
	v_mov_b32_e32 v6, 0
	v_add_co_ci_u32_e64 v9, null, v72, v24, vcc_lo
	v_mov_b32_e32 v1, 0
	v_mov_b32_e32 v7, 0
	s_and_b32 vcc_lo, exec_lo, s6
	global_store_dwordx2 v[8:9], v[4:5], off
	s_cbranch_vccnz .LBB198_131
; %bb.130:
	v_add_co_u32 v4, vcc_lo, v12, v25
	v_add_co_ci_u32_e64 v5, null, v73, v26, vcc_lo
	global_load_dwordx2 v[4:5], v[4:5], off
	s_waitcnt vmcnt(0)
	v_mul_f64 v[6:7], s[14:15], v[4:5]
.LBB198_131:
	s_clause 0x1
	buffer_load_dword v4, off, s[0:3], 0 offset:360
	buffer_load_dword v5, off, s[0:3], 0 offset:364
	s_waitcnt vmcnt(2)
	v_add_f64 v[2:3], v[2:3], v[6:7]
	v_add_co_u32 v6, vcc_lo, v71, v25
	v_add_co_ci_u32_e64 v7, null, v72, v26, vcc_lo
	s_and_b32 vcc_lo, exec_lo, s6
	global_store_dwordx2 v[6:7], v[2:3], off
	s_cbranch_vccnz .LBB198_133
; %bb.132:
	v_add_co_u32 v0, vcc_lo, v12, v27
	v_add_co_ci_u32_e64 v1, null, v73, v28, vcc_lo
	global_load_dwordx2 v[0:1], v[0:1], off
	s_waitcnt vmcnt(0)
	v_mul_f64 v[0:1], s[14:15], v[0:1]
.LBB198_133:
	s_clause 0x1
	buffer_load_dword v2, off, s[0:3], 0 offset:368
	buffer_load_dword v3, off, s[0:3], 0 offset:372
	s_waitcnt vmcnt(2)
	v_add_f64 v[4:5], v[4:5], v[0:1]
	v_add_co_u32 v8, vcc_lo, v71, v27
	v_mov_b32_e32 v0, 0
	v_mov_b32_e32 v6, 0
	v_add_co_ci_u32_e64 v9, null, v72, v28, vcc_lo
	v_mov_b32_e32 v1, 0
	v_mov_b32_e32 v7, 0
	s_and_b32 vcc_lo, exec_lo, s6
	global_store_dwordx2 v[8:9], v[4:5], off
	s_cbranch_vccnz .LBB198_135
; %bb.134:
	v_add_co_u32 v4, vcc_lo, v12, v29
	v_add_co_ci_u32_e64 v5, null, v73, v30, vcc_lo
	global_load_dwordx2 v[4:5], v[4:5], off
	s_waitcnt vmcnt(0)
	v_mul_f64 v[6:7], s[14:15], v[4:5]
.LBB198_135:
	s_clause 0x1
	buffer_load_dword v4, off, s[0:3], 0 offset:376
	buffer_load_dword v5, off, s[0:3], 0 offset:380
	s_waitcnt vmcnt(2)
	v_add_f64 v[2:3], v[2:3], v[6:7]
	v_add_co_u32 v6, vcc_lo, v71, v29
	v_add_co_ci_u32_e64 v7, null, v72, v30, vcc_lo
	s_and_b32 vcc_lo, exec_lo, s6
	global_store_dwordx2 v[6:7], v[2:3], off
	s_cbranch_vccnz .LBB198_137
; %bb.136:
	v_add_co_u32 v0, vcc_lo, v12, v31
	v_add_co_ci_u32_e64 v1, null, v73, v32, vcc_lo
	global_load_dwordx2 v[0:1], v[0:1], off
	s_waitcnt vmcnt(0)
	v_mul_f64 v[0:1], s[14:15], v[0:1]
.LBB198_137:
	s_clause 0x1
	buffer_load_dword v2, off, s[0:3], 0 offset:384
	buffer_load_dword v3, off, s[0:3], 0 offset:388
	s_waitcnt vmcnt(2)
	v_add_f64 v[4:5], v[4:5], v[0:1]
	v_add_co_u32 v8, vcc_lo, v71, v31
	v_mov_b32_e32 v0, 0
	v_mov_b32_e32 v6, 0
	v_add_co_ci_u32_e64 v9, null, v72, v32, vcc_lo
	v_mov_b32_e32 v1, 0
	v_mov_b32_e32 v7, 0
	s_and_b32 vcc_lo, exec_lo, s6
	global_store_dwordx2 v[8:9], v[4:5], off
	s_cbranch_vccnz .LBB198_139
; %bb.138:
	v_add_co_u32 v4, vcc_lo, v12, v33
	v_add_co_ci_u32_e64 v5, null, v73, v34, vcc_lo
	global_load_dwordx2 v[4:5], v[4:5], off
	s_waitcnt vmcnt(0)
	v_mul_f64 v[6:7], s[14:15], v[4:5]
.LBB198_139:
	s_clause 0x1
	buffer_load_dword v4, off, s[0:3], 0 offset:392
	buffer_load_dword v5, off, s[0:3], 0 offset:396
	s_waitcnt vmcnt(2)
	v_add_f64 v[2:3], v[2:3], v[6:7]
	v_add_co_u32 v6, vcc_lo, v71, v33
	v_add_co_ci_u32_e64 v7, null, v72, v34, vcc_lo
	s_and_b32 vcc_lo, exec_lo, s6
	global_store_dwordx2 v[6:7], v[2:3], off
	s_cbranch_vccnz .LBB198_141
; %bb.140:
	v_add_co_u32 v0, vcc_lo, v12, v35
	v_add_co_ci_u32_e64 v1, null, v73, v36, vcc_lo
	global_load_dwordx2 v[0:1], v[0:1], off
	s_waitcnt vmcnt(0)
	v_mul_f64 v[0:1], s[14:15], v[0:1]
.LBB198_141:
	s_clause 0x1
	buffer_load_dword v2, off, s[0:3], 0 offset:400
	buffer_load_dword v3, off, s[0:3], 0 offset:404
	s_waitcnt vmcnt(2)
	v_add_f64 v[4:5], v[4:5], v[0:1]
	v_add_co_u32 v8, vcc_lo, v71, v35
	v_mov_b32_e32 v0, 0
	v_mov_b32_e32 v6, 0
	v_add_co_ci_u32_e64 v9, null, v72, v36, vcc_lo
	v_mov_b32_e32 v1, 0
	v_mov_b32_e32 v7, 0
	s_and_b32 vcc_lo, exec_lo, s6
	global_store_dwordx2 v[8:9], v[4:5], off
	s_cbranch_vccnz .LBB198_143
; %bb.142:
	v_add_co_u32 v4, vcc_lo, v12, v37
	v_add_co_ci_u32_e64 v5, null, v73, v38, vcc_lo
	global_load_dwordx2 v[4:5], v[4:5], off
	s_waitcnt vmcnt(0)
	v_mul_f64 v[6:7], s[14:15], v[4:5]
.LBB198_143:
	s_clause 0x1
	buffer_load_dword v4, off, s[0:3], 0 offset:408
	buffer_load_dword v5, off, s[0:3], 0 offset:412
	s_waitcnt vmcnt(2)
	v_add_f64 v[2:3], v[2:3], v[6:7]
	v_add_co_u32 v6, vcc_lo, v71, v37
	v_add_co_ci_u32_e64 v7, null, v72, v38, vcc_lo
	s_and_b32 vcc_lo, exec_lo, s6
	global_store_dwordx2 v[6:7], v[2:3], off
	s_cbranch_vccnz .LBB198_145
; %bb.144:
	v_add_co_u32 v0, vcc_lo, v12, v39
	v_add_co_ci_u32_e64 v1, null, v73, v40, vcc_lo
	global_load_dwordx2 v[0:1], v[0:1], off
	s_waitcnt vmcnt(0)
	v_mul_f64 v[0:1], s[14:15], v[0:1]
.LBB198_145:
	s_clause 0x1
	buffer_load_dword v2, off, s[0:3], 0 offset:416
	buffer_load_dword v3, off, s[0:3], 0 offset:420
	s_waitcnt vmcnt(2)
	v_add_f64 v[4:5], v[4:5], v[0:1]
	v_add_co_u32 v8, vcc_lo, v71, v39
	v_mov_b32_e32 v0, 0
	v_mov_b32_e32 v6, 0
	v_add_co_ci_u32_e64 v9, null, v72, v40, vcc_lo
	v_mov_b32_e32 v1, 0
	v_mov_b32_e32 v7, 0
	s_and_b32 vcc_lo, exec_lo, s6
	global_store_dwordx2 v[8:9], v[4:5], off
	s_cbranch_vccnz .LBB198_147
; %bb.146:
	v_add_co_u32 v4, vcc_lo, v12, v41
	v_add_co_ci_u32_e64 v5, null, v73, v42, vcc_lo
	global_load_dwordx2 v[4:5], v[4:5], off
	s_waitcnt vmcnt(0)
	v_mul_f64 v[6:7], s[14:15], v[4:5]
.LBB198_147:
	s_clause 0x1
	buffer_load_dword v4, off, s[0:3], 0 offset:424
	buffer_load_dword v5, off, s[0:3], 0 offset:428
	s_waitcnt vmcnt(2)
	v_add_f64 v[2:3], v[2:3], v[6:7]
	v_add_co_u32 v6, vcc_lo, v71, v41
	v_add_co_ci_u32_e64 v7, null, v72, v42, vcc_lo
	s_and_b32 vcc_lo, exec_lo, s6
	global_store_dwordx2 v[6:7], v[2:3], off
	s_cbranch_vccnz .LBB198_149
; %bb.148:
	v_add_co_u32 v0, vcc_lo, v12, v43
	v_add_co_ci_u32_e64 v1, null, v73, v44, vcc_lo
	global_load_dwordx2 v[0:1], v[0:1], off
	s_waitcnt vmcnt(0)
	v_mul_f64 v[0:1], s[14:15], v[0:1]
.LBB198_149:
	s_clause 0x1
	buffer_load_dword v2, off, s[0:3], 0 offset:432
	buffer_load_dword v3, off, s[0:3], 0 offset:436
	s_waitcnt vmcnt(2)
	v_add_f64 v[4:5], v[4:5], v[0:1]
	v_add_co_u32 v8, vcc_lo, v71, v43
	v_mov_b32_e32 v0, 0
	v_mov_b32_e32 v6, 0
	v_add_co_ci_u32_e64 v9, null, v72, v44, vcc_lo
	v_mov_b32_e32 v1, 0
	v_mov_b32_e32 v7, 0
	s_and_b32 vcc_lo, exec_lo, s6
	global_store_dwordx2 v[8:9], v[4:5], off
	s_cbranch_vccnz .LBB198_151
; %bb.150:
	v_add_co_u32 v4, vcc_lo, v12, v45
	v_add_co_ci_u32_e64 v5, null, v73, v46, vcc_lo
	global_load_dwordx2 v[4:5], v[4:5], off
	s_waitcnt vmcnt(0)
	v_mul_f64 v[6:7], s[14:15], v[4:5]
.LBB198_151:
	s_clause 0x1
	buffer_load_dword v4, off, s[0:3], 0 offset:440
	buffer_load_dword v5, off, s[0:3], 0 offset:444
	s_waitcnt vmcnt(2)
	v_add_f64 v[2:3], v[2:3], v[6:7]
	v_add_co_u32 v6, vcc_lo, v71, v45
	v_add_co_ci_u32_e64 v7, null, v72, v46, vcc_lo
	s_and_b32 vcc_lo, exec_lo, s6
	global_store_dwordx2 v[6:7], v[2:3], off
	s_cbranch_vccnz .LBB198_153
; %bb.152:
	v_add_co_u32 v0, vcc_lo, v12, v47
	v_add_co_ci_u32_e64 v1, null, v73, v48, vcc_lo
	global_load_dwordx2 v[0:1], v[0:1], off
	s_waitcnt vmcnt(0)
	v_mul_f64 v[0:1], s[14:15], v[0:1]
.LBB198_153:
	s_clause 0x1
	buffer_load_dword v2, off, s[0:3], 0 offset:448
	buffer_load_dword v3, off, s[0:3], 0 offset:452
	s_waitcnt vmcnt(2)
	v_add_f64 v[4:5], v[4:5], v[0:1]
	v_add_co_u32 v8, vcc_lo, v71, v47
	v_mov_b32_e32 v0, 0
	v_mov_b32_e32 v6, 0
	v_add_co_ci_u32_e64 v9, null, v72, v48, vcc_lo
	v_mov_b32_e32 v1, 0
	v_mov_b32_e32 v7, 0
	s_and_b32 vcc_lo, exec_lo, s6
	global_store_dwordx2 v[8:9], v[4:5], off
	s_cbranch_vccnz .LBB198_155
; %bb.154:
	v_add_co_u32 v4, vcc_lo, v12, v49
	v_add_co_ci_u32_e64 v5, null, v73, v50, vcc_lo
	global_load_dwordx2 v[4:5], v[4:5], off
	s_waitcnt vmcnt(0)
	v_mul_f64 v[6:7], s[14:15], v[4:5]
.LBB198_155:
	s_clause 0x1
	buffer_load_dword v4, off, s[0:3], 0 offset:456
	buffer_load_dword v5, off, s[0:3], 0 offset:460
	s_waitcnt vmcnt(2)
	v_add_f64 v[2:3], v[2:3], v[6:7]
	v_add_co_u32 v6, vcc_lo, v71, v49
	v_add_co_ci_u32_e64 v7, null, v72, v50, vcc_lo
	s_and_b32 vcc_lo, exec_lo, s6
	global_store_dwordx2 v[6:7], v[2:3], off
	s_cbranch_vccnz .LBB198_157
; %bb.156:
	v_add_co_u32 v0, vcc_lo, v12, v51
	v_add_co_ci_u32_e64 v1, null, v73, v52, vcc_lo
	global_load_dwordx2 v[0:1], v[0:1], off
	s_waitcnt vmcnt(0)
	v_mul_f64 v[0:1], s[14:15], v[0:1]
.LBB198_157:
	s_clause 0x1
	buffer_load_dword v2, off, s[0:3], 0 offset:464
	buffer_load_dword v3, off, s[0:3], 0 offset:468
	s_waitcnt vmcnt(2)
	v_add_f64 v[4:5], v[4:5], v[0:1]
	v_add_co_u32 v8, vcc_lo, v71, v51
	v_mov_b32_e32 v0, 0
	v_mov_b32_e32 v6, 0
	v_add_co_ci_u32_e64 v9, null, v72, v52, vcc_lo
	v_mov_b32_e32 v1, 0
	v_mov_b32_e32 v7, 0
	s_and_b32 vcc_lo, exec_lo, s6
	global_store_dwordx2 v[8:9], v[4:5], off
	s_cbranch_vccnz .LBB198_159
; %bb.158:
	v_add_co_u32 v4, vcc_lo, v12, v53
	v_add_co_ci_u32_e64 v5, null, v73, v54, vcc_lo
	global_load_dwordx2 v[4:5], v[4:5], off
	s_waitcnt vmcnt(0)
	v_mul_f64 v[6:7], s[14:15], v[4:5]
.LBB198_159:
	s_clause 0x1
	buffer_load_dword v4, off, s[0:3], 0 offset:472
	buffer_load_dword v5, off, s[0:3], 0 offset:476
	s_waitcnt vmcnt(2)
	v_add_f64 v[2:3], v[2:3], v[6:7]
	v_add_co_u32 v6, vcc_lo, v71, v53
	v_add_co_ci_u32_e64 v7, null, v72, v54, vcc_lo
	s_and_b32 vcc_lo, exec_lo, s6
	global_store_dwordx2 v[6:7], v[2:3], off
	s_cbranch_vccnz .LBB198_161
; %bb.160:
	v_add_co_u32 v0, vcc_lo, v12, v55
	v_add_co_ci_u32_e64 v1, null, v73, v56, vcc_lo
	global_load_dwordx2 v[0:1], v[0:1], off
	s_waitcnt vmcnt(0)
	v_mul_f64 v[0:1], s[14:15], v[0:1]
.LBB198_161:
	s_clause 0x1
	buffer_load_dword v2, off, s[0:3], 0 offset:480
	buffer_load_dword v3, off, s[0:3], 0 offset:484
	s_waitcnt vmcnt(2)
	v_add_f64 v[4:5], v[4:5], v[0:1]
	v_add_co_u32 v8, vcc_lo, v71, v55
	v_mov_b32_e32 v0, 0
	v_mov_b32_e32 v6, 0
	v_add_co_ci_u32_e64 v9, null, v72, v56, vcc_lo
	v_mov_b32_e32 v1, 0
	v_mov_b32_e32 v7, 0
	s_and_b32 vcc_lo, exec_lo, s6
	global_store_dwordx2 v[8:9], v[4:5], off
	s_cbranch_vccnz .LBB198_163
; %bb.162:
	v_add_co_u32 v4, vcc_lo, v12, v57
	v_add_co_ci_u32_e64 v5, null, v73, v58, vcc_lo
	global_load_dwordx2 v[4:5], v[4:5], off
	s_waitcnt vmcnt(0)
	v_mul_f64 v[6:7], s[14:15], v[4:5]
.LBB198_163:
	s_clause 0x1
	buffer_load_dword v4, off, s[0:3], 0 offset:488
	buffer_load_dword v5, off, s[0:3], 0 offset:492
	s_waitcnt vmcnt(2)
	v_add_f64 v[2:3], v[2:3], v[6:7]
	v_add_co_u32 v6, vcc_lo, v71, v57
	v_add_co_ci_u32_e64 v7, null, v72, v58, vcc_lo
	s_and_b32 vcc_lo, exec_lo, s6
	global_store_dwordx2 v[6:7], v[2:3], off
	s_cbranch_vccnz .LBB198_165
; %bb.164:
	v_add_co_u32 v0, vcc_lo, v12, v59
	v_add_co_ci_u32_e64 v1, null, v73, v60, vcc_lo
	global_load_dwordx2 v[0:1], v[0:1], off
	s_waitcnt vmcnt(0)
	v_mul_f64 v[0:1], s[14:15], v[0:1]
.LBB198_165:
	s_clause 0x1
	buffer_load_dword v2, off, s[0:3], 0 offset:496
	buffer_load_dword v3, off, s[0:3], 0 offset:500
	s_waitcnt vmcnt(2)
	v_add_f64 v[4:5], v[4:5], v[0:1]
	v_add_co_u32 v8, vcc_lo, v71, v59
	v_mov_b32_e32 v0, 0
	v_mov_b32_e32 v6, 0
	v_add_co_ci_u32_e64 v9, null, v72, v60, vcc_lo
	v_mov_b32_e32 v1, 0
	v_mov_b32_e32 v7, 0
	s_and_b32 vcc_lo, exec_lo, s6
	global_store_dwordx2 v[8:9], v[4:5], off
	s_cbranch_vccnz .LBB198_167
; %bb.166:
	v_add_co_u32 v4, vcc_lo, v12, v61
	v_add_co_ci_u32_e64 v5, null, v73, v62, vcc_lo
	global_load_dwordx2 v[4:5], v[4:5], off
	s_waitcnt vmcnt(0)
	v_mul_f64 v[6:7], s[14:15], v[4:5]
.LBB198_167:
	s_clause 0x1
	buffer_load_dword v4, off, s[0:3], 0 offset:504
	buffer_load_dword v5, off, s[0:3], 0 offset:508
	s_waitcnt vmcnt(2)
	v_add_f64 v[2:3], v[2:3], v[6:7]
	v_add_co_u32 v6, vcc_lo, v71, v61
	v_add_co_ci_u32_e64 v7, null, v72, v62, vcc_lo
	s_and_b32 vcc_lo, exec_lo, s6
	global_store_dwordx2 v[6:7], v[2:3], off
	s_cbranch_vccnz .LBB198_169
; %bb.168:
	v_add_co_u32 v0, vcc_lo, v12, v63
	v_add_co_ci_u32_e64 v1, null, v73, v64, vcc_lo
	global_load_dwordx2 v[0:1], v[0:1], off
	s_waitcnt vmcnt(0)
	v_mul_f64 v[0:1], s[14:15], v[0:1]
.LBB198_169:
	s_waitcnt vmcnt(0)
	v_add_f64 v[0:1], v[4:5], v[0:1]
	v_add_co_u32 v2, vcc_lo, v71, v63
	v_add_co_ci_u32_e64 v3, null, v72, v64, vcc_lo
	global_store_dwordx2 v[2:3], v[0:1], off
	s_endpgm
	.section	.rodata,"a",@progbits
	.p2align	6, 0x0
	.amdhsa_kernel _ZN12_GLOBAL__N_120geam_min_plus_kernelIdddLi4ELi64ELi128ELi128ELi4ELi4ELi64ELi64ELi4ELc84ELc84ELb0ELb0ELb0EPKdS1_dEEviiiT16_PT17_ilS5_ilS3_S5_ilPT18_ili26rocblas_geam_ex_operation_
		.amdhsa_group_segment_fixed_size 16384
		.amdhsa_private_segment_fixed_size 528
		.amdhsa_kernarg_size 136
		.amdhsa_user_sgpr_count 6
		.amdhsa_user_sgpr_private_segment_buffer 1
		.amdhsa_user_sgpr_dispatch_ptr 0
		.amdhsa_user_sgpr_queue_ptr 0
		.amdhsa_user_sgpr_kernarg_segment_ptr 1
		.amdhsa_user_sgpr_dispatch_id 0
		.amdhsa_user_sgpr_flat_scratch_init 0
		.amdhsa_user_sgpr_private_segment_size 0
		.amdhsa_wavefront_size32 1
		.amdhsa_uses_dynamic_stack 0
		.amdhsa_system_sgpr_private_segment_wavefront_offset 1
		.amdhsa_system_sgpr_workgroup_id_x 1
		.amdhsa_system_sgpr_workgroup_id_y 0
		.amdhsa_system_sgpr_workgroup_id_z 1
		.amdhsa_system_sgpr_workgroup_info 0
		.amdhsa_system_vgpr_workitem_id 1
		.amdhsa_next_free_vgpr 227
		.amdhsa_next_free_sgpr 30
		.amdhsa_reserve_vcc 1
		.amdhsa_reserve_flat_scratch 0
		.amdhsa_float_round_mode_32 0
		.amdhsa_float_round_mode_16_64 0
		.amdhsa_float_denorm_mode_32 3
		.amdhsa_float_denorm_mode_16_64 3
		.amdhsa_dx10_clamp 1
		.amdhsa_ieee_mode 1
		.amdhsa_fp16_overflow 0
		.amdhsa_workgroup_processor_mode 1
		.amdhsa_memory_ordered 1
		.amdhsa_forward_progress 1
		.amdhsa_shared_vgpr_count 0
		.amdhsa_exception_fp_ieee_invalid_op 0
		.amdhsa_exception_fp_denorm_src 0
		.amdhsa_exception_fp_ieee_div_zero 0
		.amdhsa_exception_fp_ieee_overflow 0
		.amdhsa_exception_fp_ieee_underflow 0
		.amdhsa_exception_fp_ieee_inexact 0
		.amdhsa_exception_int_div_zero 0
	.end_amdhsa_kernel
	.section	.text._ZN12_GLOBAL__N_120geam_min_plus_kernelIdddLi4ELi64ELi128ELi128ELi4ELi4ELi64ELi64ELi4ELc84ELc84ELb0ELb0ELb0EPKdS1_dEEviiiT16_PT17_ilS5_ilS3_S5_ilPT18_ili26rocblas_geam_ex_operation_,"axG",@progbits,_ZN12_GLOBAL__N_120geam_min_plus_kernelIdddLi4ELi64ELi128ELi128ELi4ELi4ELi64ELi64ELi4ELc84ELc84ELb0ELb0ELb0EPKdS1_dEEviiiT16_PT17_ilS5_ilS3_S5_ilPT18_ili26rocblas_geam_ex_operation_,comdat
.Lfunc_end198:
	.size	_ZN12_GLOBAL__N_120geam_min_plus_kernelIdddLi4ELi64ELi128ELi128ELi4ELi4ELi64ELi64ELi4ELc84ELc84ELb0ELb0ELb0EPKdS1_dEEviiiT16_PT17_ilS5_ilS3_S5_ilPT18_ili26rocblas_geam_ex_operation_, .Lfunc_end198-_ZN12_GLOBAL__N_120geam_min_plus_kernelIdddLi4ELi64ELi128ELi128ELi4ELi4ELi64ELi64ELi4ELc84ELc84ELb0ELb0ELb0EPKdS1_dEEviiiT16_PT17_ilS5_ilS3_S5_ilPT18_ili26rocblas_geam_ex_operation_
                                        ; -- End function
	.set _ZN12_GLOBAL__N_120geam_min_plus_kernelIdddLi4ELi64ELi128ELi128ELi4ELi4ELi64ELi64ELi4ELc84ELc84ELb0ELb0ELb0EPKdS1_dEEviiiT16_PT17_ilS5_ilS3_S5_ilPT18_ili26rocblas_geam_ex_operation_.num_vgpr, 227
	.set _ZN12_GLOBAL__N_120geam_min_plus_kernelIdddLi4ELi64ELi128ELi128ELi4ELi4ELi64ELi64ELi4ELc84ELc84ELb0ELb0ELb0EPKdS1_dEEviiiT16_PT17_ilS5_ilS3_S5_ilPT18_ili26rocblas_geam_ex_operation_.num_agpr, 0
	.set _ZN12_GLOBAL__N_120geam_min_plus_kernelIdddLi4ELi64ELi128ELi128ELi4ELi4ELi64ELi64ELi4ELc84ELc84ELb0ELb0ELb0EPKdS1_dEEviiiT16_PT17_ilS5_ilS3_S5_ilPT18_ili26rocblas_geam_ex_operation_.numbered_sgpr, 30
	.set _ZN12_GLOBAL__N_120geam_min_plus_kernelIdddLi4ELi64ELi128ELi128ELi4ELi4ELi64ELi64ELi4ELc84ELc84ELb0ELb0ELb0EPKdS1_dEEviiiT16_PT17_ilS5_ilS3_S5_ilPT18_ili26rocblas_geam_ex_operation_.num_named_barrier, 0
	.set _ZN12_GLOBAL__N_120geam_min_plus_kernelIdddLi4ELi64ELi128ELi128ELi4ELi4ELi64ELi64ELi4ELc84ELc84ELb0ELb0ELb0EPKdS1_dEEviiiT16_PT17_ilS5_ilS3_S5_ilPT18_ili26rocblas_geam_ex_operation_.private_seg_size, 528
	.set _ZN12_GLOBAL__N_120geam_min_plus_kernelIdddLi4ELi64ELi128ELi128ELi4ELi4ELi64ELi64ELi4ELc84ELc84ELb0ELb0ELb0EPKdS1_dEEviiiT16_PT17_ilS5_ilS3_S5_ilPT18_ili26rocblas_geam_ex_operation_.uses_vcc, 1
	.set _ZN12_GLOBAL__N_120geam_min_plus_kernelIdddLi4ELi64ELi128ELi128ELi4ELi4ELi64ELi64ELi4ELc84ELc84ELb0ELb0ELb0EPKdS1_dEEviiiT16_PT17_ilS5_ilS3_S5_ilPT18_ili26rocblas_geam_ex_operation_.uses_flat_scratch, 0
	.set _ZN12_GLOBAL__N_120geam_min_plus_kernelIdddLi4ELi64ELi128ELi128ELi4ELi4ELi64ELi64ELi4ELc84ELc84ELb0ELb0ELb0EPKdS1_dEEviiiT16_PT17_ilS5_ilS3_S5_ilPT18_ili26rocblas_geam_ex_operation_.has_dyn_sized_stack, 0
	.set _ZN12_GLOBAL__N_120geam_min_plus_kernelIdddLi4ELi64ELi128ELi128ELi4ELi4ELi64ELi64ELi4ELc84ELc84ELb0ELb0ELb0EPKdS1_dEEviiiT16_PT17_ilS5_ilS3_S5_ilPT18_ili26rocblas_geam_ex_operation_.has_recursion, 0
	.set _ZN12_GLOBAL__N_120geam_min_plus_kernelIdddLi4ELi64ELi128ELi128ELi4ELi4ELi64ELi64ELi4ELc84ELc84ELb0ELb0ELb0EPKdS1_dEEviiiT16_PT17_ilS5_ilS3_S5_ilPT18_ili26rocblas_geam_ex_operation_.has_indirect_call, 0
	.section	.AMDGPU.csdata,"",@progbits
; Kernel info:
; codeLenInByte = 19264
; TotalNumSgprs: 32
; NumVgprs: 227
; ScratchSize: 528
; MemoryBound: 1
; FloatMode: 240
; IeeeMode: 1
; LDSByteSize: 16384 bytes/workgroup (compile time only)
; SGPRBlocks: 0
; VGPRBlocks: 28
; NumSGPRsForWavesPerEU: 32
; NumVGPRsForWavesPerEU: 227
; Occupancy: 4
; WaveLimiterHint : 1
; COMPUTE_PGM_RSRC2:SCRATCH_EN: 1
; COMPUTE_PGM_RSRC2:USER_SGPR: 6
; COMPUTE_PGM_RSRC2:TRAP_HANDLER: 0
; COMPUTE_PGM_RSRC2:TGID_X_EN: 1
; COMPUTE_PGM_RSRC2:TGID_Y_EN: 0
; COMPUTE_PGM_RSRC2:TGID_Z_EN: 1
; COMPUTE_PGM_RSRC2:TIDIG_COMP_CNT: 1
	.section	.text._ZN12_GLOBAL__N_120geam_min_plus_kernelIdddLi4ELi64ELi128ELi128ELi4ELi4ELi64ELi64ELi4ELc84ELc84ELb1ELb0ELb0EdKddEEviiiT16_PT17_ilS4_ilS2_S4_ilPT18_ili26rocblas_geam_ex_operation_,"axG",@progbits,_ZN12_GLOBAL__N_120geam_min_plus_kernelIdddLi4ELi64ELi128ELi128ELi4ELi4ELi64ELi64ELi4ELc84ELc84ELb1ELb0ELb0EdKddEEviiiT16_PT17_ilS4_ilS2_S4_ilPT18_ili26rocblas_geam_ex_operation_,comdat
	.globl	_ZN12_GLOBAL__N_120geam_min_plus_kernelIdddLi4ELi64ELi128ELi128ELi4ELi4ELi64ELi64ELi4ELc84ELc84ELb1ELb0ELb0EdKddEEviiiT16_PT17_ilS4_ilS2_S4_ilPT18_ili26rocblas_geam_ex_operation_ ; -- Begin function _ZN12_GLOBAL__N_120geam_min_plus_kernelIdddLi4ELi64ELi128ELi128ELi4ELi4ELi64ELi64ELi4ELc84ELc84ELb1ELb0ELb0EdKddEEviiiT16_PT17_ilS4_ilS2_S4_ilPT18_ili26rocblas_geam_ex_operation_
	.p2align	8
	.type	_ZN12_GLOBAL__N_120geam_min_plus_kernelIdddLi4ELi64ELi128ELi128ELi4ELi4ELi64ELi64ELi4ELc84ELc84ELb1ELb0ELb0EdKddEEviiiT16_PT17_ilS4_ilS2_S4_ilPT18_ili26rocblas_geam_ex_operation_,@function
_ZN12_GLOBAL__N_120geam_min_plus_kernelIdddLi4ELi64ELi128ELi128ELi4ELi4ELi64ELi64ELi4ELc84ELc84ELb1ELb0ELb0EdKddEEviiiT16_PT17_ilS4_ilS2_S4_ilPT18_ili26rocblas_geam_ex_operation_: ; @_ZN12_GLOBAL__N_120geam_min_plus_kernelIdddLi4ELi64ELi128ELi128ELi4ELi4ELi64ELi64ELi4ELc84ELc84ELb1ELb0ELb0EdKddEEviiiT16_PT17_ilS4_ilS2_S4_ilPT18_ili26rocblas_geam_ex_operation_
; %bb.0:
	s_add_u32 s0, s0, s8
	s_clause 0x1
	s_load_dwordx4 s[8:11], s[4:5], 0x10
	s_load_dwordx4 s[12:15], s[4:5], 0x28
	s_addc_u32 s1, s1, 0
	s_mov_b64 s[18:19], 0
	s_waitcnt lgkmcnt(0)
	v_cmp_eq_f64_e64 s16, s[8:9], 0
	s_and_b32 vcc_lo, exec_lo, s16
	s_cbranch_vccnz .LBB199_2
; %bb.1:
	s_mul_i32 s8, s13, s7
	s_mul_hi_u32 s9, s12, s7
	s_add_i32 s9, s9, s8
	s_mul_i32 s8, s12, s7
	s_lshl_b64 s[8:9], s[8:9], 3
	s_add_u32 s18, s10, s8
	s_addc_u32 s19, s11, s9
.LBB199_2:
	s_clause 0x1
	s_load_dwordx4 s[8:11], s[4:5], 0x40
	s_load_dwordx2 s[22:23], s[4:5], 0x50
	s_andn2_b32 vcc_lo, exec_lo, s16
	s_mov_b32 s12, -1
	s_cbranch_vccz .LBB199_154
; %bb.3:
	s_mov_b64 s[16:17], 0
	s_andn2_b32 vcc_lo, exec_lo, s12
	s_mov_b64 s[20:21], 0
	s_cbranch_vccz .LBB199_155
.LBB199_4:
	s_waitcnt lgkmcnt(0)
	v_cmp_eq_f64_e64 s8, s[10:11], 0
	s_load_dwordx4 s[12:15], s[4:5], 0x60
	s_and_b32 vcc_lo, exec_lo, s8
	s_cbranch_vccnz .LBB199_6
.LBB199_5:
	s_waitcnt lgkmcnt(0)
	s_mul_i32 s8, s13, s7
	s_mul_hi_u32 s9, s12, s7
	s_add_i32 s9, s9, s8
	s_mul_i32 s8, s12, s7
	s_lshl_b64 s[8:9], s[8:9], 3
	s_add_u32 s16, s22, s8
	s_addc_u32 s17, s23, s9
.LBB199_6:
	s_load_dword s8, s[4:5], 0x0
	s_waitcnt lgkmcnt(0)
	s_clause 0x1
	s_load_dword s12, s[4:5], 0x20
	s_load_dword s13, s[4:5], 0x38
	v_lshl_add_u32 v3, v1, 2, v0
	v_and_b32_e32 v88, 3, v0
	v_lshlrev_b32_e32 v91, 5, v0
	v_lshl_or_b32 v92, v1, 5, 0x2000
	v_lshrrev_b32_e32 v89, 6, v3
	v_lshlrev_b32_e32 v24, 3, v88
	v_lshrrev_b32_e32 v22, 2, v3
	v_and_b32_e32 v23, 63, v3
	v_add_nc_u32_e32 v90, 4, v89
	v_lshl_or_b32 v93, v22, 5, v24
	s_add_i32 s8, s8, -1
	s_ashr_i32 s9, s8, 31
	s_waitcnt lgkmcnt(0)
	v_mad_i64_i32 v[4:5], null, s13, v90, 0
	s_lshr_b32 s9, s9, 25
	s_add_i32 s8, s8, s9
	s_ashr_i32 s22, s8, 7
	s_mov_b32 s8, 0
	s_add_i32 s9, s22, 1
	s_not_b32 s22, s22
	v_cvt_f32_u32_e32 v2, s9
	s_addk_i32 s8, 0x100
	v_lshlrev_b64 v[4:5], 3, v[4:5]
	v_rcp_iflag_f32_e32 v2, v2
	v_mul_f32_e32 v2, 0x4f7ffffe, v2
	v_cvt_u32_f32_e32 v2, v2
	v_readfirstlane_b32 s23, v2
	v_mad_i64_i32 v[2:3], null, s13, v89, 0
	s_mul_i32 s22, s22, s23
	s_mul_hi_u32 s22, s23, s22
	s_add_i32 s23, s23, s22
	s_ashr_i32 s22, s13, 31
	s_mul_hi_u32 s23, s6, s23
	v_lshlrev_b64 v[2:3], 3, v[2:3]
	s_mul_i32 s24, s23, s9
	s_add_i32 s25, s23, 1
	s_sub_i32 s24, s6, s24
	s_sub_i32 s26, s24, s9
	s_cmp_ge_u32 s24, s9
	v_add_co_u32 v12, vcc_lo, s20, v2
	s_cselect_b32 s23, s25, s23
	s_cselect_b32 s24, s26, s24
	s_add_i32 s25, s23, 1
	s_cmp_ge_u32 s24, s9
	v_add_co_u32 v10, s24, s18, v24
	s_cselect_b32 s23, s25, s23
	v_add_co_ci_u32_e64 v11, null, s19, 0, s24
	s_mul_i32 s24, s23, s9
	s_lshl_b32 s9, s23, 7
	s_sub_i32 s6, s6, s24
	v_or_b32_e32 v6, s9, v23
	s_lshl_b32 s6, s6, 7
	v_add_co_ci_u32_e64 v13, null, s21, v3, vcc_lo
	v_add_nc_u32_e32 v8, s6, v22
	v_ashrrev_i32_e32 v7, 31, v6
	v_add_co_u32 v14, vcc_lo, s20, v4
	v_add_co_ci_u32_e64 v15, null, s21, v5, vcc_lo
	v_add_nc_u32_e32 v9, 64, v8
	v_mad_i64_i32 v[2:3], null, v8, s12, 0
	v_lshlrev_b64 v[6:7], 3, v[6:7]
	s_mov_b32 s23, 0
	v_mad_i64_i32 v[8:9], null, v9, s12, 0
	v_cmp_neq_f64_e64 s12, s[10:11], 0
	v_lshlrev_b64 v[70:71], 3, v[2:3]
	v_add_co_u32 v2, vcc_lo, v12, v6
	v_add_co_ci_u32_e64 v3, null, v13, v7, vcc_lo
	v_lshlrev_b64 v[72:73], 3, v[8:9]
	v_add_co_u32 v4, vcc_lo, v10, v70
	v_add_co_ci_u32_e64 v5, null, v11, v71, vcc_lo
	v_add_co_u32 v12, vcc_lo, v10, v72
	v_add_co_ci_u32_e64 v13, null, v11, v73, vcc_lo
	;; [unrolled: 2-line block ×3, first 2 shown]
	s_clause 0x1
	global_load_dwordx2 v[16:17], v[2:3], off
	global_load_dwordx2 v[2:3], v[2:3], off offset:512
	s_clause 0x1
	global_load_dwordx2 v[18:19], v[4:5], off
	global_load_dwordx2 v[20:21], v[12:13], off
	s_clause 0x1
	global_load_dwordx2 v[8:9], v[10:11], off
	global_load_dwordx2 v[10:11], v[10:11], off offset:512
	s_clause 0x1
	global_load_dwordx2 v[12:13], v[12:13], off offset:32
	global_load_dwordx2 v[14:15], v[4:5], off offset:32
	v_lshlrev_b32_e32 v5, 3, v89
	v_mov_b32_e32 v4, 0
	buffer_store_dword v4, off, s[0:3], 0 offset:4
	buffer_store_dword v4, off, s[0:3], 0
	buffer_store_dword v4, off, s[0:3], 0 offset:12
	buffer_store_dword v4, off, s[0:3], 0 offset:8
	buffer_store_dword v4, off, s[0:3], 0 offset:20
	buffer_store_dword v4, off, s[0:3], 0 offset:16
	buffer_store_dword v4, off, s[0:3], 0 offset:28
	buffer_store_dword v4, off, s[0:3], 0 offset:24
	buffer_store_dword v4, off, s[0:3], 0 offset:36
	buffer_store_dword v4, off, s[0:3], 0 offset:32
	buffer_store_dword v4, off, s[0:3], 0 offset:44
	buffer_store_dword v4, off, s[0:3], 0 offset:40
	buffer_store_dword v4, off, s[0:3], 0 offset:52
	buffer_store_dword v4, off, s[0:3], 0 offset:48
	buffer_store_dword v4, off, s[0:3], 0 offset:60
	buffer_store_dword v4, off, s[0:3], 0 offset:56
	buffer_store_dword v4, off, s[0:3], 0 offset:68
	buffer_store_dword v4, off, s[0:3], 0 offset:64
	buffer_store_dword v4, off, s[0:3], 0 offset:76
	buffer_store_dword v4, off, s[0:3], 0 offset:72
	buffer_store_dword v4, off, s[0:3], 0 offset:84
	buffer_store_dword v4, off, s[0:3], 0 offset:80
	buffer_store_dword v4, off, s[0:3], 0 offset:92
	buffer_store_dword v4, off, s[0:3], 0 offset:88
	buffer_store_dword v4, off, s[0:3], 0 offset:100
	buffer_store_dword v4, off, s[0:3], 0 offset:96
	buffer_store_dword v4, off, s[0:3], 0 offset:108
	buffer_store_dword v4, off, s[0:3], 0 offset:104
	buffer_store_dword v4, off, s[0:3], 0 offset:116
	buffer_store_dword v4, off, s[0:3], 0 offset:112
	buffer_store_dword v4, off, s[0:3], 0 offset:124
	buffer_store_dword v4, off, s[0:3], 0 offset:120
	buffer_store_dword v4, off, s[0:3], 0 offset:132
	buffer_store_dword v4, off, s[0:3], 0 offset:128
	buffer_store_dword v4, off, s[0:3], 0 offset:140
	buffer_store_dword v4, off, s[0:3], 0 offset:136
	buffer_store_dword v4, off, s[0:3], 0 offset:148
	buffer_store_dword v4, off, s[0:3], 0 offset:144
	buffer_store_dword v4, off, s[0:3], 0 offset:156
	buffer_store_dword v4, off, s[0:3], 0 offset:152
	buffer_store_dword v4, off, s[0:3], 0 offset:164
	buffer_store_dword v4, off, s[0:3], 0 offset:160
	buffer_store_dword v4, off, s[0:3], 0 offset:172
	buffer_store_dword v4, off, s[0:3], 0 offset:168
	buffer_store_dword v4, off, s[0:3], 0 offset:180
	buffer_store_dword v4, off, s[0:3], 0 offset:176
	buffer_store_dword v4, off, s[0:3], 0 offset:188
	buffer_store_dword v4, off, s[0:3], 0 offset:184
	buffer_store_dword v4, off, s[0:3], 0 offset:196
	buffer_store_dword v4, off, s[0:3], 0 offset:192
	buffer_store_dword v4, off, s[0:3], 0 offset:204
	buffer_store_dword v4, off, s[0:3], 0 offset:200
	buffer_store_dword v4, off, s[0:3], 0 offset:212
	buffer_store_dword v4, off, s[0:3], 0 offset:208
	buffer_store_dword v4, off, s[0:3], 0 offset:220
	buffer_store_dword v4, off, s[0:3], 0 offset:216
	buffer_store_dword v4, off, s[0:3], 0 offset:228
	buffer_store_dword v4, off, s[0:3], 0 offset:224
	buffer_store_dword v4, off, s[0:3], 0 offset:236
	buffer_store_dword v4, off, s[0:3], 0 offset:232
	buffer_store_dword v4, off, s[0:3], 0 offset:244
	buffer_store_dword v4, off, s[0:3], 0 offset:240
	buffer_store_dword v4, off, s[0:3], 0 offset:252
	buffer_store_dword v4, off, s[0:3], 0 offset:248
	buffer_store_dword v4, off, s[0:3], 0 offset:260
	buffer_store_dword v4, off, s[0:3], 0 offset:256
	buffer_store_dword v4, off, s[0:3], 0 offset:268
	buffer_store_dword v4, off, s[0:3], 0 offset:264
	buffer_store_dword v4, off, s[0:3], 0 offset:276
	buffer_store_dword v4, off, s[0:3], 0 offset:272
	buffer_store_dword v4, off, s[0:3], 0 offset:284
	buffer_store_dword v4, off, s[0:3], 0 offset:280
	buffer_store_dword v4, off, s[0:3], 0 offset:292
	buffer_store_dword v4, off, s[0:3], 0 offset:288
	buffer_store_dword v4, off, s[0:3], 0 offset:300
	buffer_store_dword v4, off, s[0:3], 0 offset:296
	buffer_store_dword v4, off, s[0:3], 0 offset:308
	buffer_store_dword v4, off, s[0:3], 0 offset:304
	buffer_store_dword v4, off, s[0:3], 0 offset:316
	buffer_store_dword v4, off, s[0:3], 0 offset:312
	buffer_store_dword v4, off, s[0:3], 0 offset:324
	buffer_store_dword v4, off, s[0:3], 0 offset:320
	buffer_store_dword v4, off, s[0:3], 0 offset:332
	buffer_store_dword v4, off, s[0:3], 0 offset:328
	buffer_store_dword v4, off, s[0:3], 0 offset:340
	buffer_store_dword v4, off, s[0:3], 0 offset:336
	buffer_store_dword v4, off, s[0:3], 0 offset:348
	buffer_store_dword v4, off, s[0:3], 0 offset:344
	buffer_store_dword v4, off, s[0:3], 0 offset:356
	buffer_store_dword v4, off, s[0:3], 0 offset:352
	buffer_store_dword v4, off, s[0:3], 0 offset:364
	buffer_store_dword v4, off, s[0:3], 0 offset:360
	buffer_store_dword v4, off, s[0:3], 0 offset:372
	buffer_store_dword v4, off, s[0:3], 0 offset:368
	buffer_store_dword v4, off, s[0:3], 0 offset:380
	buffer_store_dword v4, off, s[0:3], 0 offset:376
	buffer_store_dword v4, off, s[0:3], 0 offset:388
	buffer_store_dword v4, off, s[0:3], 0 offset:384
	buffer_store_dword v4, off, s[0:3], 0 offset:396
	buffer_store_dword v4, off, s[0:3], 0 offset:392
	buffer_store_dword v4, off, s[0:3], 0 offset:404
	buffer_store_dword v4, off, s[0:3], 0 offset:400
	buffer_store_dword v4, off, s[0:3], 0 offset:412
	buffer_store_dword v4, off, s[0:3], 0 offset:408
	buffer_store_dword v4, off, s[0:3], 0 offset:420
	buffer_store_dword v4, off, s[0:3], 0 offset:416
	buffer_store_dword v4, off, s[0:3], 0 offset:428
	buffer_store_dword v4, off, s[0:3], 0 offset:424
	buffer_store_dword v4, off, s[0:3], 0 offset:436
	buffer_store_dword v4, off, s[0:3], 0 offset:432
	buffer_store_dword v4, off, s[0:3], 0 offset:444
	buffer_store_dword v4, off, s[0:3], 0 offset:440
	buffer_store_dword v4, off, s[0:3], 0 offset:452
	buffer_store_dword v4, off, s[0:3], 0 offset:448
	buffer_store_dword v4, off, s[0:3], 0 offset:460
	buffer_store_dword v4, off, s[0:3], 0 offset:456
	buffer_store_dword v4, off, s[0:3], 0 offset:468
	buffer_store_dword v4, off, s[0:3], 0 offset:464
	buffer_store_dword v4, off, s[0:3], 0 offset:476
	buffer_store_dword v4, off, s[0:3], 0 offset:472
	buffer_store_dword v4, off, s[0:3], 0 offset:484
	v_lshl_add_u32 v84, v23, 5, v5
	buffer_store_dword v4, off, s[0:3], 0 offset:480
	buffer_store_dword v4, off, s[0:3], 0 offset:492
	;; [unrolled: 1-line block ×7, first 2 shown]
	s_waitcnt vmcnt(6)
	ds_write2st64_b64 v84, v[16:17], v[2:3] offset0:16 offset1:20
	s_waitcnt vmcnt(4)
	ds_write2st64_b64 v93, v[18:19], v[20:21] offset1:4
	v_or_b32_e32 v94, 0x2000, v84
	s_waitcnt vmcnt(0) lgkmcnt(0)
	s_waitcnt_vscnt null, 0x0
	s_barrier
	buffer_gl0_inv
.LBB199_7:                              ; =>This Loop Header: Depth=1
                                        ;     Child Loop BB199_8 Depth 2
	s_lshl_b32 s24, s23, 3
	s_mov_b32 s25, 0
	v_add_nc_u32_e32 v16, s24, v91
	v_add_nc_u32_e32 v85, s24, v92
	s_mov_b32 s24, -1
	ds_read2_b64 v[2:5], v16 offset1:16
	ds_read2_b64 v[20:23], v16 offset0:32 offset1:48
	ds_read2_b64 v[24:27], v16 offset0:64 offset1:80
	ds_read2_b64 v[28:31], v16 offset0:96 offset1:112
	ds_read2_b64 v[32:35], v16 offset0:128 offset1:144
	v_add_nc_u32_e32 v68, 0x800, v16
	ds_read2_b64 v[36:39], v16 offset0:160 offset1:176
	ds_read2_b64 v[40:43], v16 offset0:192 offset1:208
	;; [unrolled: 1-line block ×3, first 2 shown]
	ds_read2_b64 v[48:51], v68 offset1:16
	ds_read2_b64 v[52:55], v68 offset0:32 offset1:48
	ds_read2_b64 v[56:59], v68 offset0:64 offset1:80
	;; [unrolled: 1-line block ×6, first 2 shown]
	s_waitcnt lgkmcnt(9)
	v_max_f64 v[36:37], v[36:37], v[36:37]
	v_max_f64 v[38:39], v[38:39], v[38:39]
	;; [unrolled: 1-line block ×4, first 2 shown]
	ds_read2_b64 v[2:5], v68 offset0:224 offset1:240
	v_max_f64 v[20:21], v[20:21], v[20:21]
	v_max_f64 v[22:23], v[22:23], v[22:23]
	;; [unrolled: 1-line block ×8, first 2 shown]
	s_waitcnt lgkmcnt(9)
	v_max_f64 v[40:41], v[40:41], v[40:41]
	v_max_f64 v[42:43], v[42:43], v[42:43]
	s_waitcnt lgkmcnt(8)
	v_max_f64 v[44:45], v[44:45], v[44:45]
	v_max_f64 v[46:47], v[46:47], v[46:47]
	;; [unrolled: 3-line block ×10, first 2 shown]
	ds_read2st64_b64 v[2:5], v85 offset1:4
.LBB199_8:                              ;   Parent Loop BB199_7 Depth=1
                                        ; =>  This Inner Loop Header: Depth=2
	v_mov_b32_e32 v87, s25
	s_waitcnt lgkmcnt(0)
	v_max_f64 v[157:158], v[2:3], v[2:3]
	v_mov_b32_e32 v2, v4
	v_mov_b32_e32 v3, v5
	s_and_b32 vcc_lo, exec_lo, s24
	s_clause 0x3e
	buffer_load_dword v85, v87, s[0:3], 0 offen
	buffer_load_dword v86, v87, s[0:3], 0 offen offset:4
	buffer_load_dword v95, v87, s[0:3], 0 offen offset:8
	;; [unrolled: 1-line block ×63, first 2 shown]
	s_mov_b32 s24, 0
	s_mov_b32 s25, s8
	v_min_f64 v[159:160], v[16:17], v[157:158]
	v_min_f64 v[161:162], v[18:19], v[157:158]
	v_min_f64 v[163:164], v[20:21], v[157:158]
	v_min_f64 v[165:166], v[22:23], v[157:158]
	v_min_f64 v[167:168], v[24:25], v[157:158]
	v_min_f64 v[169:170], v[26:27], v[157:158]
	v_min_f64 v[171:172], v[28:29], v[157:158]
	v_min_f64 v[173:174], v[30:31], v[157:158]
	v_min_f64 v[175:176], v[32:33], v[157:158]
	v_min_f64 v[177:178], v[34:35], v[157:158]
	v_min_f64 v[179:180], v[36:37], v[157:158]
	v_min_f64 v[181:182], v[38:39], v[157:158]
	v_min_f64 v[183:184], v[40:41], v[157:158]
	v_min_f64 v[185:186], v[42:43], v[157:158]
	v_min_f64 v[187:188], v[44:45], v[157:158]
	v_min_f64 v[189:190], v[46:47], v[157:158]
	v_min_f64 v[191:192], v[48:49], v[157:158]
	v_min_f64 v[193:194], v[50:51], v[157:158]
	v_min_f64 v[195:196], v[52:53], v[157:158]
	v_min_f64 v[197:198], v[54:55], v[157:158]
	v_min_f64 v[199:200], v[56:57], v[157:158]
	v_min_f64 v[201:202], v[58:59], v[157:158]
	v_min_f64 v[203:204], v[60:61], v[157:158]
	v_min_f64 v[205:206], v[62:63], v[157:158]
	v_min_f64 v[207:208], v[64:65], v[157:158]
	v_min_f64 v[209:210], v[66:67], v[157:158]
	v_min_f64 v[211:212], v[68:69], v[157:158]
	v_min_f64 v[213:214], v[74:75], v[157:158]
	v_min_f64 v[215:216], v[76:77], v[157:158]
	v_min_f64 v[217:218], v[78:79], v[157:158]
	v_min_f64 v[219:220], v[80:81], v[157:158]
	v_min_f64 v[157:158], v[82:83], v[157:158]
	s_waitcnt vmcnt(62)
	v_add_f64 v[85:86], v[159:160], v[85:86]
	s_waitcnt vmcnt(60)
	v_add_f64 v[95:96], v[161:162], v[95:96]
	s_waitcnt vmcnt(58)
	v_add_f64 v[97:98], v[163:164], v[97:98]
	s_waitcnt vmcnt(56)
	v_add_f64 v[99:100], v[165:166], v[99:100]
	s_waitcnt vmcnt(54)
	v_add_f64 v[101:102], v[167:168], v[101:102]
	s_waitcnt vmcnt(52)
	v_add_f64 v[103:104], v[169:170], v[103:104]
	s_waitcnt vmcnt(50)
	v_add_f64 v[105:106], v[171:172], v[105:106]
	s_waitcnt vmcnt(48)
	v_add_f64 v[107:108], v[173:174], v[107:108]
	s_waitcnt vmcnt(46)
	v_add_f64 v[109:110], v[177:178], v[109:110]
	s_waitcnt vmcnt(44)
	v_add_f64 v[111:112], v[179:180], v[111:112]
	s_waitcnt vmcnt(42)
	v_add_f64 v[113:114], v[181:182], v[113:114]
	s_waitcnt vmcnt(40)
	v_add_f64 v[115:116], v[175:176], v[115:116]
	s_waitcnt vmcnt(38)
	v_add_f64 v[117:118], v[183:184], v[117:118]
	s_waitcnt vmcnt(36)
	v_add_f64 v[119:120], v[185:186], v[119:120]
	s_waitcnt vmcnt(34)
	v_add_f64 v[121:122], v[187:188], v[121:122]
	s_waitcnt vmcnt(32)
	v_add_f64 v[123:124], v[189:190], v[123:124]
	s_waitcnt vmcnt(30)
	v_add_f64 v[125:126], v[191:192], v[125:126]
	s_waitcnt vmcnt(28)
	v_add_f64 v[127:128], v[193:194], v[127:128]
	s_waitcnt vmcnt(26)
	v_add_f64 v[129:130], v[195:196], v[129:130]
	s_waitcnt vmcnt(24)
	v_add_f64 v[131:132], v[197:198], v[131:132]
	s_waitcnt vmcnt(22)
	v_add_f64 v[133:134], v[199:200], v[133:134]
	s_waitcnt vmcnt(20)
	v_add_f64 v[135:136], v[201:202], v[135:136]
	s_waitcnt vmcnt(18)
	v_add_f64 v[137:138], v[203:204], v[137:138]
	s_waitcnt vmcnt(16)
	v_add_f64 v[139:140], v[205:206], v[139:140]
	s_waitcnt vmcnt(14)
	v_add_f64 v[141:142], v[207:208], v[141:142]
	s_waitcnt vmcnt(12)
	v_add_f64 v[143:144], v[209:210], v[143:144]
	s_waitcnt vmcnt(10)
	v_add_f64 v[145:146], v[211:212], v[145:146]
	s_waitcnt vmcnt(8)
	v_add_f64 v[147:148], v[213:214], v[147:148]
	s_waitcnt vmcnt(6)
	v_add_f64 v[149:150], v[215:216], v[149:150]
	s_waitcnt vmcnt(4)
	v_add_f64 v[151:152], v[217:218], v[151:152]
	s_waitcnt vmcnt(2)
	v_add_f64 v[153:154], v[219:220], v[153:154]
	s_waitcnt vmcnt(0)
	v_add_f64 v[155:156], v[157:158], v[155:156]
	buffer_store_dword v85, v87, s[0:3], 0 offen
	buffer_store_dword v86, v87, s[0:3], 0 offen offset:4
	buffer_store_dword v95, v87, s[0:3], 0 offen offset:8
	;; [unrolled: 1-line block ×63, first 2 shown]
	s_cbranch_vccnz .LBB199_8
; %bb.9:                                ;   in Loop: Header=BB199_7 Depth=1
	s_add_i32 s23, s23, 1
	s_cmp_eq_u32 s23, 4
	s_cbranch_scc0 .LBB199_7
; %bb.10:
	s_load_dword s23, s[4:5], 0x8
	v_lshl_add_u32 v95, v0, 5, 0x1000
	v_lshl_add_u32 v96, v1, 5, 0x3000
	ds_write2st64_b64 v93, v[14:15], v[12:13] offset0:8 offset1:12
	ds_write2st64_b64 v84, v[8:9], v[10:11] offset0:24 offset1:28
	s_waitcnt lgkmcnt(0)
	s_waitcnt_vscnt null, 0x0
	s_barrier
	buffer_gl0_inv
	s_cmp_lt_i32 s23, 9
	s_cbranch_scc1 .LBB199_21
; %bb.11:
	v_add_co_u32 v99, vcc_lo, s20, v6
	v_add_nc_u32_e32 v97, 0x1000, v93
	v_or_b32_e32 v98, 0x3000, v84
	v_add_co_ci_u32_e64 v100, null, s21, v7, vcc_lo
	v_mov_b32_e32 v75, 0
	s_add_i32 s20, s23, -8
	s_mov_b32 s21, 8
	s_mov_b32 s23, 0
.LBB199_12:                             ; =>This Loop Header: Depth=1
                                        ;     Child Loop BB199_13 Depth 2
                                        ;       Child Loop BB199_14 Depth 3
                                        ;     Child Loop BB199_17 Depth 2
                                        ;       Child Loop BB199_18 Depth 3
	v_add_nc_u32_e32 v6, s21, v89
	v_or_b32_e32 v74, s21, v88
	s_mov_b32 s24, 0
	v_mad_u64_u32 v[2:3], null, v6, s13, 0
	v_lshlrev_b64 v[4:5], 3, v[74:75]
	v_mad_u64_u32 v[6:7], null, v6, s22, v[3:4]
	v_add_co_u32 v4, vcc_lo, s18, v4
	v_add_co_ci_u32_e64 v5, null, s19, v5, vcc_lo
	v_mov_b32_e32 v3, v6
	v_add_co_u32 v6, vcc_lo, v4, v70
	v_add_co_ci_u32_e64 v7, null, v5, v71, vcc_lo
	v_lshlrev_b64 v[2:3], 3, v[2:3]
	v_add_co_u32 v8, vcc_lo, v4, v72
	v_add_co_ci_u32_e64 v9, null, v5, v73, vcc_lo
	v_add_co_u32 v2, vcc_lo, v99, v2
	v_add_co_ci_u32_e64 v3, null, v100, v3, vcc_lo
	s_clause 0x1
	global_load_dwordx2 v[10:11], v[6:7], off
	global_load_dwordx2 v[12:13], v[8:9], off
	s_clause 0x1
	global_load_dwordx2 v[14:15], v[2:3], off
	global_load_dwordx2 v[16:17], v[2:3], off offset:512
.LBB199_13:                             ;   Parent Loop BB199_12 Depth=1
                                        ; =>  This Loop Header: Depth=2
                                        ;       Child Loop BB199_14 Depth 3
	s_lshl_b32 s25, s24, 3
	s_mov_b32 s26, 0
	v_add_nc_u32_e32 v18, s25, v95
	v_add_nc_u32_e32 v74, s25, v96
	s_mov_b32 s25, -1
	ds_read2_b64 v[2:5], v18 offset1:16
	ds_read2_b64 v[22:25], v18 offset0:32 offset1:48
	ds_read2_b64 v[26:29], v18 offset0:64 offset1:80
	v_add_nc_u32_e32 v19, 0x800, v18
	ds_read2_b64 v[30:33], v18 offset0:96 offset1:112
	ds_read2_b64 v[34:37], v18 offset0:128 offset1:144
	;; [unrolled: 1-line block ×5, first 2 shown]
	ds_read2_b64 v[50:53], v19 offset1:16
	ds_read2_b64 v[54:57], v19 offset0:32 offset1:48
	ds_read2_b64 v[58:61], v19 offset0:64 offset1:80
	;; [unrolled: 1-line block ×7, first 2 shown]
	s_waitcnt lgkmcnt(11)
	v_max_f64 v[34:35], v[34:35], v[34:35]
	v_max_f64 v[36:37], v[36:37], v[36:37]
	s_waitcnt lgkmcnt(10)
	v_max_f64 v[38:39], v[38:39], v[38:39]
	v_max_f64 v[40:41], v[40:41], v[40:41]
	;; [unrolled: 3-line block ×3, first 2 shown]
	v_max_f64 v[18:19], v[2:3], v[2:3]
	v_max_f64 v[20:21], v[4:5], v[4:5]
	;; [unrolled: 1-line block ×8, first 2 shown]
	s_waitcnt lgkmcnt(8)
	v_max_f64 v[46:47], v[46:47], v[46:47]
	v_max_f64 v[48:49], v[48:49], v[48:49]
	s_waitcnt lgkmcnt(7)
	v_max_f64 v[50:51], v[50:51], v[50:51]
	v_max_f64 v[52:53], v[52:53], v[52:53]
	;; [unrolled: 3-line block ×9, first 2 shown]
	ds_read2st64_b64 v[2:5], v74 offset1:4
.LBB199_14:                             ;   Parent Loop BB199_12 Depth=1
                                        ;     Parent Loop BB199_13 Depth=2
                                        ; =>    This Inner Loop Header: Depth=3
	v_mov_b32_e32 v74, s26
	s_waitcnt lgkmcnt(0)
	v_max_f64 v[165:166], v[2:3], v[2:3]
	v_mov_b32_e32 v2, v4
	v_mov_b32_e32 v3, v5
	s_and_b32 vcc_lo, exec_lo, s25
	s_clause 0x3e
	buffer_load_dword v101, v74, s[0:3], 0 offen
	buffer_load_dword v102, v74, s[0:3], 0 offen offset:4
	buffer_load_dword v103, v74, s[0:3], 0 offen offset:8
	;; [unrolled: 1-line block ×63, first 2 shown]
	s_mov_b32 s25, 0
	s_mov_b32 s26, s8
	v_min_f64 v[167:168], v[18:19], v[165:166]
	v_min_f64 v[169:170], v[20:21], v[165:166]
	;; [unrolled: 1-line block ×32, first 2 shown]
	s_waitcnt vmcnt(62)
	v_add_f64 v[101:102], v[167:168], v[101:102]
	s_waitcnt vmcnt(60)
	v_add_f64 v[103:104], v[169:170], v[103:104]
	;; [unrolled: 2-line block ×32, first 2 shown]
	buffer_store_dword v101, v74, s[0:3], 0 offen
	buffer_store_dword v102, v74, s[0:3], 0 offen offset:4
	buffer_store_dword v103, v74, s[0:3], 0 offen offset:8
	;; [unrolled: 1-line block ×63, first 2 shown]
	s_cbranch_vccnz .LBB199_14
; %bb.15:                               ;   in Loop: Header=BB199_13 Depth=2
	s_add_i32 s24, s24, 1
	s_cmp_eq_u32 s24, 4
	s_cbranch_scc0 .LBB199_13
; %bb.16:                               ;   in Loop: Header=BB199_12 Depth=1
	v_add_nc_u32_e32 v4, s21, v90
	ds_write2st64_b64 v93, v[10:11], v[12:13] offset1:4
	ds_write2st64_b64 v94, v[14:15], v[16:17] offset1:4
	s_waitcnt lgkmcnt(0)
	s_waitcnt_vscnt null, 0x0
	s_barrier
	buffer_gl0_inv
	v_mad_u64_u32 v[2:3], null, v4, s13, 0
	s_mov_b32 s24, 0
	v_mad_u64_u32 v[3:4], null, v4, s22, v[3:4]
	v_lshlrev_b64 v[2:3], 3, v[2:3]
	v_add_co_u32 v2, vcc_lo, v99, v2
	v_add_co_ci_u32_e64 v3, null, v100, v3, vcc_lo
	s_clause 0x1
	global_load_dwordx2 v[76:77], v[6:7], off offset:32
	global_load_dwordx2 v[78:79], v[8:9], off offset:32
	s_clause 0x1
	global_load_dwordx2 v[80:81], v[2:3], off
	global_load_dwordx2 v[82:83], v[2:3], off offset:512
.LBB199_17:                             ;   Parent Loop BB199_12 Depth=1
                                        ; =>  This Loop Header: Depth=2
                                        ;       Child Loop BB199_18 Depth 3
	s_lshl_b32 s25, s24, 3
	s_mov_b32 s26, 0
	v_add_nc_u32_e32 v30, s25, v91
	v_add_nc_u32_e32 v66, s25, v92
	s_mov_b32 s25, -1
	ds_read2_b64 v[2:5], v30 offset1:16
	ds_read2_b64 v[6:9], v30 offset0:32 offset1:48
	ds_read2_b64 v[10:13], v30 offset0:64 offset1:80
	;; [unrolled: 1-line block ×3, first 2 shown]
	v_add_nc_u32_e32 v62, 0x800, v30
	ds_read2_b64 v[18:21], v30 offset0:128 offset1:144
	ds_read2_b64 v[22:25], v30 offset0:160 offset1:176
	;; [unrolled: 1-line block ×4, first 2 shown]
	ds_read2_b64 v[34:37], v62 offset1:16
	ds_read2_b64 v[38:41], v62 offset0:32 offset1:48
	ds_read2_b64 v[42:45], v62 offset0:64 offset1:80
	;; [unrolled: 1-line block ×7, first 2 shown]
	ds_read2st64_b64 v[66:69], v66 offset1:4
.LBB199_18:                             ;   Parent Loop BB199_12 Depth=1
                                        ;     Parent Loop BB199_17 Depth=2
                                        ; =>    This Inner Loop Header: Depth=3
	v_mov_b32_e32 v74, s26
	s_waitcnt lgkmcnt(16)
	v_max_f64 v[161:162], v[2:3], v[2:3]
	s_waitcnt lgkmcnt(0)
	v_max_f64 v[163:164], v[66:67], v[66:67]
	v_max_f64 v[165:166], v[4:5], v[4:5]
	;; [unrolled: 1-line block ×3, first 2 shown]
	s_clause 0x3e
	buffer_load_dword v84, v74, s[0:3], 0 offen
	buffer_load_dword v85, v74, s[0:3], 0 offen offset:4
	buffer_load_dword v86, v74, s[0:3], 0 offen offset:8
	;; [unrolled: 1-line block ×63, first 2 shown]
	v_max_f64 v[169:170], v[8:9], v[8:9]
	v_max_f64 v[171:172], v[10:11], v[10:11]
	;; [unrolled: 1-line block ×29, first 2 shown]
	v_min_f64 v[161:162], v[161:162], v[163:164]
	v_min_f64 v[165:166], v[165:166], v[163:164]
	;; [unrolled: 1-line block ×32, first 2 shown]
	v_mov_b32_e32 v66, v68
	v_mov_b32_e32 v67, v69
	s_and_b32 vcc_lo, exec_lo, s25
	s_mov_b32 s25, 0
	s_mov_b32 s26, s8
	s_waitcnt vmcnt(62)
	v_add_f64 v[84:85], v[161:162], v[84:85]
	s_waitcnt vmcnt(60)
	v_add_f64 v[86:87], v[165:166], v[86:87]
	;; [unrolled: 2-line block ×32, first 2 shown]
	buffer_store_dword v84, v74, s[0:3], 0 offen
	buffer_store_dword v85, v74, s[0:3], 0 offen offset:4
	buffer_store_dword v86, v74, s[0:3], 0 offen offset:8
	;; [unrolled: 1-line block ×63, first 2 shown]
	s_cbranch_vccnz .LBB199_18
; %bb.19:                               ;   in Loop: Header=BB199_17 Depth=2
	s_add_i32 s24, s24, 1
	s_cmp_eq_u32 s24, 4
	s_cbranch_scc0 .LBB199_17
; %bb.20:                               ;   in Loop: Header=BB199_12 Depth=1
	s_add_i32 s23, s23, 8
	s_add_i32 s21, s21, 8
	s_cmp_ge_i32 s23, s20
	ds_write2st64_b64 v97, v[76:77], v[78:79] offset1:4
	ds_write2st64_b64 v98, v[80:81], v[82:83] offset1:4
	s_waitcnt lgkmcnt(0)
	s_waitcnt_vscnt null, 0x0
	s_barrier
	buffer_gl0_inv
	s_cbranch_scc0 .LBB199_12
.LBB199_21:
	s_mov_b32 s13, 0
.LBB199_22:                             ; =>This Loop Header: Depth=1
                                        ;     Child Loop BB199_23 Depth 2
	s_lshl_b32 s18, s13, 3
	s_mov_b32 s19, 0
	v_add_nc_u32_e32 v6, s18, v95
	v_add_nc_u32_e32 v70, s18, v96
	s_mov_b32 s18, -1
	ds_read2_b64 v[2:5], v6 offset1:16
	ds_read2_b64 v[10:13], v6 offset0:32 offset1:48
	ds_read2_b64 v[14:17], v6 offset0:64 offset1:80
	v_add_nc_u32_e32 v7, 0x800, v6
	ds_read2_b64 v[18:21], v6 offset0:96 offset1:112
	ds_read2_b64 v[22:25], v6 offset0:128 offset1:144
	;; [unrolled: 1-line block ×5, first 2 shown]
	ds_read2_b64 v[38:41], v7 offset1:16
	ds_read2_b64 v[42:45], v7 offset0:32 offset1:48
	ds_read2_b64 v[46:49], v7 offset0:64 offset1:80
	;; [unrolled: 1-line block ×7, first 2 shown]
	s_waitcnt lgkmcnt(11)
	v_max_f64 v[22:23], v[22:23], v[22:23]
	v_max_f64 v[24:25], v[24:25], v[24:25]
	s_waitcnt lgkmcnt(10)
	v_max_f64 v[26:27], v[26:27], v[26:27]
	v_max_f64 v[28:29], v[28:29], v[28:29]
	;; [unrolled: 3-line block ×3, first 2 shown]
	v_max_f64 v[6:7], v[2:3], v[2:3]
	v_max_f64 v[8:9], v[4:5], v[4:5]
	;; [unrolled: 1-line block ×8, first 2 shown]
	s_waitcnt lgkmcnt(8)
	v_max_f64 v[34:35], v[34:35], v[34:35]
	v_max_f64 v[36:37], v[36:37], v[36:37]
	s_waitcnt lgkmcnt(7)
	v_max_f64 v[38:39], v[38:39], v[38:39]
	v_max_f64 v[40:41], v[40:41], v[40:41]
	s_waitcnt lgkmcnt(6)
	v_max_f64 v[42:43], v[42:43], v[42:43]
	v_max_f64 v[44:45], v[44:45], v[44:45]
	s_waitcnt lgkmcnt(5)
	v_max_f64 v[46:47], v[46:47], v[46:47]
	v_max_f64 v[48:49], v[48:49], v[48:49]
	s_waitcnt lgkmcnt(4)
	v_max_f64 v[50:51], v[50:51], v[50:51]
	v_max_f64 v[52:53], v[52:53], v[52:53]
	s_waitcnt lgkmcnt(3)
	v_max_f64 v[54:55], v[54:55], v[54:55]
	v_max_f64 v[56:57], v[56:57], v[56:57]
	s_waitcnt lgkmcnt(2)
	v_max_f64 v[58:59], v[58:59], v[58:59]
	v_max_f64 v[60:61], v[60:61], v[60:61]
	s_waitcnt lgkmcnt(1)
	v_max_f64 v[62:63], v[62:63], v[62:63]
	v_max_f64 v[64:65], v[64:65], v[64:65]
	s_waitcnt lgkmcnt(0)
	v_max_f64 v[66:67], v[66:67], v[66:67]
	v_max_f64 v[68:69], v[68:69], v[68:69]
	ds_read2st64_b64 v[2:5], v70 offset1:4
.LBB199_23:                             ;   Parent Loop BB199_22 Depth=1
                                        ; =>  This Inner Loop Header: Depth=2
	v_mov_b32_e32 v94, s19
	s_waitcnt lgkmcnt(0)
	v_max_f64 v[137:138], v[2:3], v[2:3]
	v_mov_b32_e32 v2, v4
	v_mov_b32_e32 v3, v5
	s_and_b32 vcc_lo, exec_lo, s18
	s_clause 0x3e
	buffer_load_dword v70, v94, s[0:3], 0 offen
	buffer_load_dword v71, v94, s[0:3], 0 offen offset:4
	buffer_load_dword v72, v94, s[0:3], 0 offen offset:8
	;; [unrolled: 1-line block ×63, first 2 shown]
	s_mov_b32 s18, 0
	s_mov_b32 s19, s8
	v_min_f64 v[139:140], v[6:7], v[137:138]
	v_min_f64 v[141:142], v[8:9], v[137:138]
	;; [unrolled: 1-line block ×32, first 2 shown]
	s_waitcnt vmcnt(62)
	v_add_f64 v[70:71], v[139:140], v[70:71]
	s_waitcnt vmcnt(60)
	v_add_f64 v[72:73], v[141:142], v[72:73]
	;; [unrolled: 2-line block ×32, first 2 shown]
	buffer_store_dword v70, v94, s[0:3], 0 offen
	buffer_store_dword v71, v94, s[0:3], 0 offen offset:4
	buffer_store_dword v72, v94, s[0:3], 0 offen offset:8
	;; [unrolled: 1-line block ×63, first 2 shown]
	s_cbranch_vccnz .LBB199_23
; %bb.24:                               ;   in Loop: Header=BB199_22 Depth=1
	s_add_i32 s13, s13, 1
	s_cmp_eq_u32 s13, 4
	s_cbranch_scc0 .LBB199_22
; %bb.25:
	s_clause 0x1
	buffer_load_dword v2, off, s[0:3], 0
	buffer_load_dword v3, off, s[0:3], 0 offset:4
	s_load_dword s8, s[4:5], 0x58
	v_add_nc_u32_e32 v71, s9, v1
	v_add_nc_u32_e32 v12, s6, v0
	v_cndmask_b32_e64 v0, 0, 1, s12
	v_mov_b32_e32 v8, 0
	v_mov_b32_e32 v9, 0
	v_ashrrev_i32_e32 v13, 31, v12
	v_cmp_ne_u32_e64 s6, 1, v0
	v_lshlrev_b64 v[0:1], 3, v[12:13]
	s_waitcnt lgkmcnt(0)
	v_mad_i64_i32 v[4:5], null, v71, s8, 0
	v_lshlrev_b64 v[6:7], 3, v[4:5]
	v_mov_b32_e32 v4, 0
	v_mov_b32_e32 v5, 0
	v_add_co_u32 v72, vcc_lo, s16, v6
	v_add_co_ci_u32_e64 v73, null, s17, v7, vcc_lo
	s_andn2_b32 vcc_lo, exec_lo, s12
	s_cbranch_vccnz .LBB199_27
; %bb.26:
	v_add_co_u32 v6, vcc_lo, v72, v0
	v_add_co_ci_u32_e64 v7, null, v73, v1, vcc_lo
	global_load_dwordx2 v[6:7], v[6:7], off
	s_waitcnt vmcnt(0)
	v_mul_f64 v[8:9], s[10:11], v[6:7]
.LBB199_27:
	s_clause 0x1
	buffer_load_dword v6, off, s[0:3], 0 offset:8
	buffer_load_dword v7, off, s[0:3], 0 offset:12
	s_clause 0x1
	s_load_dwordx2 s[12:13], s[4:5], 0x78
	s_load_dword s4, s[4:5], 0x70
	s_waitcnt vmcnt(2)
	v_add_f64 v[8:9], v[2:3], v[8:9]
	s_waitcnt lgkmcnt(0)
	s_mul_i32 s5, s13, s7
	v_mad_i64_i32 v[10:11], null, v71, s4, 0
	s_mul_hi_u32 s9, s12, s7
	s_mul_i32 s12, s12, s7
	s_add_i32 s13, s9, s5
	s_lshl_b64 s[12:13], s[12:13], 3
	v_lshlrev_b64 v[2:3], 3, v[10:11]
	v_add_nc_u32_e32 v10, 4, v12
	s_add_u32 s5, s14, s12
	s_addc_u32 s7, s15, s13
	v_ashrrev_i32_e32 v11, 31, v10
	v_add_co_u32 v74, vcc_lo, s5, v2
	v_add_co_ci_u32_e64 v75, null, s7, v3, vcc_lo
	v_lshlrev_b64 v[2:3], 3, v[10:11]
	v_add_co_u32 v13, vcc_lo, v74, v0
	v_add_co_ci_u32_e64 v14, null, v75, v1, vcc_lo
	s_and_b32 vcc_lo, exec_lo, s6
	global_store_dwordx2 v[13:14], v[8:9], off
	s_cbranch_vccnz .LBB199_29
; %bb.28:
	v_add_co_u32 v4, vcc_lo, v72, v2
	v_add_co_ci_u32_e64 v5, null, v73, v3, vcc_lo
	global_load_dwordx2 v[4:5], v[4:5], off
	s_waitcnt vmcnt(0)
	v_mul_f64 v[4:5], s[10:11], v[4:5]
.LBB199_29:
	s_clause 0x1
	buffer_load_dword v10, off, s[0:3], 0 offset:16
	buffer_load_dword v11, off, s[0:3], 0 offset:20
	s_waitcnt vmcnt(2)
	v_add_f64 v[13:14], v[6:7], v[4:5]
	v_add_nc_u32_e32 v4, 8, v12
	v_add_co_u32 v15, vcc_lo, v74, v2
	v_mov_b32_e32 v8, 0
	v_mov_b32_e32 v6, 0
	v_ashrrev_i32_e32 v5, 31, v4
	v_add_co_ci_u32_e64 v16, null, v75, v3, vcc_lo
	v_mov_b32_e32 v9, 0
	v_mov_b32_e32 v7, 0
	v_lshlrev_b64 v[4:5], 3, v[4:5]
	s_and_b32 vcc_lo, exec_lo, s6
	global_store_dwordx2 v[15:16], v[13:14], off
	s_cbranch_vccnz .LBB199_31
; %bb.30:
	v_add_co_u32 v6, vcc_lo, v72, v4
	v_add_co_ci_u32_e64 v7, null, v73, v5, vcc_lo
	global_load_dwordx2 v[6:7], v[6:7], off
	s_waitcnt vmcnt(0)
	v_mul_f64 v[6:7], s[10:11], v[6:7]
.LBB199_31:
	s_clause 0x1
	buffer_load_dword v13, off, s[0:3], 0 offset:24
	buffer_load_dword v14, off, s[0:3], 0 offset:28
	s_waitcnt vmcnt(2)
	v_add_f64 v[10:11], v[10:11], v[6:7]
	v_add_nc_u32_e32 v6, 12, v12
	v_add_co_u32 v15, vcc_lo, v74, v4
	v_add_co_ci_u32_e64 v16, null, v75, v5, vcc_lo
	v_ashrrev_i32_e32 v7, 31, v6
	s_and_b32 vcc_lo, exec_lo, s6
	v_lshlrev_b64 v[6:7], 3, v[6:7]
	global_store_dwordx2 v[15:16], v[10:11], off
	s_cbranch_vccnz .LBB199_33
; %bb.32:
	v_add_co_u32 v8, vcc_lo, v72, v6
	v_add_co_ci_u32_e64 v9, null, v73, v7, vcc_lo
	global_load_dwordx2 v[8:9], v[8:9], off
	s_waitcnt vmcnt(0)
	v_mul_f64 v[8:9], s[10:11], v[8:9]
.LBB199_33:
	s_clause 0x1
	buffer_load_dword v10, off, s[0:3], 0 offset:32
	buffer_load_dword v11, off, s[0:3], 0 offset:36
	s_waitcnt vmcnt(2)
	v_add_f64 v[17:18], v[13:14], v[8:9]
	v_add_nc_u32_e32 v8, 16, v12
	v_add_co_u32 v19, vcc_lo, v74, v6
	v_mov_b32_e32 v13, 0
	v_mov_b32_e32 v15, 0
	v_ashrrev_i32_e32 v9, 31, v8
	v_add_co_ci_u32_e64 v20, null, v75, v7, vcc_lo
	v_mov_b32_e32 v14, 0
	v_mov_b32_e32 v16, 0
	v_lshlrev_b64 v[8:9], 3, v[8:9]
	s_and_b32 vcc_lo, exec_lo, s6
	global_store_dwordx2 v[19:20], v[17:18], off
	s_cbranch_vccnz .LBB199_35
; %bb.34:
	v_add_co_u32 v15, vcc_lo, v72, v8
	v_add_co_ci_u32_e64 v16, null, v73, v9, vcc_lo
	global_load_dwordx2 v[15:16], v[15:16], off
	s_waitcnt vmcnt(0)
	v_mul_f64 v[15:16], s[10:11], v[15:16]
.LBB199_35:
	s_clause 0x1
	buffer_load_dword v17, off, s[0:3], 0 offset:40
	buffer_load_dword v18, off, s[0:3], 0 offset:44
	s_waitcnt vmcnt(2)
	v_add_f64 v[15:16], v[10:11], v[15:16]
	v_add_nc_u32_e32 v10, 20, v12
	v_add_co_u32 v19, vcc_lo, v74, v8
	v_add_co_ci_u32_e64 v20, null, v75, v9, vcc_lo
	v_ashrrev_i32_e32 v11, 31, v10
	s_and_b32 vcc_lo, exec_lo, s6
	v_lshlrev_b64 v[10:11], 3, v[10:11]
	;; [unrolled: 44-line block ×15, first 2 shown]
	global_store_dwordx2 v[76:77], v[67:68], off
	s_cbranch_vccnz .LBB199_89
; %bb.88:
	v_add_co_u32 v65, vcc_lo, v72, v63
	v_add_co_ci_u32_e64 v66, null, v73, v64, vcc_lo
	global_load_dwordx2 v[65:66], v[65:66], off
	s_waitcnt vmcnt(0)
	v_mul_f64 v[65:66], s[10:11], v[65:66]
.LBB199_89:
	s_clause 0x1
	buffer_load_dword v67, off, s[0:3], 0 offset:256
	buffer_load_dword v68, off, s[0:3], 0 offset:260
	v_add_nc_u32_e32 v76, 64, v71
	s_waitcnt vmcnt(2)
	v_add_f64 v[69:70], v[69:70], v[65:66]
	v_add_co_u32 v74, vcc_lo, v74, v63
	v_add_co_ci_u32_e64 v75, null, v75, v64, vcc_lo
	v_mad_i64_i32 v[65:66], null, v76, s8, 0
	v_mov_b32_e32 v71, 0
	v_mov_b32_e32 v72, 0
	v_lshlrev_b64 v[77:78], 3, v[65:66]
	v_mov_b32_e32 v65, 0
	v_mov_b32_e32 v66, 0
	v_add_co_u32 v12, vcc_lo, s16, v77
	v_add_co_ci_u32_e64 v73, null, s17, v78, vcc_lo
	s_and_b32 vcc_lo, exec_lo, s6
	global_store_dwordx2 v[74:75], v[69:70], off
	s_cbranch_vccnz .LBB199_91
; %bb.90:
	v_add_co_u32 v69, vcc_lo, v12, v0
	v_add_co_ci_u32_e64 v70, null, v73, v1, vcc_lo
	global_load_dwordx2 v[69:70], v[69:70], off
	s_waitcnt vmcnt(0)
	v_mul_f64 v[71:72], s[10:11], v[69:70]
.LBB199_91:
	s_clause 0x1
	buffer_load_dword v69, off, s[0:3], 0 offset:264
	buffer_load_dword v70, off, s[0:3], 0 offset:268
	v_mad_i64_i32 v[74:75], null, v76, s4, 0
	s_waitcnt vmcnt(2)
	v_add_f64 v[67:68], v[67:68], v[71:72]
	v_lshlrev_b64 v[71:72], 3, v[74:75]
	v_add_co_u32 v71, vcc_lo, s5, v71
	v_add_co_ci_u32_e64 v72, null, s7, v72, vcc_lo
	v_add_co_u32 v0, vcc_lo, v71, v0
	v_add_co_ci_u32_e64 v1, null, v72, v1, vcc_lo
	s_and_b32 vcc_lo, exec_lo, s6
	global_store_dwordx2 v[0:1], v[67:68], off
	s_cbranch_vccnz .LBB199_93
; %bb.92:
	v_add_co_u32 v0, vcc_lo, v12, v2
	v_add_co_ci_u32_e64 v1, null, v73, v3, vcc_lo
	global_load_dwordx2 v[0:1], v[0:1], off
	s_waitcnt vmcnt(0)
	v_mul_f64 v[65:66], s[10:11], v[0:1]
.LBB199_93:
	s_clause 0x1
	buffer_load_dword v67, off, s[0:3], 0 offset:272
	buffer_load_dword v68, off, s[0:3], 0 offset:276
	s_waitcnt vmcnt(2)
	v_add_f64 v[65:66], v[69:70], v[65:66]
	v_add_co_u32 v69, vcc_lo, v71, v2
	v_add_co_ci_u32_e64 v70, null, v72, v3, vcc_lo
	v_mov_b32_e32 v0, 0
	v_mov_b32_e32 v2, 0
	;; [unrolled: 1-line block ×4, first 2 shown]
	s_and_b32 vcc_lo, exec_lo, s6
	global_store_dwordx2 v[69:70], v[65:66], off
	s_cbranch_vccnz .LBB199_95
; %bb.94:
	v_add_co_u32 v2, vcc_lo, v12, v4
	v_add_co_ci_u32_e64 v3, null, v73, v5, vcc_lo
	global_load_dwordx2 v[2:3], v[2:3], off
	s_waitcnt vmcnt(0)
	v_mul_f64 v[2:3], s[10:11], v[2:3]
.LBB199_95:
	s_clause 0x1
	buffer_load_dword v65, off, s[0:3], 0 offset:280
	buffer_load_dword v66, off, s[0:3], 0 offset:284
	s_waitcnt vmcnt(2)
	v_add_f64 v[2:3], v[67:68], v[2:3]
	v_add_co_u32 v4, vcc_lo, v71, v4
	v_add_co_ci_u32_e64 v5, null, v72, v5, vcc_lo
	s_and_b32 vcc_lo, exec_lo, s6
	global_store_dwordx2 v[4:5], v[2:3], off
	s_cbranch_vccnz .LBB199_97
; %bb.96:
	v_add_co_u32 v0, vcc_lo, v12, v6
	v_add_co_ci_u32_e64 v1, null, v73, v7, vcc_lo
	global_load_dwordx2 v[0:1], v[0:1], off
	s_waitcnt vmcnt(0)
	v_mul_f64 v[0:1], s[10:11], v[0:1]
.LBB199_97:
	s_clause 0x1
	buffer_load_dword v2, off, s[0:3], 0 offset:288
	buffer_load_dword v3, off, s[0:3], 0 offset:292
	s_waitcnt vmcnt(2)
	v_add_f64 v[4:5], v[65:66], v[0:1]
	v_add_co_u32 v65, vcc_lo, v71, v6
	v_add_co_ci_u32_e64 v66, null, v72, v7, vcc_lo
	v_mov_b32_e32 v0, 0
	v_mov_b32_e32 v6, 0
	;; [unrolled: 1-line block ×4, first 2 shown]
	s_and_b32 vcc_lo, exec_lo, s6
	global_store_dwordx2 v[65:66], v[4:5], off
	s_cbranch_vccnz .LBB199_99
; %bb.98:
	v_add_co_u32 v4, vcc_lo, v12, v8
	v_add_co_ci_u32_e64 v5, null, v73, v9, vcc_lo
	global_load_dwordx2 v[4:5], v[4:5], off
	s_waitcnt vmcnt(0)
	v_mul_f64 v[6:7], s[10:11], v[4:5]
.LBB199_99:
	s_clause 0x1
	buffer_load_dword v4, off, s[0:3], 0 offset:296
	buffer_load_dword v5, off, s[0:3], 0 offset:300
	s_waitcnt vmcnt(2)
	v_add_f64 v[2:3], v[2:3], v[6:7]
	v_add_co_u32 v6, vcc_lo, v71, v8
	v_add_co_ci_u32_e64 v7, null, v72, v9, vcc_lo
	s_and_b32 vcc_lo, exec_lo, s6
	global_store_dwordx2 v[6:7], v[2:3], off
	s_cbranch_vccnz .LBB199_101
; %bb.100:
	v_add_co_u32 v0, vcc_lo, v12, v10
	v_add_co_ci_u32_e64 v1, null, v73, v11, vcc_lo
	global_load_dwordx2 v[0:1], v[0:1], off
	s_waitcnt vmcnt(0)
	v_mul_f64 v[0:1], s[10:11], v[0:1]
.LBB199_101:
	s_clause 0x1
	buffer_load_dword v2, off, s[0:3], 0 offset:304
	buffer_load_dword v3, off, s[0:3], 0 offset:308
	s_waitcnt vmcnt(2)
	v_add_f64 v[4:5], v[4:5], v[0:1]
	v_add_co_u32 v8, vcc_lo, v71, v10
	v_mov_b32_e32 v0, 0
	v_mov_b32_e32 v6, 0
	v_add_co_ci_u32_e64 v9, null, v72, v11, vcc_lo
	v_mov_b32_e32 v1, 0
	v_mov_b32_e32 v7, 0
	s_and_b32 vcc_lo, exec_lo, s6
	global_store_dwordx2 v[8:9], v[4:5], off
	s_cbranch_vccnz .LBB199_103
; %bb.102:
	v_add_co_u32 v4, vcc_lo, v12, v13
	v_add_co_ci_u32_e64 v5, null, v73, v14, vcc_lo
	global_load_dwordx2 v[4:5], v[4:5], off
	s_waitcnt vmcnt(0)
	v_mul_f64 v[6:7], s[10:11], v[4:5]
.LBB199_103:
	s_clause 0x1
	buffer_load_dword v4, off, s[0:3], 0 offset:312
	buffer_load_dword v5, off, s[0:3], 0 offset:316
	s_waitcnt vmcnt(2)
	v_add_f64 v[2:3], v[2:3], v[6:7]
	v_add_co_u32 v6, vcc_lo, v71, v13
	v_add_co_ci_u32_e64 v7, null, v72, v14, vcc_lo
	s_and_b32 vcc_lo, exec_lo, s6
	global_store_dwordx2 v[6:7], v[2:3], off
	s_cbranch_vccnz .LBB199_105
; %bb.104:
	v_add_co_u32 v0, vcc_lo, v12, v15
	v_add_co_ci_u32_e64 v1, null, v73, v16, vcc_lo
	global_load_dwordx2 v[0:1], v[0:1], off
	s_waitcnt vmcnt(0)
	v_mul_f64 v[0:1], s[10:11], v[0:1]
.LBB199_105:
	s_clause 0x1
	buffer_load_dword v2, off, s[0:3], 0 offset:320
	buffer_load_dword v3, off, s[0:3], 0 offset:324
	s_waitcnt vmcnt(2)
	v_add_f64 v[4:5], v[4:5], v[0:1]
	v_add_co_u32 v8, vcc_lo, v71, v15
	v_mov_b32_e32 v0, 0
	v_mov_b32_e32 v6, 0
	v_add_co_ci_u32_e64 v9, null, v72, v16, vcc_lo
	v_mov_b32_e32 v1, 0
	v_mov_b32_e32 v7, 0
	;; [unrolled: 38-line block ×13, first 2 shown]
	s_and_b32 vcc_lo, exec_lo, s6
	global_store_dwordx2 v[8:9], v[4:5], off
	s_cbranch_vccnz .LBB199_151
; %bb.150:
	v_add_co_u32 v4, vcc_lo, v12, v61
	v_add_co_ci_u32_e64 v5, null, v73, v62, vcc_lo
	global_load_dwordx2 v[4:5], v[4:5], off
	s_waitcnt vmcnt(0)
	v_mul_f64 v[6:7], s[10:11], v[4:5]
.LBB199_151:
	s_clause 0x1
	buffer_load_dword v4, off, s[0:3], 0 offset:504
	buffer_load_dword v5, off, s[0:3], 0 offset:508
	s_waitcnt vmcnt(2)
	v_add_f64 v[2:3], v[2:3], v[6:7]
	v_add_co_u32 v6, vcc_lo, v71, v61
	v_add_co_ci_u32_e64 v7, null, v72, v62, vcc_lo
	s_and_b32 vcc_lo, exec_lo, s6
	global_store_dwordx2 v[6:7], v[2:3], off
	s_cbranch_vccnz .LBB199_153
; %bb.152:
	v_add_co_u32 v0, vcc_lo, v12, v63
	v_add_co_ci_u32_e64 v1, null, v73, v64, vcc_lo
	global_load_dwordx2 v[0:1], v[0:1], off
	s_waitcnt vmcnt(0)
	v_mul_f64 v[0:1], s[10:11], v[0:1]
.LBB199_153:
	s_waitcnt vmcnt(0)
	v_add_f64 v[0:1], v[4:5], v[0:1]
	v_add_co_u32 v2, vcc_lo, v71, v63
	v_add_co_ci_u32_e64 v3, null, v72, v64, vcc_lo
	global_store_dwordx2 v[2:3], v[0:1], off
	s_endpgm
.LBB199_154:
	s_mov_b64 s[16:17], 0
	s_mov_b64 s[20:21], 0
	s_cbranch_execnz .LBB199_4
.LBB199_155:
	s_waitcnt lgkmcnt(0)
	s_mul_i32 s9, s9, s7
	s_mul_hi_u32 s12, s8, s7
	s_mul_i32 s8, s8, s7
	s_add_i32 s9, s12, s9
	s_lshl_b64 s[8:9], s[8:9], 3
	s_add_u32 s20, s14, s8
	s_addc_u32 s21, s15, s9
	v_cmp_eq_f64_e64 s8, s[10:11], 0
	s_load_dwordx4 s[12:15], s[4:5], 0x60
	s_and_b32 vcc_lo, exec_lo, s8
	s_cbranch_vccz .LBB199_5
	s_branch .LBB199_6
	.section	.rodata,"a",@progbits
	.p2align	6, 0x0
	.amdhsa_kernel _ZN12_GLOBAL__N_120geam_min_plus_kernelIdddLi4ELi64ELi128ELi128ELi4ELi4ELi64ELi64ELi4ELc84ELc84ELb1ELb0ELb0EdKddEEviiiT16_PT17_ilS4_ilS2_S4_ilPT18_ili26rocblas_geam_ex_operation_
		.amdhsa_group_segment_fixed_size 16384
		.amdhsa_private_segment_fixed_size 528
		.amdhsa_kernarg_size 136
		.amdhsa_user_sgpr_count 6
		.amdhsa_user_sgpr_private_segment_buffer 1
		.amdhsa_user_sgpr_dispatch_ptr 0
		.amdhsa_user_sgpr_queue_ptr 0
		.amdhsa_user_sgpr_kernarg_segment_ptr 1
		.amdhsa_user_sgpr_dispatch_id 0
		.amdhsa_user_sgpr_flat_scratch_init 0
		.amdhsa_user_sgpr_private_segment_size 0
		.amdhsa_wavefront_size32 1
		.amdhsa_uses_dynamic_stack 0
		.amdhsa_system_sgpr_private_segment_wavefront_offset 1
		.amdhsa_system_sgpr_workgroup_id_x 1
		.amdhsa_system_sgpr_workgroup_id_y 0
		.amdhsa_system_sgpr_workgroup_id_z 1
		.amdhsa_system_sgpr_workgroup_info 0
		.amdhsa_system_vgpr_workitem_id 1
		.amdhsa_next_free_vgpr 229
		.amdhsa_next_free_sgpr 27
		.amdhsa_reserve_vcc 1
		.amdhsa_reserve_flat_scratch 0
		.amdhsa_float_round_mode_32 0
		.amdhsa_float_round_mode_16_64 0
		.amdhsa_float_denorm_mode_32 3
		.amdhsa_float_denorm_mode_16_64 3
		.amdhsa_dx10_clamp 1
		.amdhsa_ieee_mode 1
		.amdhsa_fp16_overflow 0
		.amdhsa_workgroup_processor_mode 1
		.amdhsa_memory_ordered 1
		.amdhsa_forward_progress 1
		.amdhsa_shared_vgpr_count 0
		.amdhsa_exception_fp_ieee_invalid_op 0
		.amdhsa_exception_fp_denorm_src 0
		.amdhsa_exception_fp_ieee_div_zero 0
		.amdhsa_exception_fp_ieee_overflow 0
		.amdhsa_exception_fp_ieee_underflow 0
		.amdhsa_exception_fp_ieee_inexact 0
		.amdhsa_exception_int_div_zero 0
	.end_amdhsa_kernel
	.section	.text._ZN12_GLOBAL__N_120geam_min_plus_kernelIdddLi4ELi64ELi128ELi128ELi4ELi4ELi64ELi64ELi4ELc84ELc84ELb1ELb0ELb0EdKddEEviiiT16_PT17_ilS4_ilS2_S4_ilPT18_ili26rocblas_geam_ex_operation_,"axG",@progbits,_ZN12_GLOBAL__N_120geam_min_plus_kernelIdddLi4ELi64ELi128ELi128ELi4ELi4ELi64ELi64ELi4ELc84ELc84ELb1ELb0ELb0EdKddEEviiiT16_PT17_ilS4_ilS2_S4_ilPT18_ili26rocblas_geam_ex_operation_,comdat
.Lfunc_end199:
	.size	_ZN12_GLOBAL__N_120geam_min_plus_kernelIdddLi4ELi64ELi128ELi128ELi4ELi4ELi64ELi64ELi4ELc84ELc84ELb1ELb0ELb0EdKddEEviiiT16_PT17_ilS4_ilS2_S4_ilPT18_ili26rocblas_geam_ex_operation_, .Lfunc_end199-_ZN12_GLOBAL__N_120geam_min_plus_kernelIdddLi4ELi64ELi128ELi128ELi4ELi4ELi64ELi64ELi4ELc84ELc84ELb1ELb0ELb0EdKddEEviiiT16_PT17_ilS4_ilS2_S4_ilPT18_ili26rocblas_geam_ex_operation_
                                        ; -- End function
	.set _ZN12_GLOBAL__N_120geam_min_plus_kernelIdddLi4ELi64ELi128ELi128ELi4ELi4ELi64ELi64ELi4ELc84ELc84ELb1ELb0ELb0EdKddEEviiiT16_PT17_ilS4_ilS2_S4_ilPT18_ili26rocblas_geam_ex_operation_.num_vgpr, 229
	.set _ZN12_GLOBAL__N_120geam_min_plus_kernelIdddLi4ELi64ELi128ELi128ELi4ELi4ELi64ELi64ELi4ELc84ELc84ELb1ELb0ELb0EdKddEEviiiT16_PT17_ilS4_ilS2_S4_ilPT18_ili26rocblas_geam_ex_operation_.num_agpr, 0
	.set _ZN12_GLOBAL__N_120geam_min_plus_kernelIdddLi4ELi64ELi128ELi128ELi4ELi4ELi64ELi64ELi4ELc84ELc84ELb1ELb0ELb0EdKddEEviiiT16_PT17_ilS4_ilS2_S4_ilPT18_ili26rocblas_geam_ex_operation_.numbered_sgpr, 27
	.set _ZN12_GLOBAL__N_120geam_min_plus_kernelIdddLi4ELi64ELi128ELi128ELi4ELi4ELi64ELi64ELi4ELc84ELc84ELb1ELb0ELb0EdKddEEviiiT16_PT17_ilS4_ilS2_S4_ilPT18_ili26rocblas_geam_ex_operation_.num_named_barrier, 0
	.set _ZN12_GLOBAL__N_120geam_min_plus_kernelIdddLi4ELi64ELi128ELi128ELi4ELi4ELi64ELi64ELi4ELc84ELc84ELb1ELb0ELb0EdKddEEviiiT16_PT17_ilS4_ilS2_S4_ilPT18_ili26rocblas_geam_ex_operation_.private_seg_size, 528
	.set _ZN12_GLOBAL__N_120geam_min_plus_kernelIdddLi4ELi64ELi128ELi128ELi4ELi4ELi64ELi64ELi4ELc84ELc84ELb1ELb0ELb0EdKddEEviiiT16_PT17_ilS4_ilS2_S4_ilPT18_ili26rocblas_geam_ex_operation_.uses_vcc, 1
	.set _ZN12_GLOBAL__N_120geam_min_plus_kernelIdddLi4ELi64ELi128ELi128ELi4ELi4ELi64ELi64ELi4ELc84ELc84ELb1ELb0ELb0EdKddEEviiiT16_PT17_ilS4_ilS2_S4_ilPT18_ili26rocblas_geam_ex_operation_.uses_flat_scratch, 0
	.set _ZN12_GLOBAL__N_120geam_min_plus_kernelIdddLi4ELi64ELi128ELi128ELi4ELi4ELi64ELi64ELi4ELc84ELc84ELb1ELb0ELb0EdKddEEviiiT16_PT17_ilS4_ilS2_S4_ilPT18_ili26rocblas_geam_ex_operation_.has_dyn_sized_stack, 0
	.set _ZN12_GLOBAL__N_120geam_min_plus_kernelIdddLi4ELi64ELi128ELi128ELi4ELi4ELi64ELi64ELi4ELc84ELc84ELb1ELb0ELb0EdKddEEviiiT16_PT17_ilS4_ilS2_S4_ilPT18_ili26rocblas_geam_ex_operation_.has_recursion, 0
	.set _ZN12_GLOBAL__N_120geam_min_plus_kernelIdddLi4ELi64ELi128ELi128ELi4ELi4ELi64ELi64ELi4ELc84ELc84ELb1ELb0ELb0EdKddEEviiiT16_PT17_ilS4_ilS2_S4_ilPT18_ili26rocblas_geam_ex_operation_.has_indirect_call, 0
	.section	.AMDGPU.csdata,"",@progbits
; Kernel info:
; codeLenInByte = 18736
; TotalNumSgprs: 29
; NumVgprs: 229
; ScratchSize: 528
; MemoryBound: 1
; FloatMode: 240
; IeeeMode: 1
; LDSByteSize: 16384 bytes/workgroup (compile time only)
; SGPRBlocks: 0
; VGPRBlocks: 28
; NumSGPRsForWavesPerEU: 29
; NumVGPRsForWavesPerEU: 229
; Occupancy: 4
; WaveLimiterHint : 1
; COMPUTE_PGM_RSRC2:SCRATCH_EN: 1
; COMPUTE_PGM_RSRC2:USER_SGPR: 6
; COMPUTE_PGM_RSRC2:TRAP_HANDLER: 0
; COMPUTE_PGM_RSRC2:TGID_X_EN: 1
; COMPUTE_PGM_RSRC2:TGID_Y_EN: 0
; COMPUTE_PGM_RSRC2:TGID_Z_EN: 1
; COMPUTE_PGM_RSRC2:TIDIG_COMP_CNT: 1
	.section	.text._ZN12_GLOBAL__N_120geam_min_plus_kernelIdddLi4ELi64ELi128ELi128ELi4ELi4ELi64ELi64ELi4ELc84ELc84ELb0ELb0ELb0EdKddEEviiiT16_PT17_ilS4_ilS2_S4_ilPT18_ili26rocblas_geam_ex_operation_,"axG",@progbits,_ZN12_GLOBAL__N_120geam_min_plus_kernelIdddLi4ELi64ELi128ELi128ELi4ELi4ELi64ELi64ELi4ELc84ELc84ELb0ELb0ELb0EdKddEEviiiT16_PT17_ilS4_ilS2_S4_ilPT18_ili26rocblas_geam_ex_operation_,comdat
	.globl	_ZN12_GLOBAL__N_120geam_min_plus_kernelIdddLi4ELi64ELi128ELi128ELi4ELi4ELi64ELi64ELi4ELc84ELc84ELb0ELb0ELb0EdKddEEviiiT16_PT17_ilS4_ilS2_S4_ilPT18_ili26rocblas_geam_ex_operation_ ; -- Begin function _ZN12_GLOBAL__N_120geam_min_plus_kernelIdddLi4ELi64ELi128ELi128ELi4ELi4ELi64ELi64ELi4ELc84ELc84ELb0ELb0ELb0EdKddEEviiiT16_PT17_ilS4_ilS2_S4_ilPT18_ili26rocblas_geam_ex_operation_
	.p2align	8
	.type	_ZN12_GLOBAL__N_120geam_min_plus_kernelIdddLi4ELi64ELi128ELi128ELi4ELi4ELi64ELi64ELi4ELc84ELc84ELb0ELb0ELb0EdKddEEviiiT16_PT17_ilS4_ilS2_S4_ilPT18_ili26rocblas_geam_ex_operation_,@function
_ZN12_GLOBAL__N_120geam_min_plus_kernelIdddLi4ELi64ELi128ELi128ELi4ELi4ELi64ELi64ELi4ELc84ELc84ELb0ELb0ELb0EdKddEEviiiT16_PT17_ilS4_ilS2_S4_ilPT18_ili26rocblas_geam_ex_operation_: ; @_ZN12_GLOBAL__N_120geam_min_plus_kernelIdddLi4ELi64ELi128ELi128ELi4ELi4ELi64ELi64ELi4ELc84ELc84ELb0ELb0ELb0EdKddEEviiiT16_PT17_ilS4_ilS2_S4_ilPT18_ili26rocblas_geam_ex_operation_
; %bb.0:
	s_clause 0x1
	s_load_dwordx4 s[16:19], s[4:5], 0x10
	s_load_dwordx4 s[12:15], s[4:5], 0x28
	s_add_u32 s0, s0, s8
	s_addc_u32 s1, s1, 0
	s_mov_b64 s[20:21], 0
	s_waitcnt lgkmcnt(0)
	v_cmp_eq_f64_e64 s22, s[16:17], 0
	s_and_b32 vcc_lo, exec_lo, s22
	s_cbranch_vccnz .LBB200_2
; %bb.1:
	s_mul_i32 s8, s13, s7
	s_mul_hi_u32 s9, s12, s7
	s_add_i32 s9, s9, s8
	s_mul_i32 s8, s12, s7
	s_lshl_b64 s[8:9], s[8:9], 3
	s_add_u32 s20, s18, s8
	s_addc_u32 s21, s19, s9
.LBB200_2:
	s_clause 0x1
	s_load_dwordx4 s[8:11], s[4:5], 0x40
	s_load_dwordx2 s[24:25], s[4:5], 0x50
	s_andn2_b32 vcc_lo, exec_lo, s22
	s_mov_b32 s12, -1
	s_cbranch_vccnz .LBB200_4
; %bb.3:
	s_mov_b32 s12, 0
.LBB200_4:
	s_mov_b64 s[18:19], 0
	s_andn2_b32 vcc_lo, exec_lo, s12
	s_mov_b64 s[22:23], 0
	s_cbranch_vccnz .LBB200_6
; %bb.5:
	s_waitcnt lgkmcnt(0)
	s_mul_i32 s9, s9, s7
	s_mul_hi_u32 s12, s8, s7
	s_mul_i32 s8, s8, s7
	s_add_i32 s9, s12, s9
	s_lshl_b64 s[8:9], s[8:9], 3
	s_add_u32 s22, s14, s8
	s_addc_u32 s23, s15, s9
.LBB200_6:
	s_waitcnt lgkmcnt(0)
	v_cmp_eq_f64_e64 s8, s[10:11], 0
	v_cmp_neq_f64_e64 s9, s[16:17], 0
	s_load_dwordx4 s[12:15], s[4:5], 0x60
	s_and_b32 vcc_lo, exec_lo, s8
	s_cbranch_vccnz .LBB200_8
; %bb.7:
	s_waitcnt lgkmcnt(0)
	s_mul_i32 s8, s13, s7
	s_mul_hi_u32 s13, s12, s7
	s_mul_i32 s12, s12, s7
	s_add_i32 s13, s13, s8
	s_lshl_b64 s[12:13], s[12:13], 3
	s_add_u32 s18, s24, s12
	s_addc_u32 s19, s25, s13
.LBB200_8:
	s_clause 0x1
	s_load_dword s8, s[4:5], 0x0
	s_load_dword s26, s[4:5], 0x20
	v_and_b32_e32 v84, 3, v0
	v_lshl_add_u32 v7, v1, 2, v0
	v_mov_b32_e32 v4, 0
	v_mov_b32_e32 v6, 0
	;; [unrolled: 1-line block ×3, first 2 shown]
	v_lshlrev_b32_e32 v82, 3, v84
	v_lshrrev_b32_e32 v80, 2, v7
	buffer_store_dword v6, off, s[0:3], 0 offset:4
	buffer_store_dword v6, off, s[0:3], 0
	buffer_store_dword v6, off, s[0:3], 0 offset:12
	buffer_store_dword v6, off, s[0:3], 0 offset:8
	;; [unrolled: 1-line block ×35, first 2 shown]
	s_waitcnt lgkmcnt(0)
	s_add_i32 s8, s8, -1
	buffer_store_dword v6, off, s[0:3], 0 offset:144
	buffer_store_dword v6, off, s[0:3], 0 offset:156
	;; [unrolled: 1-line block ×4, first 2 shown]
	s_ashr_i32 s12, s8, 31
	buffer_store_dword v6, off, s[0:3], 0 offset:160
	buffer_store_dword v6, off, s[0:3], 0 offset:172
	s_lshr_b32 s12, s12, 25
	buffer_store_dword v6, off, s[0:3], 0 offset:168
	s_add_i32 s8, s8, s12
	buffer_store_dword v6, off, s[0:3], 0 offset:180
	s_ashr_i32 s8, s8, 7
	buffer_store_dword v6, off, s[0:3], 0 offset:176
	s_add_i32 s13, s8, 1
	s_not_b32 s8, s8
	v_cvt_f32_u32_e32 v2, s13
	buffer_store_dword v6, off, s[0:3], 0 offset:188
	buffer_store_dword v6, off, s[0:3], 0 offset:184
	;; [unrolled: 1-line block ×4, first 2 shown]
	v_rcp_iflag_f32_e32 v2, v2
	buffer_store_dword v6, off, s[0:3], 0 offset:204
	buffer_store_dword v6, off, s[0:3], 0 offset:200
	;; [unrolled: 1-line block ×78, first 2 shown]
	v_mul_f32_e32 v2, 0x4f7ffffe, v2
	v_cvt_u32_f32_e32 v2, v2
	v_readfirstlane_b32 s12, v2
	v_cndmask_b32_e64 v2, 0, 1, s9
	s_mul_i32 s8, s8, s12
	s_mul_hi_u32 s8, s12, s8
	s_add_i32 s12, s12, s8
	s_mul_hi_u32 s8, s6, s12
	s_mul_i32 s12, s8, s13
	s_add_i32 s24, s8, 1
	s_sub_i32 s12, s6, s12
	s_sub_i32 s25, s12, s13
	s_cmp_ge_u32 s12, s13
	s_cselect_b32 s8, s24, s8
	s_cselect_b32 s12, s25, s12
	s_add_i32 s24, s8, 1
	s_cmp_ge_u32 s12, s13
	s_cselect_b32 s12, s24, s8
	s_andn2_b32 vcc_lo, exec_lo, s9
	s_mul_i32 s8, s12, s13
	v_add_co_u32 v21, s13, s20, v82
	s_sub_i32 s6, s6, s8
	v_add_co_ci_u32_e64 v22, null, s21, 0, s13
	s_lshl_b32 s8, s6, 7
	v_cmp_ne_u32_e64 s6, 1, v2
	v_mov_b32_e32 v2, 0
	v_add_nc_u32_e32 v81, s8, v80
	v_mov_b32_e32 v3, 0
	s_cbranch_vccnz .LBB200_10
; %bb.9:
	v_mad_i64_i32 v[2:3], null, v81, s26, 0
	v_lshlrev_b64 v[2:3], 3, v[2:3]
	v_add_co_u32 v2, vcc_lo, v21, v2
	v_add_co_ci_u32_e64 v3, null, v22, v3, vcc_lo
	global_load_dwordx2 v[2:3], v[2:3], off
	s_waitcnt vmcnt(0)
	v_mul_f64 v[2:3], s[16:17], v[2:3]
.LBB200_10:
	s_load_dword s24, s[4:5], 0x38
	v_and_b32_e32 v20, 63, v7
	s_lshl_b32 s9, s12, 7
	v_mov_b32_e32 v16, 0
	v_mov_b32_e32 v18, 0
	v_lshrrev_b32_e32 v85, 6, v7
	v_or_b32_e32 v6, s9, v20
	v_add_nc_u32_e32 v83, 64, v81
	v_mov_b32_e32 v17, 0
	v_mov_b32_e32 v19, 0
	s_and_b32 vcc_lo, exec_lo, s6
	v_ashrrev_i32_e32 v7, 31, v6
	s_waitcnt lgkmcnt(0)
	s_ashr_i32 s25, s24, 31
	s_cbranch_vccnz .LBB200_12
; %bb.11:
	v_mad_i64_i32 v[4:5], null, s24, v85, 0
	v_mad_i64_i32 v[8:9], null, v83, s26, 0
	v_lshlrev_b64 v[10:11], 3, v[6:7]
	v_lshlrev_b64 v[4:5], 3, v[4:5]
	;; [unrolled: 1-line block ×3, first 2 shown]
	v_add_co_u32 v12, vcc_lo, s22, v4
	v_add_co_ci_u32_e64 v13, null, s23, v5, vcc_lo
	v_add_co_u32 v4, vcc_lo, v21, v8
	v_add_co_ci_u32_e64 v5, null, v22, v9, vcc_lo
	;; [unrolled: 2-line block ×3, first 2 shown]
	global_load_dwordx2 v[4:5], v[4:5], off
	s_clause 0x1
	global_load_dwordx2 v[10:11], v[8:9], off
	global_load_dwordx2 v[8:9], v[8:9], off offset:512
	s_waitcnt vmcnt(2)
	v_mul_f64 v[4:5], s[16:17], v[4:5]
	s_waitcnt vmcnt(1)
	v_mul_f64 v[16:17], s[16:17], v[10:11]
	;; [unrolled: 2-line block ×3, first 2 shown]
.LBB200_12:
	v_mov_b32_e32 v10, 0
	v_mov_b32_e32 v8, 0
	;; [unrolled: 1-line block ×4, first 2 shown]
	s_and_b32 vcc_lo, exec_lo, s6
	s_cbranch_vccnz .LBB200_14
; %bb.13:
	v_mad_i64_i32 v[8:9], null, v81, s26, 0
	v_lshlrev_b64 v[8:9], 3, v[8:9]
	v_add_co_u32 v8, vcc_lo, v21, v8
	v_add_co_ci_u32_e64 v9, null, v22, v9, vcc_lo
	global_load_dwordx2 v[8:9], v[8:9], off offset:32
	s_waitcnt vmcnt(0)
	v_mul_f64 v[8:9], s[16:17], v[8:9]
.LBB200_14:
	v_mov_b32_e32 v12, 0
	v_mov_b32_e32 v14, 0
	;; [unrolled: 1-line block ×4, first 2 shown]
	v_add_nc_u32_e32 v86, 4, v85
	s_and_b32 vcc_lo, exec_lo, s6
	s_cbranch_vccnz .LBB200_16
; %bb.15:
	v_mad_i64_i32 v[10:11], null, s24, v86, 0
	v_mad_i64_i32 v[12:13], null, v83, s26, 0
	v_lshlrev_b64 v[14:15], 3, v[6:7]
	v_lshlrev_b64 v[10:11], 3, v[10:11]
	;; [unrolled: 1-line block ×3, first 2 shown]
	v_add_co_u32 v23, vcc_lo, s22, v10
	v_add_co_ci_u32_e64 v24, null, s23, v11, vcc_lo
	v_add_co_u32 v10, vcc_lo, v21, v12
	v_add_co_ci_u32_e64 v11, null, v22, v13, vcc_lo
	;; [unrolled: 2-line block ×3, first 2 shown]
	global_load_dwordx2 v[10:11], v[10:11], off offset:32
	s_clause 0x1
	global_load_dwordx2 v[14:15], v[12:13], off
	global_load_dwordx2 v[21:22], v[12:13], off offset:512
	s_waitcnt vmcnt(2)
	v_mul_f64 v[10:11], s[16:17], v[10:11]
	s_waitcnt vmcnt(1)
	v_mul_f64 v[12:13], s[16:17], v[14:15]
	;; [unrolled: 2-line block ×3, first 2 shown]
.LBB200_16:
	v_cmp_neq_f64_e64 s12, s[10:11], 0
	v_lshlrev_b32_e32 v22, 3, v85
	v_lshlrev_b32_e32 v21, 5, v80
	;; [unrolled: 1-line block ×3, first 2 shown]
	v_lshl_or_b32 v90, v1, 5, 0x2000
	s_mov_b32 s13, 0
	v_lshl_add_u32 v94, v20, 5, v22
	v_lshl_or_b32 v87, v84, 3, v21
	s_addk_i32 s13, 0x100
	s_mov_b32 s27, 0
	v_or_b32_e32 v88, 0x2000, v94
	ds_write2st64_b64 v87, v[2:3], v[4:5] offset1:4
	ds_write2st64_b64 v94, v[16:17], v[18:19] offset0:16 offset1:20
	s_waitcnt lgkmcnt(0)
	s_waitcnt_vscnt null, 0x0
	s_barrier
	buffer_gl0_inv
.LBB200_17:                             ; =>This Loop Header: Depth=1
                                        ;     Child Loop BB200_18 Depth 2
	s_lshl_b32 s28, s27, 3
	s_mov_b32 s29, 0
	v_add_nc_u32_e32 v16, s28, v89
	v_add_nc_u32_e32 v91, s28, v90
	s_mov_b32 s28, -1
	ds_read2_b64 v[2:5], v16 offset1:16
	ds_read2_b64 v[20:23], v16 offset0:32 offset1:48
	ds_read2_b64 v[24:27], v16 offset0:64 offset1:80
	;; [unrolled: 1-line block ×4, first 2 shown]
	v_add_nc_u32_e32 v76, 0x800, v16
	ds_read2_b64 v[36:39], v16 offset0:160 offset1:176
	ds_read2_b64 v[40:43], v16 offset0:192 offset1:208
	ds_read2_b64 v[44:47], v16 offset0:224 offset1:240
	ds_read2_b64 v[48:51], v76 offset1:16
	ds_read2_b64 v[52:55], v76 offset0:32 offset1:48
	ds_read2_b64 v[56:59], v76 offset0:64 offset1:80
	;; [unrolled: 1-line block ×6, first 2 shown]
	s_waitcnt lgkmcnt(9)
	v_max_f64 v[36:37], v[36:37], v[36:37]
	v_max_f64 v[38:39], v[38:39], v[38:39]
	;; [unrolled: 1-line block ×4, first 2 shown]
	ds_read2_b64 v[2:5], v76 offset0:224 offset1:240
	v_max_f64 v[20:21], v[20:21], v[20:21]
	v_max_f64 v[22:23], v[22:23], v[22:23]
	;; [unrolled: 1-line block ×8, first 2 shown]
	s_waitcnt lgkmcnt(9)
	v_max_f64 v[40:41], v[40:41], v[40:41]
	v_max_f64 v[42:43], v[42:43], v[42:43]
	s_waitcnt lgkmcnt(8)
	v_max_f64 v[44:45], v[44:45], v[44:45]
	v_max_f64 v[46:47], v[46:47], v[46:47]
	;; [unrolled: 3-line block ×10, first 2 shown]
	ds_read2st64_b64 v[2:5], v91 offset1:4
.LBB200_18:                             ;   Parent Loop BB200_17 Depth=1
                                        ; =>  This Inner Loop Header: Depth=2
	v_mov_b32_e32 v93, s29
	s_waitcnt lgkmcnt(0)
	v_max_f64 v[157:158], v[2:3], v[2:3]
	v_mov_b32_e32 v2, v4
	v_mov_b32_e32 v3, v5
	s_and_b32 vcc_lo, exec_lo, s28
	s_clause 0x3e
	buffer_load_dword v91, v93, s[0:3], 0 offen
	buffer_load_dword v92, v93, s[0:3], 0 offen offset:4
	buffer_load_dword v95, v93, s[0:3], 0 offen offset:8
	buffer_load_dword v96, v93, s[0:3], 0 offen offset:12
	buffer_load_dword v97, v93, s[0:3], 0 offen offset:16
	buffer_load_dword v98, v93, s[0:3], 0 offen offset:20
	buffer_load_dword v99, v93, s[0:3], 0 offen offset:24
	buffer_load_dword v100, v93, s[0:3], 0 offen offset:28
	buffer_load_dword v101, v93, s[0:3], 0 offen offset:32
	buffer_load_dword v102, v93, s[0:3], 0 offen offset:36
	buffer_load_dword v103, v93, s[0:3], 0 offen offset:40
	buffer_load_dword v104, v93, s[0:3], 0 offen offset:44
	buffer_load_dword v105, v93, s[0:3], 0 offen offset:48
	buffer_load_dword v106, v93, s[0:3], 0 offen offset:52
	buffer_load_dword v107, v93, s[0:3], 0 offen offset:56
	buffer_load_dword v108, v93, s[0:3], 0 offen offset:60
	buffer_load_dword v109, v93, s[0:3], 0 offen offset:72
	buffer_load_dword v110, v93, s[0:3], 0 offen offset:76
	buffer_load_dword v111, v93, s[0:3], 0 offen offset:80
	buffer_load_dword v112, v93, s[0:3], 0 offen offset:84
	buffer_load_dword v113, v93, s[0:3], 0 offen offset:88
	buffer_load_dword v114, v93, s[0:3], 0 offen offset:92
	buffer_load_dword v116, v93, s[0:3], 0 offen offset:68
	buffer_load_dword v115, v93, s[0:3], 0 offen offset:64
	buffer_load_dword v117, v93, s[0:3], 0 offen offset:96
	buffer_load_dword v118, v93, s[0:3], 0 offen offset:100
	buffer_load_dword v119, v93, s[0:3], 0 offen offset:104
	buffer_load_dword v120, v93, s[0:3], 0 offen offset:108
	buffer_load_dword v121, v93, s[0:3], 0 offen offset:112
	buffer_load_dword v122, v93, s[0:3], 0 offen offset:116
	buffer_load_dword v123, v93, s[0:3], 0 offen offset:120
	buffer_load_dword v124, v93, s[0:3], 0 offen offset:124
	buffer_load_dword v125, v93, s[0:3], 0 offen offset:128
	buffer_load_dword v126, v93, s[0:3], 0 offen offset:132
	buffer_load_dword v127, v93, s[0:3], 0 offen offset:136
	buffer_load_dword v128, v93, s[0:3], 0 offen offset:140
	buffer_load_dword v129, v93, s[0:3], 0 offen offset:144
	buffer_load_dword v130, v93, s[0:3], 0 offen offset:148
	buffer_load_dword v131, v93, s[0:3], 0 offen offset:152
	buffer_load_dword v132, v93, s[0:3], 0 offen offset:156
	buffer_load_dword v133, v93, s[0:3], 0 offen offset:160
	buffer_load_dword v134, v93, s[0:3], 0 offen offset:164
	buffer_load_dword v135, v93, s[0:3], 0 offen offset:168
	buffer_load_dword v136, v93, s[0:3], 0 offen offset:172
	buffer_load_dword v137, v93, s[0:3], 0 offen offset:176
	buffer_load_dword v138, v93, s[0:3], 0 offen offset:180
	buffer_load_dword v139, v93, s[0:3], 0 offen offset:184
	buffer_load_dword v140, v93, s[0:3], 0 offen offset:188
	buffer_load_dword v141, v93, s[0:3], 0 offen offset:192
	buffer_load_dword v142, v93, s[0:3], 0 offen offset:196
	buffer_load_dword v143, v93, s[0:3], 0 offen offset:200
	buffer_load_dword v144, v93, s[0:3], 0 offen offset:204
	buffer_load_dword v145, v93, s[0:3], 0 offen offset:208
	buffer_load_dword v146, v93, s[0:3], 0 offen offset:212
	buffer_load_dword v147, v93, s[0:3], 0 offen offset:216
	buffer_load_dword v148, v93, s[0:3], 0 offen offset:220
	buffer_load_dword v149, v93, s[0:3], 0 offen offset:224
	buffer_load_dword v150, v93, s[0:3], 0 offen offset:228
	buffer_load_dword v151, v93, s[0:3], 0 offen offset:232
	buffer_load_dword v152, v93, s[0:3], 0 offen offset:236
	buffer_load_dword v153, v93, s[0:3], 0 offen offset:240
	buffer_load_dword v154, v93, s[0:3], 0 offen offset:244
	buffer_load_dword v155, v93, s[0:3], 0 offen offset:248
	buffer_load_dword v156, v93, s[0:3], 0 offen offset:252
	s_mov_b32 s28, 0
	s_mov_b32 s29, s13
	v_min_f64 v[159:160], v[16:17], v[157:158]
	v_min_f64 v[161:162], v[18:19], v[157:158]
	;; [unrolled: 1-line block ×32, first 2 shown]
	s_waitcnt vmcnt(62)
	v_add_f64 v[91:92], v[159:160], v[91:92]
	s_waitcnt vmcnt(60)
	v_add_f64 v[95:96], v[161:162], v[95:96]
	;; [unrolled: 2-line block ×32, first 2 shown]
	buffer_store_dword v91, v93, s[0:3], 0 offen
	buffer_store_dword v92, v93, s[0:3], 0 offen offset:4
	buffer_store_dword v95, v93, s[0:3], 0 offen offset:8
	;; [unrolled: 1-line block ×63, first 2 shown]
	s_cbranch_vccnz .LBB200_18
; %bb.19:                               ;   in Loop: Header=BB200_17 Depth=1
	s_add_i32 s27, s27, 1
	s_cmp_eq_u32 s27, 4
	s_cbranch_scc0 .LBB200_17
; %bb.20:
	s_load_dword s27, s[4:5], 0x8
	v_lshl_or_b32 v2, v80, 5, v82
	v_lshl_add_u32 v91, v0, 5, 0x1000
	v_lshl_add_u32 v92, v1, 5, 0x3000
	ds_write2st64_b64 v2, v[8:9], v[10:11] offset0:8 offset1:12
	ds_write2st64_b64 v94, v[12:13], v[14:15] offset0:24 offset1:28
	s_waitcnt lgkmcnt(0)
	s_waitcnt_vscnt null, 0x0
	s_barrier
	buffer_gl0_inv
	s_cmp_lt_i32 s27, 9
	s_cbranch_scc1 .LBB200_39
; %bb.21:
	v_mad_i64_i32 v[3:4], null, v81, s26, 0
	v_lshlrev_b64 v[5:6], 3, v[6:7]
	v_mad_i64_i32 v[7:8], null, v83, s26, 0
	v_add_nc_u32_e32 v93, 0x1000, v2
	v_or_b32_e32 v94, 0x3000, v94
	v_mov_b32_e32 v75, 0
	v_add_co_u32 v95, vcc_lo, s22, v5
	v_lshlrev_b64 v[70:71], 3, v[3:4]
	v_lshlrev_b64 v[72:73], 3, v[7:8]
	v_add_co_ci_u32_e64 v96, null, s23, v6, vcc_lo
	s_add_i32 s22, s27, -8
	s_mov_b32 s23, 8
	s_mov_b32 s26, 0
.LBB200_22:                             ; =>This Loop Header: Depth=1
                                        ;     Child Loop BB200_27 Depth 2
                                        ;       Child Loop BB200_28 Depth 3
                                        ;     Child Loop BB200_35 Depth 2
                                        ;       Child Loop BB200_36 Depth 3
	v_or_b32_e32 v74, s23, v84
	v_mov_b32_e32 v8, 0
	v_mov_b32_e32 v6, 0
	;; [unrolled: 1-line block ×4, first 2 shown]
	v_lshlrev_b64 v[2:3], 3, v[74:75]
	v_add_co_u32 v74, vcc_lo, s20, v2
	v_add_co_ci_u32_e64 v97, null, s21, v3, vcc_lo
	s_and_b32 vcc_lo, exec_lo, s6
	s_cbranch_vccnz .LBB200_24
; %bb.23:                               ;   in Loop: Header=BB200_22 Depth=1
	v_add_co_u32 v2, vcc_lo, v74, v70
	v_add_co_ci_u32_e64 v3, null, v97, v71, vcc_lo
	global_load_dwordx2 v[2:3], v[2:3], off
	s_waitcnt vmcnt(0)
	v_mul_f64 v[6:7], s[16:17], v[2:3]
.LBB200_24:                             ;   in Loop: Header=BB200_22 Depth=1
	v_mov_b32_e32 v10, 0
	v_mov_b32_e32 v12, 0
	;; [unrolled: 1-line block ×4, first 2 shown]
	s_and_b32 vcc_lo, exec_lo, s6
	s_cbranch_vccnz .LBB200_26
; %bb.25:                               ;   in Loop: Header=BB200_22 Depth=1
	v_add_nc_u32_e32 v4, s23, v85
	v_mad_u64_u32 v[2:3], null, v4, s24, 0
	v_mad_u64_u32 v[3:4], null, v4, s25, v[3:4]
	v_add_co_u32 v4, vcc_lo, v74, v72
	v_add_co_ci_u32_e64 v5, null, v97, v73, vcc_lo
	v_lshlrev_b64 v[2:3], 3, v[2:3]
	v_add_co_u32 v2, vcc_lo, v95, v2
	v_add_co_ci_u32_e64 v3, null, v96, v3, vcc_lo
	global_load_dwordx2 v[4:5], v[4:5], off
	s_clause 0x1
	global_load_dwordx2 v[10:11], v[2:3], off
	global_load_dwordx2 v[2:3], v[2:3], off offset:512
	s_waitcnt vmcnt(2)
	v_mul_f64 v[8:9], s[16:17], v[4:5]
	s_waitcnt vmcnt(1)
	v_mul_f64 v[10:11], s[16:17], v[10:11]
	;; [unrolled: 2-line block ×3, first 2 shown]
.LBB200_26:                             ;   in Loop: Header=BB200_22 Depth=1
	s_mov_b32 s27, 0
.LBB200_27:                             ;   Parent Loop BB200_22 Depth=1
                                        ; =>  This Loop Header: Depth=2
                                        ;       Child Loop BB200_28 Depth 3
	s_lshl_b32 s28, s27, 3
	s_mov_b32 s29, 0
	v_add_nc_u32_e32 v14, s28, v91
	v_add_nc_u32_e32 v98, s28, v92
	s_mov_b32 s28, -1
	ds_read2_b64 v[2:5], v14 offset1:16
	ds_read2_b64 v[18:21], v14 offset0:32 offset1:48
	ds_read2_b64 v[22:25], v14 offset0:64 offset1:80
	v_add_nc_u32_e32 v15, 0x800, v14
	ds_read2_b64 v[26:29], v14 offset0:96 offset1:112
	ds_read2_b64 v[30:33], v14 offset0:128 offset1:144
	;; [unrolled: 1-line block ×5, first 2 shown]
	ds_read2_b64 v[46:49], v15 offset1:16
	ds_read2_b64 v[50:53], v15 offset0:32 offset1:48
	ds_read2_b64 v[54:57], v15 offset0:64 offset1:80
	;; [unrolled: 1-line block ×7, first 2 shown]
	s_waitcnt lgkmcnt(11)
	v_max_f64 v[30:31], v[30:31], v[30:31]
	v_max_f64 v[32:33], v[32:33], v[32:33]
	s_waitcnt lgkmcnt(10)
	v_max_f64 v[34:35], v[34:35], v[34:35]
	v_max_f64 v[36:37], v[36:37], v[36:37]
	;; [unrolled: 3-line block ×3, first 2 shown]
	v_max_f64 v[14:15], v[2:3], v[2:3]
	v_max_f64 v[16:17], v[4:5], v[4:5]
	;; [unrolled: 1-line block ×8, first 2 shown]
	s_waitcnt lgkmcnt(8)
	v_max_f64 v[42:43], v[42:43], v[42:43]
	v_max_f64 v[44:45], v[44:45], v[44:45]
	s_waitcnt lgkmcnt(7)
	v_max_f64 v[46:47], v[46:47], v[46:47]
	v_max_f64 v[48:49], v[48:49], v[48:49]
	;; [unrolled: 3-line block ×9, first 2 shown]
	ds_read2st64_b64 v[2:5], v98 offset1:4
.LBB200_28:                             ;   Parent Loop BB200_22 Depth=1
                                        ;     Parent Loop BB200_27 Depth=2
                                        ; =>    This Inner Loop Header: Depth=3
	v_mov_b32_e32 v226, s29
	s_waitcnt lgkmcnt(0)
	v_max_f64 v[162:163], v[2:3], v[2:3]
	v_mov_b32_e32 v2, v4
	v_mov_b32_e32 v3, v5
	s_and_b32 vcc_lo, exec_lo, s28
	s_clause 0x3e
	buffer_load_dword v98, v226, s[0:3], 0 offen
	buffer_load_dword v99, v226, s[0:3], 0 offen offset:4
	buffer_load_dword v100, v226, s[0:3], 0 offen offset:8
	;; [unrolled: 1-line block ×63, first 2 shown]
	s_mov_b32 s28, 0
	s_mov_b32 s29, s13
	v_min_f64 v[164:165], v[14:15], v[162:163]
	v_min_f64 v[166:167], v[16:17], v[162:163]
	;; [unrolled: 1-line block ×32, first 2 shown]
	s_waitcnt vmcnt(62)
	v_add_f64 v[98:99], v[164:165], v[98:99]
	s_waitcnt vmcnt(60)
	v_add_f64 v[100:101], v[166:167], v[100:101]
	;; [unrolled: 2-line block ×32, first 2 shown]
	buffer_store_dword v98, v226, s[0:3], 0 offen
	buffer_store_dword v99, v226, s[0:3], 0 offen offset:4
	buffer_store_dword v100, v226, s[0:3], 0 offen offset:8
	;; [unrolled: 1-line block ×63, first 2 shown]
	s_cbranch_vccnz .LBB200_28
; %bb.29:                               ;   in Loop: Header=BB200_27 Depth=2
	s_add_i32 s27, s27, 1
	s_cmp_eq_u32 s27, 4
	s_cbranch_scc0 .LBB200_27
; %bb.30:                               ;   in Loop: Header=BB200_22 Depth=1
	v_mov_b32_e32 v78, 0
	v_mov_b32_e32 v76, 0
	;; [unrolled: 1-line block ×4, first 2 shown]
	s_and_b32 vcc_lo, exec_lo, s6
	ds_write2st64_b64 v87, v[6:7], v[8:9] offset1:4
	ds_write2st64_b64 v88, v[10:11], v[12:13] offset1:4
	s_waitcnt lgkmcnt(0)
	s_waitcnt_vscnt null, 0x0
	s_barrier
	buffer_gl0_inv
	s_cbranch_vccnz .LBB200_32
; %bb.31:                               ;   in Loop: Header=BB200_22 Depth=1
	v_add_co_u32 v2, vcc_lo, v74, v70
	v_add_co_ci_u32_e64 v3, null, v97, v71, vcc_lo
	global_load_dwordx2 v[2:3], v[2:3], off offset:32
	s_waitcnt vmcnt(0)
	v_mul_f64 v[76:77], s[16:17], v[2:3]
.LBB200_32:                             ;   in Loop: Header=BB200_22 Depth=1
	v_mov_b32_e32 v80, 0
	v_mov_b32_e32 v82, 0
	;; [unrolled: 1-line block ×4, first 2 shown]
	s_and_b32 vcc_lo, exec_lo, s6
	s_cbranch_vccnz .LBB200_34
; %bb.33:                               ;   in Loop: Header=BB200_22 Depth=1
	v_add_nc_u32_e32 v4, s23, v86
	v_mad_u64_u32 v[2:3], null, v4, s24, 0
	v_mad_u64_u32 v[3:4], null, v4, s25, v[3:4]
	v_add_co_u32 v4, vcc_lo, v74, v72
	v_add_co_ci_u32_e64 v5, null, v97, v73, vcc_lo
	v_lshlrev_b64 v[2:3], 3, v[2:3]
	v_add_co_u32 v2, vcc_lo, v95, v2
	v_add_co_ci_u32_e64 v3, null, v96, v3, vcc_lo
	global_load_dwordx2 v[4:5], v[4:5], off offset:32
	s_clause 0x1
	global_load_dwordx2 v[6:7], v[2:3], off
	global_load_dwordx2 v[2:3], v[2:3], off offset:512
	s_waitcnt vmcnt(2)
	v_mul_f64 v[78:79], s[16:17], v[4:5]
	s_waitcnt vmcnt(1)
	v_mul_f64 v[80:81], s[16:17], v[6:7]
	;; [unrolled: 2-line block ×3, first 2 shown]
.LBB200_34:                             ;   in Loop: Header=BB200_22 Depth=1
	s_mov_b32 s27, 0
.LBB200_35:                             ;   Parent Loop BB200_22 Depth=1
                                        ; =>  This Loop Header: Depth=2
                                        ;       Child Loop BB200_36 Depth 3
	s_lshl_b32 s28, s27, 3
	s_mov_b32 s29, 0
	v_add_nc_u32_e32 v30, s28, v89
	v_add_nc_u32_e32 v66, s28, v90
	s_mov_b32 s28, -1
	ds_read2_b64 v[2:5], v30 offset1:16
	ds_read2_b64 v[6:9], v30 offset0:32 offset1:48
	ds_read2_b64 v[10:13], v30 offset0:64 offset1:80
	;; [unrolled: 1-line block ×3, first 2 shown]
	v_add_nc_u32_e32 v62, 0x800, v30
	ds_read2_b64 v[18:21], v30 offset0:128 offset1:144
	ds_read2_b64 v[22:25], v30 offset0:160 offset1:176
	;; [unrolled: 1-line block ×4, first 2 shown]
	ds_read2_b64 v[34:37], v62 offset1:16
	ds_read2_b64 v[38:41], v62 offset0:32 offset1:48
	ds_read2_b64 v[42:45], v62 offset0:64 offset1:80
	;; [unrolled: 1-line block ×7, first 2 shown]
	ds_read2st64_b64 v[66:69], v66 offset1:4
.LBB200_36:                             ;   Parent Loop BB200_22 Depth=1
                                        ;     Parent Loop BB200_35 Depth=2
                                        ; =>    This Inner Loop Header: Depth=3
	v_mov_b32_e32 v74, s29
	s_waitcnt lgkmcnt(16)
	v_max_f64 v[161:162], v[2:3], v[2:3]
	s_waitcnt lgkmcnt(0)
	v_max_f64 v[163:164], v[66:67], v[66:67]
	v_max_f64 v[165:166], v[4:5], v[4:5]
	;; [unrolled: 1-line block ×3, first 2 shown]
	s_clause 0x3e
	buffer_load_dword v97, v74, s[0:3], 0 offen
	buffer_load_dword v98, v74, s[0:3], 0 offen offset:4
	buffer_load_dword v99, v74, s[0:3], 0 offen offset:8
	;; [unrolled: 1-line block ×63, first 2 shown]
	v_max_f64 v[169:170], v[8:9], v[8:9]
	v_max_f64 v[171:172], v[10:11], v[10:11]
	;; [unrolled: 1-line block ×29, first 2 shown]
	v_min_f64 v[161:162], v[161:162], v[163:164]
	v_min_f64 v[165:166], v[165:166], v[163:164]
	;; [unrolled: 1-line block ×32, first 2 shown]
	v_mov_b32_e32 v66, v68
	v_mov_b32_e32 v67, v69
	s_and_b32 vcc_lo, exec_lo, s28
	s_mov_b32 s28, 0
	s_mov_b32 s29, s13
	s_waitcnt vmcnt(62)
	v_add_f64 v[97:98], v[161:162], v[97:98]
	s_waitcnt vmcnt(60)
	v_add_f64 v[99:100], v[165:166], v[99:100]
	;; [unrolled: 2-line block ×32, first 2 shown]
	buffer_store_dword v97, v74, s[0:3], 0 offen
	buffer_store_dword v98, v74, s[0:3], 0 offen offset:4
	buffer_store_dword v99, v74, s[0:3], 0 offen offset:8
	;; [unrolled: 1-line block ×63, first 2 shown]
	s_cbranch_vccnz .LBB200_36
; %bb.37:                               ;   in Loop: Header=BB200_35 Depth=2
	s_add_i32 s27, s27, 1
	s_cmp_eq_u32 s27, 4
	s_cbranch_scc0 .LBB200_35
; %bb.38:                               ;   in Loop: Header=BB200_22 Depth=1
	s_add_i32 s26, s26, 8
	s_add_i32 s23, s23, 8
	s_cmp_ge_i32 s26, s22
	ds_write2st64_b64 v93, v[76:77], v[78:79] offset1:4
	ds_write2st64_b64 v94, v[80:81], v[82:83] offset1:4
	s_waitcnt lgkmcnt(0)
	s_waitcnt_vscnt null, 0x0
	s_barrier
	buffer_gl0_inv
	s_cbranch_scc0 .LBB200_22
.LBB200_39:
	s_mov_b32 s6, 0
.LBB200_40:                             ; =>This Loop Header: Depth=1
                                        ;     Child Loop BB200_41 Depth 2
	s_lshl_b32 s16, s6, 3
	s_mov_b32 s17, 0
	v_add_nc_u32_e32 v6, s16, v91
	v_add_nc_u32_e32 v70, s16, v92
	s_mov_b32 s16, -1
	ds_read2_b64 v[2:5], v6 offset1:16
	ds_read2_b64 v[10:13], v6 offset0:32 offset1:48
	ds_read2_b64 v[14:17], v6 offset0:64 offset1:80
	v_add_nc_u32_e32 v7, 0x800, v6
	ds_read2_b64 v[18:21], v6 offset0:96 offset1:112
	ds_read2_b64 v[22:25], v6 offset0:128 offset1:144
	;; [unrolled: 1-line block ×5, first 2 shown]
	ds_read2_b64 v[38:41], v7 offset1:16
	ds_read2_b64 v[42:45], v7 offset0:32 offset1:48
	ds_read2_b64 v[46:49], v7 offset0:64 offset1:80
	;; [unrolled: 1-line block ×7, first 2 shown]
	s_waitcnt lgkmcnt(11)
	v_max_f64 v[22:23], v[22:23], v[22:23]
	v_max_f64 v[24:25], v[24:25], v[24:25]
	s_waitcnt lgkmcnt(10)
	v_max_f64 v[26:27], v[26:27], v[26:27]
	v_max_f64 v[28:29], v[28:29], v[28:29]
	;; [unrolled: 3-line block ×3, first 2 shown]
	v_max_f64 v[6:7], v[2:3], v[2:3]
	v_max_f64 v[8:9], v[4:5], v[4:5]
	v_max_f64 v[10:11], v[10:11], v[10:11]
	v_max_f64 v[12:13], v[12:13], v[12:13]
	v_max_f64 v[14:15], v[14:15], v[14:15]
	v_max_f64 v[16:17], v[16:17], v[16:17]
	v_max_f64 v[18:19], v[18:19], v[18:19]
	v_max_f64 v[20:21], v[20:21], v[20:21]
	s_waitcnt lgkmcnt(8)
	v_max_f64 v[34:35], v[34:35], v[34:35]
	v_max_f64 v[36:37], v[36:37], v[36:37]
	s_waitcnt lgkmcnt(7)
	v_max_f64 v[38:39], v[38:39], v[38:39]
	v_max_f64 v[40:41], v[40:41], v[40:41]
	;; [unrolled: 3-line block ×9, first 2 shown]
	ds_read2st64_b64 v[2:5], v70 offset1:4
.LBB200_41:                             ;   Parent Loop BB200_40 Depth=1
                                        ; =>  This Inner Loop Header: Depth=2
	v_mov_b32_e32 v90, s17
	s_waitcnt lgkmcnt(0)
	v_max_f64 v[137:138], v[2:3], v[2:3]
	v_mov_b32_e32 v2, v4
	v_mov_b32_e32 v3, v5
	s_and_b32 vcc_lo, exec_lo, s16
	s_clause 0x3e
	buffer_load_dword v70, v90, s[0:3], 0 offen
	buffer_load_dword v71, v90, s[0:3], 0 offen offset:4
	buffer_load_dword v72, v90, s[0:3], 0 offen offset:8
	;; [unrolled: 1-line block ×63, first 2 shown]
	s_mov_b32 s16, 0
	s_mov_b32 s17, s13
	v_min_f64 v[139:140], v[6:7], v[137:138]
	v_min_f64 v[141:142], v[8:9], v[137:138]
	;; [unrolled: 1-line block ×32, first 2 shown]
	s_waitcnt vmcnt(62)
	v_add_f64 v[70:71], v[139:140], v[70:71]
	s_waitcnt vmcnt(60)
	v_add_f64 v[72:73], v[141:142], v[72:73]
	;; [unrolled: 2-line block ×32, first 2 shown]
	buffer_store_dword v70, v90, s[0:3], 0 offen
	buffer_store_dword v71, v90, s[0:3], 0 offen offset:4
	buffer_store_dword v72, v90, s[0:3], 0 offen offset:8
	;; [unrolled: 1-line block ×63, first 2 shown]
	s_cbranch_vccnz .LBB200_41
; %bb.42:                               ;   in Loop: Header=BB200_40 Depth=1
	s_add_i32 s6, s6, 1
	s_cmp_eq_u32 s6, 4
	s_cbranch_scc0 .LBB200_40
; %bb.43:
	s_clause 0x1
	buffer_load_dword v2, off, s[0:3], 0
	buffer_load_dword v3, off, s[0:3], 0 offset:4
	s_load_dword s13, s[4:5], 0x58
	v_add_nc_u32_e32 v71, s9, v1
	v_add_nc_u32_e32 v12, s8, v0
	v_cndmask_b32_e64 v0, 0, 1, s12
	v_mov_b32_e32 v8, 0
	v_mov_b32_e32 v9, 0
	v_ashrrev_i32_e32 v13, 31, v12
	v_cmp_ne_u32_e64 s6, 1, v0
	v_lshlrev_b64 v[0:1], 3, v[12:13]
	s_waitcnt lgkmcnt(0)
	v_mad_i64_i32 v[4:5], null, v71, s13, 0
	v_lshlrev_b64 v[6:7], 3, v[4:5]
	v_mov_b32_e32 v4, 0
	v_mov_b32_e32 v5, 0
	v_add_co_u32 v72, vcc_lo, s18, v6
	v_add_co_ci_u32_e64 v73, null, s19, v7, vcc_lo
	s_andn2_b32 vcc_lo, exec_lo, s12
	s_cbranch_vccnz .LBB200_45
; %bb.44:
	v_add_co_u32 v6, vcc_lo, v72, v0
	v_add_co_ci_u32_e64 v7, null, v73, v1, vcc_lo
	global_load_dwordx2 v[6:7], v[6:7], off
	s_waitcnt vmcnt(0)
	v_mul_f64 v[8:9], s[10:11], v[6:7]
.LBB200_45:
	s_clause 0x1
	buffer_load_dword v6, off, s[0:3], 0 offset:8
	buffer_load_dword v7, off, s[0:3], 0 offset:12
	s_clause 0x1
	s_load_dwordx2 s[8:9], s[4:5], 0x78
	s_load_dword s4, s[4:5], 0x70
	s_waitcnt vmcnt(2)
	v_add_f64 v[8:9], v[2:3], v[8:9]
	s_waitcnt lgkmcnt(0)
	s_mul_i32 s5, s9, s7
	v_mad_i64_i32 v[10:11], null, v71, s4, 0
	s_mul_hi_u32 s9, s8, s7
	s_mul_i32 s8, s8, s7
	s_add_i32 s9, s9, s5
	s_lshl_b64 s[8:9], s[8:9], 3
	v_lshlrev_b64 v[2:3], 3, v[10:11]
	v_add_nc_u32_e32 v10, 4, v12
	s_add_u32 s5, s14, s8
	s_addc_u32 s7, s15, s9
	v_ashrrev_i32_e32 v11, 31, v10
	v_add_co_u32 v74, vcc_lo, s5, v2
	v_add_co_ci_u32_e64 v75, null, s7, v3, vcc_lo
	v_lshlrev_b64 v[2:3], 3, v[10:11]
	v_add_co_u32 v13, vcc_lo, v74, v0
	v_add_co_ci_u32_e64 v14, null, v75, v1, vcc_lo
	s_and_b32 vcc_lo, exec_lo, s6
	global_store_dwordx2 v[13:14], v[8:9], off
	s_cbranch_vccnz .LBB200_47
; %bb.46:
	v_add_co_u32 v4, vcc_lo, v72, v2
	v_add_co_ci_u32_e64 v5, null, v73, v3, vcc_lo
	global_load_dwordx2 v[4:5], v[4:5], off
	s_waitcnt vmcnt(0)
	v_mul_f64 v[4:5], s[10:11], v[4:5]
.LBB200_47:
	s_clause 0x1
	buffer_load_dword v10, off, s[0:3], 0 offset:16
	buffer_load_dword v11, off, s[0:3], 0 offset:20
	s_waitcnt vmcnt(2)
	v_add_f64 v[13:14], v[6:7], v[4:5]
	v_add_nc_u32_e32 v4, 8, v12
	v_add_co_u32 v15, vcc_lo, v74, v2
	v_mov_b32_e32 v8, 0
	v_mov_b32_e32 v6, 0
	v_ashrrev_i32_e32 v5, 31, v4
	v_add_co_ci_u32_e64 v16, null, v75, v3, vcc_lo
	v_mov_b32_e32 v9, 0
	v_mov_b32_e32 v7, 0
	v_lshlrev_b64 v[4:5], 3, v[4:5]
	s_and_b32 vcc_lo, exec_lo, s6
	global_store_dwordx2 v[15:16], v[13:14], off
	s_cbranch_vccnz .LBB200_49
; %bb.48:
	v_add_co_u32 v6, vcc_lo, v72, v4
	v_add_co_ci_u32_e64 v7, null, v73, v5, vcc_lo
	global_load_dwordx2 v[6:7], v[6:7], off
	s_waitcnt vmcnt(0)
	v_mul_f64 v[6:7], s[10:11], v[6:7]
.LBB200_49:
	s_clause 0x1
	buffer_load_dword v13, off, s[0:3], 0 offset:24
	buffer_load_dword v14, off, s[0:3], 0 offset:28
	s_waitcnt vmcnt(2)
	v_add_f64 v[10:11], v[10:11], v[6:7]
	v_add_nc_u32_e32 v6, 12, v12
	v_add_co_u32 v15, vcc_lo, v74, v4
	v_add_co_ci_u32_e64 v16, null, v75, v5, vcc_lo
	v_ashrrev_i32_e32 v7, 31, v6
	s_and_b32 vcc_lo, exec_lo, s6
	v_lshlrev_b64 v[6:7], 3, v[6:7]
	global_store_dwordx2 v[15:16], v[10:11], off
	s_cbranch_vccnz .LBB200_51
; %bb.50:
	v_add_co_u32 v8, vcc_lo, v72, v6
	v_add_co_ci_u32_e64 v9, null, v73, v7, vcc_lo
	global_load_dwordx2 v[8:9], v[8:9], off
	s_waitcnt vmcnt(0)
	v_mul_f64 v[8:9], s[10:11], v[8:9]
.LBB200_51:
	s_clause 0x1
	buffer_load_dword v10, off, s[0:3], 0 offset:32
	buffer_load_dword v11, off, s[0:3], 0 offset:36
	s_waitcnt vmcnt(2)
	v_add_f64 v[17:18], v[13:14], v[8:9]
	v_add_nc_u32_e32 v8, 16, v12
	v_add_co_u32 v19, vcc_lo, v74, v6
	v_mov_b32_e32 v13, 0
	v_mov_b32_e32 v15, 0
	v_ashrrev_i32_e32 v9, 31, v8
	v_add_co_ci_u32_e64 v20, null, v75, v7, vcc_lo
	v_mov_b32_e32 v14, 0
	v_mov_b32_e32 v16, 0
	v_lshlrev_b64 v[8:9], 3, v[8:9]
	s_and_b32 vcc_lo, exec_lo, s6
	global_store_dwordx2 v[19:20], v[17:18], off
	s_cbranch_vccnz .LBB200_53
; %bb.52:
	v_add_co_u32 v15, vcc_lo, v72, v8
	v_add_co_ci_u32_e64 v16, null, v73, v9, vcc_lo
	global_load_dwordx2 v[15:16], v[15:16], off
	s_waitcnt vmcnt(0)
	v_mul_f64 v[15:16], s[10:11], v[15:16]
.LBB200_53:
	s_clause 0x1
	buffer_load_dword v17, off, s[0:3], 0 offset:40
	buffer_load_dword v18, off, s[0:3], 0 offset:44
	s_waitcnt vmcnt(2)
	v_add_f64 v[15:16], v[10:11], v[15:16]
	v_add_nc_u32_e32 v10, 20, v12
	v_add_co_u32 v19, vcc_lo, v74, v8
	v_add_co_ci_u32_e64 v20, null, v75, v9, vcc_lo
	v_ashrrev_i32_e32 v11, 31, v10
	s_and_b32 vcc_lo, exec_lo, s6
	v_lshlrev_b64 v[10:11], 3, v[10:11]
	;; [unrolled: 44-line block ×15, first 2 shown]
	global_store_dwordx2 v[76:77], v[67:68], off
	s_cbranch_vccnz .LBB200_107
; %bb.106:
	v_add_co_u32 v65, vcc_lo, v72, v63
	v_add_co_ci_u32_e64 v66, null, v73, v64, vcc_lo
	global_load_dwordx2 v[65:66], v[65:66], off
	s_waitcnt vmcnt(0)
	v_mul_f64 v[65:66], s[10:11], v[65:66]
.LBB200_107:
	s_clause 0x1
	buffer_load_dword v67, off, s[0:3], 0 offset:256
	buffer_load_dword v68, off, s[0:3], 0 offset:260
	v_add_nc_u32_e32 v76, 64, v71
	s_waitcnt vmcnt(2)
	v_add_f64 v[69:70], v[69:70], v[65:66]
	v_add_co_u32 v74, vcc_lo, v74, v63
	v_add_co_ci_u32_e64 v75, null, v75, v64, vcc_lo
	v_mad_i64_i32 v[65:66], null, v76, s13, 0
	v_mov_b32_e32 v71, 0
	v_mov_b32_e32 v72, 0
	v_lshlrev_b64 v[77:78], 3, v[65:66]
	v_mov_b32_e32 v65, 0
	v_mov_b32_e32 v66, 0
	v_add_co_u32 v12, vcc_lo, s18, v77
	v_add_co_ci_u32_e64 v73, null, s19, v78, vcc_lo
	s_and_b32 vcc_lo, exec_lo, s6
	global_store_dwordx2 v[74:75], v[69:70], off
	s_cbranch_vccnz .LBB200_109
; %bb.108:
	v_add_co_u32 v69, vcc_lo, v12, v0
	v_add_co_ci_u32_e64 v70, null, v73, v1, vcc_lo
	global_load_dwordx2 v[69:70], v[69:70], off
	s_waitcnt vmcnt(0)
	v_mul_f64 v[71:72], s[10:11], v[69:70]
.LBB200_109:
	s_clause 0x1
	buffer_load_dword v69, off, s[0:3], 0 offset:264
	buffer_load_dword v70, off, s[0:3], 0 offset:268
	v_mad_i64_i32 v[74:75], null, v76, s4, 0
	s_waitcnt vmcnt(2)
	v_add_f64 v[67:68], v[67:68], v[71:72]
	v_lshlrev_b64 v[71:72], 3, v[74:75]
	v_add_co_u32 v71, vcc_lo, s5, v71
	v_add_co_ci_u32_e64 v72, null, s7, v72, vcc_lo
	v_add_co_u32 v0, vcc_lo, v71, v0
	v_add_co_ci_u32_e64 v1, null, v72, v1, vcc_lo
	s_and_b32 vcc_lo, exec_lo, s6
	global_store_dwordx2 v[0:1], v[67:68], off
	s_cbranch_vccnz .LBB200_111
; %bb.110:
	v_add_co_u32 v0, vcc_lo, v12, v2
	v_add_co_ci_u32_e64 v1, null, v73, v3, vcc_lo
	global_load_dwordx2 v[0:1], v[0:1], off
	s_waitcnt vmcnt(0)
	v_mul_f64 v[65:66], s[10:11], v[0:1]
.LBB200_111:
	s_clause 0x1
	buffer_load_dword v67, off, s[0:3], 0 offset:272
	buffer_load_dword v68, off, s[0:3], 0 offset:276
	s_waitcnt vmcnt(2)
	v_add_f64 v[65:66], v[69:70], v[65:66]
	v_add_co_u32 v69, vcc_lo, v71, v2
	v_add_co_ci_u32_e64 v70, null, v72, v3, vcc_lo
	v_mov_b32_e32 v0, 0
	v_mov_b32_e32 v2, 0
	;; [unrolled: 1-line block ×4, first 2 shown]
	s_and_b32 vcc_lo, exec_lo, s6
	global_store_dwordx2 v[69:70], v[65:66], off
	s_cbranch_vccnz .LBB200_113
; %bb.112:
	v_add_co_u32 v2, vcc_lo, v12, v4
	v_add_co_ci_u32_e64 v3, null, v73, v5, vcc_lo
	global_load_dwordx2 v[2:3], v[2:3], off
	s_waitcnt vmcnt(0)
	v_mul_f64 v[2:3], s[10:11], v[2:3]
.LBB200_113:
	s_clause 0x1
	buffer_load_dword v65, off, s[0:3], 0 offset:280
	buffer_load_dword v66, off, s[0:3], 0 offset:284
	s_waitcnt vmcnt(2)
	v_add_f64 v[2:3], v[67:68], v[2:3]
	v_add_co_u32 v4, vcc_lo, v71, v4
	v_add_co_ci_u32_e64 v5, null, v72, v5, vcc_lo
	s_and_b32 vcc_lo, exec_lo, s6
	global_store_dwordx2 v[4:5], v[2:3], off
	s_cbranch_vccnz .LBB200_115
; %bb.114:
	v_add_co_u32 v0, vcc_lo, v12, v6
	v_add_co_ci_u32_e64 v1, null, v73, v7, vcc_lo
	global_load_dwordx2 v[0:1], v[0:1], off
	s_waitcnt vmcnt(0)
	v_mul_f64 v[0:1], s[10:11], v[0:1]
.LBB200_115:
	s_clause 0x1
	buffer_load_dword v2, off, s[0:3], 0 offset:288
	buffer_load_dword v3, off, s[0:3], 0 offset:292
	s_waitcnt vmcnt(2)
	v_add_f64 v[4:5], v[65:66], v[0:1]
	v_add_co_u32 v65, vcc_lo, v71, v6
	v_add_co_ci_u32_e64 v66, null, v72, v7, vcc_lo
	v_mov_b32_e32 v0, 0
	v_mov_b32_e32 v6, 0
	;; [unrolled: 1-line block ×4, first 2 shown]
	s_and_b32 vcc_lo, exec_lo, s6
	global_store_dwordx2 v[65:66], v[4:5], off
	s_cbranch_vccnz .LBB200_117
; %bb.116:
	v_add_co_u32 v4, vcc_lo, v12, v8
	v_add_co_ci_u32_e64 v5, null, v73, v9, vcc_lo
	global_load_dwordx2 v[4:5], v[4:5], off
	s_waitcnt vmcnt(0)
	v_mul_f64 v[6:7], s[10:11], v[4:5]
.LBB200_117:
	s_clause 0x1
	buffer_load_dword v4, off, s[0:3], 0 offset:296
	buffer_load_dword v5, off, s[0:3], 0 offset:300
	s_waitcnt vmcnt(2)
	v_add_f64 v[2:3], v[2:3], v[6:7]
	v_add_co_u32 v6, vcc_lo, v71, v8
	v_add_co_ci_u32_e64 v7, null, v72, v9, vcc_lo
	s_and_b32 vcc_lo, exec_lo, s6
	global_store_dwordx2 v[6:7], v[2:3], off
	s_cbranch_vccnz .LBB200_119
; %bb.118:
	v_add_co_u32 v0, vcc_lo, v12, v10
	v_add_co_ci_u32_e64 v1, null, v73, v11, vcc_lo
	global_load_dwordx2 v[0:1], v[0:1], off
	s_waitcnt vmcnt(0)
	v_mul_f64 v[0:1], s[10:11], v[0:1]
.LBB200_119:
	s_clause 0x1
	buffer_load_dword v2, off, s[0:3], 0 offset:304
	buffer_load_dword v3, off, s[0:3], 0 offset:308
	s_waitcnt vmcnt(2)
	v_add_f64 v[4:5], v[4:5], v[0:1]
	v_add_co_u32 v8, vcc_lo, v71, v10
	v_mov_b32_e32 v0, 0
	v_mov_b32_e32 v6, 0
	v_add_co_ci_u32_e64 v9, null, v72, v11, vcc_lo
	v_mov_b32_e32 v1, 0
	v_mov_b32_e32 v7, 0
	s_and_b32 vcc_lo, exec_lo, s6
	global_store_dwordx2 v[8:9], v[4:5], off
	s_cbranch_vccnz .LBB200_121
; %bb.120:
	v_add_co_u32 v4, vcc_lo, v12, v13
	v_add_co_ci_u32_e64 v5, null, v73, v14, vcc_lo
	global_load_dwordx2 v[4:5], v[4:5], off
	s_waitcnt vmcnt(0)
	v_mul_f64 v[6:7], s[10:11], v[4:5]
.LBB200_121:
	s_clause 0x1
	buffer_load_dword v4, off, s[0:3], 0 offset:312
	buffer_load_dword v5, off, s[0:3], 0 offset:316
	s_waitcnt vmcnt(2)
	v_add_f64 v[2:3], v[2:3], v[6:7]
	v_add_co_u32 v6, vcc_lo, v71, v13
	v_add_co_ci_u32_e64 v7, null, v72, v14, vcc_lo
	s_and_b32 vcc_lo, exec_lo, s6
	global_store_dwordx2 v[6:7], v[2:3], off
	s_cbranch_vccnz .LBB200_123
; %bb.122:
	v_add_co_u32 v0, vcc_lo, v12, v15
	v_add_co_ci_u32_e64 v1, null, v73, v16, vcc_lo
	global_load_dwordx2 v[0:1], v[0:1], off
	s_waitcnt vmcnt(0)
	v_mul_f64 v[0:1], s[10:11], v[0:1]
.LBB200_123:
	s_clause 0x1
	buffer_load_dword v2, off, s[0:3], 0 offset:320
	buffer_load_dword v3, off, s[0:3], 0 offset:324
	s_waitcnt vmcnt(2)
	v_add_f64 v[4:5], v[4:5], v[0:1]
	v_add_co_u32 v8, vcc_lo, v71, v15
	v_mov_b32_e32 v0, 0
	v_mov_b32_e32 v6, 0
	v_add_co_ci_u32_e64 v9, null, v72, v16, vcc_lo
	v_mov_b32_e32 v1, 0
	v_mov_b32_e32 v7, 0
	;; [unrolled: 38-line block ×13, first 2 shown]
	s_and_b32 vcc_lo, exec_lo, s6
	global_store_dwordx2 v[8:9], v[4:5], off
	s_cbranch_vccnz .LBB200_169
; %bb.168:
	v_add_co_u32 v4, vcc_lo, v12, v61
	v_add_co_ci_u32_e64 v5, null, v73, v62, vcc_lo
	global_load_dwordx2 v[4:5], v[4:5], off
	s_waitcnt vmcnt(0)
	v_mul_f64 v[6:7], s[10:11], v[4:5]
.LBB200_169:
	s_clause 0x1
	buffer_load_dword v4, off, s[0:3], 0 offset:504
	buffer_load_dword v5, off, s[0:3], 0 offset:508
	s_waitcnt vmcnt(2)
	v_add_f64 v[2:3], v[2:3], v[6:7]
	v_add_co_u32 v6, vcc_lo, v71, v61
	v_add_co_ci_u32_e64 v7, null, v72, v62, vcc_lo
	s_and_b32 vcc_lo, exec_lo, s6
	global_store_dwordx2 v[6:7], v[2:3], off
	s_cbranch_vccnz .LBB200_171
; %bb.170:
	v_add_co_u32 v0, vcc_lo, v12, v63
	v_add_co_ci_u32_e64 v1, null, v73, v64, vcc_lo
	global_load_dwordx2 v[0:1], v[0:1], off
	s_waitcnt vmcnt(0)
	v_mul_f64 v[0:1], s[10:11], v[0:1]
.LBB200_171:
	s_waitcnt vmcnt(0)
	v_add_f64 v[0:1], v[4:5], v[0:1]
	v_add_co_u32 v2, vcc_lo, v71, v63
	v_add_co_ci_u32_e64 v3, null, v72, v64, vcc_lo
	global_store_dwordx2 v[2:3], v[0:1], off
	s_endpgm
	.section	.rodata,"a",@progbits
	.p2align	6, 0x0
	.amdhsa_kernel _ZN12_GLOBAL__N_120geam_min_plus_kernelIdddLi4ELi64ELi128ELi128ELi4ELi4ELi64ELi64ELi4ELc84ELc84ELb0ELb0ELb0EdKddEEviiiT16_PT17_ilS4_ilS2_S4_ilPT18_ili26rocblas_geam_ex_operation_
		.amdhsa_group_segment_fixed_size 16384
		.amdhsa_private_segment_fixed_size 528
		.amdhsa_kernarg_size 136
		.amdhsa_user_sgpr_count 6
		.amdhsa_user_sgpr_private_segment_buffer 1
		.amdhsa_user_sgpr_dispatch_ptr 0
		.amdhsa_user_sgpr_queue_ptr 0
		.amdhsa_user_sgpr_kernarg_segment_ptr 1
		.amdhsa_user_sgpr_dispatch_id 0
		.amdhsa_user_sgpr_flat_scratch_init 0
		.amdhsa_user_sgpr_private_segment_size 0
		.amdhsa_wavefront_size32 1
		.amdhsa_uses_dynamic_stack 0
		.amdhsa_system_sgpr_private_segment_wavefront_offset 1
		.amdhsa_system_sgpr_workgroup_id_x 1
		.amdhsa_system_sgpr_workgroup_id_y 0
		.amdhsa_system_sgpr_workgroup_id_z 1
		.amdhsa_system_sgpr_workgroup_info 0
		.amdhsa_system_vgpr_workitem_id 1
		.amdhsa_next_free_vgpr 227
		.amdhsa_next_free_sgpr 30
		.amdhsa_reserve_vcc 1
		.amdhsa_reserve_flat_scratch 0
		.amdhsa_float_round_mode_32 0
		.amdhsa_float_round_mode_16_64 0
		.amdhsa_float_denorm_mode_32 3
		.amdhsa_float_denorm_mode_16_64 3
		.amdhsa_dx10_clamp 1
		.amdhsa_ieee_mode 1
		.amdhsa_fp16_overflow 0
		.amdhsa_workgroup_processor_mode 1
		.amdhsa_memory_ordered 1
		.amdhsa_forward_progress 1
		.amdhsa_shared_vgpr_count 0
		.amdhsa_exception_fp_ieee_invalid_op 0
		.amdhsa_exception_fp_denorm_src 0
		.amdhsa_exception_fp_ieee_div_zero 0
		.amdhsa_exception_fp_ieee_overflow 0
		.amdhsa_exception_fp_ieee_underflow 0
		.amdhsa_exception_fp_ieee_inexact 0
		.amdhsa_exception_int_div_zero 0
	.end_amdhsa_kernel
	.section	.text._ZN12_GLOBAL__N_120geam_min_plus_kernelIdddLi4ELi64ELi128ELi128ELi4ELi4ELi64ELi64ELi4ELc84ELc84ELb0ELb0ELb0EdKddEEviiiT16_PT17_ilS4_ilS2_S4_ilPT18_ili26rocblas_geam_ex_operation_,"axG",@progbits,_ZN12_GLOBAL__N_120geam_min_plus_kernelIdddLi4ELi64ELi128ELi128ELi4ELi4ELi64ELi64ELi4ELc84ELc84ELb0ELb0ELb0EdKddEEviiiT16_PT17_ilS4_ilS2_S4_ilPT18_ili26rocblas_geam_ex_operation_,comdat
.Lfunc_end200:
	.size	_ZN12_GLOBAL__N_120geam_min_plus_kernelIdddLi4ELi64ELi128ELi128ELi4ELi4ELi64ELi64ELi4ELc84ELc84ELb0ELb0ELb0EdKddEEviiiT16_PT17_ilS4_ilS2_S4_ilPT18_ili26rocblas_geam_ex_operation_, .Lfunc_end200-_ZN12_GLOBAL__N_120geam_min_plus_kernelIdddLi4ELi64ELi128ELi128ELi4ELi4ELi64ELi64ELi4ELc84ELc84ELb0ELb0ELb0EdKddEEviiiT16_PT17_ilS4_ilS2_S4_ilPT18_ili26rocblas_geam_ex_operation_
                                        ; -- End function
	.set _ZN12_GLOBAL__N_120geam_min_plus_kernelIdddLi4ELi64ELi128ELi128ELi4ELi4ELi64ELi64ELi4ELc84ELc84ELb0ELb0ELb0EdKddEEviiiT16_PT17_ilS4_ilS2_S4_ilPT18_ili26rocblas_geam_ex_operation_.num_vgpr, 227
	.set _ZN12_GLOBAL__N_120geam_min_plus_kernelIdddLi4ELi64ELi128ELi128ELi4ELi4ELi64ELi64ELi4ELc84ELc84ELb0ELb0ELb0EdKddEEviiiT16_PT17_ilS4_ilS2_S4_ilPT18_ili26rocblas_geam_ex_operation_.num_agpr, 0
	.set _ZN12_GLOBAL__N_120geam_min_plus_kernelIdddLi4ELi64ELi128ELi128ELi4ELi4ELi64ELi64ELi4ELc84ELc84ELb0ELb0ELb0EdKddEEviiiT16_PT17_ilS4_ilS2_S4_ilPT18_ili26rocblas_geam_ex_operation_.numbered_sgpr, 30
	.set _ZN12_GLOBAL__N_120geam_min_plus_kernelIdddLi4ELi64ELi128ELi128ELi4ELi4ELi64ELi64ELi4ELc84ELc84ELb0ELb0ELb0EdKddEEviiiT16_PT17_ilS4_ilS2_S4_ilPT18_ili26rocblas_geam_ex_operation_.num_named_barrier, 0
	.set _ZN12_GLOBAL__N_120geam_min_plus_kernelIdddLi4ELi64ELi128ELi128ELi4ELi4ELi64ELi64ELi4ELc84ELc84ELb0ELb0ELb0EdKddEEviiiT16_PT17_ilS4_ilS2_S4_ilPT18_ili26rocblas_geam_ex_operation_.private_seg_size, 528
	.set _ZN12_GLOBAL__N_120geam_min_plus_kernelIdddLi4ELi64ELi128ELi128ELi4ELi4ELi64ELi64ELi4ELc84ELc84ELb0ELb0ELb0EdKddEEviiiT16_PT17_ilS4_ilS2_S4_ilPT18_ili26rocblas_geam_ex_operation_.uses_vcc, 1
	.set _ZN12_GLOBAL__N_120geam_min_plus_kernelIdddLi4ELi64ELi128ELi128ELi4ELi4ELi64ELi64ELi4ELc84ELc84ELb0ELb0ELb0EdKddEEviiiT16_PT17_ilS4_ilS2_S4_ilPT18_ili26rocblas_geam_ex_operation_.uses_flat_scratch, 0
	.set _ZN12_GLOBAL__N_120geam_min_plus_kernelIdddLi4ELi64ELi128ELi128ELi4ELi4ELi64ELi64ELi4ELc84ELc84ELb0ELb0ELb0EdKddEEviiiT16_PT17_ilS4_ilS2_S4_ilPT18_ili26rocblas_geam_ex_operation_.has_dyn_sized_stack, 0
	.set _ZN12_GLOBAL__N_120geam_min_plus_kernelIdddLi4ELi64ELi128ELi128ELi4ELi4ELi64ELi64ELi4ELc84ELc84ELb0ELb0ELb0EdKddEEviiiT16_PT17_ilS4_ilS2_S4_ilPT18_ili26rocblas_geam_ex_operation_.has_recursion, 0
	.set _ZN12_GLOBAL__N_120geam_min_plus_kernelIdddLi4ELi64ELi128ELi128ELi4ELi4ELi64ELi64ELi4ELc84ELc84ELb0ELb0ELb0EdKddEEviiiT16_PT17_ilS4_ilS2_S4_ilPT18_ili26rocblas_geam_ex_operation_.has_indirect_call, 0
	.section	.AMDGPU.csdata,"",@progbits
; Kernel info:
; codeLenInByte = 19236
; TotalNumSgprs: 32
; NumVgprs: 227
; ScratchSize: 528
; MemoryBound: 1
; FloatMode: 240
; IeeeMode: 1
; LDSByteSize: 16384 bytes/workgroup (compile time only)
; SGPRBlocks: 0
; VGPRBlocks: 28
; NumSGPRsForWavesPerEU: 32
; NumVGPRsForWavesPerEU: 227
; Occupancy: 4
; WaveLimiterHint : 1
; COMPUTE_PGM_RSRC2:SCRATCH_EN: 1
; COMPUTE_PGM_RSRC2:USER_SGPR: 6
; COMPUTE_PGM_RSRC2:TRAP_HANDLER: 0
; COMPUTE_PGM_RSRC2:TGID_X_EN: 1
; COMPUTE_PGM_RSRC2:TGID_Y_EN: 0
; COMPUTE_PGM_RSRC2:TGID_Z_EN: 1
; COMPUTE_PGM_RSRC2:TIDIG_COMP_CNT: 1
	.section	.text._ZN12_GLOBAL__N_120geam_min_plus_kernelIdddLi4ELi64ELi128ELi128ELi4ELi4ELi64ELi64ELi4ELc84ELc84ELb0ELb1ELb0EPKdS1_dEEviiiT16_PT17_ilS5_ilS3_S5_ilPT18_ili26rocblas_geam_ex_operation_,"axG",@progbits,_ZN12_GLOBAL__N_120geam_min_plus_kernelIdddLi4ELi64ELi128ELi128ELi4ELi4ELi64ELi64ELi4ELc84ELc84ELb0ELb1ELb0EPKdS1_dEEviiiT16_PT17_ilS5_ilS3_S5_ilPT18_ili26rocblas_geam_ex_operation_,comdat
	.globl	_ZN12_GLOBAL__N_120geam_min_plus_kernelIdddLi4ELi64ELi128ELi128ELi4ELi4ELi64ELi64ELi4ELc84ELc84ELb0ELb1ELb0EPKdS1_dEEviiiT16_PT17_ilS5_ilS3_S5_ilPT18_ili26rocblas_geam_ex_operation_ ; -- Begin function _ZN12_GLOBAL__N_120geam_min_plus_kernelIdddLi4ELi64ELi128ELi128ELi4ELi4ELi64ELi64ELi4ELc84ELc84ELb0ELb1ELb0EPKdS1_dEEviiiT16_PT17_ilS5_ilS3_S5_ilPT18_ili26rocblas_geam_ex_operation_
	.p2align	8
	.type	_ZN12_GLOBAL__N_120geam_min_plus_kernelIdddLi4ELi64ELi128ELi128ELi4ELi4ELi64ELi64ELi4ELc84ELc84ELb0ELb1ELb0EPKdS1_dEEviiiT16_PT17_ilS5_ilS3_S5_ilPT18_ili26rocblas_geam_ex_operation_,@function
_ZN12_GLOBAL__N_120geam_min_plus_kernelIdddLi4ELi64ELi128ELi128ELi4ELi4ELi64ELi64ELi4ELc84ELc84ELb0ELb1ELb0EPKdS1_dEEviiiT16_PT17_ilS5_ilS3_S5_ilPT18_ili26rocblas_geam_ex_operation_: ; @_ZN12_GLOBAL__N_120geam_min_plus_kernelIdddLi4ELi64ELi128ELi128ELi4ELi4ELi64ELi64ELi4ELc84ELc84ELb0ELb1ELb0EPKdS1_dEEviiiT16_PT17_ilS5_ilS3_S5_ilPT18_ili26rocblas_geam_ex_operation_
; %bb.0:
	s_load_dwordx4 s[16:19], s[4:5], 0x10
	s_mov_b32 s20, s7
	s_mov_b32 s21, 0
	s_add_u32 s0, s0, s8
	s_addc_u32 s1, s1, 0
	s_lshl_b64 s[22:23], s[20:21], 3
	s_clause 0x1
	s_load_dwordx4 s[8:11], s[4:5], 0x28
	s_load_dwordx2 s[26:27], s[4:5], 0x50
	s_mov_b64 s[24:25], 0
	s_waitcnt lgkmcnt(0)
	s_add_u32 s12, s16, s22
	s_addc_u32 s13, s17, s23
	s_load_dwordx2 s[16:17], s[12:13], 0x0
	s_load_dwordx4 s[12:15], s[4:5], 0x40
	s_waitcnt lgkmcnt(0)
	v_cmp_eq_f64_e64 s21, s[16:17], 0
	v_cmp_neq_f64_e64 s7, s[16:17], 0
	s_add_u32 s14, s14, s22
	s_addc_u32 s15, s15, s23
	s_mov_b64 s[22:23], 0
	s_and_b32 vcc_lo, exec_lo, s21
	s_cbranch_vccnz .LBB201_2
; %bb.1:
	s_mul_i32 s9, s9, s20
	s_mul_hi_u32 s21, s8, s20
	s_mul_i32 s8, s8, s20
	s_add_i32 s9, s21, s9
	s_lshl_b64 s[8:9], s[8:9], 3
	s_add_u32 s24, s18, s8
	s_addc_u32 s25, s19, s9
.LBB201_2:
	s_load_dwordx2 s[38:39], s[14:15], 0x0
	s_andn2_b32 vcc_lo, exec_lo, s7
	s_cbranch_vccnz .LBB201_4
; %bb.3:
	s_mul_i32 s7, s13, s20
	s_mul_hi_u32 s8, s12, s20
	s_add_i32 s9, s8, s7
	s_mul_i32 s8, s12, s20
	s_lshl_b64 s[8:9], s[8:9], 3
	s_add_u32 s22, s10, s8
	s_addc_u32 s23, s11, s9
.LBB201_4:
	s_waitcnt lgkmcnt(0)
	v_cmp_eq_f64_e64 s7, s[38:39], 0
	v_cmp_neq_f64_e64 s46, s[38:39], 0
	s_load_dwordx4 s[12:15], s[4:5], 0x60
	s_mov_b64 s[44:45], 0
	s_and_b32 vcc_lo, exec_lo, s7
	s_cbranch_vccnz .LBB201_6
; %bb.5:
	s_waitcnt lgkmcnt(0)
	s_mul_i32 s7, s13, s20
	s_mul_hi_u32 s8, s12, s20
	s_add_i32 s9, s8, s7
	s_mul_i32 s8, s12, s20
	s_lshl_b64 s[8:9], s[8:9], 3
	s_add_u32 s44, s26, s8
	s_addc_u32 s45, s27, s9
.LBB201_6:
	s_clause 0x1
	s_load_dwordx4 s[40:43], s[4:5], 0x0
	s_load_dword s21, s[4:5], 0x20
	v_and_b32_e32 v84, 3, v0
	v_lshl_add_u32 v6, v1, 2, v0
	v_cmp_eq_f64_e64 s18, s[16:17], 0
	v_mov_b32_e32 v4, 0
	v_mov_b32_e32 v9, 0
	;; [unrolled: 1-line block ×3, first 2 shown]
	v_lshrrev_b32_e32 v80, 2, v6
	buffer_store_dword v9, off, s[0:3], 0 offset:4
	buffer_store_dword v9, off, s[0:3], 0
	buffer_store_dword v9, off, s[0:3], 0 offset:12
	buffer_store_dword v9, off, s[0:3], 0 offset:8
	;; [unrolled: 1-line block ×31, first 2 shown]
	s_waitcnt lgkmcnt(0)
	s_add_i32 s7, s40, -1
	v_cmp_le_i32_e32 vcc_lo, s42, v84
	s_ashr_i32 s8, s7, 31
	buffer_store_dword v9, off, s[0:3], 0 offset:128
	buffer_store_dword v9, off, s[0:3], 0 offset:140
	;; [unrolled: 1-line block ×4, first 2 shown]
	s_lshr_b32 s8, s8, 25
	buffer_store_dword v9, off, s[0:3], 0 offset:144
	buffer_store_dword v9, off, s[0:3], 0 offset:156
	;; [unrolled: 1-line block ×4, first 2 shown]
	s_add_i32 s7, s7, s8
	buffer_store_dword v9, off, s[0:3], 0 offset:160
	buffer_store_dword v9, off, s[0:3], 0 offset:172
	s_ashr_i32 s7, s7, 7
	buffer_store_dword v9, off, s[0:3], 0 offset:168
	s_add_i32 s8, s7, 1
	s_not_b32 s7, s7
	v_cvt_f32_u32_e32 v2, s8
	buffer_store_dword v9, off, s[0:3], 0 offset:180
	buffer_store_dword v9, off, s[0:3], 0 offset:176
	;; [unrolled: 1-line block ×4, first 2 shown]
	v_rcp_iflag_f32_e32 v2, v2
	buffer_store_dword v9, off, s[0:3], 0 offset:196
	buffer_store_dword v9, off, s[0:3], 0 offset:192
	;; [unrolled: 1-line block ×77, first 2 shown]
	v_mul_f32_e32 v2, 0x4f7ffffe, v2
	buffer_store_dword v9, off, s[0:3], 0 offset:496
	buffer_store_dword v9, off, s[0:3], 0 offset:508
	;; [unrolled: 1-line block ×3, first 2 shown]
	v_cvt_u32_f32_e32 v2, v2
	v_readfirstlane_b32 s9, v2
	s_mul_i32 s7, s7, s9
	s_mul_hi_u32 s7, s9, s7
	s_add_i32 s9, s9, s7
	s_mul_hi_u32 s7, s6, s9
	s_mul_i32 s9, s7, s8
	s_add_i32 s10, s7, 1
	s_sub_i32 s9, s6, s9
	s_sub_i32 s11, s9, s8
	s_cmp_ge_u32 s9, s8
	s_cselect_b32 s7, s10, s7
	s_cselect_b32 s9, s11, s9
	s_add_i32 s10, s7, 1
	s_cmp_ge_u32 s9, s8
	s_cselect_b32 s7, s10, s7
	s_add_i32 s13, s42, -1
	s_mul_i32 s8, s7, s8
	v_min_i32_e32 v2, s13, v84
	s_sub_i32 s6, s6, s8
	s_lshl_b32 s11, s6, 7
	v_ashrrev_i32_e32 v3, 31, v2
	v_add_nc_u32_e32 v81, s11, v80
	v_lshlrev_b64 v[7:8], 3, v[2:3]
	v_cmp_le_i32_e64 s8, s40, v81
	v_mov_b32_e32 v2, 0
	v_mov_b32_e32 v3, 0
	v_add_co_u32 v7, s6, s24, v7
	v_add_co_ci_u32_e64 v8, null, s25, v8, s6
	s_or_b32 s6, vcc_lo, s8
	s_nor_b32 s6, s18, s6
	s_and_saveexec_b32 s9, s6
	s_cbranch_execz .LBB201_8
; %bb.7:
	v_mad_i64_i32 v[4:5], null, v81, s21, 0
	v_lshlrev_b64 v[4:5], 3, v[4:5]
	v_add_co_u32 v4, s6, v7, v4
	v_add_co_ci_u32_e64 v5, null, v8, v5, s6
	global_load_dwordx2 v[4:5], v[4:5], off
	s_waitcnt vmcnt(0)
	v_mul_f64 v[4:5], s[16:17], v[4:5]
.LBB201_8:
	s_or_b32 exec_lo, exec_lo, s9
	v_add_nc_u32_e32 v82, 64, v81
	v_cmp_le_i32_e64 s9, s40, v82
	s_or_b32 s6, vcc_lo, s9
	s_nor_b32 s10, s18, s6
	s_and_saveexec_b32 s6, s10
	s_cbranch_execz .LBB201_10
; %bb.9:
	v_mad_i64_i32 v[2:3], null, v82, s21, 0
	v_lshlrev_b64 v[2:3], 3, v[2:3]
	v_add_co_u32 v2, vcc_lo, v7, v2
	v_add_co_ci_u32_e64 v3, null, v8, v3, vcc_lo
	global_load_dwordx2 v[2:3], v[2:3], off
	s_waitcnt vmcnt(0)
	v_mul_f64 v[2:3], s[16:17], v[2:3]
.LBB201_10:
	s_or_b32 exec_lo, exec_lo, s6
	s_load_dword s19, s[4:5], 0x38
	v_lshrrev_b32_e32 v85, 6, v6
	v_and_b32_e32 v20, 63, v6
	s_lshl_b32 s12, s7, 7
	v_mov_b32_e32 v16, 0
	v_mov_b32_e32 v18, 0
	v_min_i32_e32 v7, s13, v85
	v_or_b32_e32 v6, s12, v20
	v_cmp_le_i32_e32 vcc_lo, s42, v85
	v_mov_b32_e32 v17, 0
	v_mov_b32_e32 v19, 0
	v_cmp_le_i32_e64 s6, s41, v6
	s_waitcnt lgkmcnt(0)
	v_mad_i64_i32 v[7:8], null, s19, v7, 0
	v_lshlrev_b64 v[8:9], 3, v[7:8]
	v_ashrrev_i32_e32 v7, 31, v6
	v_add_co_u32 v8, s7, s22, v8
	v_add_co_ci_u32_e64 v9, null, s23, v9, s7
	s_or_b32 s7, s6, vcc_lo
	s_nor_b32 s7, s18, s7
	s_and_saveexec_b32 s10, s7
	s_cbranch_execz .LBB201_12
; %bb.11:
	v_lshlrev_b64 v[10:11], 3, v[6:7]
	v_add_co_u32 v10, s7, v8, v10
	v_add_co_ci_u32_e64 v11, null, v9, v11, s7
	global_load_dwordx2 v[10:11], v[10:11], off
	s_waitcnt vmcnt(0)
	v_mul_f64 v[18:19], s[16:17], v[10:11]
.LBB201_12:
	s_or_b32 exec_lo, exec_lo, s10
	v_or_b32_e32 v10, 64, v6
	v_cmp_le_i32_e64 s7, s41, v10
	s_or_b32 s10, s7, vcc_lo
	s_nor_b32 s26, s18, s10
	s_and_saveexec_b32 s10, s26
	s_cbranch_execz .LBB201_14
; %bb.13:
	v_lshlrev_b64 v[10:11], 3, v[6:7]
	v_add_co_u32 v8, vcc_lo, v8, v10
	v_add_co_ci_u32_e64 v9, null, v9, v11, vcc_lo
	global_load_dwordx2 v[8:9], v[8:9], off offset:512
	s_waitcnt vmcnt(0)
	v_mul_f64 v[16:17], s[16:17], v[8:9]
.LBB201_14:
	s_or_b32 exec_lo, exec_lo, s10
	v_or_b32_e32 v14, 4, v84
	v_mov_b32_e32 v10, 0
	v_mov_b32_e32 v11, 0
	v_min_i32_e32 v8, s13, v14
	v_cmp_le_i32_e32 vcc_lo, s42, v14
	v_ashrrev_i32_e32 v9, 31, v8
	v_lshlrev_b64 v[12:13], 3, v[8:9]
	v_mov_b32_e32 v8, 0
	v_mov_b32_e32 v9, 0
	v_add_co_u32 v12, s10, s24, v12
	v_add_co_ci_u32_e64 v13, null, s25, v13, s10
	s_or_b32 s10, vcc_lo, s8
	s_nor_b32 s10, s18, s10
	s_and_saveexec_b32 s26, s10
	s_cbranch_execz .LBB201_16
; %bb.15:
	v_mad_i64_i32 v[10:11], null, v81, s21, 0
	v_lshlrev_b64 v[10:11], 3, v[10:11]
	v_add_co_u32 v10, s10, v12, v10
	v_add_co_ci_u32_e64 v11, null, v13, v11, s10
	global_load_dwordx2 v[10:11], v[10:11], off
	s_waitcnt vmcnt(0)
	v_mul_f64 v[10:11], s[16:17], v[10:11]
.LBB201_16:
	s_or_b32 exec_lo, exec_lo, s26
	s_or_b32 s10, vcc_lo, s9
	s_nor_b32 s26, s18, s10
	s_and_saveexec_b32 s10, s26
	s_cbranch_execz .LBB201_18
; %bb.17:
	v_mad_i64_i32 v[8:9], null, v82, s21, 0
	v_lshlrev_b64 v[8:9], 3, v[8:9]
	v_add_co_u32 v8, vcc_lo, v12, v8
	v_add_co_ci_u32_e64 v9, null, v13, v9, vcc_lo
	global_load_dwordx2 v[8:9], v[8:9], off
	s_waitcnt vmcnt(0)
	v_mul_f64 v[8:9], s[16:17], v[8:9]
.LBB201_18:
	s_or_b32 exec_lo, exec_lo, s10
	v_add_nc_u32_e32 v23, 4, v85
	v_mov_b32_e32 v14, 0
	v_mov_b32_e32 v15, 0
	v_min_i32_e32 v12, s13, v23
	v_cmp_le_i32_e32 vcc_lo, s42, v23
	v_mad_i64_i32 v[12:13], null, s19, v12, 0
	v_lshlrev_b64 v[21:22], 3, v[12:13]
	v_mov_b32_e32 v12, 0
	v_mov_b32_e32 v13, 0
	v_add_co_u32 v21, s10, s22, v21
	v_add_co_ci_u32_e64 v22, null, s23, v22, s10
	s_or_b32 s10, s6, vcc_lo
	s_nor_b32 s10, s18, s10
	s_and_saveexec_b32 s26, s10
	s_cbranch_execz .LBB201_20
; %bb.19:
	v_lshlrev_b64 v[14:15], 3, v[6:7]
	v_add_co_u32 v14, s10, v21, v14
	v_add_co_ci_u32_e64 v15, null, v22, v15, s10
	global_load_dwordx2 v[14:15], v[14:15], off
	s_waitcnt vmcnt(0)
	v_mul_f64 v[14:15], s[16:17], v[14:15]
.LBB201_20:
	s_or_b32 exec_lo, exec_lo, s26
	s_or_b32 s10, s7, vcc_lo
	s_nor_b32 s26, s18, s10
	s_and_saveexec_b32 s10, s26
	s_cbranch_execz .LBB201_22
; %bb.21:
	v_lshlrev_b64 v[12:13], 3, v[6:7]
	v_add_co_u32 v12, vcc_lo, v21, v12
	v_add_co_ci_u32_e64 v13, null, v22, v13, vcc_lo
	global_load_dwordx2 v[12:13], v[12:13], off offset:512
	s_waitcnt vmcnt(0)
	v_mul_f64 v[12:13], s[16:17], v[12:13]
.LBB201_22:
	s_or_b32 exec_lo, exec_lo, s10
	v_lshlrev_b32_e32 v20, 5, v20
	v_lshlrev_b32_e32 v21, 5, v80
	;; [unrolled: 1-line block ×3, first 2 shown]
	v_lshl_or_b32 v89, v1, 5, 0x2000
	s_mov_b32 s10, 0
	v_lshl_add_u32 v83, v85, 3, v20
	v_lshl_or_b32 v86, v84, 3, v21
	s_addk_i32 s10, 0x100
	s_mov_b32 s26, 0
	v_add_nc_u32_e32 v88, 0x2000, v83
	ds_write2st64_b64 v86, v[4:5], v[2:3] offset1:4
	ds_write2st64_b64 v83, v[18:19], v[16:17] offset0:16 offset1:20
	s_waitcnt lgkmcnt(0)
	s_waitcnt_vscnt null, 0x0
	s_barrier
	buffer_gl0_inv
.LBB201_23:                             ; =>This Loop Header: Depth=1
                                        ;     Child Loop BB201_24 Depth 2
	s_lshl_b32 s27, s26, 3
	s_mov_b32 s28, 0
	v_add_nc_u32_e32 v16, s27, v87
	v_add_nc_u32_e32 v90, s27, v89
	s_mov_b32 s27, -1
	ds_read2_b64 v[2:5], v16 offset1:16
	ds_read2_b64 v[20:23], v16 offset0:32 offset1:48
	ds_read2_b64 v[24:27], v16 offset0:64 offset1:80
	ds_read2_b64 v[28:31], v16 offset0:96 offset1:112
	ds_read2_b64 v[32:35], v16 offset0:128 offset1:144
	v_add_nc_u32_e32 v76, 0x800, v16
	ds_read2_b64 v[36:39], v16 offset0:160 offset1:176
	ds_read2_b64 v[40:43], v16 offset0:192 offset1:208
	;; [unrolled: 1-line block ×3, first 2 shown]
	ds_read2_b64 v[48:51], v76 offset1:16
	ds_read2_b64 v[52:55], v76 offset0:32 offset1:48
	ds_read2_b64 v[56:59], v76 offset0:64 offset1:80
	;; [unrolled: 1-line block ×6, first 2 shown]
	s_waitcnt lgkmcnt(9)
	v_max_f64 v[36:37], v[36:37], v[36:37]
	v_max_f64 v[38:39], v[38:39], v[38:39]
	;; [unrolled: 1-line block ×4, first 2 shown]
	ds_read2_b64 v[2:5], v76 offset0:224 offset1:240
	v_max_f64 v[20:21], v[20:21], v[20:21]
	v_max_f64 v[22:23], v[22:23], v[22:23]
	;; [unrolled: 1-line block ×8, first 2 shown]
	s_waitcnt lgkmcnt(9)
	v_max_f64 v[40:41], v[40:41], v[40:41]
	v_max_f64 v[42:43], v[42:43], v[42:43]
	s_waitcnt lgkmcnt(8)
	v_max_f64 v[44:45], v[44:45], v[44:45]
	v_max_f64 v[46:47], v[46:47], v[46:47]
	;; [unrolled: 3-line block ×10, first 2 shown]
	ds_read2st64_b64 v[2:5], v90 offset1:4
.LBB201_24:                             ;   Parent Loop BB201_23 Depth=1
                                        ; =>  This Inner Loop Header: Depth=2
	v_mov_b32_e32 v90, s28
	s_waitcnt lgkmcnt(0)
	v_max_f64 v[2:3], v[2:3], v[2:3]
	s_and_b32 vcc_lo, exec_lo, s27
	s_mov_b32 s27, 0
	s_mov_b32 s28, s10
	s_clause 0xf
	buffer_load_dword v93, v90, s[0:3], 0 offen
	buffer_load_dword v94, v90, s[0:3], 0 offen offset:4
	buffer_load_dword v95, v90, s[0:3], 0 offen offset:8
	;; [unrolled: 1-line block ×15, first 2 shown]
	v_min_f64 v[91:92], v[16:17], v[2:3]
	s_waitcnt vmcnt(14)
	v_add_f64 v[91:92], v[91:92], v[93:94]
	buffer_store_dword v91, v90, s[0:3], 0 offen
	buffer_store_dword v92, v90, s[0:3], 0 offen offset:4
	v_min_f64 v[91:92], v[18:19], v[2:3]
	s_waitcnt vmcnt(12)
	v_add_f64 v[91:92], v[91:92], v[95:96]
	buffer_store_dword v91, v90, s[0:3], 0 offen offset:8
	buffer_store_dword v92, v90, s[0:3], 0 offen offset:12
	v_min_f64 v[91:92], v[20:21], v[2:3]
	s_waitcnt vmcnt(10)
	v_add_f64 v[91:92], v[91:92], v[97:98]
	buffer_store_dword v91, v90, s[0:3], 0 offen offset:16
	;; [unrolled: 5-line block ×7, first 2 shown]
	buffer_store_dword v92, v90, s[0:3], 0 offen offset:60
	s_clause 0x1
	buffer_load_dword v94, v90, s[0:3], 0 offen offset:68
	buffer_load_dword v93, v90, s[0:3], 0 offen offset:64
	v_min_f64 v[91:92], v[32:33], v[2:3]
	s_waitcnt vmcnt(0)
	v_add_f64 v[91:92], v[91:92], v[93:94]
	buffer_store_dword v92, v90, s[0:3], 0 offen offset:68
	buffer_store_dword v91, v90, s[0:3], 0 offen offset:64
	s_clause 0x1
	buffer_load_dword v93, v90, s[0:3], 0 offen offset:72
	buffer_load_dword v94, v90, s[0:3], 0 offen offset:76
	v_min_f64 v[91:92], v[34:35], v[2:3]
	s_waitcnt vmcnt(0)
	v_add_f64 v[91:92], v[91:92], v[93:94]
	buffer_store_dword v92, v90, s[0:3], 0 offen offset:76
	;; [unrolled: 8-line block ×22, first 2 shown]
	buffer_store_dword v91, v90, s[0:3], 0 offen offset:232
	s_clause 0x1
	buffer_load_dword v93, v90, s[0:3], 0 offen offset:240
	buffer_load_dword v94, v90, s[0:3], 0 offen offset:244
	v_min_f64 v[91:92], v[76:77], v[2:3]
	v_min_f64 v[2:3], v[78:79], v[2:3]
	s_waitcnt vmcnt(0)
	v_add_f64 v[91:92], v[91:92], v[93:94]
	buffer_store_dword v92, v90, s[0:3], 0 offen offset:244
	buffer_store_dword v91, v90, s[0:3], 0 offen offset:240
	s_clause 0x1
	buffer_load_dword v91, v90, s[0:3], 0 offen offset:248
	buffer_load_dword v92, v90, s[0:3], 0 offen offset:252
	s_waitcnt vmcnt(0)
	v_add_f64 v[2:3], v[2:3], v[91:92]
	buffer_store_dword v3, v90, s[0:3], 0 offen offset:252
	buffer_store_dword v2, v90, s[0:3], 0 offen offset:248
	v_mov_b32_e32 v2, v4
	v_mov_b32_e32 v3, v5
	s_cbranch_vccnz .LBB201_24
; %bb.25:                               ;   in Loop: Header=BB201_23 Depth=1
	s_add_i32 s26, s26, 1
	s_cmp_eq_u32 s26, 4
	s_cbranch_scc0 .LBB201_23
; %bb.26:
	v_lshlrev_b32_e32 v2, 3, v84
	v_lshl_add_u32 v90, v0, 5, 0x1000
	v_lshl_add_u32 v91, v1, 5, 0x3000
	s_cmp_lt_i32 s42, 9
	ds_write2st64_b64 v83, v[14:15], v[12:13] offset0:24 offset1:28
	v_lshl_or_b32 v2, v80, 5, v2
	ds_write2st64_b64 v2, v[10:11], v[8:9] offset0:8 offset1:12
	s_waitcnt lgkmcnt(0)
	s_waitcnt_vscnt null, 0x0
	s_barrier
	buffer_gl0_inv
	s_cbranch_scc1 .LBB201_53
; %bb.27:
	v_mad_i64_i32 v[3:4], null, v81, s21, 0
	v_mad_i64_i32 v[8:9], null, v82, s21, 0
	v_lshlrev_b64 v[74:75], 3, v[6:7]
	v_add_nc_u32_e32 v92, 0x1000, v2
	v_add_nc_u32_e32 v93, 0x3000, v83
	s_add_i32 s21, s42, -8
	v_lshlrev_b64 v[70:71], 3, v[3:4]
	s_or_b32 s26, s8, s18
	v_lshlrev_b64 v[72:73], 3, v[8:9]
	s_or_b32 s9, s9, s18
	s_mov_b32 s27, 8
	s_mov_b32 s28, 0
.LBB201_28:                             ; =>This Loop Header: Depth=1
                                        ;     Child Loop BB201_37 Depth 2
                                        ;       Child Loop BB201_38 Depth 3
                                        ;     Child Loop BB201_49 Depth 2
                                        ;       Child Loop BB201_50 Depth 3
	v_or_b32_e32 v94, s27, v84
	v_mov_b32_e32 v6, 0
	v_mov_b32_e32 v8, 0
	v_mov_b32_e32 v7, 0
	v_mov_b32_e32 v9, 0
	v_min_i32_e32 v2, s13, v94
	v_cmp_le_i32_e32 vcc_lo, s42, v94
	v_ashrrev_i32_e32 v3, 31, v2
	v_lshlrev_b64 v[2:3], 3, v[2:3]
	v_add_co_u32 v2, s8, s24, v2
	v_add_co_ci_u32_e64 v3, null, s25, v3, s8
	s_nor_b32 s8, vcc_lo, s26
	s_and_saveexec_b32 s29, s8
	s_cbranch_execz .LBB201_30
; %bb.29:                               ;   in Loop: Header=BB201_28 Depth=1
	v_add_co_u32 v4, s8, v2, v70
	v_add_co_ci_u32_e64 v5, null, v3, v71, s8
	global_load_dwordx2 v[4:5], v[4:5], off
	s_waitcnt vmcnt(0)
	v_mul_f64 v[8:9], s[16:17], v[4:5]
.LBB201_30:                             ;   in Loop: Header=BB201_28 Depth=1
	s_or_b32 exec_lo, exec_lo, s29
	s_nor_b32 s29, vcc_lo, s9
	s_and_saveexec_b32 s8, s29
	s_cbranch_execz .LBB201_32
; %bb.31:                               ;   in Loop: Header=BB201_28 Depth=1
	v_add_co_u32 v2, vcc_lo, v2, v72
	v_add_co_ci_u32_e64 v3, null, v3, v73, vcc_lo
	global_load_dwordx2 v[2:3], v[2:3], off
	s_waitcnt vmcnt(0)
	v_mul_f64 v[6:7], s[16:17], v[2:3]
.LBB201_32:                             ;   in Loop: Header=BB201_28 Depth=1
	s_or_b32 exec_lo, exec_lo, s8
	v_add_nc_u32_e32 v4, s27, v85
	v_mov_b32_e32 v10, 0
	v_mov_b32_e32 v12, 0
	;; [unrolled: 1-line block ×4, first 2 shown]
	v_min_i32_e32 v2, s13, v4
	v_cmp_le_i32_e32 vcc_lo, s42, v4
	v_mad_i64_i32 v[2:3], null, v2, s19, 0
	v_lshlrev_b64 v[2:3], 3, v[2:3]
	v_add_co_u32 v2, s8, s22, v2
	v_add_co_ci_u32_e64 v3, null, s23, v3, s8
	s_or_b32 s8, s6, vcc_lo
	s_nor_b32 s8, s18, s8
	s_and_saveexec_b32 s29, s8
	s_cbranch_execz .LBB201_34
; %bb.33:                               ;   in Loop: Header=BB201_28 Depth=1
	v_add_co_u32 v4, s8, v2, v74
	v_add_co_ci_u32_e64 v5, null, v3, v75, s8
	global_load_dwordx2 v[4:5], v[4:5], off
	s_waitcnt vmcnt(0)
	v_mul_f64 v[12:13], s[16:17], v[4:5]
.LBB201_34:                             ;   in Loop: Header=BB201_28 Depth=1
	s_or_b32 exec_lo, exec_lo, s29
	s_or_b32 s8, s7, vcc_lo
	s_nor_b32 s29, s18, s8
	s_and_saveexec_b32 s8, s29
	s_cbranch_execz .LBB201_36
; %bb.35:                               ;   in Loop: Header=BB201_28 Depth=1
	v_add_co_u32 v2, vcc_lo, v2, v74
	v_add_co_ci_u32_e64 v3, null, v3, v75, vcc_lo
	global_load_dwordx2 v[2:3], v[2:3], off offset:512
	s_waitcnt vmcnt(0)
	v_mul_f64 v[10:11], s[16:17], v[2:3]
.LBB201_36:                             ;   in Loop: Header=BB201_28 Depth=1
	s_or_b32 exec_lo, exec_lo, s8
	s_mov_b32 s8, 0
.LBB201_37:                             ;   Parent Loop BB201_28 Depth=1
                                        ; =>  This Loop Header: Depth=2
                                        ;       Child Loop BB201_38 Depth 3
	s_lshl_b32 s29, s8, 3
	s_mov_b32 s30, 0
	v_add_nc_u32_e32 v14, s29, v90
	v_add_nc_u32_e32 v95, s29, v91
	s_mov_b32 s29, -1
	ds_read2_b64 v[2:5], v14 offset1:16
	ds_read2_b64 v[18:21], v14 offset0:32 offset1:48
	ds_read2_b64 v[22:25], v14 offset0:64 offset1:80
	v_add_nc_u32_e32 v15, 0x800, v14
	ds_read2_b64 v[26:29], v14 offset0:96 offset1:112
	ds_read2_b64 v[30:33], v14 offset0:128 offset1:144
	;; [unrolled: 1-line block ×5, first 2 shown]
	ds_read2_b64 v[46:49], v15 offset1:16
	ds_read2_b64 v[50:53], v15 offset0:32 offset1:48
	ds_read2_b64 v[54:57], v15 offset0:64 offset1:80
	ds_read2_b64 v[58:61], v15 offset0:96 offset1:112
	ds_read2_b64 v[62:65], v15 offset0:128 offset1:144
	ds_read2_b64 v[66:69], v15 offset0:160 offset1:176
	ds_read2_b64 v[76:79], v15 offset0:192 offset1:208
	ds_read2_b64 v[80:83], v15 offset0:224 offset1:240
	s_waitcnt lgkmcnt(11)
	v_max_f64 v[30:31], v[30:31], v[30:31]
	v_max_f64 v[32:33], v[32:33], v[32:33]
	s_waitcnt lgkmcnt(10)
	v_max_f64 v[34:35], v[34:35], v[34:35]
	v_max_f64 v[36:37], v[36:37], v[36:37]
	s_waitcnt lgkmcnt(9)
	v_max_f64 v[38:39], v[38:39], v[38:39]
	v_max_f64 v[40:41], v[40:41], v[40:41]
	v_max_f64 v[14:15], v[2:3], v[2:3]
	v_max_f64 v[16:17], v[4:5], v[4:5]
	v_max_f64 v[18:19], v[18:19], v[18:19]
	v_max_f64 v[20:21], v[20:21], v[20:21]
	v_max_f64 v[22:23], v[22:23], v[22:23]
	v_max_f64 v[24:25], v[24:25], v[24:25]
	v_max_f64 v[26:27], v[26:27], v[26:27]
	v_max_f64 v[28:29], v[28:29], v[28:29]
	s_waitcnt lgkmcnt(8)
	v_max_f64 v[42:43], v[42:43], v[42:43]
	v_max_f64 v[44:45], v[44:45], v[44:45]
	s_waitcnt lgkmcnt(7)
	v_max_f64 v[46:47], v[46:47], v[46:47]
	v_max_f64 v[48:49], v[48:49], v[48:49]
	;; [unrolled: 3-line block ×9, first 2 shown]
	ds_read2st64_b64 v[2:5], v95 offset1:4
.LBB201_38:                             ;   Parent Loop BB201_28 Depth=1
                                        ;     Parent Loop BB201_37 Depth=2
                                        ; =>    This Inner Loop Header: Depth=3
	v_mov_b32_e32 v95, s30
	s_waitcnt lgkmcnt(0)
	v_max_f64 v[2:3], v[2:3], v[2:3]
	s_and_b32 vcc_lo, exec_lo, s29
	s_mov_b32 s29, 0
	s_mov_b32 s30, s10
	s_clause 0xf
	buffer_load_dword v98, v95, s[0:3], 0 offen
	buffer_load_dword v99, v95, s[0:3], 0 offen offset:4
	buffer_load_dword v100, v95, s[0:3], 0 offen offset:8
	buffer_load_dword v101, v95, s[0:3], 0 offen offset:12
	buffer_load_dword v102, v95, s[0:3], 0 offen offset:16
	buffer_load_dword v103, v95, s[0:3], 0 offen offset:20
	buffer_load_dword v104, v95, s[0:3], 0 offen offset:24
	buffer_load_dword v105, v95, s[0:3], 0 offen offset:28
	buffer_load_dword v106, v95, s[0:3], 0 offen offset:32
	buffer_load_dword v107, v95, s[0:3], 0 offen offset:36
	buffer_load_dword v108, v95, s[0:3], 0 offen offset:40
	buffer_load_dword v109, v95, s[0:3], 0 offen offset:44
	buffer_load_dword v110, v95, s[0:3], 0 offen offset:48
	buffer_load_dword v111, v95, s[0:3], 0 offen offset:52
	buffer_load_dword v112, v95, s[0:3], 0 offen offset:56
	buffer_load_dword v113, v95, s[0:3], 0 offen offset:60
	v_min_f64 v[96:97], v[14:15], v[2:3]
	s_waitcnt vmcnt(14)
	v_add_f64 v[96:97], v[96:97], v[98:99]
	buffer_store_dword v96, v95, s[0:3], 0 offen
	buffer_store_dword v97, v95, s[0:3], 0 offen offset:4
	v_min_f64 v[96:97], v[16:17], v[2:3]
	s_waitcnt vmcnt(12)
	v_add_f64 v[96:97], v[96:97], v[100:101]
	buffer_store_dword v96, v95, s[0:3], 0 offen offset:8
	buffer_store_dword v97, v95, s[0:3], 0 offen offset:12
	v_min_f64 v[96:97], v[18:19], v[2:3]
	s_waitcnt vmcnt(10)
	v_add_f64 v[96:97], v[96:97], v[102:103]
	buffer_store_dword v96, v95, s[0:3], 0 offen offset:16
	buffer_store_dword v97, v95, s[0:3], 0 offen offset:20
	v_min_f64 v[96:97], v[20:21], v[2:3]
	s_waitcnt vmcnt(8)
	v_add_f64 v[96:97], v[96:97], v[104:105]
	buffer_store_dword v96, v95, s[0:3], 0 offen offset:24
	buffer_store_dword v97, v95, s[0:3], 0 offen offset:28
	v_min_f64 v[96:97], v[22:23], v[2:3]
	s_waitcnt vmcnt(6)
	v_add_f64 v[96:97], v[96:97], v[106:107]
	buffer_store_dword v96, v95, s[0:3], 0 offen offset:32
	buffer_store_dword v97, v95, s[0:3], 0 offen offset:36
	v_min_f64 v[96:97], v[24:25], v[2:3]
	s_waitcnt vmcnt(4)
	v_add_f64 v[96:97], v[96:97], v[108:109]
	buffer_store_dword v96, v95, s[0:3], 0 offen offset:40
	buffer_store_dword v97, v95, s[0:3], 0 offen offset:44
	v_min_f64 v[96:97], v[26:27], v[2:3]
	s_waitcnt vmcnt(2)
	v_add_f64 v[96:97], v[96:97], v[110:111]
	buffer_store_dword v96, v95, s[0:3], 0 offen offset:48
	buffer_store_dword v97, v95, s[0:3], 0 offen offset:52
	v_min_f64 v[96:97], v[28:29], v[2:3]
	s_waitcnt vmcnt(0)
	v_add_f64 v[96:97], v[96:97], v[112:113]
	buffer_store_dword v96, v95, s[0:3], 0 offen offset:56
	buffer_store_dword v97, v95, s[0:3], 0 offen offset:60
	s_clause 0x1
	buffer_load_dword v99, v95, s[0:3], 0 offen offset:68
	buffer_load_dword v98, v95, s[0:3], 0 offen offset:64
	v_min_f64 v[96:97], v[30:31], v[2:3]
	s_waitcnt vmcnt(0)
	v_add_f64 v[96:97], v[96:97], v[98:99]
	buffer_store_dword v97, v95, s[0:3], 0 offen offset:68
	buffer_store_dword v96, v95, s[0:3], 0 offen offset:64
	s_clause 0x1
	buffer_load_dword v98, v95, s[0:3], 0 offen offset:72
	buffer_load_dword v99, v95, s[0:3], 0 offen offset:76
	v_min_f64 v[96:97], v[32:33], v[2:3]
	s_waitcnt vmcnt(0)
	v_add_f64 v[96:97], v[96:97], v[98:99]
	buffer_store_dword v97, v95, s[0:3], 0 offen offset:76
	;; [unrolled: 8-line block ×22, first 2 shown]
	buffer_store_dword v96, v95, s[0:3], 0 offen offset:232
	s_clause 0x1
	buffer_load_dword v98, v95, s[0:3], 0 offen offset:240
	buffer_load_dword v99, v95, s[0:3], 0 offen offset:244
	v_min_f64 v[96:97], v[80:81], v[2:3]
	v_min_f64 v[2:3], v[82:83], v[2:3]
	s_waitcnt vmcnt(0)
	v_add_f64 v[96:97], v[96:97], v[98:99]
	buffer_store_dword v97, v95, s[0:3], 0 offen offset:244
	buffer_store_dword v96, v95, s[0:3], 0 offen offset:240
	s_clause 0x1
	buffer_load_dword v96, v95, s[0:3], 0 offen offset:248
	buffer_load_dword v97, v95, s[0:3], 0 offen offset:252
	s_waitcnt vmcnt(0)
	v_add_f64 v[2:3], v[2:3], v[96:97]
	buffer_store_dword v3, v95, s[0:3], 0 offen offset:252
	buffer_store_dword v2, v95, s[0:3], 0 offen offset:248
	v_mov_b32_e32 v2, v4
	v_mov_b32_e32 v3, v5
	s_cbranch_vccnz .LBB201_38
; %bb.39:                               ;   in Loop: Header=BB201_37 Depth=2
	s_add_i32 s8, s8, 1
	s_cmp_eq_u32 s8, 4
	s_cbranch_scc0 .LBB201_37
; %bb.40:                               ;   in Loop: Header=BB201_28 Depth=1
	v_or_b32_e32 v4, 4, v94
	v_mov_b32_e32 v76, 0
	v_mov_b32_e32 v78, 0
	;; [unrolled: 1-line block ×4, first 2 shown]
	v_min_i32_e32 v2, s13, v4
	v_cmp_le_i32_e32 vcc_lo, s42, v4
	ds_write2st64_b64 v86, v[8:9], v[6:7] offset1:4
	ds_write2st64_b64 v88, v[12:13], v[10:11] offset1:4
	s_waitcnt lgkmcnt(0)
	s_waitcnt_vscnt null, 0x0
	v_ashrrev_i32_e32 v3, 31, v2
	s_barrier
	buffer_gl0_inv
	v_lshlrev_b64 v[2:3], 3, v[2:3]
	v_add_co_u32 v2, s8, s24, v2
	v_add_co_ci_u32_e64 v3, null, s25, v3, s8
	s_nor_b32 s8, vcc_lo, s26
	s_and_saveexec_b32 s29, s8
	s_cbranch_execz .LBB201_42
; %bb.41:                               ;   in Loop: Header=BB201_28 Depth=1
	v_add_co_u32 v4, s8, v2, v70
	v_add_co_ci_u32_e64 v5, null, v3, v71, s8
	global_load_dwordx2 v[4:5], v[4:5], off
	s_waitcnt vmcnt(0)
	v_mul_f64 v[78:79], s[16:17], v[4:5]
.LBB201_42:                             ;   in Loop: Header=BB201_28 Depth=1
	s_or_b32 exec_lo, exec_lo, s29
	s_nor_b32 s29, vcc_lo, s9
	s_and_saveexec_b32 s8, s29
	s_cbranch_execz .LBB201_44
; %bb.43:                               ;   in Loop: Header=BB201_28 Depth=1
	v_add_co_u32 v2, vcc_lo, v2, v72
	v_add_co_ci_u32_e64 v3, null, v3, v73, vcc_lo
	global_load_dwordx2 v[2:3], v[2:3], off
	s_waitcnt vmcnt(0)
	v_mul_f64 v[76:77], s[16:17], v[2:3]
.LBB201_44:                             ;   in Loop: Header=BB201_28 Depth=1
	s_or_b32 exec_lo, exec_lo, s8
	v_add3_u32 v4, v85, s27, 4
	v_mov_b32_e32 v80, 0
	v_mov_b32_e32 v82, 0
	;; [unrolled: 1-line block ×4, first 2 shown]
	v_min_i32_e32 v2, s13, v4
	v_cmp_le_i32_e32 vcc_lo, s42, v4
	v_mad_i64_i32 v[2:3], null, v2, s19, 0
	v_lshlrev_b64 v[2:3], 3, v[2:3]
	v_add_co_u32 v2, s8, s22, v2
	v_add_co_ci_u32_e64 v3, null, s23, v3, s8
	s_or_b32 s8, s6, vcc_lo
	s_nor_b32 s8, s18, s8
	s_and_saveexec_b32 s29, s8
	s_cbranch_execz .LBB201_46
; %bb.45:                               ;   in Loop: Header=BB201_28 Depth=1
	v_add_co_u32 v4, s8, v2, v74
	v_add_co_ci_u32_e64 v5, null, v3, v75, s8
	global_load_dwordx2 v[4:5], v[4:5], off
	s_waitcnt vmcnt(0)
	v_mul_f64 v[82:83], s[16:17], v[4:5]
.LBB201_46:                             ;   in Loop: Header=BB201_28 Depth=1
	s_or_b32 exec_lo, exec_lo, s29
	s_or_b32 s8, s7, vcc_lo
	s_nor_b32 s29, s18, s8
	s_and_saveexec_b32 s8, s29
	s_cbranch_execz .LBB201_48
; %bb.47:                               ;   in Loop: Header=BB201_28 Depth=1
	v_add_co_u32 v2, vcc_lo, v2, v74
	v_add_co_ci_u32_e64 v3, null, v3, v75, vcc_lo
	global_load_dwordx2 v[2:3], v[2:3], off offset:512
	s_waitcnt vmcnt(0)
	v_mul_f64 v[80:81], s[16:17], v[2:3]
.LBB201_48:                             ;   in Loop: Header=BB201_28 Depth=1
	s_or_b32 exec_lo, exec_lo, s8
	s_mov_b32 s8, 0
.LBB201_49:                             ;   Parent Loop BB201_28 Depth=1
                                        ; =>  This Loop Header: Depth=2
                                        ;       Child Loop BB201_50 Depth 3
	s_lshl_b32 s29, s8, 3
	s_mov_b32 s30, 0
	v_add_nc_u32_e32 v30, s29, v87
	v_add_nc_u32_e32 v66, s29, v89
	s_mov_b32 s29, -1
	ds_read2_b64 v[2:5], v30 offset1:16
	ds_read2_b64 v[6:9], v30 offset0:32 offset1:48
	ds_read2_b64 v[10:13], v30 offset0:64 offset1:80
	;; [unrolled: 1-line block ×3, first 2 shown]
	v_add_nc_u32_e32 v62, 0x800, v30
	ds_read2_b64 v[18:21], v30 offset0:128 offset1:144
	ds_read2_b64 v[22:25], v30 offset0:160 offset1:176
	;; [unrolled: 1-line block ×4, first 2 shown]
	ds_read2_b64 v[34:37], v62 offset1:16
	ds_read2_b64 v[38:41], v62 offset0:32 offset1:48
	ds_read2_b64 v[42:45], v62 offset0:64 offset1:80
	;; [unrolled: 1-line block ×7, first 2 shown]
	ds_read2st64_b64 v[66:69], v66 offset1:4
.LBB201_50:                             ;   Parent Loop BB201_28 Depth=1
                                        ;     Parent Loop BB201_49 Depth=2
                                        ; =>    This Inner Loop Header: Depth=3
	s_waitcnt lgkmcnt(16)
	v_max_f64 v[94:95], v[2:3], v[2:3]
	s_waitcnt lgkmcnt(0)
	v_max_f64 v[66:67], v[66:67], v[66:67]
	s_and_b32 vcc_lo, exec_lo, s29
	s_mov_b32 s29, 0
	v_min_f64 v[95:96], v[94:95], v[66:67]
	v_mov_b32_e32 v94, s30
	s_mov_b32 s30, s10
	s_clause 0xf
	buffer_load_dword v97, v94, s[0:3], 0 offen
	buffer_load_dword v98, v94, s[0:3], 0 offen offset:4
	buffer_load_dword v99, v94, s[0:3], 0 offen offset:8
	;; [unrolled: 1-line block ×15, first 2 shown]
	s_waitcnt vmcnt(14)
	v_add_f64 v[95:96], v[95:96], v[97:98]
	buffer_store_dword v95, v94, s[0:3], 0 offen
	buffer_store_dword v96, v94, s[0:3], 0 offen offset:4
	v_max_f64 v[95:96], v[4:5], v[4:5]
	v_min_f64 v[95:96], v[95:96], v[66:67]
	s_waitcnt vmcnt(12)
	v_add_f64 v[95:96], v[95:96], v[99:100]
	buffer_store_dword v95, v94, s[0:3], 0 offen offset:8
	buffer_store_dword v96, v94, s[0:3], 0 offen offset:12
	v_max_f64 v[95:96], v[6:7], v[6:7]
	v_min_f64 v[95:96], v[95:96], v[66:67]
	s_waitcnt vmcnt(10)
	v_add_f64 v[95:96], v[95:96], v[101:102]
	buffer_store_dword v95, v94, s[0:3], 0 offen offset:16
	;; [unrolled: 6-line block ×7, first 2 shown]
	buffer_store_dword v96, v94, s[0:3], 0 offen offset:60
	s_clause 0x1
	buffer_load_dword v98, v94, s[0:3], 0 offen offset:68
	buffer_load_dword v97, v94, s[0:3], 0 offen offset:64
	v_max_f64 v[95:96], v[18:19], v[18:19]
	v_min_f64 v[95:96], v[95:96], v[66:67]
	s_waitcnt vmcnt(0)
	v_add_f64 v[95:96], v[95:96], v[97:98]
	buffer_store_dword v96, v94, s[0:3], 0 offen offset:68
	buffer_store_dword v95, v94, s[0:3], 0 offen offset:64
	s_clause 0x1
	buffer_load_dword v97, v94, s[0:3], 0 offen offset:72
	buffer_load_dword v98, v94, s[0:3], 0 offen offset:76
	v_max_f64 v[95:96], v[20:21], v[20:21]
	v_min_f64 v[95:96], v[95:96], v[66:67]
	s_waitcnt vmcnt(0)
	v_add_f64 v[95:96], v[95:96], v[97:98]
	buffer_store_dword v96, v94, s[0:3], 0 offen offset:76
	;; [unrolled: 9-line block ×23, first 2 shown]
	buffer_store_dword v95, v94, s[0:3], 0 offen offset:240
	v_max_f64 v[95:96], v[64:65], v[64:65]
	v_min_f64 v[66:67], v[95:96], v[66:67]
	s_clause 0x1
	buffer_load_dword v95, v94, s[0:3], 0 offen offset:248
	buffer_load_dword v96, v94, s[0:3], 0 offen offset:252
	s_waitcnt vmcnt(0)
	v_add_f64 v[66:67], v[66:67], v[95:96]
	buffer_store_dword v67, v94, s[0:3], 0 offen offset:252
	buffer_store_dword v66, v94, s[0:3], 0 offen offset:248
	v_mov_b32_e32 v66, v68
	v_mov_b32_e32 v67, v69
	s_cbranch_vccnz .LBB201_50
; %bb.51:                               ;   in Loop: Header=BB201_49 Depth=2
	s_add_i32 s8, s8, 1
	s_cmp_eq_u32 s8, 4
	s_cbranch_scc0 .LBB201_49
; %bb.52:                               ;   in Loop: Header=BB201_28 Depth=1
	s_add_i32 s28, s28, 8
	s_add_i32 s27, s27, 8
	s_cmp_ge_i32 s28, s21
	ds_write2st64_b64 v92, v[78:79], v[76:77] offset1:4
	ds_write2st64_b64 v93, v[82:83], v[80:81] offset1:4
	s_waitcnt lgkmcnt(0)
	s_waitcnt_vscnt null, 0x0
	s_barrier
	buffer_gl0_inv
	s_cbranch_scc0 .LBB201_28
.LBB201_53:
	s_mov_b32 s6, 0
.LBB201_54:                             ; =>This Loop Header: Depth=1
                                        ;     Child Loop BB201_55 Depth 2
	s_lshl_b32 s7, s6, 3
	s_mov_b32 s8, 0
	v_add_nc_u32_e32 v6, s7, v90
	v_add_nc_u32_e32 v70, s7, v91
	s_mov_b32 s7, -1
	ds_read2_b64 v[2:5], v6 offset1:16
	ds_read2_b64 v[10:13], v6 offset0:32 offset1:48
	ds_read2_b64 v[14:17], v6 offset0:64 offset1:80
	v_add_nc_u32_e32 v7, 0x800, v6
	ds_read2_b64 v[18:21], v6 offset0:96 offset1:112
	ds_read2_b64 v[22:25], v6 offset0:128 offset1:144
	;; [unrolled: 1-line block ×5, first 2 shown]
	ds_read2_b64 v[38:41], v7 offset1:16
	ds_read2_b64 v[42:45], v7 offset0:32 offset1:48
	ds_read2_b64 v[46:49], v7 offset0:64 offset1:80
	;; [unrolled: 1-line block ×7, first 2 shown]
	s_waitcnt lgkmcnt(11)
	v_max_f64 v[22:23], v[22:23], v[22:23]
	v_max_f64 v[24:25], v[24:25], v[24:25]
	s_waitcnt lgkmcnt(10)
	v_max_f64 v[26:27], v[26:27], v[26:27]
	v_max_f64 v[28:29], v[28:29], v[28:29]
	;; [unrolled: 3-line block ×3, first 2 shown]
	v_max_f64 v[6:7], v[2:3], v[2:3]
	v_max_f64 v[8:9], v[4:5], v[4:5]
	;; [unrolled: 1-line block ×8, first 2 shown]
	s_waitcnt lgkmcnt(8)
	v_max_f64 v[34:35], v[34:35], v[34:35]
	v_max_f64 v[36:37], v[36:37], v[36:37]
	s_waitcnt lgkmcnt(7)
	v_max_f64 v[38:39], v[38:39], v[38:39]
	v_max_f64 v[40:41], v[40:41], v[40:41]
	;; [unrolled: 3-line block ×9, first 2 shown]
	ds_read2st64_b64 v[2:5], v70 offset1:4
.LBB201_55:                             ;   Parent Loop BB201_54 Depth=1
                                        ; =>  This Inner Loop Header: Depth=2
	v_mov_b32_e32 v70, s8
	s_waitcnt lgkmcnt(0)
	v_max_f64 v[2:3], v[2:3], v[2:3]
	s_and_b32 vcc_lo, exec_lo, s7
	s_mov_b32 s7, 0
	s_mov_b32 s8, s10
	s_clause 0xf
	buffer_load_dword v73, v70, s[0:3], 0 offen
	buffer_load_dword v74, v70, s[0:3], 0 offen offset:4
	buffer_load_dword v75, v70, s[0:3], 0 offen offset:8
	;; [unrolled: 1-line block ×15, first 2 shown]
	v_min_f64 v[71:72], v[6:7], v[2:3]
	s_waitcnt vmcnt(14)
	v_add_f64 v[71:72], v[71:72], v[73:74]
	buffer_store_dword v71, v70, s[0:3], 0 offen
	buffer_store_dword v72, v70, s[0:3], 0 offen offset:4
	v_min_f64 v[71:72], v[8:9], v[2:3]
	s_waitcnt vmcnt(12)
	v_add_f64 v[71:72], v[71:72], v[75:76]
	buffer_store_dword v71, v70, s[0:3], 0 offen offset:8
	buffer_store_dword v72, v70, s[0:3], 0 offen offset:12
	v_min_f64 v[71:72], v[10:11], v[2:3]
	s_waitcnt vmcnt(10)
	v_add_f64 v[71:72], v[71:72], v[77:78]
	buffer_store_dword v71, v70, s[0:3], 0 offen offset:16
	;; [unrolled: 5-line block ×7, first 2 shown]
	buffer_store_dword v72, v70, s[0:3], 0 offen offset:60
	s_clause 0x1
	buffer_load_dword v74, v70, s[0:3], 0 offen offset:68
	buffer_load_dword v73, v70, s[0:3], 0 offen offset:64
	v_min_f64 v[71:72], v[22:23], v[2:3]
	s_waitcnt vmcnt(0)
	v_add_f64 v[71:72], v[71:72], v[73:74]
	buffer_store_dword v72, v70, s[0:3], 0 offen offset:68
	buffer_store_dword v71, v70, s[0:3], 0 offen offset:64
	s_clause 0x1
	buffer_load_dword v73, v70, s[0:3], 0 offen offset:72
	buffer_load_dword v74, v70, s[0:3], 0 offen offset:76
	v_min_f64 v[71:72], v[24:25], v[2:3]
	s_waitcnt vmcnt(0)
	v_add_f64 v[71:72], v[71:72], v[73:74]
	buffer_store_dword v72, v70, s[0:3], 0 offen offset:76
	;; [unrolled: 8-line block ×22, first 2 shown]
	buffer_store_dword v71, v70, s[0:3], 0 offen offset:232
	s_clause 0x1
	buffer_load_dword v73, v70, s[0:3], 0 offen offset:240
	buffer_load_dword v74, v70, s[0:3], 0 offen offset:244
	v_min_f64 v[71:72], v[66:67], v[2:3]
	v_min_f64 v[2:3], v[68:69], v[2:3]
	s_waitcnt vmcnt(0)
	v_add_f64 v[71:72], v[71:72], v[73:74]
	buffer_store_dword v72, v70, s[0:3], 0 offen offset:244
	buffer_store_dword v71, v70, s[0:3], 0 offen offset:240
	s_clause 0x1
	buffer_load_dword v71, v70, s[0:3], 0 offen offset:248
	buffer_load_dword v72, v70, s[0:3], 0 offen offset:252
	s_waitcnt vmcnt(0)
	v_add_f64 v[2:3], v[2:3], v[71:72]
	buffer_store_dword v3, v70, s[0:3], 0 offen offset:252
	buffer_store_dword v2, v70, s[0:3], 0 offen offset:248
	v_mov_b32_e32 v2, v4
	v_mov_b32_e32 v3, v5
	s_cbranch_vccnz .LBB201_55
; %bb.56:                               ;   in Loop: Header=BB201_54 Depth=1
	s_add_i32 s6, s6, 1
	s_cmp_eq_u32 s6, 4
	s_cbranch_scc0 .LBB201_54
; %bb.57:
	s_clause 0x2
	s_load_dwordx2 s[6:7], s[4:5], 0x78
	s_load_dword s43, s[4:5], 0x58
	s_load_dword s42, s[4:5], 0x70
	v_add_nc_u32_e32 v71, s12, v1
	v_add_nc_u32_e32 v0, s11, v0
	v_cndmask_b32_e64 v70, 0, 1, s46
	v_cmp_gt_i32_e64 s13, s41, v71
	s_waitcnt lgkmcnt(0)
	s_mul_i32 s4, s7, s20
	v_mad_i64_i32 v[1:2], null, v71, s43, 0
	v_mad_i64_i32 v[3:4], null, v71, s42, 0
	s_mul_hi_u32 s5, s6, s20
	s_mul_i32 s6, s6, s20
	s_add_i32 s7, s5, s4
	v_cmp_gt_i32_e64 s4, s40, v0
	v_lshlrev_b64 v[5:6], 3, v[1:2]
	s_lshl_b64 s[6:7], s[6:7], 3
	v_lshlrev_b64 v[2:3], 3, v[3:4]
	s_add_u32 s47, s14, s6
	s_addc_u32 s48, s15, s7
	v_ashrrev_i32_e32 v1, 31, v0
	v_add_co_u32 v68, vcc_lo, s44, v5
	v_add_co_ci_u32_e64 v69, null, s45, v6, vcc_lo
	v_add_co_u32 v72, vcc_lo, s47, v2
	v_add_co_ci_u32_e64 v73, null, s48, v3, vcc_lo
	s_and_b32 s6, s13, s4
	s_and_saveexec_b32 s5, s6
	s_cbranch_execz .LBB201_62
; %bb.58:
	s_clause 0x1
	buffer_load_dword v2, off, s[0:3], 0
	buffer_load_dword v3, off, s[0:3], 0 offset:4
	v_lshlrev_b64 v[4:5], 3, v[0:1]
	s_andn2_b32 vcc_lo, exec_lo, s46
	s_cbranch_vccnz .LBB201_60
; %bb.59:
	v_add_co_u32 v6, vcc_lo, v68, v4
	v_add_co_ci_u32_e64 v7, null, v69, v5, vcc_lo
	global_load_dwordx2 v[6:7], v[6:7], off
	s_waitcnt vmcnt(0)
	v_mul_f64 v[6:7], s[38:39], v[6:7]
	s_branch .LBB201_61
.LBB201_60:
	v_mov_b32_e32 v6, 0
	v_mov_b32_e32 v7, 0
.LBB201_61:
	s_waitcnt vmcnt(0)
	v_add_f64 v[2:3], v[2:3], v[6:7]
	v_add_co_u32 v4, vcc_lo, v72, v4
	v_add_co_ci_u32_e64 v5, null, v73, v5, vcc_lo
	global_store_dwordx2 v[4:5], v[2:3], off
.LBB201_62:
	s_or_b32 exec_lo, exec_lo, s5
	v_add_nc_u32_e32 v2, 4, v0
	v_cmp_gt_i32_e64 s5, s40, v2
	v_ashrrev_i32_e32 v3, 31, v2
	s_and_b32 s7, s13, s5
	s_and_saveexec_b32 s6, s7
	s_cbranch_execz .LBB201_67
; %bb.63:
	s_clause 0x1
	buffer_load_dword v4, off, s[0:3], 0 offset:8
	buffer_load_dword v5, off, s[0:3], 0 offset:12
	v_lshlrev_b64 v[6:7], 3, v[2:3]
	s_andn2_b32 vcc_lo, exec_lo, s46
	s_cbranch_vccnz .LBB201_65
; %bb.64:
	v_add_co_u32 v8, vcc_lo, v68, v6
	v_add_co_ci_u32_e64 v9, null, v69, v7, vcc_lo
	global_load_dwordx2 v[8:9], v[8:9], off
	s_waitcnt vmcnt(0)
	v_mul_f64 v[8:9], s[38:39], v[8:9]
	s_branch .LBB201_66
.LBB201_65:
	v_mov_b32_e32 v8, 0
	v_mov_b32_e32 v9, 0
.LBB201_66:
	s_waitcnt vmcnt(0)
	v_add_f64 v[4:5], v[4:5], v[8:9]
	v_add_co_u32 v6, vcc_lo, v72, v6
	v_add_co_ci_u32_e64 v7, null, v73, v7, vcc_lo
	global_store_dwordx2 v[6:7], v[4:5], off
.LBB201_67:
	s_or_b32 exec_lo, exec_lo, s6
	v_add_nc_u32_e32 v4, 8, v0
	v_cmp_gt_i32_e64 s6, s40, v4
	v_ashrrev_i32_e32 v5, 31, v4
	s_and_b32 s8, s13, s6
	s_and_saveexec_b32 s7, s8
	s_cbranch_execz .LBB201_72
; %bb.68:
	s_clause 0x1
	buffer_load_dword v6, off, s[0:3], 0 offset:16
	buffer_load_dword v7, off, s[0:3], 0 offset:20
	v_lshlrev_b64 v[8:9], 3, v[4:5]
	s_andn2_b32 vcc_lo, exec_lo, s46
	s_cbranch_vccnz .LBB201_70
; %bb.69:
	v_add_co_u32 v10, vcc_lo, v68, v8
	v_add_co_ci_u32_e64 v11, null, v69, v9, vcc_lo
	global_load_dwordx2 v[10:11], v[10:11], off
	s_waitcnt vmcnt(0)
	v_mul_f64 v[10:11], s[38:39], v[10:11]
	s_branch .LBB201_71
.LBB201_70:
	v_mov_b32_e32 v10, 0
	v_mov_b32_e32 v11, 0
.LBB201_71:
	s_waitcnt vmcnt(0)
	v_add_f64 v[6:7], v[6:7], v[10:11]
	v_add_co_u32 v8, vcc_lo, v72, v8
	v_add_co_ci_u32_e64 v9, null, v73, v9, vcc_lo
	global_store_dwordx2 v[8:9], v[6:7], off
.LBB201_72:
	;; [unrolled: 31-line block ×31, first 2 shown]
	s_or_b32 exec_lo, exec_lo, s13
	v_add_nc_u32_e32 v68, 64, v71
	v_mad_i64_i32 v[64:65], null, v68, s43, 0
	v_mad_i64_i32 v[66:67], null, v68, s42, 0
	v_cmp_gt_i32_e64 s13, s41, v68
	v_lshlrev_b64 v[64:65], 3, v[64:65]
	s_and_b32 s4, s13, s4
	v_lshlrev_b64 v[66:67], 3, v[66:67]
	v_add_co_u32 v71, vcc_lo, s44, v64
	v_add_co_ci_u32_e64 v72, null, s45, v65, vcc_lo
	v_add_co_u32 v68, vcc_lo, s47, v66
	v_add_co_ci_u32_e64 v69, null, s48, v67, vcc_lo
	s_and_saveexec_b32 s40, s4
	s_xor_b32 s4, exec_lo, s40
	s_cbranch_execnz .LBB201_250
; %bb.218:
	s_or_b32 exec_lo, exec_lo, s4
	s_and_b32 s5, s13, s5
	s_and_saveexec_b32 s4, s5
	s_cbranch_execnz .LBB201_254
.LBB201_219:
	s_or_b32 exec_lo, exec_lo, s4
	s_and_b32 s5, s13, s6
	s_and_saveexec_b32 s4, s5
	s_cbranch_execnz .LBB201_258
.LBB201_220:
	s_or_b32 exec_lo, exec_lo, s4
	s_and_b32 s5, s13, s7
	s_and_saveexec_b32 s4, s5
	s_cbranch_execnz .LBB201_262
.LBB201_221:
	s_or_b32 exec_lo, exec_lo, s4
	s_and_b32 s5, s13, s8
	s_and_saveexec_b32 s4, s5
	s_cbranch_execnz .LBB201_266
.LBB201_222:
	s_or_b32 exec_lo, exec_lo, s4
	s_and_b32 s5, s13, s9
	s_and_saveexec_b32 s4, s5
	s_cbranch_execnz .LBB201_270
.LBB201_223:
	s_or_b32 exec_lo, exec_lo, s4
	s_and_b32 s5, s13, s10
	s_and_saveexec_b32 s4, s5
	s_cbranch_execnz .LBB201_274
.LBB201_224:
	s_or_b32 exec_lo, exec_lo, s4
	s_and_b32 s5, s13, s11
	s_and_saveexec_b32 s4, s5
	s_cbranch_execnz .LBB201_278
.LBB201_225:
	s_or_b32 exec_lo, exec_lo, s4
	s_and_b32 s5, s13, s12
	s_and_saveexec_b32 s4, s5
	s_cbranch_execnz .LBB201_282
.LBB201_226:
	s_or_b32 exec_lo, exec_lo, s4
	s_and_b32 s5, s13, s14
	s_and_saveexec_b32 s4, s5
	s_cbranch_execnz .LBB201_286
.LBB201_227:
	s_or_b32 exec_lo, exec_lo, s4
	s_and_b32 s5, s13, s15
	s_and_saveexec_b32 s4, s5
	s_cbranch_execnz .LBB201_290
.LBB201_228:
	s_or_b32 exec_lo, exec_lo, s4
	s_and_b32 s5, s13, s16
	s_and_saveexec_b32 s4, s5
	s_cbranch_execnz .LBB201_294
.LBB201_229:
	s_or_b32 exec_lo, exec_lo, s4
	s_and_b32 s5, s13, s17
	s_and_saveexec_b32 s4, s5
	s_cbranch_execnz .LBB201_298
.LBB201_230:
	s_or_b32 exec_lo, exec_lo, s4
	s_and_b32 s5, s13, s18
	s_and_saveexec_b32 s4, s5
	s_cbranch_execnz .LBB201_302
.LBB201_231:
	s_or_b32 exec_lo, exec_lo, s4
	s_and_b32 s5, s13, s19
	s_and_saveexec_b32 s4, s5
	s_cbranch_execnz .LBB201_306
.LBB201_232:
	s_or_b32 exec_lo, exec_lo, s4
	s_and_b32 s5, s13, s20
	s_and_saveexec_b32 s4, s5
	s_cbranch_execnz .LBB201_310
.LBB201_233:
	s_or_b32 exec_lo, exec_lo, s4
	s_and_b32 s5, s13, s21
	s_and_saveexec_b32 s4, s5
	s_cbranch_execnz .LBB201_314
.LBB201_234:
	s_or_b32 exec_lo, exec_lo, s4
	s_and_b32 s5, s13, s22
	s_and_saveexec_b32 s4, s5
	s_cbranch_execnz .LBB201_318
.LBB201_235:
	s_or_b32 exec_lo, exec_lo, s4
	s_and_b32 s5, s13, s23
	s_and_saveexec_b32 s4, s5
	s_cbranch_execnz .LBB201_322
.LBB201_236:
	s_or_b32 exec_lo, exec_lo, s4
	s_and_b32 s5, s13, s24
	s_and_saveexec_b32 s4, s5
	s_cbranch_execnz .LBB201_326
.LBB201_237:
	s_or_b32 exec_lo, exec_lo, s4
	s_and_b32 s5, s13, s25
	s_and_saveexec_b32 s4, s5
	s_cbranch_execnz .LBB201_330
.LBB201_238:
	s_or_b32 exec_lo, exec_lo, s4
	s_and_b32 s5, s13, s26
	s_and_saveexec_b32 s4, s5
	s_cbranch_execnz .LBB201_334
.LBB201_239:
	s_or_b32 exec_lo, exec_lo, s4
	s_and_b32 s5, s13, s27
	s_and_saveexec_b32 s4, s5
	s_cbranch_execnz .LBB201_338
.LBB201_240:
	s_or_b32 exec_lo, exec_lo, s4
	s_and_b32 s5, s13, s28
	s_and_saveexec_b32 s4, s5
	s_cbranch_execnz .LBB201_342
.LBB201_241:
	s_or_b32 exec_lo, exec_lo, s4
	s_and_b32 s5, s13, s29
	s_and_saveexec_b32 s4, s5
	s_cbranch_execnz .LBB201_346
.LBB201_242:
	s_or_b32 exec_lo, exec_lo, s4
	s_and_b32 s5, s13, s30
	s_and_saveexec_b32 s4, s5
	s_cbranch_execnz .LBB201_350
.LBB201_243:
	s_or_b32 exec_lo, exec_lo, s4
	s_and_b32 s5, s13, s31
	s_and_saveexec_b32 s4, s5
	s_cbranch_execnz .LBB201_354
.LBB201_244:
	s_or_b32 exec_lo, exec_lo, s4
	s_and_b32 s5, s13, s33
	s_and_saveexec_b32 s4, s5
	s_cbranch_execnz .LBB201_358
.LBB201_245:
	s_or_b32 exec_lo, exec_lo, s4
	s_and_b32 s5, s13, s34
	s_and_saveexec_b32 s4, s5
	s_cbranch_execnz .LBB201_362
.LBB201_246:
	s_or_b32 exec_lo, exec_lo, s4
	s_and_b32 s5, s13, s35
	s_and_saveexec_b32 s4, s5
	s_cbranch_execnz .LBB201_366
.LBB201_247:
	s_or_b32 exec_lo, exec_lo, s4
	s_and_b32 s5, s13, s36
	s_and_saveexec_b32 s4, s5
	s_cbranch_execnz .LBB201_370
.LBB201_248:
	s_or_b32 exec_lo, exec_lo, s4
	s_and_b32 s4, s13, s37
	s_and_saveexec_b32 s5, s4
	s_cbranch_execnz .LBB201_374
.LBB201_249:
	s_endpgm
.LBB201_250:
	s_clause 0x1
	buffer_load_dword v64, off, s[0:3], 0 offset:256
	buffer_load_dword v65, off, s[0:3], 0 offset:260
	v_lshlrev_b64 v[0:1], 3, v[0:1]
	s_andn2_b32 vcc_lo, exec_lo, s46
	s_cbranch_vccnz .LBB201_252
; %bb.251:
	v_add_co_u32 v66, vcc_lo, v71, v0
	v_add_co_ci_u32_e64 v67, null, v72, v1, vcc_lo
	global_load_dwordx2 v[66:67], v[66:67], off
	s_waitcnt vmcnt(0)
	v_mul_f64 v[66:67], s[38:39], v[66:67]
	s_branch .LBB201_253
.LBB201_252:
	v_mov_b32_e32 v66, 0
	v_mov_b32_e32 v67, 0
.LBB201_253:
	s_waitcnt vmcnt(0)
	v_add_f64 v[64:65], v[64:65], v[66:67]
	v_add_co_u32 v0, vcc_lo, v68, v0
	v_add_co_ci_u32_e64 v1, null, v69, v1, vcc_lo
	global_store_dwordx2 v[0:1], v[64:65], off
	s_or_b32 exec_lo, exec_lo, s4
	s_and_b32 s5, s13, s5
	s_and_saveexec_b32 s4, s5
	s_cbranch_execz .LBB201_219
.LBB201_254:
	s_clause 0x1
	buffer_load_dword v0, off, s[0:3], 0 offset:264
	buffer_load_dword v1, off, s[0:3], 0 offset:268
	v_cmp_ne_u32_e32 vcc_lo, 1, v70
	v_lshlrev_b64 v[2:3], 3, v[2:3]
	s_cbranch_vccnz .LBB201_256
; %bb.255:
	v_add_co_u32 v64, vcc_lo, v71, v2
	v_add_co_ci_u32_e64 v65, null, v72, v3, vcc_lo
	global_load_dwordx2 v[64:65], v[64:65], off
	s_waitcnt vmcnt(0)
	v_mul_f64 v[64:65], s[38:39], v[64:65]
	s_branch .LBB201_257
.LBB201_256:
	v_mov_b32_e32 v64, 0
	v_mov_b32_e32 v65, 0
.LBB201_257:
	s_waitcnt vmcnt(0)
	v_add_f64 v[0:1], v[0:1], v[64:65]
	v_add_co_u32 v2, vcc_lo, v68, v2
	v_add_co_ci_u32_e64 v3, null, v69, v3, vcc_lo
	global_store_dwordx2 v[2:3], v[0:1], off
	s_or_b32 exec_lo, exec_lo, s4
	s_and_b32 s5, s13, s6
	s_and_saveexec_b32 s4, s5
	s_cbranch_execz .LBB201_220
.LBB201_258:
	s_clause 0x1
	buffer_load_dword v0, off, s[0:3], 0 offset:272
	buffer_load_dword v1, off, s[0:3], 0 offset:276
	v_cmp_ne_u32_e32 vcc_lo, 1, v70
	v_lshlrev_b64 v[2:3], 3, v[4:5]
	s_cbranch_vccnz .LBB201_260
; %bb.259:
	v_add_co_u32 v4, vcc_lo, v71, v2
	v_add_co_ci_u32_e64 v5, null, v72, v3, vcc_lo
	global_load_dwordx2 v[4:5], v[4:5], off
	s_waitcnt vmcnt(0)
	v_mul_f64 v[4:5], s[38:39], v[4:5]
	s_branch .LBB201_261
.LBB201_260:
	v_mov_b32_e32 v4, 0
	v_mov_b32_e32 v5, 0
.LBB201_261:
	s_waitcnt vmcnt(0)
	v_add_f64 v[0:1], v[0:1], v[4:5]
	v_add_co_u32 v2, vcc_lo, v68, v2
	v_add_co_ci_u32_e64 v3, null, v69, v3, vcc_lo
	global_store_dwordx2 v[2:3], v[0:1], off
	s_or_b32 exec_lo, exec_lo, s4
	s_and_b32 s5, s13, s7
	s_and_saveexec_b32 s4, s5
	s_cbranch_execz .LBB201_221
.LBB201_262:
	s_clause 0x1
	buffer_load_dword v0, off, s[0:3], 0 offset:280
	buffer_load_dword v1, off, s[0:3], 0 offset:284
	v_cmp_ne_u32_e32 vcc_lo, 1, v70
	v_lshlrev_b64 v[2:3], 3, v[6:7]
	s_cbranch_vccnz .LBB201_264
; %bb.263:
	v_add_co_u32 v4, vcc_lo, v71, v2
	v_add_co_ci_u32_e64 v5, null, v72, v3, vcc_lo
	global_load_dwordx2 v[4:5], v[4:5], off
	s_waitcnt vmcnt(0)
	v_mul_f64 v[4:5], s[38:39], v[4:5]
	s_branch .LBB201_265
.LBB201_264:
	v_mov_b32_e32 v4, 0
	v_mov_b32_e32 v5, 0
.LBB201_265:
	s_waitcnt vmcnt(0)
	v_add_f64 v[0:1], v[0:1], v[4:5]
	v_add_co_u32 v2, vcc_lo, v68, v2
	v_add_co_ci_u32_e64 v3, null, v69, v3, vcc_lo
	global_store_dwordx2 v[2:3], v[0:1], off
	s_or_b32 exec_lo, exec_lo, s4
	s_and_b32 s5, s13, s8
	s_and_saveexec_b32 s4, s5
	s_cbranch_execz .LBB201_222
.LBB201_266:
	s_clause 0x1
	buffer_load_dword v0, off, s[0:3], 0 offset:288
	buffer_load_dword v1, off, s[0:3], 0 offset:292
	v_cmp_ne_u32_e32 vcc_lo, 1, v70
	v_lshlrev_b64 v[2:3], 3, v[8:9]
	s_cbranch_vccnz .LBB201_268
; %bb.267:
	v_add_co_u32 v4, vcc_lo, v71, v2
	v_add_co_ci_u32_e64 v5, null, v72, v3, vcc_lo
	global_load_dwordx2 v[4:5], v[4:5], off
	s_waitcnt vmcnt(0)
	v_mul_f64 v[4:5], s[38:39], v[4:5]
	s_branch .LBB201_269
.LBB201_268:
	v_mov_b32_e32 v4, 0
	v_mov_b32_e32 v5, 0
.LBB201_269:
	s_waitcnt vmcnt(0)
	v_add_f64 v[0:1], v[0:1], v[4:5]
	v_add_co_u32 v2, vcc_lo, v68, v2
	v_add_co_ci_u32_e64 v3, null, v69, v3, vcc_lo
	global_store_dwordx2 v[2:3], v[0:1], off
	s_or_b32 exec_lo, exec_lo, s4
	s_and_b32 s5, s13, s9
	s_and_saveexec_b32 s4, s5
	s_cbranch_execz .LBB201_223
.LBB201_270:
	s_clause 0x1
	buffer_load_dword v0, off, s[0:3], 0 offset:296
	buffer_load_dword v1, off, s[0:3], 0 offset:300
	v_cmp_ne_u32_e32 vcc_lo, 1, v70
	v_lshlrev_b64 v[2:3], 3, v[10:11]
	s_cbranch_vccnz .LBB201_272
; %bb.271:
	v_add_co_u32 v4, vcc_lo, v71, v2
	v_add_co_ci_u32_e64 v5, null, v72, v3, vcc_lo
	global_load_dwordx2 v[4:5], v[4:5], off
	s_waitcnt vmcnt(0)
	v_mul_f64 v[4:5], s[38:39], v[4:5]
	s_branch .LBB201_273
.LBB201_272:
	v_mov_b32_e32 v4, 0
	v_mov_b32_e32 v5, 0
.LBB201_273:
	s_waitcnt vmcnt(0)
	v_add_f64 v[0:1], v[0:1], v[4:5]
	v_add_co_u32 v2, vcc_lo, v68, v2
	v_add_co_ci_u32_e64 v3, null, v69, v3, vcc_lo
	global_store_dwordx2 v[2:3], v[0:1], off
	s_or_b32 exec_lo, exec_lo, s4
	s_and_b32 s5, s13, s10
	s_and_saveexec_b32 s4, s5
	s_cbranch_execz .LBB201_224
.LBB201_274:
	s_clause 0x1
	buffer_load_dword v0, off, s[0:3], 0 offset:304
	buffer_load_dword v1, off, s[0:3], 0 offset:308
	v_cmp_ne_u32_e32 vcc_lo, 1, v70
	v_lshlrev_b64 v[2:3], 3, v[12:13]
	s_cbranch_vccnz .LBB201_276
; %bb.275:
	v_add_co_u32 v4, vcc_lo, v71, v2
	v_add_co_ci_u32_e64 v5, null, v72, v3, vcc_lo
	global_load_dwordx2 v[4:5], v[4:5], off
	s_waitcnt vmcnt(0)
	v_mul_f64 v[4:5], s[38:39], v[4:5]
	s_branch .LBB201_277
.LBB201_276:
	v_mov_b32_e32 v4, 0
	v_mov_b32_e32 v5, 0
.LBB201_277:
	s_waitcnt vmcnt(0)
	v_add_f64 v[0:1], v[0:1], v[4:5]
	v_add_co_u32 v2, vcc_lo, v68, v2
	v_add_co_ci_u32_e64 v3, null, v69, v3, vcc_lo
	global_store_dwordx2 v[2:3], v[0:1], off
	s_or_b32 exec_lo, exec_lo, s4
	s_and_b32 s5, s13, s11
	s_and_saveexec_b32 s4, s5
	s_cbranch_execz .LBB201_225
.LBB201_278:
	s_clause 0x1
	buffer_load_dword v0, off, s[0:3], 0 offset:312
	buffer_load_dword v1, off, s[0:3], 0 offset:316
	v_cmp_ne_u32_e32 vcc_lo, 1, v70
	v_lshlrev_b64 v[2:3], 3, v[14:15]
	s_cbranch_vccnz .LBB201_280
; %bb.279:
	v_add_co_u32 v4, vcc_lo, v71, v2
	v_add_co_ci_u32_e64 v5, null, v72, v3, vcc_lo
	global_load_dwordx2 v[4:5], v[4:5], off
	s_waitcnt vmcnt(0)
	v_mul_f64 v[4:5], s[38:39], v[4:5]
	s_branch .LBB201_281
.LBB201_280:
	v_mov_b32_e32 v4, 0
	v_mov_b32_e32 v5, 0
.LBB201_281:
	s_waitcnt vmcnt(0)
	v_add_f64 v[0:1], v[0:1], v[4:5]
	v_add_co_u32 v2, vcc_lo, v68, v2
	v_add_co_ci_u32_e64 v3, null, v69, v3, vcc_lo
	global_store_dwordx2 v[2:3], v[0:1], off
	s_or_b32 exec_lo, exec_lo, s4
	s_and_b32 s5, s13, s12
	s_and_saveexec_b32 s4, s5
	s_cbranch_execz .LBB201_226
.LBB201_282:
	s_clause 0x1
	buffer_load_dword v0, off, s[0:3], 0 offset:320
	buffer_load_dword v1, off, s[0:3], 0 offset:324
	v_cmp_ne_u32_e32 vcc_lo, 1, v70
	v_lshlrev_b64 v[2:3], 3, v[16:17]
	s_cbranch_vccnz .LBB201_284
; %bb.283:
	v_add_co_u32 v4, vcc_lo, v71, v2
	v_add_co_ci_u32_e64 v5, null, v72, v3, vcc_lo
	global_load_dwordx2 v[4:5], v[4:5], off
	s_waitcnt vmcnt(0)
	v_mul_f64 v[4:5], s[38:39], v[4:5]
	s_branch .LBB201_285
.LBB201_284:
	v_mov_b32_e32 v4, 0
	v_mov_b32_e32 v5, 0
.LBB201_285:
	s_waitcnt vmcnt(0)
	v_add_f64 v[0:1], v[0:1], v[4:5]
	v_add_co_u32 v2, vcc_lo, v68, v2
	v_add_co_ci_u32_e64 v3, null, v69, v3, vcc_lo
	global_store_dwordx2 v[2:3], v[0:1], off
	s_or_b32 exec_lo, exec_lo, s4
	s_and_b32 s5, s13, s14
	s_and_saveexec_b32 s4, s5
	s_cbranch_execz .LBB201_227
.LBB201_286:
	s_clause 0x1
	buffer_load_dword v0, off, s[0:3], 0 offset:328
	buffer_load_dword v1, off, s[0:3], 0 offset:332
	v_cmp_ne_u32_e32 vcc_lo, 1, v70
	v_lshlrev_b64 v[2:3], 3, v[18:19]
	s_cbranch_vccnz .LBB201_288
; %bb.287:
	v_add_co_u32 v4, vcc_lo, v71, v2
	v_add_co_ci_u32_e64 v5, null, v72, v3, vcc_lo
	global_load_dwordx2 v[4:5], v[4:5], off
	s_waitcnt vmcnt(0)
	v_mul_f64 v[4:5], s[38:39], v[4:5]
	s_branch .LBB201_289
.LBB201_288:
	v_mov_b32_e32 v4, 0
	v_mov_b32_e32 v5, 0
.LBB201_289:
	s_waitcnt vmcnt(0)
	v_add_f64 v[0:1], v[0:1], v[4:5]
	v_add_co_u32 v2, vcc_lo, v68, v2
	v_add_co_ci_u32_e64 v3, null, v69, v3, vcc_lo
	global_store_dwordx2 v[2:3], v[0:1], off
	s_or_b32 exec_lo, exec_lo, s4
	s_and_b32 s5, s13, s15
	s_and_saveexec_b32 s4, s5
	s_cbranch_execz .LBB201_228
.LBB201_290:
	s_clause 0x1
	buffer_load_dword v0, off, s[0:3], 0 offset:336
	buffer_load_dword v1, off, s[0:3], 0 offset:340
	v_cmp_ne_u32_e32 vcc_lo, 1, v70
	v_lshlrev_b64 v[2:3], 3, v[20:21]
	s_cbranch_vccnz .LBB201_292
; %bb.291:
	v_add_co_u32 v4, vcc_lo, v71, v2
	v_add_co_ci_u32_e64 v5, null, v72, v3, vcc_lo
	global_load_dwordx2 v[4:5], v[4:5], off
	s_waitcnt vmcnt(0)
	v_mul_f64 v[4:5], s[38:39], v[4:5]
	s_branch .LBB201_293
.LBB201_292:
	v_mov_b32_e32 v4, 0
	v_mov_b32_e32 v5, 0
.LBB201_293:
	s_waitcnt vmcnt(0)
	v_add_f64 v[0:1], v[0:1], v[4:5]
	v_add_co_u32 v2, vcc_lo, v68, v2
	v_add_co_ci_u32_e64 v3, null, v69, v3, vcc_lo
	global_store_dwordx2 v[2:3], v[0:1], off
	s_or_b32 exec_lo, exec_lo, s4
	s_and_b32 s5, s13, s16
	s_and_saveexec_b32 s4, s5
	s_cbranch_execz .LBB201_229
.LBB201_294:
	s_clause 0x1
	buffer_load_dword v0, off, s[0:3], 0 offset:344
	buffer_load_dword v1, off, s[0:3], 0 offset:348
	v_cmp_ne_u32_e32 vcc_lo, 1, v70
	v_lshlrev_b64 v[2:3], 3, v[22:23]
	s_cbranch_vccnz .LBB201_296
; %bb.295:
	v_add_co_u32 v4, vcc_lo, v71, v2
	v_add_co_ci_u32_e64 v5, null, v72, v3, vcc_lo
	global_load_dwordx2 v[4:5], v[4:5], off
	s_waitcnt vmcnt(0)
	v_mul_f64 v[4:5], s[38:39], v[4:5]
	s_branch .LBB201_297
.LBB201_296:
	v_mov_b32_e32 v4, 0
	v_mov_b32_e32 v5, 0
.LBB201_297:
	s_waitcnt vmcnt(0)
	v_add_f64 v[0:1], v[0:1], v[4:5]
	v_add_co_u32 v2, vcc_lo, v68, v2
	v_add_co_ci_u32_e64 v3, null, v69, v3, vcc_lo
	global_store_dwordx2 v[2:3], v[0:1], off
	s_or_b32 exec_lo, exec_lo, s4
	s_and_b32 s5, s13, s17
	s_and_saveexec_b32 s4, s5
	s_cbranch_execz .LBB201_230
.LBB201_298:
	s_clause 0x1
	buffer_load_dword v0, off, s[0:3], 0 offset:352
	buffer_load_dword v1, off, s[0:3], 0 offset:356
	v_cmp_ne_u32_e32 vcc_lo, 1, v70
	v_lshlrev_b64 v[2:3], 3, v[24:25]
	s_cbranch_vccnz .LBB201_300
; %bb.299:
	v_add_co_u32 v4, vcc_lo, v71, v2
	v_add_co_ci_u32_e64 v5, null, v72, v3, vcc_lo
	global_load_dwordx2 v[4:5], v[4:5], off
	s_waitcnt vmcnt(0)
	v_mul_f64 v[4:5], s[38:39], v[4:5]
	s_branch .LBB201_301
.LBB201_300:
	v_mov_b32_e32 v4, 0
	v_mov_b32_e32 v5, 0
.LBB201_301:
	s_waitcnt vmcnt(0)
	v_add_f64 v[0:1], v[0:1], v[4:5]
	v_add_co_u32 v2, vcc_lo, v68, v2
	v_add_co_ci_u32_e64 v3, null, v69, v3, vcc_lo
	global_store_dwordx2 v[2:3], v[0:1], off
	s_or_b32 exec_lo, exec_lo, s4
	s_and_b32 s5, s13, s18
	s_and_saveexec_b32 s4, s5
	s_cbranch_execz .LBB201_231
.LBB201_302:
	s_clause 0x1
	buffer_load_dword v0, off, s[0:3], 0 offset:360
	buffer_load_dword v1, off, s[0:3], 0 offset:364
	v_cmp_ne_u32_e32 vcc_lo, 1, v70
	v_lshlrev_b64 v[2:3], 3, v[26:27]
	s_cbranch_vccnz .LBB201_304
; %bb.303:
	v_add_co_u32 v4, vcc_lo, v71, v2
	v_add_co_ci_u32_e64 v5, null, v72, v3, vcc_lo
	global_load_dwordx2 v[4:5], v[4:5], off
	s_waitcnt vmcnt(0)
	v_mul_f64 v[4:5], s[38:39], v[4:5]
	s_branch .LBB201_305
.LBB201_304:
	v_mov_b32_e32 v4, 0
	v_mov_b32_e32 v5, 0
.LBB201_305:
	s_waitcnt vmcnt(0)
	v_add_f64 v[0:1], v[0:1], v[4:5]
	v_add_co_u32 v2, vcc_lo, v68, v2
	v_add_co_ci_u32_e64 v3, null, v69, v3, vcc_lo
	global_store_dwordx2 v[2:3], v[0:1], off
	s_or_b32 exec_lo, exec_lo, s4
	s_and_b32 s5, s13, s19
	s_and_saveexec_b32 s4, s5
	s_cbranch_execz .LBB201_232
.LBB201_306:
	s_clause 0x1
	buffer_load_dword v0, off, s[0:3], 0 offset:368
	buffer_load_dword v1, off, s[0:3], 0 offset:372
	v_cmp_ne_u32_e32 vcc_lo, 1, v70
	v_lshlrev_b64 v[2:3], 3, v[28:29]
	s_cbranch_vccnz .LBB201_308
; %bb.307:
	v_add_co_u32 v4, vcc_lo, v71, v2
	v_add_co_ci_u32_e64 v5, null, v72, v3, vcc_lo
	global_load_dwordx2 v[4:5], v[4:5], off
	s_waitcnt vmcnt(0)
	v_mul_f64 v[4:5], s[38:39], v[4:5]
	s_branch .LBB201_309
.LBB201_308:
	v_mov_b32_e32 v4, 0
	v_mov_b32_e32 v5, 0
.LBB201_309:
	s_waitcnt vmcnt(0)
	v_add_f64 v[0:1], v[0:1], v[4:5]
	v_add_co_u32 v2, vcc_lo, v68, v2
	v_add_co_ci_u32_e64 v3, null, v69, v3, vcc_lo
	global_store_dwordx2 v[2:3], v[0:1], off
	s_or_b32 exec_lo, exec_lo, s4
	s_and_b32 s5, s13, s20
	s_and_saveexec_b32 s4, s5
	s_cbranch_execz .LBB201_233
.LBB201_310:
	s_clause 0x1
	buffer_load_dword v0, off, s[0:3], 0 offset:376
	buffer_load_dword v1, off, s[0:3], 0 offset:380
	v_cmp_ne_u32_e32 vcc_lo, 1, v70
	v_lshlrev_b64 v[2:3], 3, v[30:31]
	s_cbranch_vccnz .LBB201_312
; %bb.311:
	v_add_co_u32 v4, vcc_lo, v71, v2
	v_add_co_ci_u32_e64 v5, null, v72, v3, vcc_lo
	global_load_dwordx2 v[4:5], v[4:5], off
	s_waitcnt vmcnt(0)
	v_mul_f64 v[4:5], s[38:39], v[4:5]
	s_branch .LBB201_313
.LBB201_312:
	v_mov_b32_e32 v4, 0
	v_mov_b32_e32 v5, 0
.LBB201_313:
	s_waitcnt vmcnt(0)
	v_add_f64 v[0:1], v[0:1], v[4:5]
	v_add_co_u32 v2, vcc_lo, v68, v2
	v_add_co_ci_u32_e64 v3, null, v69, v3, vcc_lo
	global_store_dwordx2 v[2:3], v[0:1], off
	s_or_b32 exec_lo, exec_lo, s4
	s_and_b32 s5, s13, s21
	s_and_saveexec_b32 s4, s5
	s_cbranch_execz .LBB201_234
.LBB201_314:
	s_clause 0x1
	buffer_load_dword v0, off, s[0:3], 0 offset:384
	buffer_load_dword v1, off, s[0:3], 0 offset:388
	v_cmp_ne_u32_e32 vcc_lo, 1, v70
	v_lshlrev_b64 v[2:3], 3, v[32:33]
	s_cbranch_vccnz .LBB201_316
; %bb.315:
	v_add_co_u32 v4, vcc_lo, v71, v2
	v_add_co_ci_u32_e64 v5, null, v72, v3, vcc_lo
	global_load_dwordx2 v[4:5], v[4:5], off
	s_waitcnt vmcnt(0)
	v_mul_f64 v[4:5], s[38:39], v[4:5]
	s_branch .LBB201_317
.LBB201_316:
	v_mov_b32_e32 v4, 0
	v_mov_b32_e32 v5, 0
.LBB201_317:
	s_waitcnt vmcnt(0)
	v_add_f64 v[0:1], v[0:1], v[4:5]
	v_add_co_u32 v2, vcc_lo, v68, v2
	v_add_co_ci_u32_e64 v3, null, v69, v3, vcc_lo
	global_store_dwordx2 v[2:3], v[0:1], off
	s_or_b32 exec_lo, exec_lo, s4
	s_and_b32 s5, s13, s22
	s_and_saveexec_b32 s4, s5
	s_cbranch_execz .LBB201_235
.LBB201_318:
	s_clause 0x1
	buffer_load_dword v0, off, s[0:3], 0 offset:392
	buffer_load_dword v1, off, s[0:3], 0 offset:396
	v_cmp_ne_u32_e32 vcc_lo, 1, v70
	v_lshlrev_b64 v[2:3], 3, v[34:35]
	s_cbranch_vccnz .LBB201_320
; %bb.319:
	v_add_co_u32 v4, vcc_lo, v71, v2
	v_add_co_ci_u32_e64 v5, null, v72, v3, vcc_lo
	global_load_dwordx2 v[4:5], v[4:5], off
	s_waitcnt vmcnt(0)
	v_mul_f64 v[4:5], s[38:39], v[4:5]
	s_branch .LBB201_321
.LBB201_320:
	v_mov_b32_e32 v4, 0
	v_mov_b32_e32 v5, 0
.LBB201_321:
	s_waitcnt vmcnt(0)
	v_add_f64 v[0:1], v[0:1], v[4:5]
	v_add_co_u32 v2, vcc_lo, v68, v2
	v_add_co_ci_u32_e64 v3, null, v69, v3, vcc_lo
	global_store_dwordx2 v[2:3], v[0:1], off
	s_or_b32 exec_lo, exec_lo, s4
	s_and_b32 s5, s13, s23
	s_and_saveexec_b32 s4, s5
	s_cbranch_execz .LBB201_236
.LBB201_322:
	s_clause 0x1
	buffer_load_dword v0, off, s[0:3], 0 offset:400
	buffer_load_dword v1, off, s[0:3], 0 offset:404
	v_cmp_ne_u32_e32 vcc_lo, 1, v70
	v_lshlrev_b64 v[2:3], 3, v[36:37]
	s_cbranch_vccnz .LBB201_324
; %bb.323:
	v_add_co_u32 v4, vcc_lo, v71, v2
	v_add_co_ci_u32_e64 v5, null, v72, v3, vcc_lo
	global_load_dwordx2 v[4:5], v[4:5], off
	s_waitcnt vmcnt(0)
	v_mul_f64 v[4:5], s[38:39], v[4:5]
	s_branch .LBB201_325
.LBB201_324:
	v_mov_b32_e32 v4, 0
	v_mov_b32_e32 v5, 0
.LBB201_325:
	s_waitcnt vmcnt(0)
	v_add_f64 v[0:1], v[0:1], v[4:5]
	v_add_co_u32 v2, vcc_lo, v68, v2
	v_add_co_ci_u32_e64 v3, null, v69, v3, vcc_lo
	global_store_dwordx2 v[2:3], v[0:1], off
	s_or_b32 exec_lo, exec_lo, s4
	s_and_b32 s5, s13, s24
	s_and_saveexec_b32 s4, s5
	s_cbranch_execz .LBB201_237
.LBB201_326:
	s_clause 0x1
	buffer_load_dword v0, off, s[0:3], 0 offset:408
	buffer_load_dword v1, off, s[0:3], 0 offset:412
	v_cmp_ne_u32_e32 vcc_lo, 1, v70
	v_lshlrev_b64 v[2:3], 3, v[38:39]
	s_cbranch_vccnz .LBB201_328
; %bb.327:
	v_add_co_u32 v4, vcc_lo, v71, v2
	v_add_co_ci_u32_e64 v5, null, v72, v3, vcc_lo
	global_load_dwordx2 v[4:5], v[4:5], off
	s_waitcnt vmcnt(0)
	v_mul_f64 v[4:5], s[38:39], v[4:5]
	s_branch .LBB201_329
.LBB201_328:
	v_mov_b32_e32 v4, 0
	v_mov_b32_e32 v5, 0
.LBB201_329:
	s_waitcnt vmcnt(0)
	v_add_f64 v[0:1], v[0:1], v[4:5]
	v_add_co_u32 v2, vcc_lo, v68, v2
	v_add_co_ci_u32_e64 v3, null, v69, v3, vcc_lo
	global_store_dwordx2 v[2:3], v[0:1], off
	s_or_b32 exec_lo, exec_lo, s4
	s_and_b32 s5, s13, s25
	s_and_saveexec_b32 s4, s5
	s_cbranch_execz .LBB201_238
.LBB201_330:
	s_clause 0x1
	buffer_load_dword v0, off, s[0:3], 0 offset:416
	buffer_load_dword v1, off, s[0:3], 0 offset:420
	v_cmp_ne_u32_e32 vcc_lo, 1, v70
	v_lshlrev_b64 v[2:3], 3, v[40:41]
	s_cbranch_vccnz .LBB201_332
; %bb.331:
	v_add_co_u32 v4, vcc_lo, v71, v2
	v_add_co_ci_u32_e64 v5, null, v72, v3, vcc_lo
	global_load_dwordx2 v[4:5], v[4:5], off
	s_waitcnt vmcnt(0)
	v_mul_f64 v[4:5], s[38:39], v[4:5]
	s_branch .LBB201_333
.LBB201_332:
	v_mov_b32_e32 v4, 0
	v_mov_b32_e32 v5, 0
.LBB201_333:
	s_waitcnt vmcnt(0)
	v_add_f64 v[0:1], v[0:1], v[4:5]
	v_add_co_u32 v2, vcc_lo, v68, v2
	v_add_co_ci_u32_e64 v3, null, v69, v3, vcc_lo
	global_store_dwordx2 v[2:3], v[0:1], off
	s_or_b32 exec_lo, exec_lo, s4
	s_and_b32 s5, s13, s26
	s_and_saveexec_b32 s4, s5
	s_cbranch_execz .LBB201_239
.LBB201_334:
	s_clause 0x1
	buffer_load_dword v0, off, s[0:3], 0 offset:424
	buffer_load_dword v1, off, s[0:3], 0 offset:428
	v_cmp_ne_u32_e32 vcc_lo, 1, v70
	v_lshlrev_b64 v[2:3], 3, v[42:43]
	s_cbranch_vccnz .LBB201_336
; %bb.335:
	v_add_co_u32 v4, vcc_lo, v71, v2
	v_add_co_ci_u32_e64 v5, null, v72, v3, vcc_lo
	global_load_dwordx2 v[4:5], v[4:5], off
	s_waitcnt vmcnt(0)
	v_mul_f64 v[4:5], s[38:39], v[4:5]
	s_branch .LBB201_337
.LBB201_336:
	v_mov_b32_e32 v4, 0
	v_mov_b32_e32 v5, 0
.LBB201_337:
	s_waitcnt vmcnt(0)
	v_add_f64 v[0:1], v[0:1], v[4:5]
	v_add_co_u32 v2, vcc_lo, v68, v2
	v_add_co_ci_u32_e64 v3, null, v69, v3, vcc_lo
	global_store_dwordx2 v[2:3], v[0:1], off
	s_or_b32 exec_lo, exec_lo, s4
	s_and_b32 s5, s13, s27
	s_and_saveexec_b32 s4, s5
	s_cbranch_execz .LBB201_240
.LBB201_338:
	s_clause 0x1
	buffer_load_dword v0, off, s[0:3], 0 offset:432
	buffer_load_dword v1, off, s[0:3], 0 offset:436
	v_cmp_ne_u32_e32 vcc_lo, 1, v70
	v_lshlrev_b64 v[2:3], 3, v[44:45]
	s_cbranch_vccnz .LBB201_340
; %bb.339:
	v_add_co_u32 v4, vcc_lo, v71, v2
	v_add_co_ci_u32_e64 v5, null, v72, v3, vcc_lo
	global_load_dwordx2 v[4:5], v[4:5], off
	s_waitcnt vmcnt(0)
	v_mul_f64 v[4:5], s[38:39], v[4:5]
	s_branch .LBB201_341
.LBB201_340:
	v_mov_b32_e32 v4, 0
	v_mov_b32_e32 v5, 0
.LBB201_341:
	s_waitcnt vmcnt(0)
	v_add_f64 v[0:1], v[0:1], v[4:5]
	v_add_co_u32 v2, vcc_lo, v68, v2
	v_add_co_ci_u32_e64 v3, null, v69, v3, vcc_lo
	global_store_dwordx2 v[2:3], v[0:1], off
	s_or_b32 exec_lo, exec_lo, s4
	s_and_b32 s5, s13, s28
	s_and_saveexec_b32 s4, s5
	s_cbranch_execz .LBB201_241
.LBB201_342:
	s_clause 0x1
	buffer_load_dword v0, off, s[0:3], 0 offset:440
	buffer_load_dword v1, off, s[0:3], 0 offset:444
	v_cmp_ne_u32_e32 vcc_lo, 1, v70
	v_lshlrev_b64 v[2:3], 3, v[46:47]
	s_cbranch_vccnz .LBB201_344
; %bb.343:
	v_add_co_u32 v4, vcc_lo, v71, v2
	v_add_co_ci_u32_e64 v5, null, v72, v3, vcc_lo
	global_load_dwordx2 v[4:5], v[4:5], off
	s_waitcnt vmcnt(0)
	v_mul_f64 v[4:5], s[38:39], v[4:5]
	s_branch .LBB201_345
.LBB201_344:
	v_mov_b32_e32 v4, 0
	v_mov_b32_e32 v5, 0
.LBB201_345:
	s_waitcnt vmcnt(0)
	v_add_f64 v[0:1], v[0:1], v[4:5]
	v_add_co_u32 v2, vcc_lo, v68, v2
	v_add_co_ci_u32_e64 v3, null, v69, v3, vcc_lo
	global_store_dwordx2 v[2:3], v[0:1], off
	s_or_b32 exec_lo, exec_lo, s4
	s_and_b32 s5, s13, s29
	s_and_saveexec_b32 s4, s5
	s_cbranch_execz .LBB201_242
.LBB201_346:
	s_clause 0x1
	buffer_load_dword v0, off, s[0:3], 0 offset:448
	buffer_load_dword v1, off, s[0:3], 0 offset:452
	v_cmp_ne_u32_e32 vcc_lo, 1, v70
	v_lshlrev_b64 v[2:3], 3, v[48:49]
	s_cbranch_vccnz .LBB201_348
; %bb.347:
	v_add_co_u32 v4, vcc_lo, v71, v2
	v_add_co_ci_u32_e64 v5, null, v72, v3, vcc_lo
	global_load_dwordx2 v[4:5], v[4:5], off
	s_waitcnt vmcnt(0)
	v_mul_f64 v[4:5], s[38:39], v[4:5]
	s_branch .LBB201_349
.LBB201_348:
	v_mov_b32_e32 v4, 0
	v_mov_b32_e32 v5, 0
.LBB201_349:
	s_waitcnt vmcnt(0)
	v_add_f64 v[0:1], v[0:1], v[4:5]
	v_add_co_u32 v2, vcc_lo, v68, v2
	v_add_co_ci_u32_e64 v3, null, v69, v3, vcc_lo
	global_store_dwordx2 v[2:3], v[0:1], off
	s_or_b32 exec_lo, exec_lo, s4
	s_and_b32 s5, s13, s30
	s_and_saveexec_b32 s4, s5
	s_cbranch_execz .LBB201_243
.LBB201_350:
	s_clause 0x1
	buffer_load_dword v0, off, s[0:3], 0 offset:456
	buffer_load_dword v1, off, s[0:3], 0 offset:460
	v_cmp_ne_u32_e32 vcc_lo, 1, v70
	v_lshlrev_b64 v[2:3], 3, v[50:51]
	s_cbranch_vccnz .LBB201_352
; %bb.351:
	v_add_co_u32 v4, vcc_lo, v71, v2
	v_add_co_ci_u32_e64 v5, null, v72, v3, vcc_lo
	global_load_dwordx2 v[4:5], v[4:5], off
	s_waitcnt vmcnt(0)
	v_mul_f64 v[4:5], s[38:39], v[4:5]
	s_branch .LBB201_353
.LBB201_352:
	v_mov_b32_e32 v4, 0
	v_mov_b32_e32 v5, 0
.LBB201_353:
	s_waitcnt vmcnt(0)
	v_add_f64 v[0:1], v[0:1], v[4:5]
	v_add_co_u32 v2, vcc_lo, v68, v2
	v_add_co_ci_u32_e64 v3, null, v69, v3, vcc_lo
	global_store_dwordx2 v[2:3], v[0:1], off
	s_or_b32 exec_lo, exec_lo, s4
	s_and_b32 s5, s13, s31
	s_and_saveexec_b32 s4, s5
	s_cbranch_execz .LBB201_244
.LBB201_354:
	s_clause 0x1
	buffer_load_dword v0, off, s[0:3], 0 offset:464
	buffer_load_dword v1, off, s[0:3], 0 offset:468
	v_cmp_ne_u32_e32 vcc_lo, 1, v70
	v_lshlrev_b64 v[2:3], 3, v[52:53]
	s_cbranch_vccnz .LBB201_356
; %bb.355:
	v_add_co_u32 v4, vcc_lo, v71, v2
	v_add_co_ci_u32_e64 v5, null, v72, v3, vcc_lo
	global_load_dwordx2 v[4:5], v[4:5], off
	s_waitcnt vmcnt(0)
	v_mul_f64 v[4:5], s[38:39], v[4:5]
	s_branch .LBB201_357
.LBB201_356:
	v_mov_b32_e32 v4, 0
	v_mov_b32_e32 v5, 0
.LBB201_357:
	s_waitcnt vmcnt(0)
	v_add_f64 v[0:1], v[0:1], v[4:5]
	v_add_co_u32 v2, vcc_lo, v68, v2
	v_add_co_ci_u32_e64 v3, null, v69, v3, vcc_lo
	global_store_dwordx2 v[2:3], v[0:1], off
	s_or_b32 exec_lo, exec_lo, s4
	s_and_b32 s5, s13, s33
	s_and_saveexec_b32 s4, s5
	s_cbranch_execz .LBB201_245
.LBB201_358:
	s_clause 0x1
	buffer_load_dword v0, off, s[0:3], 0 offset:472
	buffer_load_dword v1, off, s[0:3], 0 offset:476
	v_cmp_ne_u32_e32 vcc_lo, 1, v70
	v_lshlrev_b64 v[2:3], 3, v[54:55]
	s_cbranch_vccnz .LBB201_360
; %bb.359:
	v_add_co_u32 v4, vcc_lo, v71, v2
	v_add_co_ci_u32_e64 v5, null, v72, v3, vcc_lo
	global_load_dwordx2 v[4:5], v[4:5], off
	s_waitcnt vmcnt(0)
	v_mul_f64 v[4:5], s[38:39], v[4:5]
	s_branch .LBB201_361
.LBB201_360:
	v_mov_b32_e32 v4, 0
	v_mov_b32_e32 v5, 0
.LBB201_361:
	s_waitcnt vmcnt(0)
	v_add_f64 v[0:1], v[0:1], v[4:5]
	v_add_co_u32 v2, vcc_lo, v68, v2
	v_add_co_ci_u32_e64 v3, null, v69, v3, vcc_lo
	global_store_dwordx2 v[2:3], v[0:1], off
	s_or_b32 exec_lo, exec_lo, s4
	s_and_b32 s5, s13, s34
	s_and_saveexec_b32 s4, s5
	s_cbranch_execz .LBB201_246
.LBB201_362:
	s_clause 0x1
	buffer_load_dword v0, off, s[0:3], 0 offset:480
	buffer_load_dword v1, off, s[0:3], 0 offset:484
	v_cmp_ne_u32_e32 vcc_lo, 1, v70
	v_lshlrev_b64 v[2:3], 3, v[56:57]
	s_cbranch_vccnz .LBB201_364
; %bb.363:
	v_add_co_u32 v4, vcc_lo, v71, v2
	v_add_co_ci_u32_e64 v5, null, v72, v3, vcc_lo
	global_load_dwordx2 v[4:5], v[4:5], off
	s_waitcnt vmcnt(0)
	v_mul_f64 v[4:5], s[38:39], v[4:5]
	s_branch .LBB201_365
.LBB201_364:
	v_mov_b32_e32 v4, 0
	v_mov_b32_e32 v5, 0
.LBB201_365:
	s_waitcnt vmcnt(0)
	v_add_f64 v[0:1], v[0:1], v[4:5]
	v_add_co_u32 v2, vcc_lo, v68, v2
	v_add_co_ci_u32_e64 v3, null, v69, v3, vcc_lo
	global_store_dwordx2 v[2:3], v[0:1], off
	s_or_b32 exec_lo, exec_lo, s4
	s_and_b32 s5, s13, s35
	s_and_saveexec_b32 s4, s5
	s_cbranch_execz .LBB201_247
.LBB201_366:
	s_clause 0x1
	buffer_load_dword v0, off, s[0:3], 0 offset:488
	buffer_load_dword v1, off, s[0:3], 0 offset:492
	v_cmp_ne_u32_e32 vcc_lo, 1, v70
	v_lshlrev_b64 v[2:3], 3, v[58:59]
	s_cbranch_vccnz .LBB201_368
; %bb.367:
	v_add_co_u32 v4, vcc_lo, v71, v2
	v_add_co_ci_u32_e64 v5, null, v72, v3, vcc_lo
	global_load_dwordx2 v[4:5], v[4:5], off
	s_waitcnt vmcnt(0)
	v_mul_f64 v[4:5], s[38:39], v[4:5]
	s_branch .LBB201_369
.LBB201_368:
	v_mov_b32_e32 v4, 0
	v_mov_b32_e32 v5, 0
.LBB201_369:
	s_waitcnt vmcnt(0)
	v_add_f64 v[0:1], v[0:1], v[4:5]
	v_add_co_u32 v2, vcc_lo, v68, v2
	v_add_co_ci_u32_e64 v3, null, v69, v3, vcc_lo
	global_store_dwordx2 v[2:3], v[0:1], off
	s_or_b32 exec_lo, exec_lo, s4
	s_and_b32 s5, s13, s36
	s_and_saveexec_b32 s4, s5
	s_cbranch_execz .LBB201_248
.LBB201_370:
	s_clause 0x1
	buffer_load_dword v0, off, s[0:3], 0 offset:496
	buffer_load_dword v1, off, s[0:3], 0 offset:500
	v_cmp_ne_u32_e32 vcc_lo, 1, v70
	v_lshlrev_b64 v[2:3], 3, v[60:61]
	s_cbranch_vccnz .LBB201_372
; %bb.371:
	v_add_co_u32 v4, vcc_lo, v71, v2
	v_add_co_ci_u32_e64 v5, null, v72, v3, vcc_lo
	global_load_dwordx2 v[4:5], v[4:5], off
	s_waitcnt vmcnt(0)
	v_mul_f64 v[4:5], s[38:39], v[4:5]
	s_branch .LBB201_373
.LBB201_372:
	v_mov_b32_e32 v4, 0
	v_mov_b32_e32 v5, 0
.LBB201_373:
	s_waitcnt vmcnt(0)
	v_add_f64 v[0:1], v[0:1], v[4:5]
	v_add_co_u32 v2, vcc_lo, v68, v2
	v_add_co_ci_u32_e64 v3, null, v69, v3, vcc_lo
	global_store_dwordx2 v[2:3], v[0:1], off
	s_or_b32 exec_lo, exec_lo, s4
	s_and_b32 s4, s13, s37
	s_and_saveexec_b32 s5, s4
	s_cbranch_execz .LBB201_249
.LBB201_374:
	s_clause 0x1
	buffer_load_dword v0, off, s[0:3], 0 offset:504
	buffer_load_dword v1, off, s[0:3], 0 offset:508
	v_cmp_ne_u32_e32 vcc_lo, 1, v70
	v_lshlrev_b64 v[2:3], 3, v[62:63]
	s_cbranch_vccnz .LBB201_376
; %bb.375:
	v_add_co_u32 v4, vcc_lo, v71, v2
	v_add_co_ci_u32_e64 v5, null, v72, v3, vcc_lo
	global_load_dwordx2 v[4:5], v[4:5], off
	s_waitcnt vmcnt(0)
	v_mul_f64 v[4:5], s[38:39], v[4:5]
	s_branch .LBB201_377
.LBB201_376:
	v_mov_b32_e32 v4, 0
	v_mov_b32_e32 v5, 0
.LBB201_377:
	s_waitcnt vmcnt(0)
	v_add_f64 v[0:1], v[0:1], v[4:5]
	v_add_co_u32 v2, vcc_lo, v68, v2
	v_add_co_ci_u32_e64 v3, null, v69, v3, vcc_lo
	global_store_dwordx2 v[2:3], v[0:1], off
	s_endpgm
	.section	.rodata,"a",@progbits
	.p2align	6, 0x0
	.amdhsa_kernel _ZN12_GLOBAL__N_120geam_min_plus_kernelIdddLi4ELi64ELi128ELi128ELi4ELi4ELi64ELi64ELi4ELc84ELc84ELb0ELb1ELb0EPKdS1_dEEviiiT16_PT17_ilS5_ilS3_S5_ilPT18_ili26rocblas_geam_ex_operation_
		.amdhsa_group_segment_fixed_size 16384
		.amdhsa_private_segment_fixed_size 528
		.amdhsa_kernarg_size 136
		.amdhsa_user_sgpr_count 6
		.amdhsa_user_sgpr_private_segment_buffer 1
		.amdhsa_user_sgpr_dispatch_ptr 0
		.amdhsa_user_sgpr_queue_ptr 0
		.amdhsa_user_sgpr_kernarg_segment_ptr 1
		.amdhsa_user_sgpr_dispatch_id 0
		.amdhsa_user_sgpr_flat_scratch_init 0
		.amdhsa_user_sgpr_private_segment_size 0
		.amdhsa_wavefront_size32 1
		.amdhsa_uses_dynamic_stack 0
		.amdhsa_system_sgpr_private_segment_wavefront_offset 1
		.amdhsa_system_sgpr_workgroup_id_x 1
		.amdhsa_system_sgpr_workgroup_id_y 0
		.amdhsa_system_sgpr_workgroup_id_z 1
		.amdhsa_system_sgpr_workgroup_info 0
		.amdhsa_system_vgpr_workitem_id 1
		.amdhsa_next_free_vgpr 114
		.amdhsa_next_free_sgpr 50
		.amdhsa_reserve_vcc 1
		.amdhsa_reserve_flat_scratch 0
		.amdhsa_float_round_mode_32 0
		.amdhsa_float_round_mode_16_64 0
		.amdhsa_float_denorm_mode_32 3
		.amdhsa_float_denorm_mode_16_64 3
		.amdhsa_dx10_clamp 1
		.amdhsa_ieee_mode 1
		.amdhsa_fp16_overflow 0
		.amdhsa_workgroup_processor_mode 1
		.amdhsa_memory_ordered 1
		.amdhsa_forward_progress 1
		.amdhsa_shared_vgpr_count 0
		.amdhsa_exception_fp_ieee_invalid_op 0
		.amdhsa_exception_fp_denorm_src 0
		.amdhsa_exception_fp_ieee_div_zero 0
		.amdhsa_exception_fp_ieee_overflow 0
		.amdhsa_exception_fp_ieee_underflow 0
		.amdhsa_exception_fp_ieee_inexact 0
		.amdhsa_exception_int_div_zero 0
	.end_amdhsa_kernel
	.section	.text._ZN12_GLOBAL__N_120geam_min_plus_kernelIdddLi4ELi64ELi128ELi128ELi4ELi4ELi64ELi64ELi4ELc84ELc84ELb0ELb1ELb0EPKdS1_dEEviiiT16_PT17_ilS5_ilS3_S5_ilPT18_ili26rocblas_geam_ex_operation_,"axG",@progbits,_ZN12_GLOBAL__N_120geam_min_plus_kernelIdddLi4ELi64ELi128ELi128ELi4ELi4ELi64ELi64ELi4ELc84ELc84ELb0ELb1ELb0EPKdS1_dEEviiiT16_PT17_ilS5_ilS3_S5_ilPT18_ili26rocblas_geam_ex_operation_,comdat
.Lfunc_end201:
	.size	_ZN12_GLOBAL__N_120geam_min_plus_kernelIdddLi4ELi64ELi128ELi128ELi4ELi4ELi64ELi64ELi4ELc84ELc84ELb0ELb1ELb0EPKdS1_dEEviiiT16_PT17_ilS5_ilS3_S5_ilPT18_ili26rocblas_geam_ex_operation_, .Lfunc_end201-_ZN12_GLOBAL__N_120geam_min_plus_kernelIdddLi4ELi64ELi128ELi128ELi4ELi4ELi64ELi64ELi4ELc84ELc84ELb0ELb1ELb0EPKdS1_dEEviiiT16_PT17_ilS5_ilS3_S5_ilPT18_ili26rocblas_geam_ex_operation_
                                        ; -- End function
	.set _ZN12_GLOBAL__N_120geam_min_plus_kernelIdddLi4ELi64ELi128ELi128ELi4ELi4ELi64ELi64ELi4ELc84ELc84ELb0ELb1ELb0EPKdS1_dEEviiiT16_PT17_ilS5_ilS3_S5_ilPT18_ili26rocblas_geam_ex_operation_.num_vgpr, 114
	.set _ZN12_GLOBAL__N_120geam_min_plus_kernelIdddLi4ELi64ELi128ELi128ELi4ELi4ELi64ELi64ELi4ELc84ELc84ELb0ELb1ELb0EPKdS1_dEEviiiT16_PT17_ilS5_ilS3_S5_ilPT18_ili26rocblas_geam_ex_operation_.num_agpr, 0
	.set _ZN12_GLOBAL__N_120geam_min_plus_kernelIdddLi4ELi64ELi128ELi128ELi4ELi4ELi64ELi64ELi4ELc84ELc84ELb0ELb1ELb0EPKdS1_dEEviiiT16_PT17_ilS5_ilS3_S5_ilPT18_ili26rocblas_geam_ex_operation_.numbered_sgpr, 50
	.set _ZN12_GLOBAL__N_120geam_min_plus_kernelIdddLi4ELi64ELi128ELi128ELi4ELi4ELi64ELi64ELi4ELc84ELc84ELb0ELb1ELb0EPKdS1_dEEviiiT16_PT17_ilS5_ilS3_S5_ilPT18_ili26rocblas_geam_ex_operation_.num_named_barrier, 0
	.set _ZN12_GLOBAL__N_120geam_min_plus_kernelIdddLi4ELi64ELi128ELi128ELi4ELi4ELi64ELi64ELi4ELc84ELc84ELb0ELb1ELb0EPKdS1_dEEviiiT16_PT17_ilS5_ilS3_S5_ilPT18_ili26rocblas_geam_ex_operation_.private_seg_size, 528
	.set _ZN12_GLOBAL__N_120geam_min_plus_kernelIdddLi4ELi64ELi128ELi128ELi4ELi4ELi64ELi64ELi4ELc84ELc84ELb0ELb1ELb0EPKdS1_dEEviiiT16_PT17_ilS5_ilS3_S5_ilPT18_ili26rocblas_geam_ex_operation_.uses_vcc, 1
	.set _ZN12_GLOBAL__N_120geam_min_plus_kernelIdddLi4ELi64ELi128ELi128ELi4ELi4ELi64ELi64ELi4ELc84ELc84ELb0ELb1ELb0EPKdS1_dEEviiiT16_PT17_ilS5_ilS3_S5_ilPT18_ili26rocblas_geam_ex_operation_.uses_flat_scratch, 0
	.set _ZN12_GLOBAL__N_120geam_min_plus_kernelIdddLi4ELi64ELi128ELi128ELi4ELi4ELi64ELi64ELi4ELc84ELc84ELb0ELb1ELb0EPKdS1_dEEviiiT16_PT17_ilS5_ilS3_S5_ilPT18_ili26rocblas_geam_ex_operation_.has_dyn_sized_stack, 0
	.set _ZN12_GLOBAL__N_120geam_min_plus_kernelIdddLi4ELi64ELi128ELi128ELi4ELi4ELi64ELi64ELi4ELc84ELc84ELb0ELb1ELb0EPKdS1_dEEviiiT16_PT17_ilS5_ilS3_S5_ilPT18_ili26rocblas_geam_ex_operation_.has_recursion, 0
	.set _ZN12_GLOBAL__N_120geam_min_plus_kernelIdddLi4ELi64ELi128ELi128ELi4ELi4ELi64ELi64ELi4ELc84ELc84ELb0ELb1ELb0EPKdS1_dEEviiiT16_PT17_ilS5_ilS3_S5_ilPT18_ili26rocblas_geam_ex_operation_.has_indirect_call, 0
	.section	.AMDGPU.csdata,"",@progbits
; Kernel info:
; codeLenInByte = 22416
; TotalNumSgprs: 52
; NumVgprs: 114
; ScratchSize: 528
; MemoryBound: 0
; FloatMode: 240
; IeeeMode: 1
; LDSByteSize: 16384 bytes/workgroup (compile time only)
; SGPRBlocks: 0
; VGPRBlocks: 14
; NumSGPRsForWavesPerEU: 52
; NumVGPRsForWavesPerEU: 114
; Occupancy: 8
; WaveLimiterHint : 0
; COMPUTE_PGM_RSRC2:SCRATCH_EN: 1
; COMPUTE_PGM_RSRC2:USER_SGPR: 6
; COMPUTE_PGM_RSRC2:TRAP_HANDLER: 0
; COMPUTE_PGM_RSRC2:TGID_X_EN: 1
; COMPUTE_PGM_RSRC2:TGID_Y_EN: 0
; COMPUTE_PGM_RSRC2:TGID_Z_EN: 1
; COMPUTE_PGM_RSRC2:TIDIG_COMP_CNT: 1
	.section	.text._ZN12_GLOBAL__N_120geam_min_plus_kernelIdddLi4ELi64ELi128ELi128ELi4ELi4ELi64ELi64ELi4ELc84ELc84ELb1ELb1ELb0EdKddEEviiiT16_PT17_ilS4_ilS2_S4_ilPT18_ili26rocblas_geam_ex_operation_,"axG",@progbits,_ZN12_GLOBAL__N_120geam_min_plus_kernelIdddLi4ELi64ELi128ELi128ELi4ELi4ELi64ELi64ELi4ELc84ELc84ELb1ELb1ELb0EdKddEEviiiT16_PT17_ilS4_ilS2_S4_ilPT18_ili26rocblas_geam_ex_operation_,comdat
	.globl	_ZN12_GLOBAL__N_120geam_min_plus_kernelIdddLi4ELi64ELi128ELi128ELi4ELi4ELi64ELi64ELi4ELc84ELc84ELb1ELb1ELb0EdKddEEviiiT16_PT17_ilS4_ilS2_S4_ilPT18_ili26rocblas_geam_ex_operation_ ; -- Begin function _ZN12_GLOBAL__N_120geam_min_plus_kernelIdddLi4ELi64ELi128ELi128ELi4ELi4ELi64ELi64ELi4ELc84ELc84ELb1ELb1ELb0EdKddEEviiiT16_PT17_ilS4_ilS2_S4_ilPT18_ili26rocblas_geam_ex_operation_
	.p2align	8
	.type	_ZN12_GLOBAL__N_120geam_min_plus_kernelIdddLi4ELi64ELi128ELi128ELi4ELi4ELi64ELi64ELi4ELc84ELc84ELb1ELb1ELb0EdKddEEviiiT16_PT17_ilS4_ilS2_S4_ilPT18_ili26rocblas_geam_ex_operation_,@function
_ZN12_GLOBAL__N_120geam_min_plus_kernelIdddLi4ELi64ELi128ELi128ELi4ELi4ELi64ELi64ELi4ELc84ELc84ELb1ELb1ELb0EdKddEEviiiT16_PT17_ilS4_ilS2_S4_ilPT18_ili26rocblas_geam_ex_operation_: ; @_ZN12_GLOBAL__N_120geam_min_plus_kernelIdddLi4ELi64ELi128ELi128ELi4ELi4ELi64ELi64ELi4ELc84ELc84ELb1ELb1ELb0EdKddEEviiiT16_PT17_ilS4_ilS2_S4_ilPT18_ili26rocblas_geam_ex_operation_
; %bb.0:
	s_add_u32 s0, s0, s8
	s_clause 0x1
	s_load_dwordx4 s[12:15], s[4:5], 0x10
	s_load_dwordx4 s[8:11], s[4:5], 0x28
	s_addc_u32 s1, s1, 0
	s_mov_b64 s[16:17], 0
	s_waitcnt lgkmcnt(0)
	v_cmp_eq_f64_e64 s12, s[12:13], 0
	s_and_b32 vcc_lo, exec_lo, s12
	s_cbranch_vccnz .LBB202_2
; %bb.1:
	s_mul_i32 s9, s9, s7
	s_mul_hi_u32 s13, s8, s7
	s_mul_i32 s8, s8, s7
	s_add_i32 s9, s13, s9
	s_lshl_b64 s[8:9], s[8:9], 3
	s_add_u32 s16, s14, s8
	s_addc_u32 s17, s15, s9
.LBB202_2:
	s_clause 0x1
	s_load_dwordx4 s[36:39], s[4:5], 0x40
	s_load_dwordx2 s[8:9], s[4:5], 0x50
	s_andn2_b32 vcc_lo, exec_lo, s12
	s_mov_b32 s12, -1
	s_cbranch_vccnz .LBB202_4
; %bb.3:
	s_mov_b32 s12, 0
.LBB202_4:
	s_mov_b64 s[44:45], 0
	s_andn2_b32 vcc_lo, exec_lo, s12
	s_mov_b64 s[18:19], 0
	s_cbranch_vccnz .LBB202_6
; %bb.5:
	s_waitcnt lgkmcnt(0)
	s_mul_i32 s12, s37, s7
	s_mul_hi_u32 s13, s36, s7
	s_add_i32 s13, s13, s12
	s_mul_i32 s12, s36, s7
	s_lshl_b64 s[12:13], s[12:13], 3
	s_add_u32 s18, s10, s12
	s_addc_u32 s19, s11, s13
.LBB202_6:
	s_waitcnt lgkmcnt(0)
	v_cmp_eq_f64_e64 s10, s[38:39], 0
	v_cmp_neq_f64_e64 s46, s[38:39], 0
	s_load_dwordx4 s[12:15], s[4:5], 0x60
	s_and_b32 vcc_lo, exec_lo, s10
	s_cbranch_vccnz .LBB202_8
; %bb.7:
	s_waitcnt lgkmcnt(0)
	s_mul_i32 s10, s13, s7
	s_mul_hi_u32 s11, s12, s7
	s_add_i32 s11, s11, s10
	s_mul_i32 s10, s12, s7
	s_lshl_b64 s[10:11], s[10:11], 3
	s_add_u32 s44, s8, s10
	s_addc_u32 s45, s9, s11
.LBB202_8:
	s_clause 0x1
	s_load_dwordx4 s[40:43], s[4:5], 0x0
	s_load_dword s23, s[4:5], 0x20
	v_lshl_add_u32 v6, v1, 2, v0
	v_and_b32_e32 v86, 3, v0
	v_mov_b32_e32 v4, 0
	v_mov_b32_e32 v7, 0
	v_mov_b32_e32 v5, 0
	v_lshrrev_b32_e32 v80, 2, v6
	v_lshlrev_b32_e32 v82, 3, v86
	buffer_store_dword v7, off, s[0:3], 0 offset:4
	buffer_store_dword v7, off, s[0:3], 0
	buffer_store_dword v7, off, s[0:3], 0 offset:12
	buffer_store_dword v7, off, s[0:3], 0 offset:8
	;; [unrolled: 1-line block ×35, first 2 shown]
	s_waitcnt lgkmcnt(0)
	s_add_i32 s8, s40, -1
	v_cmp_le_i32_e32 vcc_lo, s42, v86
	s_ashr_i32 s9, s8, 31
	buffer_store_dword v7, off, s[0:3], 0 offset:144
	buffer_store_dword v7, off, s[0:3], 0 offset:156
	;; [unrolled: 1-line block ×4, first 2 shown]
	s_lshr_b32 s9, s9, 25
	buffer_store_dword v7, off, s[0:3], 0 offset:160
	buffer_store_dword v7, off, s[0:3], 0 offset:172
	s_add_i32 s8, s8, s9
	buffer_store_dword v7, off, s[0:3], 0 offset:168
	s_ashr_i32 s8, s8, 7
	buffer_store_dword v7, off, s[0:3], 0 offset:180
	s_add_i32 s10, s8, 1
	s_not_b32 s8, s8
	v_cvt_f32_u32_e32 v2, s10
	buffer_store_dword v7, off, s[0:3], 0 offset:176
	buffer_store_dword v7, off, s[0:3], 0 offset:188
	buffer_store_dword v7, off, s[0:3], 0 offset:184
	buffer_store_dword v7, off, s[0:3], 0 offset:196
	v_rcp_iflag_f32_e32 v2, v2
	buffer_store_dword v7, off, s[0:3], 0 offset:192
	buffer_store_dword v7, off, s[0:3], 0 offset:204
	;; [unrolled: 1-line block ×79, first 2 shown]
	v_mul_f32_e32 v2, 0x4f7ffffe, v2
	v_cvt_u32_f32_e32 v2, v2
	v_readfirstlane_b32 s9, v2
	v_mov_b32_e32 v2, 0
	v_mov_b32_e32 v3, 0
	s_mul_i32 s8, s8, s9
	s_mul_hi_u32 s8, s9, s8
	s_add_i32 s9, s9, s8
	s_mul_hi_u32 s8, s6, s9
	s_mul_i32 s9, s8, s10
	s_add_i32 s11, s8, 1
	s_sub_i32 s9, s6, s9
	s_sub_i32 s12, s9, s10
	s_cmp_ge_u32 s9, s10
	s_cselect_b32 s8, s11, s8
	s_cselect_b32 s9, s12, s9
	s_add_i32 s11, s8, 1
	s_cmp_ge_u32 s9, s10
	s_cselect_b32 s9, s11, s8
	s_mul_i32 s8, s9, s10
	s_sub_i32 s6, s6, s8
	v_add_co_u32 v12, s8, s16, v82
	s_lshl_b32 s12, s6, 7
	v_add_co_ci_u32_e64 v13, null, s17, 0, s8
	v_add_nc_u32_e32 v81, s12, v80
	v_cmp_le_i32_e64 s6, s40, v81
	s_nor_b32 s8, vcc_lo, s6
	s_and_saveexec_b32 s10, s8
	s_cbranch_execz .LBB202_10
; %bb.9:
	v_mad_i64_i32 v[4:5], null, v81, s23, 0
	v_lshlrev_b64 v[4:5], 3, v[4:5]
	v_add_co_u32 v4, s8, v12, v4
	v_add_co_ci_u32_e64 v5, null, v13, v5, s8
	global_load_dwordx2 v[4:5], v[4:5], off
.LBB202_10:
	s_or_b32 exec_lo, exec_lo, s10
	v_add_nc_u32_e32 v83, 64, v81
	v_cmp_le_i32_e64 s8, s40, v83
	s_nor_b32 s11, vcc_lo, s8
	s_and_saveexec_b32 s10, s11
	s_cbranch_execz .LBB202_12
; %bb.11:
	v_mad_i64_i32 v[2:3], null, v83, s23, 0
	v_lshlrev_b64 v[2:3], 3, v[2:3]
	v_add_co_u32 v2, vcc_lo, v12, v2
	v_add_co_ci_u32_e64 v3, null, v13, v3, vcc_lo
	global_load_dwordx2 v[2:3], v[2:3], off
.LBB202_12:
	s_or_b32 exec_lo, exec_lo, s10
	s_load_dword s21, s[4:5], 0x38
	v_lshrrev_b32_e32 v87, 6, v6
	v_and_b32_e32 v20, 63, v6
	s_lshl_b32 s13, s9, 7
	v_mov_b32_e32 v16, 0
	v_mov_b32_e32 v18, 0
	v_cmp_le_i32_e32 vcc_lo, s42, v87
	v_or_b32_e32 v6, s13, v20
	v_mov_b32_e32 v17, 0
	v_mov_b32_e32 v19, 0
	v_cmp_le_i32_e64 s9, s41, v6
	s_waitcnt lgkmcnt(0)
	v_mad_i64_i32 v[7:8], null, s21, v87, 0
	v_lshlrev_b64 v[8:9], 3, v[7:8]
	v_ashrrev_i32_e32 v7, 31, v6
	v_add_co_u32 v8, s10, s18, v8
	v_add_co_ci_u32_e64 v9, null, s19, v9, s10
	s_nor_b32 s10, s9, vcc_lo
	s_and_saveexec_b32 s11, s10
	s_cbranch_execz .LBB202_14
; %bb.13:
	v_lshlrev_b64 v[10:11], 3, v[6:7]
	v_add_co_u32 v10, s10, v8, v10
	v_add_co_ci_u32_e64 v11, null, v9, v11, s10
	global_load_dwordx2 v[18:19], v[10:11], off
.LBB202_14:
	s_or_b32 exec_lo, exec_lo, s11
	v_or_b32_e32 v10, 64, v6
	s_ashr_i32 s22, s21, 31
	v_cmp_le_i32_e64 s10, s41, v10
	s_nor_b32 s20, s10, vcc_lo
	s_and_saveexec_b32 s11, s20
	s_cbranch_execz .LBB202_16
; %bb.15:
	v_lshlrev_b64 v[10:11], 3, v[6:7]
	v_add_co_u32 v8, vcc_lo, v8, v10
	v_add_co_ci_u32_e64 v9, null, v9, v11, vcc_lo
	global_load_dwordx2 v[16:17], v[8:9], off offset:512
.LBB202_16:
	s_or_b32 exec_lo, exec_lo, s11
	v_or_b32_e32 v8, 4, v86
	v_mov_b32_e32 v10, 0
	v_mov_b32_e32 v11, 0
	v_cmp_le_i32_e32 vcc_lo, s42, v8
	v_mov_b32_e32 v8, 0
	v_mov_b32_e32 v9, 0
	s_nor_b32 s11, vcc_lo, s6
	s_and_saveexec_b32 s20, s11
	s_cbranch_execz .LBB202_18
; %bb.17:
	v_mad_i64_i32 v[10:11], null, v81, s23, 0
	v_lshlrev_b64 v[10:11], 3, v[10:11]
	v_add_co_u32 v10, s11, v12, v10
	v_add_co_ci_u32_e64 v11, null, v13, v11, s11
	global_load_dwordx2 v[10:11], v[10:11], off offset:32
.LBB202_18:
	s_or_b32 exec_lo, exec_lo, s20
	s_nor_b32 s20, vcc_lo, s8
	s_and_saveexec_b32 s11, s20
	s_cbranch_execz .LBB202_20
; %bb.19:
	v_mad_i64_i32 v[8:9], null, v83, s23, 0
	v_lshlrev_b64 v[8:9], 3, v[8:9]
	v_add_co_u32 v8, vcc_lo, v12, v8
	v_add_co_ci_u32_e64 v9, null, v13, v9, vcc_lo
	global_load_dwordx2 v[8:9], v[8:9], off offset:32
.LBB202_20:
	s_or_b32 exec_lo, exec_lo, s11
	v_add_nc_u32_e32 v23, 4, v87
	v_mad_u64_u32 v[12:13], null, s21, v23, 0
	v_cmp_le_i32_e32 vcc_lo, s42, v23
	v_mad_u64_u32 v[13:14], null, s22, v23, v[13:14]
	v_mov_b32_e32 v14, 0
	v_mov_b32_e32 v15, 0
	v_lshlrev_b64 v[21:22], 3, v[12:13]
	v_mov_b32_e32 v12, 0
	v_mov_b32_e32 v13, 0
	v_add_co_u32 v21, s11, s18, v21
	v_add_co_ci_u32_e64 v22, null, s19, v22, s11
	s_nor_b32 s11, s9, vcc_lo
	s_and_saveexec_b32 s20, s11
	s_cbranch_execz .LBB202_22
; %bb.21:
	v_lshlrev_b64 v[14:15], 3, v[6:7]
	v_add_co_u32 v14, s11, v21, v14
	v_add_co_ci_u32_e64 v15, null, v22, v15, s11
	global_load_dwordx2 v[14:15], v[14:15], off
.LBB202_22:
	s_or_b32 exec_lo, exec_lo, s20
	s_nor_b32 s20, s10, vcc_lo
	s_and_saveexec_b32 s11, s20
	s_cbranch_execz .LBB202_24
; %bb.23:
	v_lshlrev_b64 v[12:13], 3, v[6:7]
	v_add_co_u32 v12, vcc_lo, v21, v12
	v_add_co_ci_u32_e64 v13, null, v22, v13, vcc_lo
	global_load_dwordx2 v[12:13], v[12:13], off offset:512
.LBB202_24:
	s_or_b32 exec_lo, exec_lo, s11
	v_lshlrev_b32_e32 v20, 5, v20
	v_lshlrev_b32_e32 v21, 5, v80
	;; [unrolled: 1-line block ×3, first 2 shown]
	v_lshl_or_b32 v91, v1, 5, 0x2000
	s_mov_b32 s20, 0
	v_lshl_add_u32 v84, v87, 3, v20
	v_lshl_or_b32 v88, v86, 3, v21
	s_addk_i32 s20, 0x100
	s_mov_b32 s11, 0
	v_add_nc_u32_e32 v90, 0x2000, v84
	s_waitcnt vmcnt(0)
	ds_write2st64_b64 v88, v[4:5], v[2:3] offset1:4
	ds_write2st64_b64 v84, v[18:19], v[16:17] offset0:16 offset1:20
	s_waitcnt lgkmcnt(0)
	s_waitcnt_vscnt null, 0x0
	s_barrier
	buffer_gl0_inv
.LBB202_25:                             ; =>This Loop Header: Depth=1
                                        ;     Child Loop BB202_26 Depth 2
	s_lshl_b32 s24, s11, 3
	s_mov_b32 s25, 0
	v_add_nc_u32_e32 v16, s24, v89
	v_add_nc_u32_e32 v85, s24, v91
	s_mov_b32 s24, -1
	ds_read2_b64 v[2:5], v16 offset1:16
	ds_read2_b64 v[20:23], v16 offset0:32 offset1:48
	ds_read2_b64 v[24:27], v16 offset0:64 offset1:80
	;; [unrolled: 1-line block ×4, first 2 shown]
	v_add_nc_u32_e32 v76, 0x800, v16
	ds_read2_b64 v[36:39], v16 offset0:160 offset1:176
	ds_read2_b64 v[40:43], v16 offset0:192 offset1:208
	ds_read2_b64 v[44:47], v16 offset0:224 offset1:240
	ds_read2_b64 v[48:51], v76 offset1:16
	ds_read2_b64 v[52:55], v76 offset0:32 offset1:48
	ds_read2_b64 v[56:59], v76 offset0:64 offset1:80
	;; [unrolled: 1-line block ×6, first 2 shown]
	s_waitcnt lgkmcnt(9)
	v_max_f64 v[36:37], v[36:37], v[36:37]
	v_max_f64 v[38:39], v[38:39], v[38:39]
	;; [unrolled: 1-line block ×4, first 2 shown]
	ds_read2_b64 v[2:5], v76 offset0:224 offset1:240
	v_max_f64 v[20:21], v[20:21], v[20:21]
	v_max_f64 v[22:23], v[22:23], v[22:23]
	;; [unrolled: 1-line block ×8, first 2 shown]
	s_waitcnt lgkmcnt(9)
	v_max_f64 v[40:41], v[40:41], v[40:41]
	v_max_f64 v[42:43], v[42:43], v[42:43]
	s_waitcnt lgkmcnt(8)
	v_max_f64 v[44:45], v[44:45], v[44:45]
	v_max_f64 v[46:47], v[46:47], v[46:47]
	;; [unrolled: 3-line block ×10, first 2 shown]
	ds_read2st64_b64 v[2:5], v85 offset1:4
.LBB202_26:                             ;   Parent Loop BB202_25 Depth=1
                                        ; =>  This Inner Loop Header: Depth=2
	v_mov_b32_e32 v85, s25
	s_waitcnt lgkmcnt(0)
	v_max_f64 v[2:3], v[2:3], v[2:3]
	s_and_b32 vcc_lo, exec_lo, s24
	s_mov_b32 s24, 0
	s_mov_b32 s25, s20
	s_clause 0xf
	buffer_load_dword v94, v85, s[0:3], 0 offen
	buffer_load_dword v95, v85, s[0:3], 0 offen offset:4
	buffer_load_dword v96, v85, s[0:3], 0 offen offset:8
	;; [unrolled: 1-line block ×15, first 2 shown]
	v_min_f64 v[92:93], v[16:17], v[2:3]
	s_waitcnt vmcnt(14)
	v_add_f64 v[92:93], v[92:93], v[94:95]
	buffer_store_dword v92, v85, s[0:3], 0 offen
	buffer_store_dword v93, v85, s[0:3], 0 offen offset:4
	v_min_f64 v[92:93], v[18:19], v[2:3]
	s_waitcnt vmcnt(12)
	v_add_f64 v[92:93], v[92:93], v[96:97]
	buffer_store_dword v92, v85, s[0:3], 0 offen offset:8
	buffer_store_dword v93, v85, s[0:3], 0 offen offset:12
	v_min_f64 v[92:93], v[20:21], v[2:3]
	s_waitcnt vmcnt(10)
	v_add_f64 v[92:93], v[92:93], v[98:99]
	buffer_store_dword v92, v85, s[0:3], 0 offen offset:16
	;; [unrolled: 5-line block ×7, first 2 shown]
	buffer_store_dword v93, v85, s[0:3], 0 offen offset:60
	s_clause 0x1
	buffer_load_dword v95, v85, s[0:3], 0 offen offset:68
	buffer_load_dword v94, v85, s[0:3], 0 offen offset:64
	v_min_f64 v[92:93], v[32:33], v[2:3]
	s_waitcnt vmcnt(0)
	v_add_f64 v[92:93], v[92:93], v[94:95]
	buffer_store_dword v93, v85, s[0:3], 0 offen offset:68
	buffer_store_dword v92, v85, s[0:3], 0 offen offset:64
	s_clause 0x1
	buffer_load_dword v94, v85, s[0:3], 0 offen offset:72
	buffer_load_dword v95, v85, s[0:3], 0 offen offset:76
	v_min_f64 v[92:93], v[34:35], v[2:3]
	s_waitcnt vmcnt(0)
	v_add_f64 v[92:93], v[92:93], v[94:95]
	buffer_store_dword v93, v85, s[0:3], 0 offen offset:76
	;; [unrolled: 8-line block ×22, first 2 shown]
	buffer_store_dword v92, v85, s[0:3], 0 offen offset:232
	s_clause 0x1
	buffer_load_dword v94, v85, s[0:3], 0 offen offset:240
	buffer_load_dword v95, v85, s[0:3], 0 offen offset:244
	v_min_f64 v[92:93], v[76:77], v[2:3]
	v_min_f64 v[2:3], v[78:79], v[2:3]
	s_waitcnt vmcnt(0)
	v_add_f64 v[92:93], v[92:93], v[94:95]
	buffer_store_dword v93, v85, s[0:3], 0 offen offset:244
	buffer_store_dword v92, v85, s[0:3], 0 offen offset:240
	s_clause 0x1
	buffer_load_dword v92, v85, s[0:3], 0 offen offset:248
	buffer_load_dword v93, v85, s[0:3], 0 offen offset:252
	s_waitcnt vmcnt(0)
	v_add_f64 v[2:3], v[2:3], v[92:93]
	buffer_store_dword v3, v85, s[0:3], 0 offen offset:252
	buffer_store_dword v2, v85, s[0:3], 0 offen offset:248
	v_mov_b32_e32 v2, v4
	v_mov_b32_e32 v3, v5
	s_cbranch_vccnz .LBB202_26
; %bb.27:                               ;   in Loop: Header=BB202_25 Depth=1
	s_add_i32 s11, s11, 1
	s_cmp_eq_u32 s11, 4
	s_cbranch_scc0 .LBB202_25
; %bb.28:
	v_lshl_or_b32 v2, v80, 5, v82
	v_lshl_add_u32 v92, v0, 5, 0x1000
	v_lshl_add_u32 v93, v1, 5, 0x3000
	s_cmp_lt_i32 s42, 9
	ds_write2st64_b64 v84, v[14:15], v[12:13] offset0:24 offset1:28
	ds_write2st64_b64 v2, v[10:11], v[8:9] offset0:8 offset1:12
	s_waitcnt lgkmcnt(0)
	s_waitcnt_vscnt null, 0x0
	s_barrier
	buffer_gl0_inv
	s_cbranch_scc1 .LBB202_55
; %bb.29:
	v_mad_i64_i32 v[3:4], null, v81, s23, 0
	v_mad_i64_i32 v[8:9], null, v83, s23, 0
	v_lshlrev_b64 v[74:75], 3, v[6:7]
	v_add_nc_u32_e32 v94, 0x1000, v2
	v_add_nc_u32_e32 v95, 0x3000, v84
	v_mov_b32_e32 v77, 0
	v_lshlrev_b64 v[70:71], 3, v[3:4]
	s_add_i32 s23, s42, -8
	v_lshlrev_b64 v[72:73], 3, v[8:9]
	s_mov_b32 s24, 8
	s_mov_b32 s25, 0
.LBB202_30:                             ; =>This Loop Header: Depth=1
                                        ;     Child Loop BB202_39 Depth 2
                                        ;       Child Loop BB202_40 Depth 3
                                        ;     Child Loop BB202_51 Depth 2
                                        ;       Child Loop BB202_52 Depth 3
	v_or_b32_e32 v76, s24, v86
	v_mov_b32_e32 v6, 0
	v_mov_b32_e32 v8, 0
	;; [unrolled: 1-line block ×4, first 2 shown]
	v_lshlrev_b64 v[2:3], 3, v[76:77]
	v_cmp_le_i32_e32 vcc_lo, s42, v76
	v_add_co_u32 v96, s11, s16, v2
	v_add_co_ci_u32_e64 v97, null, s17, v3, s11
	s_nor_b32 s11, s6, vcc_lo
	s_and_saveexec_b32 s26, s11
	s_cbranch_execz .LBB202_32
; %bb.31:                               ;   in Loop: Header=BB202_30 Depth=1
	v_add_co_u32 v2, s11, v96, v70
	v_add_co_ci_u32_e64 v3, null, v97, v71, s11
	global_load_dwordx2 v[8:9], v[2:3], off
.LBB202_32:                             ;   in Loop: Header=BB202_30 Depth=1
	s_or_b32 exec_lo, exec_lo, s26
	s_nor_b32 s26, s8, vcc_lo
	s_and_saveexec_b32 s11, s26
	s_cbranch_execz .LBB202_34
; %bb.33:                               ;   in Loop: Header=BB202_30 Depth=1
	v_add_co_u32 v2, vcc_lo, v96, v72
	v_add_co_ci_u32_e64 v3, null, v97, v73, vcc_lo
	global_load_dwordx2 v[6:7], v[2:3], off
.LBB202_34:                             ;   in Loop: Header=BB202_30 Depth=1
	s_or_b32 exec_lo, exec_lo, s11
	v_add_nc_u32_e32 v5, s24, v87
	v_mov_b32_e32 v10, 0
	v_mov_b32_e32 v12, 0
	;; [unrolled: 1-line block ×4, first 2 shown]
	v_mad_u64_u32 v[2:3], null, v5, s21, 0
	v_cmp_le_i32_e32 vcc_lo, s42, v5
	v_mad_u64_u32 v[3:4], null, v5, s22, v[3:4]
	v_lshlrev_b64 v[2:3], 3, v[2:3]
	v_add_co_u32 v2, s11, s18, v2
	v_add_co_ci_u32_e64 v3, null, s19, v3, s11
	s_nor_b32 s11, s9, vcc_lo
	s_and_saveexec_b32 s26, s11
	s_cbranch_execz .LBB202_36
; %bb.35:                               ;   in Loop: Header=BB202_30 Depth=1
	v_add_co_u32 v4, s11, v2, v74
	v_add_co_ci_u32_e64 v5, null, v3, v75, s11
	global_load_dwordx2 v[12:13], v[4:5], off
.LBB202_36:                             ;   in Loop: Header=BB202_30 Depth=1
	s_or_b32 exec_lo, exec_lo, s26
	s_nor_b32 s26, s10, vcc_lo
	s_and_saveexec_b32 s11, s26
	s_cbranch_execz .LBB202_38
; %bb.37:                               ;   in Loop: Header=BB202_30 Depth=1
	v_add_co_u32 v2, vcc_lo, v2, v74
	v_add_co_ci_u32_e64 v3, null, v3, v75, vcc_lo
	global_load_dwordx2 v[10:11], v[2:3], off offset:512
.LBB202_38:                             ;   in Loop: Header=BB202_30 Depth=1
	s_or_b32 exec_lo, exec_lo, s11
	s_mov_b32 s11, 0
.LBB202_39:                             ;   Parent Loop BB202_30 Depth=1
                                        ; =>  This Loop Header: Depth=2
                                        ;       Child Loop BB202_40 Depth 3
	s_lshl_b32 s26, s11, 3
	s_mov_b32 s27, 0
	v_add_nc_u32_e32 v14, s26, v92
	v_add_nc_u32_e32 v98, s26, v93
	s_mov_b32 s26, -1
	ds_read2_b64 v[2:5], v14 offset1:16
	ds_read2_b64 v[18:21], v14 offset0:32 offset1:48
	ds_read2_b64 v[22:25], v14 offset0:64 offset1:80
	v_add_nc_u32_e32 v15, 0x800, v14
	ds_read2_b64 v[26:29], v14 offset0:96 offset1:112
	ds_read2_b64 v[30:33], v14 offset0:128 offset1:144
	;; [unrolled: 1-line block ×5, first 2 shown]
	ds_read2_b64 v[46:49], v15 offset1:16
	ds_read2_b64 v[50:53], v15 offset0:32 offset1:48
	ds_read2_b64 v[54:57], v15 offset0:64 offset1:80
	;; [unrolled: 1-line block ×7, first 2 shown]
	s_waitcnt lgkmcnt(11)
	v_max_f64 v[30:31], v[30:31], v[30:31]
	v_max_f64 v[32:33], v[32:33], v[32:33]
	s_waitcnt lgkmcnt(10)
	v_max_f64 v[34:35], v[34:35], v[34:35]
	v_max_f64 v[36:37], v[36:37], v[36:37]
	;; [unrolled: 3-line block ×3, first 2 shown]
	v_max_f64 v[14:15], v[2:3], v[2:3]
	v_max_f64 v[16:17], v[4:5], v[4:5]
	;; [unrolled: 1-line block ×8, first 2 shown]
	s_waitcnt lgkmcnt(8)
	v_max_f64 v[42:43], v[42:43], v[42:43]
	v_max_f64 v[44:45], v[44:45], v[44:45]
	s_waitcnt lgkmcnt(7)
	v_max_f64 v[46:47], v[46:47], v[46:47]
	v_max_f64 v[48:49], v[48:49], v[48:49]
	;; [unrolled: 3-line block ×9, first 2 shown]
	ds_read2st64_b64 v[2:5], v98 offset1:4
.LBB202_40:                             ;   Parent Loop BB202_30 Depth=1
                                        ;     Parent Loop BB202_39 Depth=2
                                        ; =>    This Inner Loop Header: Depth=3
	v_mov_b32_e32 v98, s27
	s_waitcnt lgkmcnt(0)
	v_max_f64 v[2:3], v[2:3], v[2:3]
	s_and_b32 vcc_lo, exec_lo, s26
	s_mov_b32 s26, 0
	s_mov_b32 s27, s20
	s_clause 0xf
	buffer_load_dword v101, v98, s[0:3], 0 offen
	buffer_load_dword v102, v98, s[0:3], 0 offen offset:4
	buffer_load_dword v103, v98, s[0:3], 0 offen offset:8
	;; [unrolled: 1-line block ×15, first 2 shown]
	v_min_f64 v[99:100], v[14:15], v[2:3]
	s_waitcnt vmcnt(14)
	v_add_f64 v[99:100], v[99:100], v[101:102]
	buffer_store_dword v99, v98, s[0:3], 0 offen
	buffer_store_dword v100, v98, s[0:3], 0 offen offset:4
	v_min_f64 v[99:100], v[16:17], v[2:3]
	s_waitcnt vmcnt(12)
	v_add_f64 v[99:100], v[99:100], v[103:104]
	buffer_store_dword v99, v98, s[0:3], 0 offen offset:8
	buffer_store_dword v100, v98, s[0:3], 0 offen offset:12
	v_min_f64 v[99:100], v[18:19], v[2:3]
	s_waitcnt vmcnt(10)
	v_add_f64 v[99:100], v[99:100], v[105:106]
	buffer_store_dword v99, v98, s[0:3], 0 offen offset:16
	;; [unrolled: 5-line block ×7, first 2 shown]
	buffer_store_dword v100, v98, s[0:3], 0 offen offset:60
	s_clause 0x1
	buffer_load_dword v102, v98, s[0:3], 0 offen offset:68
	buffer_load_dword v101, v98, s[0:3], 0 offen offset:64
	v_min_f64 v[99:100], v[30:31], v[2:3]
	s_waitcnt vmcnt(0)
	v_add_f64 v[99:100], v[99:100], v[101:102]
	buffer_store_dword v100, v98, s[0:3], 0 offen offset:68
	buffer_store_dword v99, v98, s[0:3], 0 offen offset:64
	s_clause 0x1
	buffer_load_dword v101, v98, s[0:3], 0 offen offset:72
	buffer_load_dword v102, v98, s[0:3], 0 offen offset:76
	v_min_f64 v[99:100], v[32:33], v[2:3]
	s_waitcnt vmcnt(0)
	v_add_f64 v[99:100], v[99:100], v[101:102]
	buffer_store_dword v100, v98, s[0:3], 0 offen offset:76
	;; [unrolled: 8-line block ×22, first 2 shown]
	buffer_store_dword v99, v98, s[0:3], 0 offen offset:232
	s_clause 0x1
	buffer_load_dword v101, v98, s[0:3], 0 offen offset:240
	buffer_load_dword v102, v98, s[0:3], 0 offen offset:244
	v_min_f64 v[99:100], v[82:83], v[2:3]
	v_min_f64 v[2:3], v[84:85], v[2:3]
	s_waitcnt vmcnt(0)
	v_add_f64 v[99:100], v[99:100], v[101:102]
	buffer_store_dword v100, v98, s[0:3], 0 offen offset:244
	buffer_store_dword v99, v98, s[0:3], 0 offen offset:240
	s_clause 0x1
	buffer_load_dword v99, v98, s[0:3], 0 offen offset:248
	buffer_load_dword v100, v98, s[0:3], 0 offen offset:252
	s_waitcnt vmcnt(0)
	v_add_f64 v[2:3], v[2:3], v[99:100]
	buffer_store_dword v3, v98, s[0:3], 0 offen offset:252
	buffer_store_dword v2, v98, s[0:3], 0 offen offset:248
	v_mov_b32_e32 v2, v4
	v_mov_b32_e32 v3, v5
	s_cbranch_vccnz .LBB202_40
; %bb.41:                               ;   in Loop: Header=BB202_39 Depth=2
	s_add_i32 s11, s11, 1
	s_cmp_eq_u32 s11, 4
	s_cbranch_scc0 .LBB202_39
; %bb.42:                               ;   in Loop: Header=BB202_30 Depth=1
	v_or_b32_e32 v2, 4, v76
	v_mov_b32_e32 v78, 0
	v_mov_b32_e32 v80, 0
	;; [unrolled: 1-line block ×4, first 2 shown]
	v_cmp_le_i32_e32 vcc_lo, s42, v2
	ds_write2st64_b64 v88, v[8:9], v[6:7] offset1:4
	ds_write2st64_b64 v90, v[12:13], v[10:11] offset1:4
	s_waitcnt lgkmcnt(0)
	s_waitcnt_vscnt null, 0x0
	s_barrier
	s_nor_b32 s11, s6, vcc_lo
	buffer_gl0_inv
	s_and_saveexec_b32 s26, s11
	s_cbranch_execz .LBB202_44
; %bb.43:                               ;   in Loop: Header=BB202_30 Depth=1
	v_add_co_u32 v2, s11, v96, v70
	v_add_co_ci_u32_e64 v3, null, v97, v71, s11
	global_load_dwordx2 v[80:81], v[2:3], off offset:32
.LBB202_44:                             ;   in Loop: Header=BB202_30 Depth=1
	s_or_b32 exec_lo, exec_lo, s26
	s_nor_b32 s26, s8, vcc_lo
	s_and_saveexec_b32 s11, s26
	s_cbranch_execz .LBB202_46
; %bb.45:                               ;   in Loop: Header=BB202_30 Depth=1
	v_add_co_u32 v2, vcc_lo, v96, v72
	v_add_co_ci_u32_e64 v3, null, v97, v73, vcc_lo
	global_load_dwordx2 v[78:79], v[2:3], off offset:32
.LBB202_46:                             ;   in Loop: Header=BB202_30 Depth=1
	s_or_b32 exec_lo, exec_lo, s11
	v_add3_u32 v5, v87, s24, 4
	v_mov_b32_e32 v82, 0
	v_mov_b32_e32 v84, 0
	;; [unrolled: 1-line block ×4, first 2 shown]
	v_mad_u64_u32 v[2:3], null, v5, s21, 0
	v_cmp_le_i32_e32 vcc_lo, s42, v5
	v_mad_u64_u32 v[3:4], null, v5, s22, v[3:4]
	v_lshlrev_b64 v[2:3], 3, v[2:3]
	v_add_co_u32 v2, s11, s18, v2
	v_add_co_ci_u32_e64 v3, null, s19, v3, s11
	s_nor_b32 s11, s9, vcc_lo
	s_and_saveexec_b32 s26, s11
	s_cbranch_execz .LBB202_48
; %bb.47:                               ;   in Loop: Header=BB202_30 Depth=1
	v_add_co_u32 v4, s11, v2, v74
	v_add_co_ci_u32_e64 v5, null, v3, v75, s11
	global_load_dwordx2 v[84:85], v[4:5], off
.LBB202_48:                             ;   in Loop: Header=BB202_30 Depth=1
	s_or_b32 exec_lo, exec_lo, s26
	s_nor_b32 s26, s10, vcc_lo
	s_and_saveexec_b32 s11, s26
	s_cbranch_execz .LBB202_50
; %bb.49:                               ;   in Loop: Header=BB202_30 Depth=1
	v_add_co_u32 v2, vcc_lo, v2, v74
	v_add_co_ci_u32_e64 v3, null, v3, v75, vcc_lo
	global_load_dwordx2 v[82:83], v[2:3], off offset:512
.LBB202_50:                             ;   in Loop: Header=BB202_30 Depth=1
	s_or_b32 exec_lo, exec_lo, s11
	s_mov_b32 s11, 0
.LBB202_51:                             ;   Parent Loop BB202_30 Depth=1
                                        ; =>  This Loop Header: Depth=2
                                        ;       Child Loop BB202_52 Depth 3
	s_lshl_b32 s26, s11, 3
	s_mov_b32 s27, 0
	v_add_nc_u32_e32 v30, s26, v89
	v_add_nc_u32_e32 v66, s26, v91
	s_mov_b32 s26, -1
	ds_read2_b64 v[2:5], v30 offset1:16
	ds_read2_b64 v[6:9], v30 offset0:32 offset1:48
	ds_read2_b64 v[10:13], v30 offset0:64 offset1:80
	;; [unrolled: 1-line block ×3, first 2 shown]
	v_add_nc_u32_e32 v62, 0x800, v30
	ds_read2_b64 v[18:21], v30 offset0:128 offset1:144
	ds_read2_b64 v[22:25], v30 offset0:160 offset1:176
	;; [unrolled: 1-line block ×4, first 2 shown]
	ds_read2_b64 v[34:37], v62 offset1:16
	ds_read2_b64 v[38:41], v62 offset0:32 offset1:48
	ds_read2_b64 v[42:45], v62 offset0:64 offset1:80
	ds_read2_b64 v[46:49], v62 offset0:96 offset1:112
	ds_read2_b64 v[50:53], v62 offset0:128 offset1:144
	ds_read2_b64 v[54:57], v62 offset0:160 offset1:176
	ds_read2_b64 v[58:61], v62 offset0:192 offset1:208
	ds_read2_b64 v[62:65], v62 offset0:224 offset1:240
	ds_read2st64_b64 v[66:69], v66 offset1:4
.LBB202_52:                             ;   Parent Loop BB202_30 Depth=1
                                        ;     Parent Loop BB202_51 Depth=2
                                        ; =>    This Inner Loop Header: Depth=3
	v_mov_b32_e32 v76, s27
	s_waitcnt lgkmcnt(16)
	v_max_f64 v[96:97], v[2:3], v[2:3]
	s_waitcnt lgkmcnt(0)
	v_max_f64 v[66:67], v[66:67], v[66:67]
	s_and_b32 vcc_lo, exec_lo, s26
	s_mov_b32 s26, 0
	s_clause 0xf
	buffer_load_dword v98, v76, s[0:3], 0 offen
	buffer_load_dword v99, v76, s[0:3], 0 offen offset:4
	buffer_load_dword v100, v76, s[0:3], 0 offen offset:8
	;; [unrolled: 1-line block ×15, first 2 shown]
	s_mov_b32 s27, s20
	v_min_f64 v[96:97], v[96:97], v[66:67]
	s_waitcnt vmcnt(14)
	v_add_f64 v[96:97], v[96:97], v[98:99]
	buffer_store_dword v96, v76, s[0:3], 0 offen
	buffer_store_dword v97, v76, s[0:3], 0 offen offset:4
	v_max_f64 v[96:97], v[4:5], v[4:5]
	v_min_f64 v[96:97], v[96:97], v[66:67]
	s_waitcnt vmcnt(12)
	v_add_f64 v[96:97], v[96:97], v[100:101]
	buffer_store_dword v96, v76, s[0:3], 0 offen offset:8
	buffer_store_dword v97, v76, s[0:3], 0 offen offset:12
	v_max_f64 v[96:97], v[6:7], v[6:7]
	v_min_f64 v[96:97], v[96:97], v[66:67]
	s_waitcnt vmcnt(10)
	v_add_f64 v[96:97], v[96:97], v[102:103]
	buffer_store_dword v96, v76, s[0:3], 0 offen offset:16
	;; [unrolled: 6-line block ×7, first 2 shown]
	buffer_store_dword v97, v76, s[0:3], 0 offen offset:60
	s_clause 0x1
	buffer_load_dword v99, v76, s[0:3], 0 offen offset:68
	buffer_load_dword v98, v76, s[0:3], 0 offen offset:64
	v_max_f64 v[96:97], v[18:19], v[18:19]
	v_min_f64 v[96:97], v[96:97], v[66:67]
	s_waitcnt vmcnt(0)
	v_add_f64 v[96:97], v[96:97], v[98:99]
	buffer_store_dword v97, v76, s[0:3], 0 offen offset:68
	buffer_store_dword v96, v76, s[0:3], 0 offen offset:64
	s_clause 0x1
	buffer_load_dword v98, v76, s[0:3], 0 offen offset:72
	buffer_load_dword v99, v76, s[0:3], 0 offen offset:76
	v_max_f64 v[96:97], v[20:21], v[20:21]
	v_min_f64 v[96:97], v[96:97], v[66:67]
	s_waitcnt vmcnt(0)
	v_add_f64 v[96:97], v[96:97], v[98:99]
	buffer_store_dword v97, v76, s[0:3], 0 offen offset:76
	;; [unrolled: 9-line block ×23, first 2 shown]
	buffer_store_dword v96, v76, s[0:3], 0 offen offset:240
	v_max_f64 v[96:97], v[64:65], v[64:65]
	v_min_f64 v[66:67], v[96:97], v[66:67]
	s_clause 0x1
	buffer_load_dword v96, v76, s[0:3], 0 offen offset:248
	buffer_load_dword v97, v76, s[0:3], 0 offen offset:252
	s_waitcnt vmcnt(0)
	v_add_f64 v[66:67], v[66:67], v[96:97]
	buffer_store_dword v67, v76, s[0:3], 0 offen offset:252
	buffer_store_dword v66, v76, s[0:3], 0 offen offset:248
	v_mov_b32_e32 v66, v68
	v_mov_b32_e32 v67, v69
	s_cbranch_vccnz .LBB202_52
; %bb.53:                               ;   in Loop: Header=BB202_51 Depth=2
	s_add_i32 s11, s11, 1
	s_cmp_eq_u32 s11, 4
	s_cbranch_scc0 .LBB202_51
; %bb.54:                               ;   in Loop: Header=BB202_30 Depth=1
	s_add_i32 s25, s25, 8
	s_add_i32 s24, s24, 8
	s_cmp_ge_i32 s25, s23
	ds_write2st64_b64 v94, v[80:81], v[78:79] offset1:4
	ds_write2st64_b64 v95, v[84:85], v[82:83] offset1:4
	s_waitcnt lgkmcnt(0)
	s_waitcnt_vscnt null, 0x0
	s_barrier
	buffer_gl0_inv
	s_cbranch_scc0 .LBB202_30
.LBB202_55:
	s_mov_b32 s6, 0
.LBB202_56:                             ; =>This Loop Header: Depth=1
                                        ;     Child Loop BB202_57 Depth 2
	s_lshl_b32 s8, s6, 3
	s_mov_b32 s9, 0
	v_add_nc_u32_e32 v6, s8, v92
	v_add_nc_u32_e32 v70, s8, v93
	s_mov_b32 s8, -1
	ds_read2_b64 v[2:5], v6 offset1:16
	ds_read2_b64 v[10:13], v6 offset0:32 offset1:48
	ds_read2_b64 v[14:17], v6 offset0:64 offset1:80
	v_add_nc_u32_e32 v7, 0x800, v6
	ds_read2_b64 v[18:21], v6 offset0:96 offset1:112
	ds_read2_b64 v[22:25], v6 offset0:128 offset1:144
	;; [unrolled: 1-line block ×5, first 2 shown]
	ds_read2_b64 v[38:41], v7 offset1:16
	ds_read2_b64 v[42:45], v7 offset0:32 offset1:48
	ds_read2_b64 v[46:49], v7 offset0:64 offset1:80
	;; [unrolled: 1-line block ×7, first 2 shown]
	s_waitcnt lgkmcnt(11)
	v_max_f64 v[22:23], v[22:23], v[22:23]
	v_max_f64 v[24:25], v[24:25], v[24:25]
	s_waitcnt lgkmcnt(10)
	v_max_f64 v[26:27], v[26:27], v[26:27]
	v_max_f64 v[28:29], v[28:29], v[28:29]
	s_waitcnt lgkmcnt(9)
	v_max_f64 v[30:31], v[30:31], v[30:31]
	v_max_f64 v[32:33], v[32:33], v[32:33]
	v_max_f64 v[6:7], v[2:3], v[2:3]
	v_max_f64 v[8:9], v[4:5], v[4:5]
	v_max_f64 v[10:11], v[10:11], v[10:11]
	v_max_f64 v[12:13], v[12:13], v[12:13]
	v_max_f64 v[14:15], v[14:15], v[14:15]
	v_max_f64 v[16:17], v[16:17], v[16:17]
	v_max_f64 v[18:19], v[18:19], v[18:19]
	v_max_f64 v[20:21], v[20:21], v[20:21]
	s_waitcnt lgkmcnt(8)
	v_max_f64 v[34:35], v[34:35], v[34:35]
	v_max_f64 v[36:37], v[36:37], v[36:37]
	s_waitcnt lgkmcnt(7)
	v_max_f64 v[38:39], v[38:39], v[38:39]
	v_max_f64 v[40:41], v[40:41], v[40:41]
	;; [unrolled: 3-line block ×9, first 2 shown]
	ds_read2st64_b64 v[2:5], v70 offset1:4
.LBB202_57:                             ;   Parent Loop BB202_56 Depth=1
                                        ; =>  This Inner Loop Header: Depth=2
	v_mov_b32_e32 v70, s9
	s_waitcnt lgkmcnt(0)
	v_max_f64 v[2:3], v[2:3], v[2:3]
	s_and_b32 vcc_lo, exec_lo, s8
	s_mov_b32 s8, 0
	s_mov_b32 s9, s20
	s_clause 0xf
	buffer_load_dword v73, v70, s[0:3], 0 offen
	buffer_load_dword v74, v70, s[0:3], 0 offen offset:4
	buffer_load_dword v75, v70, s[0:3], 0 offen offset:8
	;; [unrolled: 1-line block ×15, first 2 shown]
	v_min_f64 v[71:72], v[6:7], v[2:3]
	s_waitcnt vmcnt(14)
	v_add_f64 v[71:72], v[71:72], v[73:74]
	buffer_store_dword v71, v70, s[0:3], 0 offen
	buffer_store_dword v72, v70, s[0:3], 0 offen offset:4
	v_min_f64 v[71:72], v[8:9], v[2:3]
	s_waitcnt vmcnt(12)
	v_add_f64 v[71:72], v[71:72], v[75:76]
	buffer_store_dword v71, v70, s[0:3], 0 offen offset:8
	buffer_store_dword v72, v70, s[0:3], 0 offen offset:12
	v_min_f64 v[71:72], v[10:11], v[2:3]
	s_waitcnt vmcnt(10)
	v_add_f64 v[71:72], v[71:72], v[77:78]
	buffer_store_dword v71, v70, s[0:3], 0 offen offset:16
	;; [unrolled: 5-line block ×7, first 2 shown]
	buffer_store_dword v72, v70, s[0:3], 0 offen offset:60
	s_clause 0x1
	buffer_load_dword v74, v70, s[0:3], 0 offen offset:68
	buffer_load_dword v73, v70, s[0:3], 0 offen offset:64
	v_min_f64 v[71:72], v[22:23], v[2:3]
	s_waitcnt vmcnt(0)
	v_add_f64 v[71:72], v[71:72], v[73:74]
	buffer_store_dword v72, v70, s[0:3], 0 offen offset:68
	buffer_store_dword v71, v70, s[0:3], 0 offen offset:64
	s_clause 0x1
	buffer_load_dword v73, v70, s[0:3], 0 offen offset:72
	buffer_load_dword v74, v70, s[0:3], 0 offen offset:76
	v_min_f64 v[71:72], v[24:25], v[2:3]
	s_waitcnt vmcnt(0)
	v_add_f64 v[71:72], v[71:72], v[73:74]
	buffer_store_dword v72, v70, s[0:3], 0 offen offset:76
	;; [unrolled: 8-line block ×22, first 2 shown]
	buffer_store_dword v71, v70, s[0:3], 0 offen offset:232
	s_clause 0x1
	buffer_load_dword v73, v70, s[0:3], 0 offen offset:240
	buffer_load_dword v74, v70, s[0:3], 0 offen offset:244
	v_min_f64 v[71:72], v[66:67], v[2:3]
	v_min_f64 v[2:3], v[68:69], v[2:3]
	s_waitcnt vmcnt(0)
	v_add_f64 v[71:72], v[71:72], v[73:74]
	buffer_store_dword v72, v70, s[0:3], 0 offen offset:244
	buffer_store_dword v71, v70, s[0:3], 0 offen offset:240
	s_clause 0x1
	buffer_load_dword v71, v70, s[0:3], 0 offen offset:248
	buffer_load_dword v72, v70, s[0:3], 0 offen offset:252
	s_waitcnt vmcnt(0)
	v_add_f64 v[2:3], v[2:3], v[71:72]
	buffer_store_dword v3, v70, s[0:3], 0 offen offset:252
	buffer_store_dword v2, v70, s[0:3], 0 offen offset:248
	v_mov_b32_e32 v2, v4
	v_mov_b32_e32 v3, v5
	s_cbranch_vccnz .LBB202_57
; %bb.58:                               ;   in Loop: Header=BB202_56 Depth=1
	s_add_i32 s6, s6, 1
	s_cmp_eq_u32 s6, 4
	s_cbranch_scc0 .LBB202_56
; %bb.59:
	s_clause 0x2
	s_load_dwordx2 s[8:9], s[4:5], 0x78
	s_load_dword s43, s[4:5], 0x58
	s_load_dword s42, s[4:5], 0x70
	v_add_nc_u32_e32 v71, s13, v1
	v_add_nc_u32_e32 v0, s12, v0
	v_cndmask_b32_e64 v70, 0, 1, s46
	v_cmp_gt_i32_e64 s13, s41, v71
	s_waitcnt lgkmcnt(0)
	s_mul_i32 s4, s9, s7
	v_mad_i64_i32 v[1:2], null, v71, s43, 0
	v_mad_i64_i32 v[3:4], null, v71, s42, 0
	s_mul_hi_u32 s5, s8, s7
	s_mul_i32 s6, s8, s7
	s_add_i32 s7, s5, s4
	v_cmp_gt_i32_e64 s4, s40, v0
	v_lshlrev_b64 v[5:6], 3, v[1:2]
	s_lshl_b64 s[6:7], s[6:7], 3
	v_lshlrev_b64 v[2:3], 3, v[3:4]
	s_add_u32 s47, s14, s6
	s_addc_u32 s48, s15, s7
	v_ashrrev_i32_e32 v1, 31, v0
	v_add_co_u32 v68, vcc_lo, s44, v5
	v_add_co_ci_u32_e64 v69, null, s45, v6, vcc_lo
	v_add_co_u32 v72, vcc_lo, s47, v2
	v_add_co_ci_u32_e64 v73, null, s48, v3, vcc_lo
	s_and_b32 s6, s13, s4
	s_and_saveexec_b32 s5, s6
	s_cbranch_execz .LBB202_64
; %bb.60:
	s_clause 0x1
	buffer_load_dword v2, off, s[0:3], 0
	buffer_load_dword v3, off, s[0:3], 0 offset:4
	v_lshlrev_b64 v[4:5], 3, v[0:1]
	s_andn2_b32 vcc_lo, exec_lo, s46
	s_cbranch_vccnz .LBB202_62
; %bb.61:
	v_add_co_u32 v6, vcc_lo, v68, v4
	v_add_co_ci_u32_e64 v7, null, v69, v5, vcc_lo
	global_load_dwordx2 v[6:7], v[6:7], off
	s_waitcnt vmcnt(0)
	v_mul_f64 v[6:7], s[38:39], v[6:7]
	s_branch .LBB202_63
.LBB202_62:
	v_mov_b32_e32 v6, 0
	v_mov_b32_e32 v7, 0
.LBB202_63:
	s_waitcnt vmcnt(0)
	v_add_f64 v[2:3], v[2:3], v[6:7]
	v_add_co_u32 v4, vcc_lo, v72, v4
	v_add_co_ci_u32_e64 v5, null, v73, v5, vcc_lo
	global_store_dwordx2 v[4:5], v[2:3], off
.LBB202_64:
	s_or_b32 exec_lo, exec_lo, s5
	v_add_nc_u32_e32 v2, 4, v0
	v_cmp_gt_i32_e64 s5, s40, v2
	v_ashrrev_i32_e32 v3, 31, v2
	s_and_b32 s7, s13, s5
	s_and_saveexec_b32 s6, s7
	s_cbranch_execz .LBB202_69
; %bb.65:
	s_clause 0x1
	buffer_load_dword v4, off, s[0:3], 0 offset:8
	buffer_load_dword v5, off, s[0:3], 0 offset:12
	v_lshlrev_b64 v[6:7], 3, v[2:3]
	s_andn2_b32 vcc_lo, exec_lo, s46
	s_cbranch_vccnz .LBB202_67
; %bb.66:
	v_add_co_u32 v8, vcc_lo, v68, v6
	v_add_co_ci_u32_e64 v9, null, v69, v7, vcc_lo
	global_load_dwordx2 v[8:9], v[8:9], off
	s_waitcnt vmcnt(0)
	v_mul_f64 v[8:9], s[38:39], v[8:9]
	s_branch .LBB202_68
.LBB202_67:
	v_mov_b32_e32 v8, 0
	v_mov_b32_e32 v9, 0
.LBB202_68:
	s_waitcnt vmcnt(0)
	v_add_f64 v[4:5], v[4:5], v[8:9]
	v_add_co_u32 v6, vcc_lo, v72, v6
	v_add_co_ci_u32_e64 v7, null, v73, v7, vcc_lo
	global_store_dwordx2 v[6:7], v[4:5], off
.LBB202_69:
	s_or_b32 exec_lo, exec_lo, s6
	v_add_nc_u32_e32 v4, 8, v0
	v_cmp_gt_i32_e64 s6, s40, v4
	v_ashrrev_i32_e32 v5, 31, v4
	s_and_b32 s8, s13, s6
	s_and_saveexec_b32 s7, s8
	s_cbranch_execz .LBB202_74
; %bb.70:
	s_clause 0x1
	buffer_load_dword v6, off, s[0:3], 0 offset:16
	buffer_load_dword v7, off, s[0:3], 0 offset:20
	v_lshlrev_b64 v[8:9], 3, v[4:5]
	s_andn2_b32 vcc_lo, exec_lo, s46
	s_cbranch_vccnz .LBB202_72
; %bb.71:
	v_add_co_u32 v10, vcc_lo, v68, v8
	v_add_co_ci_u32_e64 v11, null, v69, v9, vcc_lo
	global_load_dwordx2 v[10:11], v[10:11], off
	s_waitcnt vmcnt(0)
	v_mul_f64 v[10:11], s[38:39], v[10:11]
	s_branch .LBB202_73
.LBB202_72:
	v_mov_b32_e32 v10, 0
	v_mov_b32_e32 v11, 0
.LBB202_73:
	s_waitcnt vmcnt(0)
	v_add_f64 v[6:7], v[6:7], v[10:11]
	v_add_co_u32 v8, vcc_lo, v72, v8
	v_add_co_ci_u32_e64 v9, null, v73, v9, vcc_lo
	global_store_dwordx2 v[8:9], v[6:7], off
.LBB202_74:
	s_or_b32 exec_lo, exec_lo, s7
	v_add_nc_u32_e32 v6, 12, v0
	v_cmp_gt_i32_e64 s7, s40, v6
	v_ashrrev_i32_e32 v7, 31, v6
	s_and_b32 s9, s13, s7
	s_and_saveexec_b32 s8, s9
	s_cbranch_execz .LBB202_79
; %bb.75:
	s_clause 0x1
	buffer_load_dword v8, off, s[0:3], 0 offset:24
	buffer_load_dword v9, off, s[0:3], 0 offset:28
	v_lshlrev_b64 v[10:11], 3, v[6:7]
	s_andn2_b32 vcc_lo, exec_lo, s46
	s_cbranch_vccnz .LBB202_77
; %bb.76:
	v_add_co_u32 v12, vcc_lo, v68, v10
	v_add_co_ci_u32_e64 v13, null, v69, v11, vcc_lo
	global_load_dwordx2 v[12:13], v[12:13], off
	s_waitcnt vmcnt(0)
	v_mul_f64 v[12:13], s[38:39], v[12:13]
	s_branch .LBB202_78
.LBB202_77:
	v_mov_b32_e32 v12, 0
	v_mov_b32_e32 v13, 0
.LBB202_78:
	s_waitcnt vmcnt(0)
	v_add_f64 v[8:9], v[8:9], v[12:13]
	v_add_co_u32 v10, vcc_lo, v72, v10
	v_add_co_ci_u32_e64 v11, null, v73, v11, vcc_lo
	global_store_dwordx2 v[10:11], v[8:9], off
.LBB202_79:
	s_or_b32 exec_lo, exec_lo, s8
	v_add_nc_u32_e32 v8, 16, v0
	v_cmp_gt_i32_e64 s8, s40, v8
	v_ashrrev_i32_e32 v9, 31, v8
	s_and_b32 s10, s13, s8
	s_and_saveexec_b32 s9, s10
	s_cbranch_execz .LBB202_84
; %bb.80:
	s_clause 0x1
	buffer_load_dword v10, off, s[0:3], 0 offset:32
	buffer_load_dword v11, off, s[0:3], 0 offset:36
	v_lshlrev_b64 v[12:13], 3, v[8:9]
	s_andn2_b32 vcc_lo, exec_lo, s46
	s_cbranch_vccnz .LBB202_82
; %bb.81:
	v_add_co_u32 v14, vcc_lo, v68, v12
	v_add_co_ci_u32_e64 v15, null, v69, v13, vcc_lo
	global_load_dwordx2 v[14:15], v[14:15], off
	s_waitcnt vmcnt(0)
	v_mul_f64 v[14:15], s[38:39], v[14:15]
	s_branch .LBB202_83
.LBB202_82:
	v_mov_b32_e32 v14, 0
	v_mov_b32_e32 v15, 0
.LBB202_83:
	s_waitcnt vmcnt(0)
	v_add_f64 v[10:11], v[10:11], v[14:15]
	v_add_co_u32 v12, vcc_lo, v72, v12
	v_add_co_ci_u32_e64 v13, null, v73, v13, vcc_lo
	global_store_dwordx2 v[12:13], v[10:11], off
.LBB202_84:
	s_or_b32 exec_lo, exec_lo, s9
	v_add_nc_u32_e32 v10, 20, v0
	v_cmp_gt_i32_e64 s9, s40, v10
	v_ashrrev_i32_e32 v11, 31, v10
	s_and_b32 s11, s13, s9
	s_and_saveexec_b32 s10, s11
	s_cbranch_execz .LBB202_89
; %bb.85:
	s_clause 0x1
	buffer_load_dword v12, off, s[0:3], 0 offset:40
	buffer_load_dword v13, off, s[0:3], 0 offset:44
	v_lshlrev_b64 v[14:15], 3, v[10:11]
	s_andn2_b32 vcc_lo, exec_lo, s46
	s_cbranch_vccnz .LBB202_87
; %bb.86:
	v_add_co_u32 v16, vcc_lo, v68, v14
	v_add_co_ci_u32_e64 v17, null, v69, v15, vcc_lo
	global_load_dwordx2 v[16:17], v[16:17], off
	s_waitcnt vmcnt(0)
	v_mul_f64 v[16:17], s[38:39], v[16:17]
	s_branch .LBB202_88
.LBB202_87:
	v_mov_b32_e32 v16, 0
	v_mov_b32_e32 v17, 0
.LBB202_88:
	s_waitcnt vmcnt(0)
	v_add_f64 v[12:13], v[12:13], v[16:17]
	v_add_co_u32 v14, vcc_lo, v72, v14
	v_add_co_ci_u32_e64 v15, null, v73, v15, vcc_lo
	global_store_dwordx2 v[14:15], v[12:13], off
.LBB202_89:
	s_or_b32 exec_lo, exec_lo, s10
	v_add_nc_u32_e32 v12, 24, v0
	v_cmp_gt_i32_e64 s10, s40, v12
	v_ashrrev_i32_e32 v13, 31, v12
	s_and_b32 s12, s13, s10
	s_and_saveexec_b32 s11, s12
	s_cbranch_execz .LBB202_94
; %bb.90:
	s_clause 0x1
	buffer_load_dword v14, off, s[0:3], 0 offset:48
	buffer_load_dword v15, off, s[0:3], 0 offset:52
	v_lshlrev_b64 v[16:17], 3, v[12:13]
	s_andn2_b32 vcc_lo, exec_lo, s46
	s_cbranch_vccnz .LBB202_92
; %bb.91:
	v_add_co_u32 v18, vcc_lo, v68, v16
	v_add_co_ci_u32_e64 v19, null, v69, v17, vcc_lo
	global_load_dwordx2 v[18:19], v[18:19], off
	s_waitcnt vmcnt(0)
	v_mul_f64 v[18:19], s[38:39], v[18:19]
	s_branch .LBB202_93
.LBB202_92:
	v_mov_b32_e32 v18, 0
	v_mov_b32_e32 v19, 0
.LBB202_93:
	s_waitcnt vmcnt(0)
	v_add_f64 v[14:15], v[14:15], v[18:19]
	v_add_co_u32 v16, vcc_lo, v72, v16
	v_add_co_ci_u32_e64 v17, null, v73, v17, vcc_lo
	global_store_dwordx2 v[16:17], v[14:15], off
.LBB202_94:
	s_or_b32 exec_lo, exec_lo, s11
	v_add_nc_u32_e32 v14, 28, v0
	v_cmp_gt_i32_e64 s11, s40, v14
	v_ashrrev_i32_e32 v15, 31, v14
	s_and_b32 s14, s13, s11
	s_and_saveexec_b32 s12, s14
	s_cbranch_execz .LBB202_99
; %bb.95:
	s_clause 0x1
	buffer_load_dword v16, off, s[0:3], 0 offset:56
	buffer_load_dword v17, off, s[0:3], 0 offset:60
	v_lshlrev_b64 v[18:19], 3, v[14:15]
	s_andn2_b32 vcc_lo, exec_lo, s46
	s_cbranch_vccnz .LBB202_97
; %bb.96:
	v_add_co_u32 v20, vcc_lo, v68, v18
	v_add_co_ci_u32_e64 v21, null, v69, v19, vcc_lo
	global_load_dwordx2 v[20:21], v[20:21], off
	s_waitcnt vmcnt(0)
	v_mul_f64 v[20:21], s[38:39], v[20:21]
	s_branch .LBB202_98
.LBB202_97:
	v_mov_b32_e32 v20, 0
	v_mov_b32_e32 v21, 0
.LBB202_98:
	s_waitcnt vmcnt(0)
	v_add_f64 v[16:17], v[16:17], v[20:21]
	v_add_co_u32 v18, vcc_lo, v72, v18
	v_add_co_ci_u32_e64 v19, null, v73, v19, vcc_lo
	global_store_dwordx2 v[18:19], v[16:17], off
.LBB202_99:
	s_or_b32 exec_lo, exec_lo, s12
	v_add_nc_u32_e32 v16, 32, v0
	v_cmp_gt_i32_e64 s12, s40, v16
	v_ashrrev_i32_e32 v17, 31, v16
	s_and_b32 s15, s13, s12
	s_and_saveexec_b32 s14, s15
	s_cbranch_execz .LBB202_104
; %bb.100:
	s_clause 0x1
	buffer_load_dword v18, off, s[0:3], 0 offset:64
	buffer_load_dword v19, off, s[0:3], 0 offset:68
	v_lshlrev_b64 v[20:21], 3, v[16:17]
	s_andn2_b32 vcc_lo, exec_lo, s46
	s_cbranch_vccnz .LBB202_102
; %bb.101:
	v_add_co_u32 v22, vcc_lo, v68, v20
	v_add_co_ci_u32_e64 v23, null, v69, v21, vcc_lo
	global_load_dwordx2 v[22:23], v[22:23], off
	s_waitcnt vmcnt(0)
	v_mul_f64 v[22:23], s[38:39], v[22:23]
	s_branch .LBB202_103
.LBB202_102:
	v_mov_b32_e32 v22, 0
	v_mov_b32_e32 v23, 0
.LBB202_103:
	s_waitcnt vmcnt(0)
	v_add_f64 v[18:19], v[18:19], v[22:23]
	v_add_co_u32 v20, vcc_lo, v72, v20
	v_add_co_ci_u32_e64 v21, null, v73, v21, vcc_lo
	global_store_dwordx2 v[20:21], v[18:19], off
.LBB202_104:
	s_or_b32 exec_lo, exec_lo, s14
	v_add_nc_u32_e32 v18, 36, v0
	v_cmp_gt_i32_e64 s14, s40, v18
	v_ashrrev_i32_e32 v19, 31, v18
	s_and_b32 s16, s13, s14
	s_and_saveexec_b32 s15, s16
	s_cbranch_execz .LBB202_109
; %bb.105:
	s_clause 0x1
	buffer_load_dword v20, off, s[0:3], 0 offset:72
	buffer_load_dword v21, off, s[0:3], 0 offset:76
	v_lshlrev_b64 v[22:23], 3, v[18:19]
	s_andn2_b32 vcc_lo, exec_lo, s46
	s_cbranch_vccnz .LBB202_107
; %bb.106:
	v_add_co_u32 v24, vcc_lo, v68, v22
	v_add_co_ci_u32_e64 v25, null, v69, v23, vcc_lo
	global_load_dwordx2 v[24:25], v[24:25], off
	s_waitcnt vmcnt(0)
	v_mul_f64 v[24:25], s[38:39], v[24:25]
	s_branch .LBB202_108
.LBB202_107:
	v_mov_b32_e32 v24, 0
	v_mov_b32_e32 v25, 0
.LBB202_108:
	s_waitcnt vmcnt(0)
	v_add_f64 v[20:21], v[20:21], v[24:25]
	v_add_co_u32 v22, vcc_lo, v72, v22
	v_add_co_ci_u32_e64 v23, null, v73, v23, vcc_lo
	global_store_dwordx2 v[22:23], v[20:21], off
.LBB202_109:
	s_or_b32 exec_lo, exec_lo, s15
	v_add_nc_u32_e32 v20, 40, v0
	v_cmp_gt_i32_e64 s15, s40, v20
	v_ashrrev_i32_e32 v21, 31, v20
	s_and_b32 s17, s13, s15
	s_and_saveexec_b32 s16, s17
	s_cbranch_execz .LBB202_114
; %bb.110:
	s_clause 0x1
	buffer_load_dword v22, off, s[0:3], 0 offset:80
	buffer_load_dword v23, off, s[0:3], 0 offset:84
	v_lshlrev_b64 v[24:25], 3, v[20:21]
	s_andn2_b32 vcc_lo, exec_lo, s46
	s_cbranch_vccnz .LBB202_112
; %bb.111:
	v_add_co_u32 v26, vcc_lo, v68, v24
	v_add_co_ci_u32_e64 v27, null, v69, v25, vcc_lo
	global_load_dwordx2 v[26:27], v[26:27], off
	s_waitcnt vmcnt(0)
	v_mul_f64 v[26:27], s[38:39], v[26:27]
	s_branch .LBB202_113
.LBB202_112:
	v_mov_b32_e32 v26, 0
	v_mov_b32_e32 v27, 0
.LBB202_113:
	s_waitcnt vmcnt(0)
	v_add_f64 v[22:23], v[22:23], v[26:27]
	v_add_co_u32 v24, vcc_lo, v72, v24
	v_add_co_ci_u32_e64 v25, null, v73, v25, vcc_lo
	global_store_dwordx2 v[24:25], v[22:23], off
.LBB202_114:
	s_or_b32 exec_lo, exec_lo, s16
	v_add_nc_u32_e32 v22, 44, v0
	v_cmp_gt_i32_e64 s16, s40, v22
	v_ashrrev_i32_e32 v23, 31, v22
	s_and_b32 s18, s13, s16
	s_and_saveexec_b32 s17, s18
	s_cbranch_execz .LBB202_119
; %bb.115:
	s_clause 0x1
	buffer_load_dword v24, off, s[0:3], 0 offset:88
	buffer_load_dword v25, off, s[0:3], 0 offset:92
	v_lshlrev_b64 v[26:27], 3, v[22:23]
	s_andn2_b32 vcc_lo, exec_lo, s46
	s_cbranch_vccnz .LBB202_117
; %bb.116:
	v_add_co_u32 v28, vcc_lo, v68, v26
	v_add_co_ci_u32_e64 v29, null, v69, v27, vcc_lo
	global_load_dwordx2 v[28:29], v[28:29], off
	s_waitcnt vmcnt(0)
	v_mul_f64 v[28:29], s[38:39], v[28:29]
	s_branch .LBB202_118
.LBB202_117:
	v_mov_b32_e32 v28, 0
	v_mov_b32_e32 v29, 0
.LBB202_118:
	s_waitcnt vmcnt(0)
	v_add_f64 v[24:25], v[24:25], v[28:29]
	v_add_co_u32 v26, vcc_lo, v72, v26
	v_add_co_ci_u32_e64 v27, null, v73, v27, vcc_lo
	global_store_dwordx2 v[26:27], v[24:25], off
.LBB202_119:
	s_or_b32 exec_lo, exec_lo, s17
	v_add_nc_u32_e32 v24, 48, v0
	v_cmp_gt_i32_e64 s17, s40, v24
	v_ashrrev_i32_e32 v25, 31, v24
	s_and_b32 s19, s13, s17
	s_and_saveexec_b32 s18, s19
	s_cbranch_execz .LBB202_124
; %bb.120:
	s_clause 0x1
	buffer_load_dword v26, off, s[0:3], 0 offset:96
	buffer_load_dword v27, off, s[0:3], 0 offset:100
	v_lshlrev_b64 v[28:29], 3, v[24:25]
	s_andn2_b32 vcc_lo, exec_lo, s46
	s_cbranch_vccnz .LBB202_122
; %bb.121:
	v_add_co_u32 v30, vcc_lo, v68, v28
	v_add_co_ci_u32_e64 v31, null, v69, v29, vcc_lo
	global_load_dwordx2 v[30:31], v[30:31], off
	s_waitcnt vmcnt(0)
	v_mul_f64 v[30:31], s[38:39], v[30:31]
	s_branch .LBB202_123
.LBB202_122:
	v_mov_b32_e32 v30, 0
	v_mov_b32_e32 v31, 0
.LBB202_123:
	s_waitcnt vmcnt(0)
	v_add_f64 v[26:27], v[26:27], v[30:31]
	v_add_co_u32 v28, vcc_lo, v72, v28
	v_add_co_ci_u32_e64 v29, null, v73, v29, vcc_lo
	global_store_dwordx2 v[28:29], v[26:27], off
.LBB202_124:
	s_or_b32 exec_lo, exec_lo, s18
	v_add_nc_u32_e32 v26, 52, v0
	v_cmp_gt_i32_e64 s18, s40, v26
	v_ashrrev_i32_e32 v27, 31, v26
	s_and_b32 s20, s13, s18
	s_and_saveexec_b32 s19, s20
	s_cbranch_execz .LBB202_129
; %bb.125:
	s_clause 0x1
	buffer_load_dword v28, off, s[0:3], 0 offset:104
	buffer_load_dword v29, off, s[0:3], 0 offset:108
	v_lshlrev_b64 v[30:31], 3, v[26:27]
	s_andn2_b32 vcc_lo, exec_lo, s46
	s_cbranch_vccnz .LBB202_127
; %bb.126:
	v_add_co_u32 v32, vcc_lo, v68, v30
	v_add_co_ci_u32_e64 v33, null, v69, v31, vcc_lo
	global_load_dwordx2 v[32:33], v[32:33], off
	s_waitcnt vmcnt(0)
	v_mul_f64 v[32:33], s[38:39], v[32:33]
	s_branch .LBB202_128
.LBB202_127:
	v_mov_b32_e32 v32, 0
	v_mov_b32_e32 v33, 0
.LBB202_128:
	s_waitcnt vmcnt(0)
	v_add_f64 v[28:29], v[28:29], v[32:33]
	v_add_co_u32 v30, vcc_lo, v72, v30
	v_add_co_ci_u32_e64 v31, null, v73, v31, vcc_lo
	global_store_dwordx2 v[30:31], v[28:29], off
.LBB202_129:
	s_or_b32 exec_lo, exec_lo, s19
	v_add_nc_u32_e32 v28, 56, v0
	v_cmp_gt_i32_e64 s19, s40, v28
	v_ashrrev_i32_e32 v29, 31, v28
	s_and_b32 s21, s13, s19
	s_and_saveexec_b32 s20, s21
	s_cbranch_execz .LBB202_134
; %bb.130:
	s_clause 0x1
	buffer_load_dword v30, off, s[0:3], 0 offset:112
	buffer_load_dword v31, off, s[0:3], 0 offset:116
	v_lshlrev_b64 v[32:33], 3, v[28:29]
	s_andn2_b32 vcc_lo, exec_lo, s46
	s_cbranch_vccnz .LBB202_132
; %bb.131:
	v_add_co_u32 v34, vcc_lo, v68, v32
	v_add_co_ci_u32_e64 v35, null, v69, v33, vcc_lo
	global_load_dwordx2 v[34:35], v[34:35], off
	s_waitcnt vmcnt(0)
	v_mul_f64 v[34:35], s[38:39], v[34:35]
	s_branch .LBB202_133
.LBB202_132:
	v_mov_b32_e32 v34, 0
	v_mov_b32_e32 v35, 0
.LBB202_133:
	s_waitcnt vmcnt(0)
	v_add_f64 v[30:31], v[30:31], v[34:35]
	v_add_co_u32 v32, vcc_lo, v72, v32
	v_add_co_ci_u32_e64 v33, null, v73, v33, vcc_lo
	global_store_dwordx2 v[32:33], v[30:31], off
.LBB202_134:
	s_or_b32 exec_lo, exec_lo, s20
	v_add_nc_u32_e32 v30, 60, v0
	v_cmp_gt_i32_e64 s20, s40, v30
	v_ashrrev_i32_e32 v31, 31, v30
	s_and_b32 s22, s13, s20
	s_and_saveexec_b32 s21, s22
	s_cbranch_execz .LBB202_139
; %bb.135:
	s_clause 0x1
	buffer_load_dword v32, off, s[0:3], 0 offset:120
	buffer_load_dword v33, off, s[0:3], 0 offset:124
	v_lshlrev_b64 v[34:35], 3, v[30:31]
	s_andn2_b32 vcc_lo, exec_lo, s46
	s_cbranch_vccnz .LBB202_137
; %bb.136:
	v_add_co_u32 v36, vcc_lo, v68, v34
	v_add_co_ci_u32_e64 v37, null, v69, v35, vcc_lo
	global_load_dwordx2 v[36:37], v[36:37], off
	s_waitcnt vmcnt(0)
	v_mul_f64 v[36:37], s[38:39], v[36:37]
	s_branch .LBB202_138
.LBB202_137:
	v_mov_b32_e32 v36, 0
	v_mov_b32_e32 v37, 0
.LBB202_138:
	s_waitcnt vmcnt(0)
	v_add_f64 v[32:33], v[32:33], v[36:37]
	v_add_co_u32 v34, vcc_lo, v72, v34
	v_add_co_ci_u32_e64 v35, null, v73, v35, vcc_lo
	global_store_dwordx2 v[34:35], v[32:33], off
.LBB202_139:
	s_or_b32 exec_lo, exec_lo, s21
	v_add_nc_u32_e32 v32, 64, v0
	v_cmp_gt_i32_e64 s21, s40, v32
	v_ashrrev_i32_e32 v33, 31, v32
	s_and_b32 s23, s13, s21
	s_and_saveexec_b32 s22, s23
	s_cbranch_execz .LBB202_144
; %bb.140:
	s_clause 0x1
	buffer_load_dword v34, off, s[0:3], 0 offset:128
	buffer_load_dword v35, off, s[0:3], 0 offset:132
	v_lshlrev_b64 v[36:37], 3, v[32:33]
	s_andn2_b32 vcc_lo, exec_lo, s46
	s_cbranch_vccnz .LBB202_142
; %bb.141:
	v_add_co_u32 v38, vcc_lo, v68, v36
	v_add_co_ci_u32_e64 v39, null, v69, v37, vcc_lo
	global_load_dwordx2 v[38:39], v[38:39], off
	s_waitcnt vmcnt(0)
	v_mul_f64 v[38:39], s[38:39], v[38:39]
	s_branch .LBB202_143
.LBB202_142:
	v_mov_b32_e32 v38, 0
	v_mov_b32_e32 v39, 0
.LBB202_143:
	s_waitcnt vmcnt(0)
	v_add_f64 v[34:35], v[34:35], v[38:39]
	v_add_co_u32 v36, vcc_lo, v72, v36
	v_add_co_ci_u32_e64 v37, null, v73, v37, vcc_lo
	global_store_dwordx2 v[36:37], v[34:35], off
.LBB202_144:
	s_or_b32 exec_lo, exec_lo, s22
	v_add_nc_u32_e32 v34, 0x44, v0
	v_cmp_gt_i32_e64 s22, s40, v34
	v_ashrrev_i32_e32 v35, 31, v34
	s_and_b32 s24, s13, s22
	s_and_saveexec_b32 s23, s24
	s_cbranch_execz .LBB202_149
; %bb.145:
	s_clause 0x1
	buffer_load_dword v36, off, s[0:3], 0 offset:136
	buffer_load_dword v37, off, s[0:3], 0 offset:140
	v_lshlrev_b64 v[38:39], 3, v[34:35]
	s_andn2_b32 vcc_lo, exec_lo, s46
	s_cbranch_vccnz .LBB202_147
; %bb.146:
	v_add_co_u32 v40, vcc_lo, v68, v38
	v_add_co_ci_u32_e64 v41, null, v69, v39, vcc_lo
	global_load_dwordx2 v[40:41], v[40:41], off
	s_waitcnt vmcnt(0)
	v_mul_f64 v[40:41], s[38:39], v[40:41]
	s_branch .LBB202_148
.LBB202_147:
	v_mov_b32_e32 v40, 0
	v_mov_b32_e32 v41, 0
.LBB202_148:
	s_waitcnt vmcnt(0)
	v_add_f64 v[36:37], v[36:37], v[40:41]
	v_add_co_u32 v38, vcc_lo, v72, v38
	v_add_co_ci_u32_e64 v39, null, v73, v39, vcc_lo
	global_store_dwordx2 v[38:39], v[36:37], off
.LBB202_149:
	s_or_b32 exec_lo, exec_lo, s23
	v_add_nc_u32_e32 v36, 0x48, v0
	v_cmp_gt_i32_e64 s23, s40, v36
	v_ashrrev_i32_e32 v37, 31, v36
	s_and_b32 s25, s13, s23
	s_and_saveexec_b32 s24, s25
	s_cbranch_execz .LBB202_154
; %bb.150:
	s_clause 0x1
	buffer_load_dword v38, off, s[0:3], 0 offset:144
	buffer_load_dword v39, off, s[0:3], 0 offset:148
	v_lshlrev_b64 v[40:41], 3, v[36:37]
	s_andn2_b32 vcc_lo, exec_lo, s46
	s_cbranch_vccnz .LBB202_152
; %bb.151:
	v_add_co_u32 v42, vcc_lo, v68, v40
	v_add_co_ci_u32_e64 v43, null, v69, v41, vcc_lo
	global_load_dwordx2 v[42:43], v[42:43], off
	s_waitcnt vmcnt(0)
	v_mul_f64 v[42:43], s[38:39], v[42:43]
	s_branch .LBB202_153
.LBB202_152:
	v_mov_b32_e32 v42, 0
	v_mov_b32_e32 v43, 0
.LBB202_153:
	s_waitcnt vmcnt(0)
	v_add_f64 v[38:39], v[38:39], v[42:43]
	v_add_co_u32 v40, vcc_lo, v72, v40
	v_add_co_ci_u32_e64 v41, null, v73, v41, vcc_lo
	global_store_dwordx2 v[40:41], v[38:39], off
.LBB202_154:
	s_or_b32 exec_lo, exec_lo, s24
	v_add_nc_u32_e32 v38, 0x4c, v0
	v_cmp_gt_i32_e64 s24, s40, v38
	v_ashrrev_i32_e32 v39, 31, v38
	s_and_b32 s26, s13, s24
	s_and_saveexec_b32 s25, s26
	s_cbranch_execz .LBB202_159
; %bb.155:
	s_clause 0x1
	buffer_load_dword v40, off, s[0:3], 0 offset:152
	buffer_load_dword v41, off, s[0:3], 0 offset:156
	v_lshlrev_b64 v[42:43], 3, v[38:39]
	s_andn2_b32 vcc_lo, exec_lo, s46
	s_cbranch_vccnz .LBB202_157
; %bb.156:
	v_add_co_u32 v44, vcc_lo, v68, v42
	v_add_co_ci_u32_e64 v45, null, v69, v43, vcc_lo
	global_load_dwordx2 v[44:45], v[44:45], off
	s_waitcnt vmcnt(0)
	v_mul_f64 v[44:45], s[38:39], v[44:45]
	s_branch .LBB202_158
.LBB202_157:
	v_mov_b32_e32 v44, 0
	v_mov_b32_e32 v45, 0
.LBB202_158:
	s_waitcnt vmcnt(0)
	v_add_f64 v[40:41], v[40:41], v[44:45]
	v_add_co_u32 v42, vcc_lo, v72, v42
	v_add_co_ci_u32_e64 v43, null, v73, v43, vcc_lo
	global_store_dwordx2 v[42:43], v[40:41], off
.LBB202_159:
	s_or_b32 exec_lo, exec_lo, s25
	v_add_nc_u32_e32 v40, 0x50, v0
	v_cmp_gt_i32_e64 s25, s40, v40
	v_ashrrev_i32_e32 v41, 31, v40
	s_and_b32 s27, s13, s25
	s_and_saveexec_b32 s26, s27
	s_cbranch_execz .LBB202_164
; %bb.160:
	s_clause 0x1
	buffer_load_dword v42, off, s[0:3], 0 offset:160
	buffer_load_dword v43, off, s[0:3], 0 offset:164
	v_lshlrev_b64 v[44:45], 3, v[40:41]
	s_andn2_b32 vcc_lo, exec_lo, s46
	s_cbranch_vccnz .LBB202_162
; %bb.161:
	v_add_co_u32 v46, vcc_lo, v68, v44
	v_add_co_ci_u32_e64 v47, null, v69, v45, vcc_lo
	global_load_dwordx2 v[46:47], v[46:47], off
	s_waitcnt vmcnt(0)
	v_mul_f64 v[46:47], s[38:39], v[46:47]
	s_branch .LBB202_163
.LBB202_162:
	v_mov_b32_e32 v46, 0
	v_mov_b32_e32 v47, 0
.LBB202_163:
	s_waitcnt vmcnt(0)
	v_add_f64 v[42:43], v[42:43], v[46:47]
	v_add_co_u32 v44, vcc_lo, v72, v44
	v_add_co_ci_u32_e64 v45, null, v73, v45, vcc_lo
	global_store_dwordx2 v[44:45], v[42:43], off
.LBB202_164:
	s_or_b32 exec_lo, exec_lo, s26
	v_add_nc_u32_e32 v42, 0x54, v0
	v_cmp_gt_i32_e64 s26, s40, v42
	v_ashrrev_i32_e32 v43, 31, v42
	s_and_b32 s28, s13, s26
	s_and_saveexec_b32 s27, s28
	s_cbranch_execz .LBB202_169
; %bb.165:
	s_clause 0x1
	buffer_load_dword v44, off, s[0:3], 0 offset:168
	buffer_load_dword v45, off, s[0:3], 0 offset:172
	v_lshlrev_b64 v[46:47], 3, v[42:43]
	s_andn2_b32 vcc_lo, exec_lo, s46
	s_cbranch_vccnz .LBB202_167
; %bb.166:
	v_add_co_u32 v48, vcc_lo, v68, v46
	v_add_co_ci_u32_e64 v49, null, v69, v47, vcc_lo
	global_load_dwordx2 v[48:49], v[48:49], off
	s_waitcnt vmcnt(0)
	v_mul_f64 v[48:49], s[38:39], v[48:49]
	s_branch .LBB202_168
.LBB202_167:
	v_mov_b32_e32 v48, 0
	v_mov_b32_e32 v49, 0
.LBB202_168:
	s_waitcnt vmcnt(0)
	v_add_f64 v[44:45], v[44:45], v[48:49]
	v_add_co_u32 v46, vcc_lo, v72, v46
	v_add_co_ci_u32_e64 v47, null, v73, v47, vcc_lo
	global_store_dwordx2 v[46:47], v[44:45], off
.LBB202_169:
	s_or_b32 exec_lo, exec_lo, s27
	v_add_nc_u32_e32 v44, 0x58, v0
	v_cmp_gt_i32_e64 s27, s40, v44
	v_ashrrev_i32_e32 v45, 31, v44
	s_and_b32 s29, s13, s27
	s_and_saveexec_b32 s28, s29
	s_cbranch_execz .LBB202_174
; %bb.170:
	s_clause 0x1
	buffer_load_dword v46, off, s[0:3], 0 offset:176
	buffer_load_dword v47, off, s[0:3], 0 offset:180
	v_lshlrev_b64 v[48:49], 3, v[44:45]
	s_andn2_b32 vcc_lo, exec_lo, s46
	s_cbranch_vccnz .LBB202_172
; %bb.171:
	v_add_co_u32 v50, vcc_lo, v68, v48
	v_add_co_ci_u32_e64 v51, null, v69, v49, vcc_lo
	global_load_dwordx2 v[50:51], v[50:51], off
	s_waitcnt vmcnt(0)
	v_mul_f64 v[50:51], s[38:39], v[50:51]
	s_branch .LBB202_173
.LBB202_172:
	v_mov_b32_e32 v50, 0
	v_mov_b32_e32 v51, 0
.LBB202_173:
	s_waitcnt vmcnt(0)
	v_add_f64 v[46:47], v[46:47], v[50:51]
	v_add_co_u32 v48, vcc_lo, v72, v48
	v_add_co_ci_u32_e64 v49, null, v73, v49, vcc_lo
	global_store_dwordx2 v[48:49], v[46:47], off
.LBB202_174:
	s_or_b32 exec_lo, exec_lo, s28
	v_add_nc_u32_e32 v46, 0x5c, v0
	v_cmp_gt_i32_e64 s28, s40, v46
	v_ashrrev_i32_e32 v47, 31, v46
	s_and_b32 s30, s13, s28
	s_and_saveexec_b32 s29, s30
	s_cbranch_execz .LBB202_179
; %bb.175:
	s_clause 0x1
	buffer_load_dword v48, off, s[0:3], 0 offset:184
	buffer_load_dword v49, off, s[0:3], 0 offset:188
	v_lshlrev_b64 v[50:51], 3, v[46:47]
	s_andn2_b32 vcc_lo, exec_lo, s46
	s_cbranch_vccnz .LBB202_177
; %bb.176:
	v_add_co_u32 v52, vcc_lo, v68, v50
	v_add_co_ci_u32_e64 v53, null, v69, v51, vcc_lo
	global_load_dwordx2 v[52:53], v[52:53], off
	s_waitcnt vmcnt(0)
	v_mul_f64 v[52:53], s[38:39], v[52:53]
	s_branch .LBB202_178
.LBB202_177:
	v_mov_b32_e32 v52, 0
	v_mov_b32_e32 v53, 0
.LBB202_178:
	s_waitcnt vmcnt(0)
	v_add_f64 v[48:49], v[48:49], v[52:53]
	v_add_co_u32 v50, vcc_lo, v72, v50
	v_add_co_ci_u32_e64 v51, null, v73, v51, vcc_lo
	global_store_dwordx2 v[50:51], v[48:49], off
.LBB202_179:
	s_or_b32 exec_lo, exec_lo, s29
	v_add_nc_u32_e32 v48, 0x60, v0
	v_cmp_gt_i32_e64 s29, s40, v48
	v_ashrrev_i32_e32 v49, 31, v48
	s_and_b32 s31, s13, s29
	s_and_saveexec_b32 s30, s31
	s_cbranch_execz .LBB202_184
; %bb.180:
	s_clause 0x1
	buffer_load_dword v50, off, s[0:3], 0 offset:192
	buffer_load_dword v51, off, s[0:3], 0 offset:196
	v_lshlrev_b64 v[52:53], 3, v[48:49]
	s_andn2_b32 vcc_lo, exec_lo, s46
	s_cbranch_vccnz .LBB202_182
; %bb.181:
	v_add_co_u32 v54, vcc_lo, v68, v52
	v_add_co_ci_u32_e64 v55, null, v69, v53, vcc_lo
	global_load_dwordx2 v[54:55], v[54:55], off
	s_waitcnt vmcnt(0)
	v_mul_f64 v[54:55], s[38:39], v[54:55]
	s_branch .LBB202_183
.LBB202_182:
	v_mov_b32_e32 v54, 0
	v_mov_b32_e32 v55, 0
.LBB202_183:
	s_waitcnt vmcnt(0)
	v_add_f64 v[50:51], v[50:51], v[54:55]
	v_add_co_u32 v52, vcc_lo, v72, v52
	v_add_co_ci_u32_e64 v53, null, v73, v53, vcc_lo
	global_store_dwordx2 v[52:53], v[50:51], off
.LBB202_184:
	s_or_b32 exec_lo, exec_lo, s30
	v_add_nc_u32_e32 v50, 0x64, v0
	v_cmp_gt_i32_e64 s30, s40, v50
	v_ashrrev_i32_e32 v51, 31, v50
	s_and_b32 s33, s13, s30
	s_and_saveexec_b32 s31, s33
	s_cbranch_execz .LBB202_189
; %bb.185:
	s_clause 0x1
	buffer_load_dword v52, off, s[0:3], 0 offset:200
	buffer_load_dword v53, off, s[0:3], 0 offset:204
	v_lshlrev_b64 v[54:55], 3, v[50:51]
	s_andn2_b32 vcc_lo, exec_lo, s46
	s_cbranch_vccnz .LBB202_187
; %bb.186:
	v_add_co_u32 v56, vcc_lo, v68, v54
	v_add_co_ci_u32_e64 v57, null, v69, v55, vcc_lo
	global_load_dwordx2 v[56:57], v[56:57], off
	s_waitcnt vmcnt(0)
	v_mul_f64 v[56:57], s[38:39], v[56:57]
	s_branch .LBB202_188
.LBB202_187:
	v_mov_b32_e32 v56, 0
	v_mov_b32_e32 v57, 0
.LBB202_188:
	s_waitcnt vmcnt(0)
	v_add_f64 v[52:53], v[52:53], v[56:57]
	v_add_co_u32 v54, vcc_lo, v72, v54
	v_add_co_ci_u32_e64 v55, null, v73, v55, vcc_lo
	global_store_dwordx2 v[54:55], v[52:53], off
.LBB202_189:
	s_or_b32 exec_lo, exec_lo, s31
	v_add_nc_u32_e32 v52, 0x68, v0
	v_cmp_gt_i32_e64 s31, s40, v52
	v_ashrrev_i32_e32 v53, 31, v52
	s_and_b32 s34, s13, s31
	s_and_saveexec_b32 s33, s34
	s_cbranch_execz .LBB202_194
; %bb.190:
	s_clause 0x1
	buffer_load_dword v54, off, s[0:3], 0 offset:208
	buffer_load_dword v55, off, s[0:3], 0 offset:212
	v_lshlrev_b64 v[56:57], 3, v[52:53]
	s_andn2_b32 vcc_lo, exec_lo, s46
	s_cbranch_vccnz .LBB202_192
; %bb.191:
	v_add_co_u32 v58, vcc_lo, v68, v56
	v_add_co_ci_u32_e64 v59, null, v69, v57, vcc_lo
	global_load_dwordx2 v[58:59], v[58:59], off
	s_waitcnt vmcnt(0)
	v_mul_f64 v[58:59], s[38:39], v[58:59]
	s_branch .LBB202_193
.LBB202_192:
	v_mov_b32_e32 v58, 0
	v_mov_b32_e32 v59, 0
.LBB202_193:
	s_waitcnt vmcnt(0)
	v_add_f64 v[54:55], v[54:55], v[58:59]
	v_add_co_u32 v56, vcc_lo, v72, v56
	v_add_co_ci_u32_e64 v57, null, v73, v57, vcc_lo
	global_store_dwordx2 v[56:57], v[54:55], off
.LBB202_194:
	s_or_b32 exec_lo, exec_lo, s33
	v_add_nc_u32_e32 v54, 0x6c, v0
	v_cmp_gt_i32_e64 s33, s40, v54
	v_ashrrev_i32_e32 v55, 31, v54
	s_and_b32 s35, s13, s33
	s_and_saveexec_b32 s34, s35
	s_cbranch_execz .LBB202_199
; %bb.195:
	s_clause 0x1
	buffer_load_dword v56, off, s[0:3], 0 offset:216
	buffer_load_dword v57, off, s[0:3], 0 offset:220
	v_lshlrev_b64 v[58:59], 3, v[54:55]
	s_andn2_b32 vcc_lo, exec_lo, s46
	s_cbranch_vccnz .LBB202_197
; %bb.196:
	v_add_co_u32 v60, vcc_lo, v68, v58
	v_add_co_ci_u32_e64 v61, null, v69, v59, vcc_lo
	global_load_dwordx2 v[60:61], v[60:61], off
	s_waitcnt vmcnt(0)
	v_mul_f64 v[60:61], s[38:39], v[60:61]
	s_branch .LBB202_198
.LBB202_197:
	v_mov_b32_e32 v60, 0
	v_mov_b32_e32 v61, 0
.LBB202_198:
	s_waitcnt vmcnt(0)
	v_add_f64 v[56:57], v[56:57], v[60:61]
	v_add_co_u32 v58, vcc_lo, v72, v58
	v_add_co_ci_u32_e64 v59, null, v73, v59, vcc_lo
	global_store_dwordx2 v[58:59], v[56:57], off
.LBB202_199:
	s_or_b32 exec_lo, exec_lo, s34
	v_add_nc_u32_e32 v56, 0x70, v0
	v_cmp_gt_i32_e64 s34, s40, v56
	v_ashrrev_i32_e32 v57, 31, v56
	s_and_b32 s36, s13, s34
	s_and_saveexec_b32 s35, s36
	s_cbranch_execz .LBB202_204
; %bb.200:
	s_clause 0x1
	buffer_load_dword v58, off, s[0:3], 0 offset:224
	buffer_load_dword v59, off, s[0:3], 0 offset:228
	v_lshlrev_b64 v[60:61], 3, v[56:57]
	s_andn2_b32 vcc_lo, exec_lo, s46
	s_cbranch_vccnz .LBB202_202
; %bb.201:
	v_add_co_u32 v62, vcc_lo, v68, v60
	v_add_co_ci_u32_e64 v63, null, v69, v61, vcc_lo
	global_load_dwordx2 v[62:63], v[62:63], off
	s_waitcnt vmcnt(0)
	v_mul_f64 v[62:63], s[38:39], v[62:63]
	s_branch .LBB202_203
.LBB202_202:
	v_mov_b32_e32 v62, 0
	v_mov_b32_e32 v63, 0
.LBB202_203:
	s_waitcnt vmcnt(0)
	v_add_f64 v[58:59], v[58:59], v[62:63]
	v_add_co_u32 v60, vcc_lo, v72, v60
	v_add_co_ci_u32_e64 v61, null, v73, v61, vcc_lo
	global_store_dwordx2 v[60:61], v[58:59], off
.LBB202_204:
	s_or_b32 exec_lo, exec_lo, s35
	v_add_nc_u32_e32 v58, 0x74, v0
	v_cmp_gt_i32_e64 s35, s40, v58
	v_ashrrev_i32_e32 v59, 31, v58
	s_and_b32 s37, s13, s35
	s_and_saveexec_b32 s36, s37
	s_cbranch_execz .LBB202_209
; %bb.205:
	s_clause 0x1
	buffer_load_dword v60, off, s[0:3], 0 offset:232
	buffer_load_dword v61, off, s[0:3], 0 offset:236
	v_lshlrev_b64 v[62:63], 3, v[58:59]
	s_andn2_b32 vcc_lo, exec_lo, s46
	s_cbranch_vccnz .LBB202_207
; %bb.206:
	v_add_co_u32 v64, vcc_lo, v68, v62
	v_add_co_ci_u32_e64 v65, null, v69, v63, vcc_lo
	global_load_dwordx2 v[64:65], v[64:65], off
	s_waitcnt vmcnt(0)
	v_mul_f64 v[64:65], s[38:39], v[64:65]
	s_branch .LBB202_208
.LBB202_207:
	v_mov_b32_e32 v64, 0
	v_mov_b32_e32 v65, 0
.LBB202_208:
	s_waitcnt vmcnt(0)
	v_add_f64 v[60:61], v[60:61], v[64:65]
	v_add_co_u32 v62, vcc_lo, v72, v62
	v_add_co_ci_u32_e64 v63, null, v73, v63, vcc_lo
	global_store_dwordx2 v[62:63], v[60:61], off
.LBB202_209:
	s_or_b32 exec_lo, exec_lo, s36
	v_add_nc_u32_e32 v60, 0x78, v0
	v_cmp_gt_i32_e64 s36, s40, v60
	v_ashrrev_i32_e32 v61, 31, v60
	s_and_b32 s49, s13, s36
	s_and_saveexec_b32 s37, s49
	s_cbranch_execz .LBB202_214
; %bb.210:
	s_clause 0x1
	buffer_load_dword v62, off, s[0:3], 0 offset:240
	buffer_load_dword v63, off, s[0:3], 0 offset:244
	v_lshlrev_b64 v[64:65], 3, v[60:61]
	s_andn2_b32 vcc_lo, exec_lo, s46
	s_cbranch_vccnz .LBB202_212
; %bb.211:
	v_add_co_u32 v66, vcc_lo, v68, v64
	v_add_co_ci_u32_e64 v67, null, v69, v65, vcc_lo
	global_load_dwordx2 v[66:67], v[66:67], off
	s_waitcnt vmcnt(0)
	v_mul_f64 v[66:67], s[38:39], v[66:67]
	s_branch .LBB202_213
.LBB202_212:
	v_mov_b32_e32 v66, 0
	v_mov_b32_e32 v67, 0
.LBB202_213:
	s_waitcnt vmcnt(0)
	v_add_f64 v[62:63], v[62:63], v[66:67]
	v_add_co_u32 v64, vcc_lo, v72, v64
	v_add_co_ci_u32_e64 v65, null, v73, v65, vcc_lo
	global_store_dwordx2 v[64:65], v[62:63], off
.LBB202_214:
	s_or_b32 exec_lo, exec_lo, s37
	v_add_nc_u32_e32 v62, 0x7c, v0
	v_cmp_gt_i32_e64 s37, s40, v62
	v_ashrrev_i32_e32 v63, 31, v62
	s_and_b32 s40, s13, s37
	s_and_saveexec_b32 s13, s40
	s_cbranch_execz .LBB202_219
; %bb.215:
	s_clause 0x1
	buffer_load_dword v64, off, s[0:3], 0 offset:248
	buffer_load_dword v65, off, s[0:3], 0 offset:252
	v_lshlrev_b64 v[66:67], 3, v[62:63]
	s_andn2_b32 vcc_lo, exec_lo, s46
	s_cbranch_vccnz .LBB202_217
; %bb.216:
	v_add_co_u32 v68, vcc_lo, v68, v66
	v_add_co_ci_u32_e64 v69, null, v69, v67, vcc_lo
	global_load_dwordx2 v[68:69], v[68:69], off
	s_waitcnt vmcnt(0)
	v_mul_f64 v[68:69], s[38:39], v[68:69]
	s_branch .LBB202_218
.LBB202_217:
	v_mov_b32_e32 v68, 0
	v_mov_b32_e32 v69, 0
.LBB202_218:
	s_waitcnt vmcnt(0)
	v_add_f64 v[64:65], v[64:65], v[68:69]
	v_add_co_u32 v66, vcc_lo, v72, v66
	v_add_co_ci_u32_e64 v67, null, v73, v67, vcc_lo
	global_store_dwordx2 v[66:67], v[64:65], off
.LBB202_219:
	s_or_b32 exec_lo, exec_lo, s13
	v_add_nc_u32_e32 v68, 64, v71
	v_mad_i64_i32 v[64:65], null, v68, s43, 0
	v_mad_i64_i32 v[66:67], null, v68, s42, 0
	v_cmp_gt_i32_e64 s13, s41, v68
	v_lshlrev_b64 v[64:65], 3, v[64:65]
	s_and_b32 s4, s13, s4
	v_lshlrev_b64 v[66:67], 3, v[66:67]
	v_add_co_u32 v71, vcc_lo, s44, v64
	v_add_co_ci_u32_e64 v72, null, s45, v65, vcc_lo
	v_add_co_u32 v68, vcc_lo, s47, v66
	v_add_co_ci_u32_e64 v69, null, s48, v67, vcc_lo
	s_and_saveexec_b32 s40, s4
	s_xor_b32 s4, exec_lo, s40
	s_cbranch_execnz .LBB202_252
; %bb.220:
	s_or_b32 exec_lo, exec_lo, s4
	s_and_b32 s5, s13, s5
	s_and_saveexec_b32 s4, s5
	s_cbranch_execnz .LBB202_256
.LBB202_221:
	s_or_b32 exec_lo, exec_lo, s4
	s_and_b32 s5, s13, s6
	s_and_saveexec_b32 s4, s5
	s_cbranch_execnz .LBB202_260
.LBB202_222:
	s_or_b32 exec_lo, exec_lo, s4
	s_and_b32 s5, s13, s7
	s_and_saveexec_b32 s4, s5
	s_cbranch_execnz .LBB202_264
.LBB202_223:
	s_or_b32 exec_lo, exec_lo, s4
	s_and_b32 s5, s13, s8
	s_and_saveexec_b32 s4, s5
	s_cbranch_execnz .LBB202_268
.LBB202_224:
	s_or_b32 exec_lo, exec_lo, s4
	s_and_b32 s5, s13, s9
	s_and_saveexec_b32 s4, s5
	s_cbranch_execnz .LBB202_272
.LBB202_225:
	s_or_b32 exec_lo, exec_lo, s4
	s_and_b32 s5, s13, s10
	s_and_saveexec_b32 s4, s5
	s_cbranch_execnz .LBB202_276
.LBB202_226:
	s_or_b32 exec_lo, exec_lo, s4
	s_and_b32 s5, s13, s11
	s_and_saveexec_b32 s4, s5
	s_cbranch_execnz .LBB202_280
.LBB202_227:
	s_or_b32 exec_lo, exec_lo, s4
	s_and_b32 s5, s13, s12
	s_and_saveexec_b32 s4, s5
	s_cbranch_execnz .LBB202_284
.LBB202_228:
	s_or_b32 exec_lo, exec_lo, s4
	s_and_b32 s5, s13, s14
	s_and_saveexec_b32 s4, s5
	s_cbranch_execnz .LBB202_288
.LBB202_229:
	s_or_b32 exec_lo, exec_lo, s4
	s_and_b32 s5, s13, s15
	s_and_saveexec_b32 s4, s5
	s_cbranch_execnz .LBB202_292
.LBB202_230:
	s_or_b32 exec_lo, exec_lo, s4
	s_and_b32 s5, s13, s16
	s_and_saveexec_b32 s4, s5
	s_cbranch_execnz .LBB202_296
.LBB202_231:
	s_or_b32 exec_lo, exec_lo, s4
	s_and_b32 s5, s13, s17
	s_and_saveexec_b32 s4, s5
	s_cbranch_execnz .LBB202_300
.LBB202_232:
	s_or_b32 exec_lo, exec_lo, s4
	s_and_b32 s5, s13, s18
	s_and_saveexec_b32 s4, s5
	s_cbranch_execnz .LBB202_304
.LBB202_233:
	s_or_b32 exec_lo, exec_lo, s4
	s_and_b32 s5, s13, s19
	s_and_saveexec_b32 s4, s5
	s_cbranch_execnz .LBB202_308
.LBB202_234:
	s_or_b32 exec_lo, exec_lo, s4
	s_and_b32 s5, s13, s20
	s_and_saveexec_b32 s4, s5
	s_cbranch_execnz .LBB202_312
.LBB202_235:
	s_or_b32 exec_lo, exec_lo, s4
	s_and_b32 s5, s13, s21
	s_and_saveexec_b32 s4, s5
	s_cbranch_execnz .LBB202_316
.LBB202_236:
	s_or_b32 exec_lo, exec_lo, s4
	s_and_b32 s5, s13, s22
	s_and_saveexec_b32 s4, s5
	s_cbranch_execnz .LBB202_320
.LBB202_237:
	s_or_b32 exec_lo, exec_lo, s4
	s_and_b32 s5, s13, s23
	s_and_saveexec_b32 s4, s5
	s_cbranch_execnz .LBB202_324
.LBB202_238:
	s_or_b32 exec_lo, exec_lo, s4
	s_and_b32 s5, s13, s24
	s_and_saveexec_b32 s4, s5
	s_cbranch_execnz .LBB202_328
.LBB202_239:
	s_or_b32 exec_lo, exec_lo, s4
	s_and_b32 s5, s13, s25
	s_and_saveexec_b32 s4, s5
	s_cbranch_execnz .LBB202_332
.LBB202_240:
	s_or_b32 exec_lo, exec_lo, s4
	s_and_b32 s5, s13, s26
	s_and_saveexec_b32 s4, s5
	s_cbranch_execnz .LBB202_336
.LBB202_241:
	s_or_b32 exec_lo, exec_lo, s4
	s_and_b32 s5, s13, s27
	s_and_saveexec_b32 s4, s5
	s_cbranch_execnz .LBB202_340
.LBB202_242:
	s_or_b32 exec_lo, exec_lo, s4
	s_and_b32 s5, s13, s28
	s_and_saveexec_b32 s4, s5
	s_cbranch_execnz .LBB202_344
.LBB202_243:
	s_or_b32 exec_lo, exec_lo, s4
	s_and_b32 s5, s13, s29
	s_and_saveexec_b32 s4, s5
	s_cbranch_execnz .LBB202_348
.LBB202_244:
	s_or_b32 exec_lo, exec_lo, s4
	s_and_b32 s5, s13, s30
	s_and_saveexec_b32 s4, s5
	s_cbranch_execnz .LBB202_352
.LBB202_245:
	s_or_b32 exec_lo, exec_lo, s4
	s_and_b32 s5, s13, s31
	s_and_saveexec_b32 s4, s5
	s_cbranch_execnz .LBB202_356
.LBB202_246:
	s_or_b32 exec_lo, exec_lo, s4
	s_and_b32 s5, s13, s33
	s_and_saveexec_b32 s4, s5
	s_cbranch_execnz .LBB202_360
.LBB202_247:
	s_or_b32 exec_lo, exec_lo, s4
	s_and_b32 s5, s13, s34
	s_and_saveexec_b32 s4, s5
	s_cbranch_execnz .LBB202_364
.LBB202_248:
	s_or_b32 exec_lo, exec_lo, s4
	s_and_b32 s5, s13, s35
	s_and_saveexec_b32 s4, s5
	s_cbranch_execnz .LBB202_368
.LBB202_249:
	s_or_b32 exec_lo, exec_lo, s4
	s_and_b32 s5, s13, s36
	s_and_saveexec_b32 s4, s5
	s_cbranch_execnz .LBB202_372
.LBB202_250:
	s_or_b32 exec_lo, exec_lo, s4
	s_and_b32 s4, s13, s37
	s_and_saveexec_b32 s5, s4
	s_cbranch_execnz .LBB202_376
.LBB202_251:
	s_endpgm
.LBB202_252:
	s_clause 0x1
	buffer_load_dword v64, off, s[0:3], 0 offset:256
	buffer_load_dword v65, off, s[0:3], 0 offset:260
	v_lshlrev_b64 v[0:1], 3, v[0:1]
	s_andn2_b32 vcc_lo, exec_lo, s46
	s_cbranch_vccnz .LBB202_254
; %bb.253:
	v_add_co_u32 v66, vcc_lo, v71, v0
	v_add_co_ci_u32_e64 v67, null, v72, v1, vcc_lo
	global_load_dwordx2 v[66:67], v[66:67], off
	s_waitcnt vmcnt(0)
	v_mul_f64 v[66:67], s[38:39], v[66:67]
	s_branch .LBB202_255
.LBB202_254:
	v_mov_b32_e32 v66, 0
	v_mov_b32_e32 v67, 0
.LBB202_255:
	s_waitcnt vmcnt(0)
	v_add_f64 v[64:65], v[64:65], v[66:67]
	v_add_co_u32 v0, vcc_lo, v68, v0
	v_add_co_ci_u32_e64 v1, null, v69, v1, vcc_lo
	global_store_dwordx2 v[0:1], v[64:65], off
	s_or_b32 exec_lo, exec_lo, s4
	s_and_b32 s5, s13, s5
	s_and_saveexec_b32 s4, s5
	s_cbranch_execz .LBB202_221
.LBB202_256:
	s_clause 0x1
	buffer_load_dword v0, off, s[0:3], 0 offset:264
	buffer_load_dword v1, off, s[0:3], 0 offset:268
	v_cmp_ne_u32_e32 vcc_lo, 1, v70
	v_lshlrev_b64 v[2:3], 3, v[2:3]
	s_cbranch_vccnz .LBB202_258
; %bb.257:
	v_add_co_u32 v64, vcc_lo, v71, v2
	v_add_co_ci_u32_e64 v65, null, v72, v3, vcc_lo
	global_load_dwordx2 v[64:65], v[64:65], off
	s_waitcnt vmcnt(0)
	v_mul_f64 v[64:65], s[38:39], v[64:65]
	s_branch .LBB202_259
.LBB202_258:
	v_mov_b32_e32 v64, 0
	v_mov_b32_e32 v65, 0
.LBB202_259:
	s_waitcnt vmcnt(0)
	v_add_f64 v[0:1], v[0:1], v[64:65]
	v_add_co_u32 v2, vcc_lo, v68, v2
	v_add_co_ci_u32_e64 v3, null, v69, v3, vcc_lo
	global_store_dwordx2 v[2:3], v[0:1], off
	s_or_b32 exec_lo, exec_lo, s4
	s_and_b32 s5, s13, s6
	s_and_saveexec_b32 s4, s5
	s_cbranch_execz .LBB202_222
.LBB202_260:
	s_clause 0x1
	buffer_load_dword v0, off, s[0:3], 0 offset:272
	buffer_load_dword v1, off, s[0:3], 0 offset:276
	v_cmp_ne_u32_e32 vcc_lo, 1, v70
	v_lshlrev_b64 v[2:3], 3, v[4:5]
	s_cbranch_vccnz .LBB202_262
; %bb.261:
	v_add_co_u32 v4, vcc_lo, v71, v2
	v_add_co_ci_u32_e64 v5, null, v72, v3, vcc_lo
	global_load_dwordx2 v[4:5], v[4:5], off
	s_waitcnt vmcnt(0)
	v_mul_f64 v[4:5], s[38:39], v[4:5]
	s_branch .LBB202_263
.LBB202_262:
	v_mov_b32_e32 v4, 0
	v_mov_b32_e32 v5, 0
.LBB202_263:
	s_waitcnt vmcnt(0)
	v_add_f64 v[0:1], v[0:1], v[4:5]
	v_add_co_u32 v2, vcc_lo, v68, v2
	v_add_co_ci_u32_e64 v3, null, v69, v3, vcc_lo
	global_store_dwordx2 v[2:3], v[0:1], off
	s_or_b32 exec_lo, exec_lo, s4
	s_and_b32 s5, s13, s7
	s_and_saveexec_b32 s4, s5
	s_cbranch_execz .LBB202_223
.LBB202_264:
	s_clause 0x1
	buffer_load_dword v0, off, s[0:3], 0 offset:280
	buffer_load_dword v1, off, s[0:3], 0 offset:284
	v_cmp_ne_u32_e32 vcc_lo, 1, v70
	v_lshlrev_b64 v[2:3], 3, v[6:7]
	s_cbranch_vccnz .LBB202_266
; %bb.265:
	v_add_co_u32 v4, vcc_lo, v71, v2
	v_add_co_ci_u32_e64 v5, null, v72, v3, vcc_lo
	global_load_dwordx2 v[4:5], v[4:5], off
	s_waitcnt vmcnt(0)
	v_mul_f64 v[4:5], s[38:39], v[4:5]
	s_branch .LBB202_267
.LBB202_266:
	v_mov_b32_e32 v4, 0
	v_mov_b32_e32 v5, 0
.LBB202_267:
	s_waitcnt vmcnt(0)
	v_add_f64 v[0:1], v[0:1], v[4:5]
	v_add_co_u32 v2, vcc_lo, v68, v2
	v_add_co_ci_u32_e64 v3, null, v69, v3, vcc_lo
	global_store_dwordx2 v[2:3], v[0:1], off
	s_or_b32 exec_lo, exec_lo, s4
	s_and_b32 s5, s13, s8
	s_and_saveexec_b32 s4, s5
	s_cbranch_execz .LBB202_224
.LBB202_268:
	s_clause 0x1
	buffer_load_dword v0, off, s[0:3], 0 offset:288
	buffer_load_dword v1, off, s[0:3], 0 offset:292
	v_cmp_ne_u32_e32 vcc_lo, 1, v70
	v_lshlrev_b64 v[2:3], 3, v[8:9]
	s_cbranch_vccnz .LBB202_270
; %bb.269:
	v_add_co_u32 v4, vcc_lo, v71, v2
	v_add_co_ci_u32_e64 v5, null, v72, v3, vcc_lo
	global_load_dwordx2 v[4:5], v[4:5], off
	s_waitcnt vmcnt(0)
	v_mul_f64 v[4:5], s[38:39], v[4:5]
	s_branch .LBB202_271
.LBB202_270:
	v_mov_b32_e32 v4, 0
	v_mov_b32_e32 v5, 0
.LBB202_271:
	s_waitcnt vmcnt(0)
	v_add_f64 v[0:1], v[0:1], v[4:5]
	v_add_co_u32 v2, vcc_lo, v68, v2
	v_add_co_ci_u32_e64 v3, null, v69, v3, vcc_lo
	global_store_dwordx2 v[2:3], v[0:1], off
	s_or_b32 exec_lo, exec_lo, s4
	s_and_b32 s5, s13, s9
	s_and_saveexec_b32 s4, s5
	s_cbranch_execz .LBB202_225
.LBB202_272:
	s_clause 0x1
	buffer_load_dword v0, off, s[0:3], 0 offset:296
	buffer_load_dword v1, off, s[0:3], 0 offset:300
	v_cmp_ne_u32_e32 vcc_lo, 1, v70
	v_lshlrev_b64 v[2:3], 3, v[10:11]
	s_cbranch_vccnz .LBB202_274
; %bb.273:
	v_add_co_u32 v4, vcc_lo, v71, v2
	v_add_co_ci_u32_e64 v5, null, v72, v3, vcc_lo
	global_load_dwordx2 v[4:5], v[4:5], off
	s_waitcnt vmcnt(0)
	v_mul_f64 v[4:5], s[38:39], v[4:5]
	s_branch .LBB202_275
.LBB202_274:
	v_mov_b32_e32 v4, 0
	v_mov_b32_e32 v5, 0
.LBB202_275:
	s_waitcnt vmcnt(0)
	v_add_f64 v[0:1], v[0:1], v[4:5]
	v_add_co_u32 v2, vcc_lo, v68, v2
	v_add_co_ci_u32_e64 v3, null, v69, v3, vcc_lo
	global_store_dwordx2 v[2:3], v[0:1], off
	s_or_b32 exec_lo, exec_lo, s4
	s_and_b32 s5, s13, s10
	s_and_saveexec_b32 s4, s5
	s_cbranch_execz .LBB202_226
.LBB202_276:
	s_clause 0x1
	buffer_load_dword v0, off, s[0:3], 0 offset:304
	buffer_load_dword v1, off, s[0:3], 0 offset:308
	v_cmp_ne_u32_e32 vcc_lo, 1, v70
	v_lshlrev_b64 v[2:3], 3, v[12:13]
	s_cbranch_vccnz .LBB202_278
; %bb.277:
	v_add_co_u32 v4, vcc_lo, v71, v2
	v_add_co_ci_u32_e64 v5, null, v72, v3, vcc_lo
	global_load_dwordx2 v[4:5], v[4:5], off
	s_waitcnt vmcnt(0)
	v_mul_f64 v[4:5], s[38:39], v[4:5]
	s_branch .LBB202_279
.LBB202_278:
	v_mov_b32_e32 v4, 0
	v_mov_b32_e32 v5, 0
.LBB202_279:
	s_waitcnt vmcnt(0)
	v_add_f64 v[0:1], v[0:1], v[4:5]
	v_add_co_u32 v2, vcc_lo, v68, v2
	v_add_co_ci_u32_e64 v3, null, v69, v3, vcc_lo
	global_store_dwordx2 v[2:3], v[0:1], off
	s_or_b32 exec_lo, exec_lo, s4
	s_and_b32 s5, s13, s11
	s_and_saveexec_b32 s4, s5
	s_cbranch_execz .LBB202_227
.LBB202_280:
	s_clause 0x1
	buffer_load_dword v0, off, s[0:3], 0 offset:312
	buffer_load_dword v1, off, s[0:3], 0 offset:316
	v_cmp_ne_u32_e32 vcc_lo, 1, v70
	v_lshlrev_b64 v[2:3], 3, v[14:15]
	s_cbranch_vccnz .LBB202_282
; %bb.281:
	v_add_co_u32 v4, vcc_lo, v71, v2
	v_add_co_ci_u32_e64 v5, null, v72, v3, vcc_lo
	global_load_dwordx2 v[4:5], v[4:5], off
	s_waitcnt vmcnt(0)
	v_mul_f64 v[4:5], s[38:39], v[4:5]
	s_branch .LBB202_283
.LBB202_282:
	v_mov_b32_e32 v4, 0
	v_mov_b32_e32 v5, 0
.LBB202_283:
	s_waitcnt vmcnt(0)
	v_add_f64 v[0:1], v[0:1], v[4:5]
	v_add_co_u32 v2, vcc_lo, v68, v2
	v_add_co_ci_u32_e64 v3, null, v69, v3, vcc_lo
	global_store_dwordx2 v[2:3], v[0:1], off
	s_or_b32 exec_lo, exec_lo, s4
	s_and_b32 s5, s13, s12
	s_and_saveexec_b32 s4, s5
	s_cbranch_execz .LBB202_228
.LBB202_284:
	s_clause 0x1
	buffer_load_dword v0, off, s[0:3], 0 offset:320
	buffer_load_dword v1, off, s[0:3], 0 offset:324
	v_cmp_ne_u32_e32 vcc_lo, 1, v70
	v_lshlrev_b64 v[2:3], 3, v[16:17]
	s_cbranch_vccnz .LBB202_286
; %bb.285:
	v_add_co_u32 v4, vcc_lo, v71, v2
	v_add_co_ci_u32_e64 v5, null, v72, v3, vcc_lo
	global_load_dwordx2 v[4:5], v[4:5], off
	s_waitcnt vmcnt(0)
	v_mul_f64 v[4:5], s[38:39], v[4:5]
	s_branch .LBB202_287
.LBB202_286:
	v_mov_b32_e32 v4, 0
	v_mov_b32_e32 v5, 0
.LBB202_287:
	s_waitcnt vmcnt(0)
	v_add_f64 v[0:1], v[0:1], v[4:5]
	v_add_co_u32 v2, vcc_lo, v68, v2
	v_add_co_ci_u32_e64 v3, null, v69, v3, vcc_lo
	global_store_dwordx2 v[2:3], v[0:1], off
	s_or_b32 exec_lo, exec_lo, s4
	s_and_b32 s5, s13, s14
	s_and_saveexec_b32 s4, s5
	s_cbranch_execz .LBB202_229
.LBB202_288:
	s_clause 0x1
	buffer_load_dword v0, off, s[0:3], 0 offset:328
	buffer_load_dword v1, off, s[0:3], 0 offset:332
	v_cmp_ne_u32_e32 vcc_lo, 1, v70
	v_lshlrev_b64 v[2:3], 3, v[18:19]
	s_cbranch_vccnz .LBB202_290
; %bb.289:
	v_add_co_u32 v4, vcc_lo, v71, v2
	v_add_co_ci_u32_e64 v5, null, v72, v3, vcc_lo
	global_load_dwordx2 v[4:5], v[4:5], off
	s_waitcnt vmcnt(0)
	v_mul_f64 v[4:5], s[38:39], v[4:5]
	s_branch .LBB202_291
.LBB202_290:
	v_mov_b32_e32 v4, 0
	v_mov_b32_e32 v5, 0
.LBB202_291:
	s_waitcnt vmcnt(0)
	v_add_f64 v[0:1], v[0:1], v[4:5]
	v_add_co_u32 v2, vcc_lo, v68, v2
	v_add_co_ci_u32_e64 v3, null, v69, v3, vcc_lo
	global_store_dwordx2 v[2:3], v[0:1], off
	s_or_b32 exec_lo, exec_lo, s4
	s_and_b32 s5, s13, s15
	s_and_saveexec_b32 s4, s5
	s_cbranch_execz .LBB202_230
.LBB202_292:
	s_clause 0x1
	buffer_load_dword v0, off, s[0:3], 0 offset:336
	buffer_load_dword v1, off, s[0:3], 0 offset:340
	v_cmp_ne_u32_e32 vcc_lo, 1, v70
	v_lshlrev_b64 v[2:3], 3, v[20:21]
	s_cbranch_vccnz .LBB202_294
; %bb.293:
	v_add_co_u32 v4, vcc_lo, v71, v2
	v_add_co_ci_u32_e64 v5, null, v72, v3, vcc_lo
	global_load_dwordx2 v[4:5], v[4:5], off
	s_waitcnt vmcnt(0)
	v_mul_f64 v[4:5], s[38:39], v[4:5]
	s_branch .LBB202_295
.LBB202_294:
	v_mov_b32_e32 v4, 0
	v_mov_b32_e32 v5, 0
.LBB202_295:
	s_waitcnt vmcnt(0)
	v_add_f64 v[0:1], v[0:1], v[4:5]
	v_add_co_u32 v2, vcc_lo, v68, v2
	v_add_co_ci_u32_e64 v3, null, v69, v3, vcc_lo
	global_store_dwordx2 v[2:3], v[0:1], off
	s_or_b32 exec_lo, exec_lo, s4
	s_and_b32 s5, s13, s16
	s_and_saveexec_b32 s4, s5
	s_cbranch_execz .LBB202_231
.LBB202_296:
	s_clause 0x1
	buffer_load_dword v0, off, s[0:3], 0 offset:344
	buffer_load_dword v1, off, s[0:3], 0 offset:348
	v_cmp_ne_u32_e32 vcc_lo, 1, v70
	v_lshlrev_b64 v[2:3], 3, v[22:23]
	s_cbranch_vccnz .LBB202_298
; %bb.297:
	v_add_co_u32 v4, vcc_lo, v71, v2
	v_add_co_ci_u32_e64 v5, null, v72, v3, vcc_lo
	global_load_dwordx2 v[4:5], v[4:5], off
	s_waitcnt vmcnt(0)
	v_mul_f64 v[4:5], s[38:39], v[4:5]
	s_branch .LBB202_299
.LBB202_298:
	v_mov_b32_e32 v4, 0
	v_mov_b32_e32 v5, 0
.LBB202_299:
	s_waitcnt vmcnt(0)
	v_add_f64 v[0:1], v[0:1], v[4:5]
	v_add_co_u32 v2, vcc_lo, v68, v2
	v_add_co_ci_u32_e64 v3, null, v69, v3, vcc_lo
	global_store_dwordx2 v[2:3], v[0:1], off
	s_or_b32 exec_lo, exec_lo, s4
	s_and_b32 s5, s13, s17
	s_and_saveexec_b32 s4, s5
	s_cbranch_execz .LBB202_232
.LBB202_300:
	s_clause 0x1
	buffer_load_dword v0, off, s[0:3], 0 offset:352
	buffer_load_dword v1, off, s[0:3], 0 offset:356
	v_cmp_ne_u32_e32 vcc_lo, 1, v70
	v_lshlrev_b64 v[2:3], 3, v[24:25]
	s_cbranch_vccnz .LBB202_302
; %bb.301:
	v_add_co_u32 v4, vcc_lo, v71, v2
	v_add_co_ci_u32_e64 v5, null, v72, v3, vcc_lo
	global_load_dwordx2 v[4:5], v[4:5], off
	s_waitcnt vmcnt(0)
	v_mul_f64 v[4:5], s[38:39], v[4:5]
	s_branch .LBB202_303
.LBB202_302:
	v_mov_b32_e32 v4, 0
	v_mov_b32_e32 v5, 0
.LBB202_303:
	s_waitcnt vmcnt(0)
	v_add_f64 v[0:1], v[0:1], v[4:5]
	v_add_co_u32 v2, vcc_lo, v68, v2
	v_add_co_ci_u32_e64 v3, null, v69, v3, vcc_lo
	global_store_dwordx2 v[2:3], v[0:1], off
	s_or_b32 exec_lo, exec_lo, s4
	s_and_b32 s5, s13, s18
	s_and_saveexec_b32 s4, s5
	s_cbranch_execz .LBB202_233
.LBB202_304:
	s_clause 0x1
	buffer_load_dword v0, off, s[0:3], 0 offset:360
	buffer_load_dword v1, off, s[0:3], 0 offset:364
	v_cmp_ne_u32_e32 vcc_lo, 1, v70
	v_lshlrev_b64 v[2:3], 3, v[26:27]
	s_cbranch_vccnz .LBB202_306
; %bb.305:
	v_add_co_u32 v4, vcc_lo, v71, v2
	v_add_co_ci_u32_e64 v5, null, v72, v3, vcc_lo
	global_load_dwordx2 v[4:5], v[4:5], off
	s_waitcnt vmcnt(0)
	v_mul_f64 v[4:5], s[38:39], v[4:5]
	s_branch .LBB202_307
.LBB202_306:
	v_mov_b32_e32 v4, 0
	v_mov_b32_e32 v5, 0
.LBB202_307:
	s_waitcnt vmcnt(0)
	v_add_f64 v[0:1], v[0:1], v[4:5]
	v_add_co_u32 v2, vcc_lo, v68, v2
	v_add_co_ci_u32_e64 v3, null, v69, v3, vcc_lo
	global_store_dwordx2 v[2:3], v[0:1], off
	s_or_b32 exec_lo, exec_lo, s4
	s_and_b32 s5, s13, s19
	s_and_saveexec_b32 s4, s5
	s_cbranch_execz .LBB202_234
.LBB202_308:
	s_clause 0x1
	buffer_load_dword v0, off, s[0:3], 0 offset:368
	buffer_load_dword v1, off, s[0:3], 0 offset:372
	v_cmp_ne_u32_e32 vcc_lo, 1, v70
	v_lshlrev_b64 v[2:3], 3, v[28:29]
	s_cbranch_vccnz .LBB202_310
; %bb.309:
	v_add_co_u32 v4, vcc_lo, v71, v2
	v_add_co_ci_u32_e64 v5, null, v72, v3, vcc_lo
	global_load_dwordx2 v[4:5], v[4:5], off
	s_waitcnt vmcnt(0)
	v_mul_f64 v[4:5], s[38:39], v[4:5]
	s_branch .LBB202_311
.LBB202_310:
	v_mov_b32_e32 v4, 0
	v_mov_b32_e32 v5, 0
.LBB202_311:
	s_waitcnt vmcnt(0)
	v_add_f64 v[0:1], v[0:1], v[4:5]
	v_add_co_u32 v2, vcc_lo, v68, v2
	v_add_co_ci_u32_e64 v3, null, v69, v3, vcc_lo
	global_store_dwordx2 v[2:3], v[0:1], off
	s_or_b32 exec_lo, exec_lo, s4
	s_and_b32 s5, s13, s20
	s_and_saveexec_b32 s4, s5
	s_cbranch_execz .LBB202_235
.LBB202_312:
	s_clause 0x1
	buffer_load_dword v0, off, s[0:3], 0 offset:376
	buffer_load_dword v1, off, s[0:3], 0 offset:380
	v_cmp_ne_u32_e32 vcc_lo, 1, v70
	v_lshlrev_b64 v[2:3], 3, v[30:31]
	s_cbranch_vccnz .LBB202_314
; %bb.313:
	v_add_co_u32 v4, vcc_lo, v71, v2
	v_add_co_ci_u32_e64 v5, null, v72, v3, vcc_lo
	global_load_dwordx2 v[4:5], v[4:5], off
	s_waitcnt vmcnt(0)
	v_mul_f64 v[4:5], s[38:39], v[4:5]
	s_branch .LBB202_315
.LBB202_314:
	v_mov_b32_e32 v4, 0
	v_mov_b32_e32 v5, 0
.LBB202_315:
	s_waitcnt vmcnt(0)
	v_add_f64 v[0:1], v[0:1], v[4:5]
	v_add_co_u32 v2, vcc_lo, v68, v2
	v_add_co_ci_u32_e64 v3, null, v69, v3, vcc_lo
	global_store_dwordx2 v[2:3], v[0:1], off
	s_or_b32 exec_lo, exec_lo, s4
	s_and_b32 s5, s13, s21
	s_and_saveexec_b32 s4, s5
	s_cbranch_execz .LBB202_236
.LBB202_316:
	s_clause 0x1
	buffer_load_dword v0, off, s[0:3], 0 offset:384
	buffer_load_dword v1, off, s[0:3], 0 offset:388
	v_cmp_ne_u32_e32 vcc_lo, 1, v70
	v_lshlrev_b64 v[2:3], 3, v[32:33]
	s_cbranch_vccnz .LBB202_318
; %bb.317:
	v_add_co_u32 v4, vcc_lo, v71, v2
	v_add_co_ci_u32_e64 v5, null, v72, v3, vcc_lo
	global_load_dwordx2 v[4:5], v[4:5], off
	s_waitcnt vmcnt(0)
	v_mul_f64 v[4:5], s[38:39], v[4:5]
	s_branch .LBB202_319
.LBB202_318:
	v_mov_b32_e32 v4, 0
	v_mov_b32_e32 v5, 0
.LBB202_319:
	s_waitcnt vmcnt(0)
	v_add_f64 v[0:1], v[0:1], v[4:5]
	v_add_co_u32 v2, vcc_lo, v68, v2
	v_add_co_ci_u32_e64 v3, null, v69, v3, vcc_lo
	global_store_dwordx2 v[2:3], v[0:1], off
	s_or_b32 exec_lo, exec_lo, s4
	s_and_b32 s5, s13, s22
	s_and_saveexec_b32 s4, s5
	s_cbranch_execz .LBB202_237
.LBB202_320:
	s_clause 0x1
	buffer_load_dword v0, off, s[0:3], 0 offset:392
	buffer_load_dword v1, off, s[0:3], 0 offset:396
	v_cmp_ne_u32_e32 vcc_lo, 1, v70
	v_lshlrev_b64 v[2:3], 3, v[34:35]
	s_cbranch_vccnz .LBB202_322
; %bb.321:
	v_add_co_u32 v4, vcc_lo, v71, v2
	v_add_co_ci_u32_e64 v5, null, v72, v3, vcc_lo
	global_load_dwordx2 v[4:5], v[4:5], off
	s_waitcnt vmcnt(0)
	v_mul_f64 v[4:5], s[38:39], v[4:5]
	s_branch .LBB202_323
.LBB202_322:
	v_mov_b32_e32 v4, 0
	v_mov_b32_e32 v5, 0
.LBB202_323:
	s_waitcnt vmcnt(0)
	v_add_f64 v[0:1], v[0:1], v[4:5]
	v_add_co_u32 v2, vcc_lo, v68, v2
	v_add_co_ci_u32_e64 v3, null, v69, v3, vcc_lo
	global_store_dwordx2 v[2:3], v[0:1], off
	s_or_b32 exec_lo, exec_lo, s4
	s_and_b32 s5, s13, s23
	s_and_saveexec_b32 s4, s5
	s_cbranch_execz .LBB202_238
.LBB202_324:
	s_clause 0x1
	buffer_load_dword v0, off, s[0:3], 0 offset:400
	buffer_load_dword v1, off, s[0:3], 0 offset:404
	v_cmp_ne_u32_e32 vcc_lo, 1, v70
	v_lshlrev_b64 v[2:3], 3, v[36:37]
	s_cbranch_vccnz .LBB202_326
; %bb.325:
	v_add_co_u32 v4, vcc_lo, v71, v2
	v_add_co_ci_u32_e64 v5, null, v72, v3, vcc_lo
	global_load_dwordx2 v[4:5], v[4:5], off
	s_waitcnt vmcnt(0)
	v_mul_f64 v[4:5], s[38:39], v[4:5]
	s_branch .LBB202_327
.LBB202_326:
	v_mov_b32_e32 v4, 0
	v_mov_b32_e32 v5, 0
.LBB202_327:
	s_waitcnt vmcnt(0)
	v_add_f64 v[0:1], v[0:1], v[4:5]
	v_add_co_u32 v2, vcc_lo, v68, v2
	v_add_co_ci_u32_e64 v3, null, v69, v3, vcc_lo
	global_store_dwordx2 v[2:3], v[0:1], off
	s_or_b32 exec_lo, exec_lo, s4
	s_and_b32 s5, s13, s24
	s_and_saveexec_b32 s4, s5
	s_cbranch_execz .LBB202_239
.LBB202_328:
	s_clause 0x1
	buffer_load_dword v0, off, s[0:3], 0 offset:408
	buffer_load_dword v1, off, s[0:3], 0 offset:412
	v_cmp_ne_u32_e32 vcc_lo, 1, v70
	v_lshlrev_b64 v[2:3], 3, v[38:39]
	s_cbranch_vccnz .LBB202_330
; %bb.329:
	v_add_co_u32 v4, vcc_lo, v71, v2
	v_add_co_ci_u32_e64 v5, null, v72, v3, vcc_lo
	global_load_dwordx2 v[4:5], v[4:5], off
	s_waitcnt vmcnt(0)
	v_mul_f64 v[4:5], s[38:39], v[4:5]
	s_branch .LBB202_331
.LBB202_330:
	v_mov_b32_e32 v4, 0
	v_mov_b32_e32 v5, 0
.LBB202_331:
	s_waitcnt vmcnt(0)
	v_add_f64 v[0:1], v[0:1], v[4:5]
	v_add_co_u32 v2, vcc_lo, v68, v2
	v_add_co_ci_u32_e64 v3, null, v69, v3, vcc_lo
	global_store_dwordx2 v[2:3], v[0:1], off
	s_or_b32 exec_lo, exec_lo, s4
	s_and_b32 s5, s13, s25
	s_and_saveexec_b32 s4, s5
	s_cbranch_execz .LBB202_240
.LBB202_332:
	s_clause 0x1
	buffer_load_dword v0, off, s[0:3], 0 offset:416
	buffer_load_dword v1, off, s[0:3], 0 offset:420
	v_cmp_ne_u32_e32 vcc_lo, 1, v70
	v_lshlrev_b64 v[2:3], 3, v[40:41]
	s_cbranch_vccnz .LBB202_334
; %bb.333:
	v_add_co_u32 v4, vcc_lo, v71, v2
	v_add_co_ci_u32_e64 v5, null, v72, v3, vcc_lo
	global_load_dwordx2 v[4:5], v[4:5], off
	s_waitcnt vmcnt(0)
	v_mul_f64 v[4:5], s[38:39], v[4:5]
	s_branch .LBB202_335
.LBB202_334:
	v_mov_b32_e32 v4, 0
	v_mov_b32_e32 v5, 0
.LBB202_335:
	s_waitcnt vmcnt(0)
	v_add_f64 v[0:1], v[0:1], v[4:5]
	v_add_co_u32 v2, vcc_lo, v68, v2
	v_add_co_ci_u32_e64 v3, null, v69, v3, vcc_lo
	global_store_dwordx2 v[2:3], v[0:1], off
	s_or_b32 exec_lo, exec_lo, s4
	s_and_b32 s5, s13, s26
	s_and_saveexec_b32 s4, s5
	s_cbranch_execz .LBB202_241
.LBB202_336:
	s_clause 0x1
	buffer_load_dword v0, off, s[0:3], 0 offset:424
	buffer_load_dword v1, off, s[0:3], 0 offset:428
	v_cmp_ne_u32_e32 vcc_lo, 1, v70
	v_lshlrev_b64 v[2:3], 3, v[42:43]
	s_cbranch_vccnz .LBB202_338
; %bb.337:
	v_add_co_u32 v4, vcc_lo, v71, v2
	v_add_co_ci_u32_e64 v5, null, v72, v3, vcc_lo
	global_load_dwordx2 v[4:5], v[4:5], off
	s_waitcnt vmcnt(0)
	v_mul_f64 v[4:5], s[38:39], v[4:5]
	s_branch .LBB202_339
.LBB202_338:
	v_mov_b32_e32 v4, 0
	v_mov_b32_e32 v5, 0
.LBB202_339:
	s_waitcnt vmcnt(0)
	v_add_f64 v[0:1], v[0:1], v[4:5]
	v_add_co_u32 v2, vcc_lo, v68, v2
	v_add_co_ci_u32_e64 v3, null, v69, v3, vcc_lo
	global_store_dwordx2 v[2:3], v[0:1], off
	s_or_b32 exec_lo, exec_lo, s4
	s_and_b32 s5, s13, s27
	s_and_saveexec_b32 s4, s5
	s_cbranch_execz .LBB202_242
.LBB202_340:
	s_clause 0x1
	buffer_load_dword v0, off, s[0:3], 0 offset:432
	buffer_load_dword v1, off, s[0:3], 0 offset:436
	v_cmp_ne_u32_e32 vcc_lo, 1, v70
	v_lshlrev_b64 v[2:3], 3, v[44:45]
	s_cbranch_vccnz .LBB202_342
; %bb.341:
	v_add_co_u32 v4, vcc_lo, v71, v2
	v_add_co_ci_u32_e64 v5, null, v72, v3, vcc_lo
	global_load_dwordx2 v[4:5], v[4:5], off
	s_waitcnt vmcnt(0)
	v_mul_f64 v[4:5], s[38:39], v[4:5]
	s_branch .LBB202_343
.LBB202_342:
	v_mov_b32_e32 v4, 0
	v_mov_b32_e32 v5, 0
.LBB202_343:
	s_waitcnt vmcnt(0)
	v_add_f64 v[0:1], v[0:1], v[4:5]
	v_add_co_u32 v2, vcc_lo, v68, v2
	v_add_co_ci_u32_e64 v3, null, v69, v3, vcc_lo
	global_store_dwordx2 v[2:3], v[0:1], off
	s_or_b32 exec_lo, exec_lo, s4
	s_and_b32 s5, s13, s28
	s_and_saveexec_b32 s4, s5
	s_cbranch_execz .LBB202_243
.LBB202_344:
	s_clause 0x1
	buffer_load_dword v0, off, s[0:3], 0 offset:440
	buffer_load_dword v1, off, s[0:3], 0 offset:444
	v_cmp_ne_u32_e32 vcc_lo, 1, v70
	v_lshlrev_b64 v[2:3], 3, v[46:47]
	s_cbranch_vccnz .LBB202_346
; %bb.345:
	v_add_co_u32 v4, vcc_lo, v71, v2
	v_add_co_ci_u32_e64 v5, null, v72, v3, vcc_lo
	global_load_dwordx2 v[4:5], v[4:5], off
	s_waitcnt vmcnt(0)
	v_mul_f64 v[4:5], s[38:39], v[4:5]
	s_branch .LBB202_347
.LBB202_346:
	v_mov_b32_e32 v4, 0
	v_mov_b32_e32 v5, 0
.LBB202_347:
	s_waitcnt vmcnt(0)
	v_add_f64 v[0:1], v[0:1], v[4:5]
	v_add_co_u32 v2, vcc_lo, v68, v2
	v_add_co_ci_u32_e64 v3, null, v69, v3, vcc_lo
	global_store_dwordx2 v[2:3], v[0:1], off
	s_or_b32 exec_lo, exec_lo, s4
	s_and_b32 s5, s13, s29
	s_and_saveexec_b32 s4, s5
	s_cbranch_execz .LBB202_244
.LBB202_348:
	s_clause 0x1
	buffer_load_dword v0, off, s[0:3], 0 offset:448
	buffer_load_dword v1, off, s[0:3], 0 offset:452
	v_cmp_ne_u32_e32 vcc_lo, 1, v70
	v_lshlrev_b64 v[2:3], 3, v[48:49]
	s_cbranch_vccnz .LBB202_350
; %bb.349:
	v_add_co_u32 v4, vcc_lo, v71, v2
	v_add_co_ci_u32_e64 v5, null, v72, v3, vcc_lo
	global_load_dwordx2 v[4:5], v[4:5], off
	s_waitcnt vmcnt(0)
	v_mul_f64 v[4:5], s[38:39], v[4:5]
	s_branch .LBB202_351
.LBB202_350:
	v_mov_b32_e32 v4, 0
	v_mov_b32_e32 v5, 0
.LBB202_351:
	s_waitcnt vmcnt(0)
	v_add_f64 v[0:1], v[0:1], v[4:5]
	v_add_co_u32 v2, vcc_lo, v68, v2
	v_add_co_ci_u32_e64 v3, null, v69, v3, vcc_lo
	global_store_dwordx2 v[2:3], v[0:1], off
	s_or_b32 exec_lo, exec_lo, s4
	s_and_b32 s5, s13, s30
	s_and_saveexec_b32 s4, s5
	s_cbranch_execz .LBB202_245
.LBB202_352:
	s_clause 0x1
	buffer_load_dword v0, off, s[0:3], 0 offset:456
	buffer_load_dword v1, off, s[0:3], 0 offset:460
	v_cmp_ne_u32_e32 vcc_lo, 1, v70
	v_lshlrev_b64 v[2:3], 3, v[50:51]
	s_cbranch_vccnz .LBB202_354
; %bb.353:
	v_add_co_u32 v4, vcc_lo, v71, v2
	v_add_co_ci_u32_e64 v5, null, v72, v3, vcc_lo
	global_load_dwordx2 v[4:5], v[4:5], off
	s_waitcnt vmcnt(0)
	v_mul_f64 v[4:5], s[38:39], v[4:5]
	s_branch .LBB202_355
.LBB202_354:
	v_mov_b32_e32 v4, 0
	v_mov_b32_e32 v5, 0
.LBB202_355:
	s_waitcnt vmcnt(0)
	v_add_f64 v[0:1], v[0:1], v[4:5]
	v_add_co_u32 v2, vcc_lo, v68, v2
	v_add_co_ci_u32_e64 v3, null, v69, v3, vcc_lo
	global_store_dwordx2 v[2:3], v[0:1], off
	s_or_b32 exec_lo, exec_lo, s4
	s_and_b32 s5, s13, s31
	s_and_saveexec_b32 s4, s5
	s_cbranch_execz .LBB202_246
.LBB202_356:
	s_clause 0x1
	buffer_load_dword v0, off, s[0:3], 0 offset:464
	buffer_load_dword v1, off, s[0:3], 0 offset:468
	v_cmp_ne_u32_e32 vcc_lo, 1, v70
	v_lshlrev_b64 v[2:3], 3, v[52:53]
	s_cbranch_vccnz .LBB202_358
; %bb.357:
	v_add_co_u32 v4, vcc_lo, v71, v2
	v_add_co_ci_u32_e64 v5, null, v72, v3, vcc_lo
	global_load_dwordx2 v[4:5], v[4:5], off
	s_waitcnt vmcnt(0)
	v_mul_f64 v[4:5], s[38:39], v[4:5]
	s_branch .LBB202_359
.LBB202_358:
	v_mov_b32_e32 v4, 0
	v_mov_b32_e32 v5, 0
.LBB202_359:
	s_waitcnt vmcnt(0)
	v_add_f64 v[0:1], v[0:1], v[4:5]
	v_add_co_u32 v2, vcc_lo, v68, v2
	v_add_co_ci_u32_e64 v3, null, v69, v3, vcc_lo
	global_store_dwordx2 v[2:3], v[0:1], off
	s_or_b32 exec_lo, exec_lo, s4
	s_and_b32 s5, s13, s33
	s_and_saveexec_b32 s4, s5
	s_cbranch_execz .LBB202_247
.LBB202_360:
	s_clause 0x1
	buffer_load_dword v0, off, s[0:3], 0 offset:472
	buffer_load_dword v1, off, s[0:3], 0 offset:476
	v_cmp_ne_u32_e32 vcc_lo, 1, v70
	v_lshlrev_b64 v[2:3], 3, v[54:55]
	s_cbranch_vccnz .LBB202_362
; %bb.361:
	v_add_co_u32 v4, vcc_lo, v71, v2
	v_add_co_ci_u32_e64 v5, null, v72, v3, vcc_lo
	global_load_dwordx2 v[4:5], v[4:5], off
	s_waitcnt vmcnt(0)
	v_mul_f64 v[4:5], s[38:39], v[4:5]
	s_branch .LBB202_363
.LBB202_362:
	v_mov_b32_e32 v4, 0
	v_mov_b32_e32 v5, 0
.LBB202_363:
	s_waitcnt vmcnt(0)
	v_add_f64 v[0:1], v[0:1], v[4:5]
	v_add_co_u32 v2, vcc_lo, v68, v2
	v_add_co_ci_u32_e64 v3, null, v69, v3, vcc_lo
	global_store_dwordx2 v[2:3], v[0:1], off
	s_or_b32 exec_lo, exec_lo, s4
	s_and_b32 s5, s13, s34
	s_and_saveexec_b32 s4, s5
	s_cbranch_execz .LBB202_248
.LBB202_364:
	s_clause 0x1
	buffer_load_dword v0, off, s[0:3], 0 offset:480
	buffer_load_dword v1, off, s[0:3], 0 offset:484
	v_cmp_ne_u32_e32 vcc_lo, 1, v70
	v_lshlrev_b64 v[2:3], 3, v[56:57]
	s_cbranch_vccnz .LBB202_366
; %bb.365:
	v_add_co_u32 v4, vcc_lo, v71, v2
	v_add_co_ci_u32_e64 v5, null, v72, v3, vcc_lo
	global_load_dwordx2 v[4:5], v[4:5], off
	s_waitcnt vmcnt(0)
	v_mul_f64 v[4:5], s[38:39], v[4:5]
	s_branch .LBB202_367
.LBB202_366:
	v_mov_b32_e32 v4, 0
	v_mov_b32_e32 v5, 0
.LBB202_367:
	s_waitcnt vmcnt(0)
	v_add_f64 v[0:1], v[0:1], v[4:5]
	v_add_co_u32 v2, vcc_lo, v68, v2
	v_add_co_ci_u32_e64 v3, null, v69, v3, vcc_lo
	global_store_dwordx2 v[2:3], v[0:1], off
	s_or_b32 exec_lo, exec_lo, s4
	s_and_b32 s5, s13, s35
	s_and_saveexec_b32 s4, s5
	s_cbranch_execz .LBB202_249
.LBB202_368:
	s_clause 0x1
	buffer_load_dword v0, off, s[0:3], 0 offset:488
	buffer_load_dword v1, off, s[0:3], 0 offset:492
	v_cmp_ne_u32_e32 vcc_lo, 1, v70
	v_lshlrev_b64 v[2:3], 3, v[58:59]
	s_cbranch_vccnz .LBB202_370
; %bb.369:
	v_add_co_u32 v4, vcc_lo, v71, v2
	v_add_co_ci_u32_e64 v5, null, v72, v3, vcc_lo
	global_load_dwordx2 v[4:5], v[4:5], off
	s_waitcnt vmcnt(0)
	v_mul_f64 v[4:5], s[38:39], v[4:5]
	s_branch .LBB202_371
.LBB202_370:
	v_mov_b32_e32 v4, 0
	v_mov_b32_e32 v5, 0
.LBB202_371:
	s_waitcnt vmcnt(0)
	v_add_f64 v[0:1], v[0:1], v[4:5]
	v_add_co_u32 v2, vcc_lo, v68, v2
	v_add_co_ci_u32_e64 v3, null, v69, v3, vcc_lo
	global_store_dwordx2 v[2:3], v[0:1], off
	s_or_b32 exec_lo, exec_lo, s4
	s_and_b32 s5, s13, s36
	s_and_saveexec_b32 s4, s5
	s_cbranch_execz .LBB202_250
.LBB202_372:
	s_clause 0x1
	buffer_load_dword v0, off, s[0:3], 0 offset:496
	buffer_load_dword v1, off, s[0:3], 0 offset:500
	v_cmp_ne_u32_e32 vcc_lo, 1, v70
	v_lshlrev_b64 v[2:3], 3, v[60:61]
	s_cbranch_vccnz .LBB202_374
; %bb.373:
	v_add_co_u32 v4, vcc_lo, v71, v2
	v_add_co_ci_u32_e64 v5, null, v72, v3, vcc_lo
	global_load_dwordx2 v[4:5], v[4:5], off
	s_waitcnt vmcnt(0)
	v_mul_f64 v[4:5], s[38:39], v[4:5]
	s_branch .LBB202_375
.LBB202_374:
	v_mov_b32_e32 v4, 0
	v_mov_b32_e32 v5, 0
.LBB202_375:
	s_waitcnt vmcnt(0)
	v_add_f64 v[0:1], v[0:1], v[4:5]
	v_add_co_u32 v2, vcc_lo, v68, v2
	v_add_co_ci_u32_e64 v3, null, v69, v3, vcc_lo
	global_store_dwordx2 v[2:3], v[0:1], off
	s_or_b32 exec_lo, exec_lo, s4
	s_and_b32 s4, s13, s37
	s_and_saveexec_b32 s5, s4
	s_cbranch_execz .LBB202_251
.LBB202_376:
	s_clause 0x1
	buffer_load_dword v0, off, s[0:3], 0 offset:504
	buffer_load_dword v1, off, s[0:3], 0 offset:508
	v_cmp_ne_u32_e32 vcc_lo, 1, v70
	v_lshlrev_b64 v[2:3], 3, v[62:63]
	s_cbranch_vccnz .LBB202_378
; %bb.377:
	v_add_co_u32 v4, vcc_lo, v71, v2
	v_add_co_ci_u32_e64 v5, null, v72, v3, vcc_lo
	global_load_dwordx2 v[4:5], v[4:5], off
	s_waitcnt vmcnt(0)
	v_mul_f64 v[4:5], s[38:39], v[4:5]
	s_branch .LBB202_379
.LBB202_378:
	v_mov_b32_e32 v4, 0
	v_mov_b32_e32 v5, 0
.LBB202_379:
	s_waitcnt vmcnt(0)
	v_add_f64 v[0:1], v[0:1], v[4:5]
	v_add_co_u32 v2, vcc_lo, v68, v2
	v_add_co_ci_u32_e64 v3, null, v69, v3, vcc_lo
	global_store_dwordx2 v[2:3], v[0:1], off
	s_endpgm
	.section	.rodata,"a",@progbits
	.p2align	6, 0x0
	.amdhsa_kernel _ZN12_GLOBAL__N_120geam_min_plus_kernelIdddLi4ELi64ELi128ELi128ELi4ELi4ELi64ELi64ELi4ELc84ELc84ELb1ELb1ELb0EdKddEEviiiT16_PT17_ilS4_ilS2_S4_ilPT18_ili26rocblas_geam_ex_operation_
		.amdhsa_group_segment_fixed_size 16384
		.amdhsa_private_segment_fixed_size 528
		.amdhsa_kernarg_size 136
		.amdhsa_user_sgpr_count 6
		.amdhsa_user_sgpr_private_segment_buffer 1
		.amdhsa_user_sgpr_dispatch_ptr 0
		.amdhsa_user_sgpr_queue_ptr 0
		.amdhsa_user_sgpr_kernarg_segment_ptr 1
		.amdhsa_user_sgpr_dispatch_id 0
		.amdhsa_user_sgpr_flat_scratch_init 0
		.amdhsa_user_sgpr_private_segment_size 0
		.amdhsa_wavefront_size32 1
		.amdhsa_uses_dynamic_stack 0
		.amdhsa_system_sgpr_private_segment_wavefront_offset 1
		.amdhsa_system_sgpr_workgroup_id_x 1
		.amdhsa_system_sgpr_workgroup_id_y 0
		.amdhsa_system_sgpr_workgroup_id_z 1
		.amdhsa_system_sgpr_workgroup_info 0
		.amdhsa_system_vgpr_workitem_id 1
		.amdhsa_next_free_vgpr 117
		.amdhsa_next_free_sgpr 50
		.amdhsa_reserve_vcc 1
		.amdhsa_reserve_flat_scratch 0
		.amdhsa_float_round_mode_32 0
		.amdhsa_float_round_mode_16_64 0
		.amdhsa_float_denorm_mode_32 3
		.amdhsa_float_denorm_mode_16_64 3
		.amdhsa_dx10_clamp 1
		.amdhsa_ieee_mode 1
		.amdhsa_fp16_overflow 0
		.amdhsa_workgroup_processor_mode 1
		.amdhsa_memory_ordered 1
		.amdhsa_forward_progress 1
		.amdhsa_shared_vgpr_count 0
		.amdhsa_exception_fp_ieee_invalid_op 0
		.amdhsa_exception_fp_denorm_src 0
		.amdhsa_exception_fp_ieee_div_zero 0
		.amdhsa_exception_fp_ieee_overflow 0
		.amdhsa_exception_fp_ieee_underflow 0
		.amdhsa_exception_fp_ieee_inexact 0
		.amdhsa_exception_int_div_zero 0
	.end_amdhsa_kernel
	.section	.text._ZN12_GLOBAL__N_120geam_min_plus_kernelIdddLi4ELi64ELi128ELi128ELi4ELi4ELi64ELi64ELi4ELc84ELc84ELb1ELb1ELb0EdKddEEviiiT16_PT17_ilS4_ilS2_S4_ilPT18_ili26rocblas_geam_ex_operation_,"axG",@progbits,_ZN12_GLOBAL__N_120geam_min_plus_kernelIdddLi4ELi64ELi128ELi128ELi4ELi4ELi64ELi64ELi4ELc84ELc84ELb1ELb1ELb0EdKddEEviiiT16_PT17_ilS4_ilS2_S4_ilPT18_ili26rocblas_geam_ex_operation_,comdat
.Lfunc_end202:
	.size	_ZN12_GLOBAL__N_120geam_min_plus_kernelIdddLi4ELi64ELi128ELi128ELi4ELi4ELi64ELi64ELi4ELc84ELc84ELb1ELb1ELb0EdKddEEviiiT16_PT17_ilS4_ilS2_S4_ilPT18_ili26rocblas_geam_ex_operation_, .Lfunc_end202-_ZN12_GLOBAL__N_120geam_min_plus_kernelIdddLi4ELi64ELi128ELi128ELi4ELi4ELi64ELi64ELi4ELc84ELc84ELb1ELb1ELb0EdKddEEviiiT16_PT17_ilS4_ilS2_S4_ilPT18_ili26rocblas_geam_ex_operation_
                                        ; -- End function
	.set _ZN12_GLOBAL__N_120geam_min_plus_kernelIdddLi4ELi64ELi128ELi128ELi4ELi4ELi64ELi64ELi4ELc84ELc84ELb1ELb1ELb0EdKddEEviiiT16_PT17_ilS4_ilS2_S4_ilPT18_ili26rocblas_geam_ex_operation_.num_vgpr, 117
	.set _ZN12_GLOBAL__N_120geam_min_plus_kernelIdddLi4ELi64ELi128ELi128ELi4ELi4ELi64ELi64ELi4ELc84ELc84ELb1ELb1ELb0EdKddEEviiiT16_PT17_ilS4_ilS2_S4_ilPT18_ili26rocblas_geam_ex_operation_.num_agpr, 0
	.set _ZN12_GLOBAL__N_120geam_min_plus_kernelIdddLi4ELi64ELi128ELi128ELi4ELi4ELi64ELi64ELi4ELc84ELc84ELb1ELb1ELb0EdKddEEviiiT16_PT17_ilS4_ilS2_S4_ilPT18_ili26rocblas_geam_ex_operation_.numbered_sgpr, 50
	.set _ZN12_GLOBAL__N_120geam_min_plus_kernelIdddLi4ELi64ELi128ELi128ELi4ELi4ELi64ELi64ELi4ELc84ELc84ELb1ELb1ELb0EdKddEEviiiT16_PT17_ilS4_ilS2_S4_ilPT18_ili26rocblas_geam_ex_operation_.num_named_barrier, 0
	.set _ZN12_GLOBAL__N_120geam_min_plus_kernelIdddLi4ELi64ELi128ELi128ELi4ELi4ELi64ELi64ELi4ELc84ELc84ELb1ELb1ELb0EdKddEEviiiT16_PT17_ilS4_ilS2_S4_ilPT18_ili26rocblas_geam_ex_operation_.private_seg_size, 528
	.set _ZN12_GLOBAL__N_120geam_min_plus_kernelIdddLi4ELi64ELi128ELi128ELi4ELi4ELi64ELi64ELi4ELc84ELc84ELb1ELb1ELb0EdKddEEviiiT16_PT17_ilS4_ilS2_S4_ilPT18_ili26rocblas_geam_ex_operation_.uses_vcc, 1
	.set _ZN12_GLOBAL__N_120geam_min_plus_kernelIdddLi4ELi64ELi128ELi128ELi4ELi4ELi64ELi64ELi4ELc84ELc84ELb1ELb1ELb0EdKddEEviiiT16_PT17_ilS4_ilS2_S4_ilPT18_ili26rocblas_geam_ex_operation_.uses_flat_scratch, 0
	.set _ZN12_GLOBAL__N_120geam_min_plus_kernelIdddLi4ELi64ELi128ELi128ELi4ELi4ELi64ELi64ELi4ELc84ELc84ELb1ELb1ELb0EdKddEEviiiT16_PT17_ilS4_ilS2_S4_ilPT18_ili26rocblas_geam_ex_operation_.has_dyn_sized_stack, 0
	.set _ZN12_GLOBAL__N_120geam_min_plus_kernelIdddLi4ELi64ELi128ELi128ELi4ELi4ELi64ELi64ELi4ELc84ELc84ELb1ELb1ELb0EdKddEEviiiT16_PT17_ilS4_ilS2_S4_ilPT18_ili26rocblas_geam_ex_operation_.has_recursion, 0
	.set _ZN12_GLOBAL__N_120geam_min_plus_kernelIdddLi4ELi64ELi128ELi128ELi4ELi4ELi64ELi64ELi4ELc84ELc84ELb1ELb1ELb0EdKddEEviiiT16_PT17_ilS4_ilS2_S4_ilPT18_ili26rocblas_geam_ex_operation_.has_indirect_call, 0
	.section	.AMDGPU.csdata,"",@progbits
; Kernel info:
; codeLenInByte = 22056
; TotalNumSgprs: 52
; NumVgprs: 117
; ScratchSize: 528
; MemoryBound: 0
; FloatMode: 240
; IeeeMode: 1
; LDSByteSize: 16384 bytes/workgroup (compile time only)
; SGPRBlocks: 0
; VGPRBlocks: 14
; NumSGPRsForWavesPerEU: 52
; NumVGPRsForWavesPerEU: 117
; Occupancy: 8
; WaveLimiterHint : 0
; COMPUTE_PGM_RSRC2:SCRATCH_EN: 1
; COMPUTE_PGM_RSRC2:USER_SGPR: 6
; COMPUTE_PGM_RSRC2:TRAP_HANDLER: 0
; COMPUTE_PGM_RSRC2:TGID_X_EN: 1
; COMPUTE_PGM_RSRC2:TGID_Y_EN: 0
; COMPUTE_PGM_RSRC2:TGID_Z_EN: 1
; COMPUTE_PGM_RSRC2:TIDIG_COMP_CNT: 1
	.section	.text._ZN12_GLOBAL__N_120geam_min_plus_kernelIdddLi4ELi64ELi128ELi128ELi4ELi4ELi64ELi64ELi4ELc84ELc84ELb0ELb1ELb0EdKddEEviiiT16_PT17_ilS4_ilS2_S4_ilPT18_ili26rocblas_geam_ex_operation_,"axG",@progbits,_ZN12_GLOBAL__N_120geam_min_plus_kernelIdddLi4ELi64ELi128ELi128ELi4ELi4ELi64ELi64ELi4ELc84ELc84ELb0ELb1ELb0EdKddEEviiiT16_PT17_ilS4_ilS2_S4_ilPT18_ili26rocblas_geam_ex_operation_,comdat
	.globl	_ZN12_GLOBAL__N_120geam_min_plus_kernelIdddLi4ELi64ELi128ELi128ELi4ELi4ELi64ELi64ELi4ELc84ELc84ELb0ELb1ELb0EdKddEEviiiT16_PT17_ilS4_ilS2_S4_ilPT18_ili26rocblas_geam_ex_operation_ ; -- Begin function _ZN12_GLOBAL__N_120geam_min_plus_kernelIdddLi4ELi64ELi128ELi128ELi4ELi4ELi64ELi64ELi4ELc84ELc84ELb0ELb1ELb0EdKddEEviiiT16_PT17_ilS4_ilS2_S4_ilPT18_ili26rocblas_geam_ex_operation_
	.p2align	8
	.type	_ZN12_GLOBAL__N_120geam_min_plus_kernelIdddLi4ELi64ELi128ELi128ELi4ELi4ELi64ELi64ELi4ELc84ELc84ELb0ELb1ELb0EdKddEEviiiT16_PT17_ilS4_ilS2_S4_ilPT18_ili26rocblas_geam_ex_operation_,@function
_ZN12_GLOBAL__N_120geam_min_plus_kernelIdddLi4ELi64ELi128ELi128ELi4ELi4ELi64ELi64ELi4ELc84ELc84ELb0ELb1ELb0EdKddEEviiiT16_PT17_ilS4_ilS2_S4_ilPT18_ili26rocblas_geam_ex_operation_: ; @_ZN12_GLOBAL__N_120geam_min_plus_kernelIdddLi4ELi64ELi128ELi128ELi4ELi4ELi64ELi64ELi4ELc84ELc84ELb0ELb1ELb0EdKddEEviiiT16_PT17_ilS4_ilS2_S4_ilPT18_ili26rocblas_geam_ex_operation_
; %bb.0:
	s_add_u32 s0, s0, s8
	s_clause 0x1
	s_load_dwordx4 s[16:19], s[4:5], 0x10
	s_load_dwordx4 s[8:11], s[4:5], 0x28
	s_addc_u32 s1, s1, 0
	s_mov_b64 s[20:21], 0
	s_waitcnt lgkmcnt(0)
	v_cmp_eq_f64_e64 s12, s[16:17], 0
	s_and_b32 vcc_lo, exec_lo, s12
	s_cbranch_vccnz .LBB203_2
; %bb.1:
	s_mul_i32 s9, s9, s7
	s_mul_hi_u32 s13, s8, s7
	s_mul_i32 s8, s8, s7
	s_add_i32 s9, s13, s9
	s_lshl_b64 s[8:9], s[8:9], 3
	s_add_u32 s20, s18, s8
	s_addc_u32 s21, s19, s9
.LBB203_2:
	s_clause 0x1
	s_load_dwordx4 s[36:39], s[4:5], 0x40
	s_load_dwordx2 s[8:9], s[4:5], 0x50
	s_andn2_b32 vcc_lo, exec_lo, s12
	s_mov_b32 s12, -1
	s_cbranch_vccnz .LBB203_4
; %bb.3:
	s_mov_b32 s12, 0
.LBB203_4:
	s_mov_b64 s[44:45], 0
	s_andn2_b32 vcc_lo, exec_lo, s12
	s_mov_b64 s[18:19], 0
	s_cbranch_vccnz .LBB203_6
; %bb.5:
	s_waitcnt lgkmcnt(0)
	s_mul_i32 s12, s37, s7
	s_mul_hi_u32 s13, s36, s7
	s_add_i32 s13, s13, s12
	s_mul_i32 s12, s36, s7
	s_lshl_b64 s[12:13], s[12:13], 3
	s_add_u32 s18, s10, s12
	s_addc_u32 s19, s11, s13
.LBB203_6:
	s_waitcnt lgkmcnt(0)
	v_cmp_eq_f64_e64 s10, s[38:39], 0
	v_cmp_neq_f64_e64 s46, s[38:39], 0
	s_load_dwordx4 s[12:15], s[4:5], 0x60
	s_and_b32 vcc_lo, exec_lo, s10
	s_cbranch_vccnz .LBB203_8
; %bb.7:
	s_waitcnt lgkmcnt(0)
	s_mul_i32 s10, s13, s7
	s_mul_hi_u32 s11, s12, s7
	s_add_i32 s11, s11, s10
	s_mul_i32 s10, s12, s7
	s_lshl_b64 s[10:11], s[10:11], 3
	s_add_u32 s44, s8, s10
	s_addc_u32 s45, s9, s11
.LBB203_8:
	s_clause 0x1
	s_load_dwordx4 s[40:43], s[4:5], 0x0
	s_load_dword s25, s[4:5], 0x20
	v_and_b32_e32 v84, 3, v0
	v_lshl_add_u32 v6, v1, 2, v0
	v_cmp_eq_f64_e64 s23, s[16:17], 0
	v_mov_b32_e32 v4, 0
	v_mov_b32_e32 v9, 0
	;; [unrolled: 1-line block ×3, first 2 shown]
	v_lshrrev_b32_e32 v80, 2, v6
	buffer_store_dword v9, off, s[0:3], 0 offset:4
	buffer_store_dword v9, off, s[0:3], 0
	buffer_store_dword v9, off, s[0:3], 0 offset:12
	buffer_store_dword v9, off, s[0:3], 0 offset:8
	;; [unrolled: 1-line block ×31, first 2 shown]
	s_waitcnt lgkmcnt(0)
	s_add_i32 s8, s40, -1
	v_cmp_le_i32_e32 vcc_lo, s42, v84
	s_ashr_i32 s9, s8, 31
	buffer_store_dword v9, off, s[0:3], 0 offset:128
	buffer_store_dword v9, off, s[0:3], 0 offset:140
	;; [unrolled: 1-line block ×4, first 2 shown]
	s_lshr_b32 s9, s9, 25
	buffer_store_dword v9, off, s[0:3], 0 offset:144
	buffer_store_dword v9, off, s[0:3], 0 offset:156
	;; [unrolled: 1-line block ×4, first 2 shown]
	s_add_i32 s8, s8, s9
	buffer_store_dword v9, off, s[0:3], 0 offset:160
	buffer_store_dword v9, off, s[0:3], 0 offset:172
	s_ashr_i32 s8, s8, 7
	buffer_store_dword v9, off, s[0:3], 0 offset:168
	s_add_i32 s9, s8, 1
	s_not_b32 s8, s8
	v_cvt_f32_u32_e32 v2, s9
	buffer_store_dword v9, off, s[0:3], 0 offset:180
	buffer_store_dword v9, off, s[0:3], 0 offset:176
	;; [unrolled: 1-line block ×4, first 2 shown]
	v_rcp_iflag_f32_e32 v2, v2
	buffer_store_dword v9, off, s[0:3], 0 offset:196
	buffer_store_dword v9, off, s[0:3], 0 offset:192
	buffer_store_dword v9, off, s[0:3], 0 offset:204
	buffer_store_dword v9, off, s[0:3], 0 offset:200
	buffer_store_dword v9, off, s[0:3], 0 offset:212
	buffer_store_dword v9, off, s[0:3], 0 offset:208
	buffer_store_dword v9, off, s[0:3], 0 offset:220
	buffer_store_dword v9, off, s[0:3], 0 offset:216
	buffer_store_dword v9, off, s[0:3], 0 offset:228
	buffer_store_dword v9, off, s[0:3], 0 offset:224
	buffer_store_dword v9, off, s[0:3], 0 offset:236
	buffer_store_dword v9, off, s[0:3], 0 offset:232
	buffer_store_dword v9, off, s[0:3], 0 offset:244
	buffer_store_dword v9, off, s[0:3], 0 offset:240
	buffer_store_dword v9, off, s[0:3], 0 offset:252
	buffer_store_dword v9, off, s[0:3], 0 offset:248
	buffer_store_dword v9, off, s[0:3], 0 offset:260
	buffer_store_dword v9, off, s[0:3], 0 offset:256
	buffer_store_dword v9, off, s[0:3], 0 offset:268
	buffer_store_dword v9, off, s[0:3], 0 offset:264
	buffer_store_dword v9, off, s[0:3], 0 offset:276
	buffer_store_dword v9, off, s[0:3], 0 offset:272
	buffer_store_dword v9, off, s[0:3], 0 offset:284
	buffer_store_dword v9, off, s[0:3], 0 offset:280
	buffer_store_dword v9, off, s[0:3], 0 offset:292
	buffer_store_dword v9, off, s[0:3], 0 offset:288
	buffer_store_dword v9, off, s[0:3], 0 offset:300
	buffer_store_dword v9, off, s[0:3], 0 offset:296
	buffer_store_dword v9, off, s[0:3], 0 offset:308
	buffer_store_dword v9, off, s[0:3], 0 offset:304
	buffer_store_dword v9, off, s[0:3], 0 offset:316
	buffer_store_dword v9, off, s[0:3], 0 offset:312
	buffer_store_dword v9, off, s[0:3], 0 offset:324
	buffer_store_dword v9, off, s[0:3], 0 offset:320
	buffer_store_dword v9, off, s[0:3], 0 offset:332
	buffer_store_dword v9, off, s[0:3], 0 offset:328
	buffer_store_dword v9, off, s[0:3], 0 offset:340
	buffer_store_dword v9, off, s[0:3], 0 offset:336
	buffer_store_dword v9, off, s[0:3], 0 offset:348
	buffer_store_dword v9, off, s[0:3], 0 offset:344
	buffer_store_dword v9, off, s[0:3], 0 offset:356
	buffer_store_dword v9, off, s[0:3], 0 offset:352
	buffer_store_dword v9, off, s[0:3], 0 offset:364
	buffer_store_dword v9, off, s[0:3], 0 offset:360
	buffer_store_dword v9, off, s[0:3], 0 offset:372
	buffer_store_dword v9, off, s[0:3], 0 offset:368
	buffer_store_dword v9, off, s[0:3], 0 offset:380
	buffer_store_dword v9, off, s[0:3], 0 offset:376
	buffer_store_dword v9, off, s[0:3], 0 offset:388
	buffer_store_dword v9, off, s[0:3], 0 offset:384
	buffer_store_dword v9, off, s[0:3], 0 offset:396
	buffer_store_dword v9, off, s[0:3], 0 offset:392
	buffer_store_dword v9, off, s[0:3], 0 offset:404
	buffer_store_dword v9, off, s[0:3], 0 offset:400
	buffer_store_dword v9, off, s[0:3], 0 offset:412
	buffer_store_dword v9, off, s[0:3], 0 offset:408
	buffer_store_dword v9, off, s[0:3], 0 offset:420
	buffer_store_dword v9, off, s[0:3], 0 offset:416
	buffer_store_dword v9, off, s[0:3], 0 offset:428
	buffer_store_dword v9, off, s[0:3], 0 offset:424
	buffer_store_dword v9, off, s[0:3], 0 offset:436
	buffer_store_dword v9, off, s[0:3], 0 offset:432
	buffer_store_dword v9, off, s[0:3], 0 offset:444
	buffer_store_dword v9, off, s[0:3], 0 offset:440
	buffer_store_dword v9, off, s[0:3], 0 offset:452
	buffer_store_dword v9, off, s[0:3], 0 offset:448
	buffer_store_dword v9, off, s[0:3], 0 offset:460
	buffer_store_dword v9, off, s[0:3], 0 offset:456
	buffer_store_dword v9, off, s[0:3], 0 offset:468
	buffer_store_dword v9, off, s[0:3], 0 offset:464
	buffer_store_dword v9, off, s[0:3], 0 offset:476
	buffer_store_dword v9, off, s[0:3], 0 offset:472
	buffer_store_dword v9, off, s[0:3], 0 offset:484
	buffer_store_dword v9, off, s[0:3], 0 offset:480
	buffer_store_dword v9, off, s[0:3], 0 offset:492
	buffer_store_dword v9, off, s[0:3], 0 offset:488
	buffer_store_dword v9, off, s[0:3], 0 offset:500
	v_mul_f32_e32 v2, 0x4f7ffffe, v2
	buffer_store_dword v9, off, s[0:3], 0 offset:496
	buffer_store_dword v9, off, s[0:3], 0 offset:508
	;; [unrolled: 1-line block ×3, first 2 shown]
	v_cvt_u32_f32_e32 v2, v2
	v_readfirstlane_b32 s10, v2
	s_mul_i32 s8, s8, s10
	s_mul_hi_u32 s8, s10, s8
	s_add_i32 s10, s10, s8
	s_mul_hi_u32 s8, s6, s10
	s_mul_i32 s10, s8, s9
	s_add_i32 s11, s8, 1
	s_sub_i32 s10, s6, s10
	s_sub_i32 s12, s10, s9
	s_cmp_ge_u32 s10, s9
	s_cselect_b32 s8, s11, s8
	s_cselect_b32 s10, s12, s10
	s_add_i32 s11, s8, 1
	s_cmp_ge_u32 s10, s9
	s_cselect_b32 s8, s11, s8
	s_add_i32 s22, s42, -1
	s_mul_i32 s9, s8, s9
	v_min_i32_e32 v2, s22, v84
	s_sub_i32 s6, s6, s9
	s_lshl_b32 s12, s6, 7
	v_ashrrev_i32_e32 v3, 31, v2
	v_add_nc_u32_e32 v81, s12, v80
	v_lshlrev_b64 v[7:8], 3, v[2:3]
	v_cmp_le_i32_e64 s9, s40, v81
	v_mov_b32_e32 v2, 0
	v_mov_b32_e32 v3, 0
	v_add_co_u32 v7, s6, s20, v7
	v_add_co_ci_u32_e64 v8, null, s21, v8, s6
	s_or_b32 s6, vcc_lo, s9
	s_nor_b32 s6, s23, s6
	s_and_saveexec_b32 s10, s6
	s_cbranch_execz .LBB203_10
; %bb.9:
	v_mad_i64_i32 v[4:5], null, v81, s25, 0
	v_lshlrev_b64 v[4:5], 3, v[4:5]
	v_add_co_u32 v4, s6, v7, v4
	v_add_co_ci_u32_e64 v5, null, v8, v5, s6
	global_load_dwordx2 v[4:5], v[4:5], off
	s_waitcnt vmcnt(0)
	v_mul_f64 v[4:5], s[16:17], v[4:5]
.LBB203_10:
	s_or_b32 exec_lo, exec_lo, s10
	v_add_nc_u32_e32 v82, 64, v81
	v_cmp_le_i32_e64 s10, s40, v82
	s_or_b32 s6, vcc_lo, s10
	s_nor_b32 s11, s23, s6
	s_and_saveexec_b32 s6, s11
	s_cbranch_execz .LBB203_12
; %bb.11:
	v_mad_i64_i32 v[2:3], null, v82, s25, 0
	v_lshlrev_b64 v[2:3], 3, v[2:3]
	v_add_co_u32 v2, vcc_lo, v7, v2
	v_add_co_ci_u32_e64 v3, null, v8, v3, vcc_lo
	global_load_dwordx2 v[2:3], v[2:3], off
	s_waitcnt vmcnt(0)
	v_mul_f64 v[2:3], s[16:17], v[2:3]
.LBB203_12:
	s_or_b32 exec_lo, exec_lo, s6
	s_load_dword s24, s[4:5], 0x38
	v_lshrrev_b32_e32 v85, 6, v6
	v_and_b32_e32 v20, 63, v6
	s_lshl_b32 s13, s8, 7
	v_mov_b32_e32 v16, 0
	v_mov_b32_e32 v18, 0
	v_min_i32_e32 v7, s22, v85
	v_or_b32_e32 v6, s13, v20
	v_cmp_le_i32_e32 vcc_lo, s42, v85
	v_mov_b32_e32 v17, 0
	v_mov_b32_e32 v19, 0
	v_cmp_le_i32_e64 s6, s41, v6
	s_waitcnt lgkmcnt(0)
	v_mad_i64_i32 v[7:8], null, s24, v7, 0
	v_lshlrev_b64 v[8:9], 3, v[7:8]
	v_ashrrev_i32_e32 v7, 31, v6
	v_add_co_u32 v8, s8, s18, v8
	v_add_co_ci_u32_e64 v9, null, s19, v9, s8
	s_or_b32 s8, s6, vcc_lo
	s_nor_b32 s8, s23, s8
	s_and_saveexec_b32 s11, s8
	s_cbranch_execz .LBB203_14
; %bb.13:
	v_lshlrev_b64 v[10:11], 3, v[6:7]
	v_add_co_u32 v10, s8, v8, v10
	v_add_co_ci_u32_e64 v11, null, v9, v11, s8
	global_load_dwordx2 v[10:11], v[10:11], off
	s_waitcnt vmcnt(0)
	v_mul_f64 v[18:19], s[16:17], v[10:11]
.LBB203_14:
	s_or_b32 exec_lo, exec_lo, s11
	v_or_b32_e32 v10, 64, v6
	v_cmp_le_i32_e64 s8, s41, v10
	s_or_b32 s11, s8, vcc_lo
	s_nor_b32 s26, s23, s11
	s_and_saveexec_b32 s11, s26
	s_cbranch_execz .LBB203_16
; %bb.15:
	v_lshlrev_b64 v[10:11], 3, v[6:7]
	v_add_co_u32 v8, vcc_lo, v8, v10
	v_add_co_ci_u32_e64 v9, null, v9, v11, vcc_lo
	global_load_dwordx2 v[8:9], v[8:9], off offset:512
	s_waitcnt vmcnt(0)
	v_mul_f64 v[16:17], s[16:17], v[8:9]
.LBB203_16:
	s_or_b32 exec_lo, exec_lo, s11
	v_or_b32_e32 v14, 4, v84
	v_mov_b32_e32 v10, 0
	v_mov_b32_e32 v11, 0
	v_min_i32_e32 v8, s22, v14
	v_cmp_le_i32_e32 vcc_lo, s42, v14
	v_ashrrev_i32_e32 v9, 31, v8
	v_lshlrev_b64 v[12:13], 3, v[8:9]
	v_mov_b32_e32 v8, 0
	v_mov_b32_e32 v9, 0
	v_add_co_u32 v12, s11, s20, v12
	v_add_co_ci_u32_e64 v13, null, s21, v13, s11
	s_or_b32 s11, vcc_lo, s9
	s_nor_b32 s11, s23, s11
	s_and_saveexec_b32 s26, s11
	s_cbranch_execz .LBB203_18
; %bb.17:
	v_mad_i64_i32 v[10:11], null, v81, s25, 0
	v_lshlrev_b64 v[10:11], 3, v[10:11]
	v_add_co_u32 v10, s11, v12, v10
	v_add_co_ci_u32_e64 v11, null, v13, v11, s11
	global_load_dwordx2 v[10:11], v[10:11], off
	s_waitcnt vmcnt(0)
	v_mul_f64 v[10:11], s[16:17], v[10:11]
.LBB203_18:
	s_or_b32 exec_lo, exec_lo, s26
	s_or_b32 s11, vcc_lo, s10
	s_nor_b32 s26, s23, s11
	s_and_saveexec_b32 s11, s26
	s_cbranch_execz .LBB203_20
; %bb.19:
	v_mad_i64_i32 v[8:9], null, v82, s25, 0
	v_lshlrev_b64 v[8:9], 3, v[8:9]
	v_add_co_u32 v8, vcc_lo, v12, v8
	v_add_co_ci_u32_e64 v9, null, v13, v9, vcc_lo
	global_load_dwordx2 v[8:9], v[8:9], off
	s_waitcnt vmcnt(0)
	v_mul_f64 v[8:9], s[16:17], v[8:9]
.LBB203_20:
	s_or_b32 exec_lo, exec_lo, s11
	v_add_nc_u32_e32 v23, 4, v85
	v_mov_b32_e32 v14, 0
	v_mov_b32_e32 v15, 0
	v_min_i32_e32 v12, s22, v23
	v_cmp_le_i32_e32 vcc_lo, s42, v23
	v_mad_i64_i32 v[12:13], null, s24, v12, 0
	v_lshlrev_b64 v[21:22], 3, v[12:13]
	v_mov_b32_e32 v12, 0
	v_mov_b32_e32 v13, 0
	v_add_co_u32 v21, s11, s18, v21
	v_add_co_ci_u32_e64 v22, null, s19, v22, s11
	s_or_b32 s11, s6, vcc_lo
	s_nor_b32 s11, s23, s11
	s_and_saveexec_b32 s26, s11
	s_cbranch_execz .LBB203_22
; %bb.21:
	v_lshlrev_b64 v[14:15], 3, v[6:7]
	v_add_co_u32 v14, s11, v21, v14
	v_add_co_ci_u32_e64 v15, null, v22, v15, s11
	global_load_dwordx2 v[14:15], v[14:15], off
	s_waitcnt vmcnt(0)
	v_mul_f64 v[14:15], s[16:17], v[14:15]
.LBB203_22:
	s_or_b32 exec_lo, exec_lo, s26
	s_or_b32 s11, s8, vcc_lo
	s_nor_b32 s26, s23, s11
	s_and_saveexec_b32 s11, s26
	s_cbranch_execz .LBB203_24
; %bb.23:
	v_lshlrev_b64 v[12:13], 3, v[6:7]
	v_add_co_u32 v12, vcc_lo, v21, v12
	v_add_co_ci_u32_e64 v13, null, v22, v13, vcc_lo
	global_load_dwordx2 v[12:13], v[12:13], off offset:512
	s_waitcnt vmcnt(0)
	v_mul_f64 v[12:13], s[16:17], v[12:13]
.LBB203_24:
	s_or_b32 exec_lo, exec_lo, s11
	v_lshlrev_b32_e32 v20, 5, v20
	v_lshlrev_b32_e32 v21, 5, v80
	;; [unrolled: 1-line block ×3, first 2 shown]
	v_lshl_or_b32 v89, v1, 5, 0x2000
	s_mov_b32 s11, 0
	v_lshl_add_u32 v83, v85, 3, v20
	v_lshl_or_b32 v86, v84, 3, v21
	s_addk_i32 s11, 0x100
	s_mov_b32 s26, 0
	v_add_nc_u32_e32 v88, 0x2000, v83
	ds_write2st64_b64 v86, v[4:5], v[2:3] offset1:4
	ds_write2st64_b64 v83, v[18:19], v[16:17] offset0:16 offset1:20
	s_waitcnt lgkmcnt(0)
	s_waitcnt_vscnt null, 0x0
	s_barrier
	buffer_gl0_inv
.LBB203_25:                             ; =>This Loop Header: Depth=1
                                        ;     Child Loop BB203_26 Depth 2
	s_lshl_b32 s27, s26, 3
	s_mov_b32 s28, 0
	v_add_nc_u32_e32 v16, s27, v87
	v_add_nc_u32_e32 v90, s27, v89
	s_mov_b32 s27, -1
	ds_read2_b64 v[2:5], v16 offset1:16
	ds_read2_b64 v[20:23], v16 offset0:32 offset1:48
	ds_read2_b64 v[24:27], v16 offset0:64 offset1:80
	ds_read2_b64 v[28:31], v16 offset0:96 offset1:112
	ds_read2_b64 v[32:35], v16 offset0:128 offset1:144
	v_add_nc_u32_e32 v76, 0x800, v16
	ds_read2_b64 v[36:39], v16 offset0:160 offset1:176
	ds_read2_b64 v[40:43], v16 offset0:192 offset1:208
	;; [unrolled: 1-line block ×3, first 2 shown]
	ds_read2_b64 v[48:51], v76 offset1:16
	ds_read2_b64 v[52:55], v76 offset0:32 offset1:48
	ds_read2_b64 v[56:59], v76 offset0:64 offset1:80
	;; [unrolled: 1-line block ×6, first 2 shown]
	s_waitcnt lgkmcnt(9)
	v_max_f64 v[36:37], v[36:37], v[36:37]
	v_max_f64 v[38:39], v[38:39], v[38:39]
	;; [unrolled: 1-line block ×4, first 2 shown]
	ds_read2_b64 v[2:5], v76 offset0:224 offset1:240
	v_max_f64 v[20:21], v[20:21], v[20:21]
	v_max_f64 v[22:23], v[22:23], v[22:23]
	;; [unrolled: 1-line block ×8, first 2 shown]
	s_waitcnt lgkmcnt(9)
	v_max_f64 v[40:41], v[40:41], v[40:41]
	v_max_f64 v[42:43], v[42:43], v[42:43]
	s_waitcnt lgkmcnt(8)
	v_max_f64 v[44:45], v[44:45], v[44:45]
	v_max_f64 v[46:47], v[46:47], v[46:47]
	;; [unrolled: 3-line block ×10, first 2 shown]
	ds_read2st64_b64 v[2:5], v90 offset1:4
.LBB203_26:                             ;   Parent Loop BB203_25 Depth=1
                                        ; =>  This Inner Loop Header: Depth=2
	v_mov_b32_e32 v90, s28
	s_waitcnt lgkmcnt(0)
	v_max_f64 v[2:3], v[2:3], v[2:3]
	s_and_b32 vcc_lo, exec_lo, s27
	s_mov_b32 s27, 0
	s_mov_b32 s28, s11
	s_clause 0xf
	buffer_load_dword v93, v90, s[0:3], 0 offen
	buffer_load_dword v94, v90, s[0:3], 0 offen offset:4
	buffer_load_dword v95, v90, s[0:3], 0 offen offset:8
	;; [unrolled: 1-line block ×15, first 2 shown]
	v_min_f64 v[91:92], v[16:17], v[2:3]
	s_waitcnt vmcnt(14)
	v_add_f64 v[91:92], v[91:92], v[93:94]
	buffer_store_dword v91, v90, s[0:3], 0 offen
	buffer_store_dword v92, v90, s[0:3], 0 offen offset:4
	v_min_f64 v[91:92], v[18:19], v[2:3]
	s_waitcnt vmcnt(12)
	v_add_f64 v[91:92], v[91:92], v[95:96]
	buffer_store_dword v91, v90, s[0:3], 0 offen offset:8
	buffer_store_dword v92, v90, s[0:3], 0 offen offset:12
	v_min_f64 v[91:92], v[20:21], v[2:3]
	s_waitcnt vmcnt(10)
	v_add_f64 v[91:92], v[91:92], v[97:98]
	buffer_store_dword v91, v90, s[0:3], 0 offen offset:16
	;; [unrolled: 5-line block ×7, first 2 shown]
	buffer_store_dword v92, v90, s[0:3], 0 offen offset:60
	s_clause 0x1
	buffer_load_dword v94, v90, s[0:3], 0 offen offset:68
	buffer_load_dword v93, v90, s[0:3], 0 offen offset:64
	v_min_f64 v[91:92], v[32:33], v[2:3]
	s_waitcnt vmcnt(0)
	v_add_f64 v[91:92], v[91:92], v[93:94]
	buffer_store_dword v92, v90, s[0:3], 0 offen offset:68
	buffer_store_dword v91, v90, s[0:3], 0 offen offset:64
	s_clause 0x1
	buffer_load_dword v93, v90, s[0:3], 0 offen offset:72
	buffer_load_dword v94, v90, s[0:3], 0 offen offset:76
	v_min_f64 v[91:92], v[34:35], v[2:3]
	s_waitcnt vmcnt(0)
	v_add_f64 v[91:92], v[91:92], v[93:94]
	buffer_store_dword v92, v90, s[0:3], 0 offen offset:76
	;; [unrolled: 8-line block ×22, first 2 shown]
	buffer_store_dword v91, v90, s[0:3], 0 offen offset:232
	s_clause 0x1
	buffer_load_dword v93, v90, s[0:3], 0 offen offset:240
	buffer_load_dword v94, v90, s[0:3], 0 offen offset:244
	v_min_f64 v[91:92], v[76:77], v[2:3]
	v_min_f64 v[2:3], v[78:79], v[2:3]
	s_waitcnt vmcnt(0)
	v_add_f64 v[91:92], v[91:92], v[93:94]
	buffer_store_dword v92, v90, s[0:3], 0 offen offset:244
	buffer_store_dword v91, v90, s[0:3], 0 offen offset:240
	s_clause 0x1
	buffer_load_dword v91, v90, s[0:3], 0 offen offset:248
	buffer_load_dword v92, v90, s[0:3], 0 offen offset:252
	s_waitcnt vmcnt(0)
	v_add_f64 v[2:3], v[2:3], v[91:92]
	buffer_store_dword v3, v90, s[0:3], 0 offen offset:252
	buffer_store_dword v2, v90, s[0:3], 0 offen offset:248
	v_mov_b32_e32 v2, v4
	v_mov_b32_e32 v3, v5
	s_cbranch_vccnz .LBB203_26
; %bb.27:                               ;   in Loop: Header=BB203_25 Depth=1
	s_add_i32 s26, s26, 1
	s_cmp_eq_u32 s26, 4
	s_cbranch_scc0 .LBB203_25
; %bb.28:
	v_lshlrev_b32_e32 v2, 3, v84
	v_lshl_add_u32 v90, v0, 5, 0x1000
	v_lshl_add_u32 v91, v1, 5, 0x3000
	s_cmp_lt_i32 s42, 9
	ds_write2st64_b64 v83, v[14:15], v[12:13] offset0:24 offset1:28
	v_lshl_or_b32 v2, v80, 5, v2
	ds_write2st64_b64 v2, v[10:11], v[8:9] offset0:8 offset1:12
	s_waitcnt lgkmcnt(0)
	s_waitcnt_vscnt null, 0x0
	s_barrier
	buffer_gl0_inv
	s_cbranch_scc1 .LBB203_55
; %bb.29:
	v_mad_i64_i32 v[3:4], null, v81, s25, 0
	v_mad_i64_i32 v[8:9], null, v82, s25, 0
	v_lshlrev_b64 v[74:75], 3, v[6:7]
	v_add_nc_u32_e32 v92, 0x1000, v2
	v_add_nc_u32_e32 v93, 0x3000, v83
	s_add_i32 s25, s42, -8
	v_lshlrev_b64 v[70:71], 3, v[3:4]
	s_or_b32 s26, s9, s23
	v_lshlrev_b64 v[72:73], 3, v[8:9]
	s_or_b32 s10, s10, s23
	s_mov_b32 s27, 8
	s_mov_b32 s28, 0
.LBB203_30:                             ; =>This Loop Header: Depth=1
                                        ;     Child Loop BB203_39 Depth 2
                                        ;       Child Loop BB203_40 Depth 3
                                        ;     Child Loop BB203_51 Depth 2
                                        ;       Child Loop BB203_52 Depth 3
	v_or_b32_e32 v94, s27, v84
	v_mov_b32_e32 v6, 0
	v_mov_b32_e32 v8, 0
	;; [unrolled: 1-line block ×4, first 2 shown]
	v_min_i32_e32 v2, s22, v94
	v_cmp_le_i32_e32 vcc_lo, s42, v94
	v_ashrrev_i32_e32 v3, 31, v2
	v_lshlrev_b64 v[2:3], 3, v[2:3]
	v_add_co_u32 v2, s9, s20, v2
	v_add_co_ci_u32_e64 v3, null, s21, v3, s9
	s_nor_b32 s9, vcc_lo, s26
	s_and_saveexec_b32 s29, s9
	s_cbranch_execz .LBB203_32
; %bb.31:                               ;   in Loop: Header=BB203_30 Depth=1
	v_add_co_u32 v4, s9, v2, v70
	v_add_co_ci_u32_e64 v5, null, v3, v71, s9
	global_load_dwordx2 v[4:5], v[4:5], off
	s_waitcnt vmcnt(0)
	v_mul_f64 v[8:9], s[16:17], v[4:5]
.LBB203_32:                             ;   in Loop: Header=BB203_30 Depth=1
	s_or_b32 exec_lo, exec_lo, s29
	s_nor_b32 s29, vcc_lo, s10
	s_and_saveexec_b32 s9, s29
	s_cbranch_execz .LBB203_34
; %bb.33:                               ;   in Loop: Header=BB203_30 Depth=1
	v_add_co_u32 v2, vcc_lo, v2, v72
	v_add_co_ci_u32_e64 v3, null, v3, v73, vcc_lo
	global_load_dwordx2 v[2:3], v[2:3], off
	s_waitcnt vmcnt(0)
	v_mul_f64 v[6:7], s[16:17], v[2:3]
.LBB203_34:                             ;   in Loop: Header=BB203_30 Depth=1
	s_or_b32 exec_lo, exec_lo, s9
	v_add_nc_u32_e32 v4, s27, v85
	v_mov_b32_e32 v10, 0
	v_mov_b32_e32 v12, 0
	;; [unrolled: 1-line block ×4, first 2 shown]
	v_min_i32_e32 v2, s22, v4
	v_cmp_le_i32_e32 vcc_lo, s42, v4
	v_mad_i64_i32 v[2:3], null, v2, s24, 0
	v_lshlrev_b64 v[2:3], 3, v[2:3]
	v_add_co_u32 v2, s9, s18, v2
	v_add_co_ci_u32_e64 v3, null, s19, v3, s9
	s_or_b32 s9, s6, vcc_lo
	s_nor_b32 s9, s23, s9
	s_and_saveexec_b32 s29, s9
	s_cbranch_execz .LBB203_36
; %bb.35:                               ;   in Loop: Header=BB203_30 Depth=1
	v_add_co_u32 v4, s9, v2, v74
	v_add_co_ci_u32_e64 v5, null, v3, v75, s9
	global_load_dwordx2 v[4:5], v[4:5], off
	s_waitcnt vmcnt(0)
	v_mul_f64 v[12:13], s[16:17], v[4:5]
.LBB203_36:                             ;   in Loop: Header=BB203_30 Depth=1
	s_or_b32 exec_lo, exec_lo, s29
	s_or_b32 s9, s8, vcc_lo
	s_nor_b32 s29, s23, s9
	s_and_saveexec_b32 s9, s29
	s_cbranch_execz .LBB203_38
; %bb.37:                               ;   in Loop: Header=BB203_30 Depth=1
	v_add_co_u32 v2, vcc_lo, v2, v74
	v_add_co_ci_u32_e64 v3, null, v3, v75, vcc_lo
	global_load_dwordx2 v[2:3], v[2:3], off offset:512
	s_waitcnt vmcnt(0)
	v_mul_f64 v[10:11], s[16:17], v[2:3]
.LBB203_38:                             ;   in Loop: Header=BB203_30 Depth=1
	s_or_b32 exec_lo, exec_lo, s9
	s_mov_b32 s9, 0
.LBB203_39:                             ;   Parent Loop BB203_30 Depth=1
                                        ; =>  This Loop Header: Depth=2
                                        ;       Child Loop BB203_40 Depth 3
	s_lshl_b32 s29, s9, 3
	s_mov_b32 s30, 0
	v_add_nc_u32_e32 v14, s29, v90
	v_add_nc_u32_e32 v95, s29, v91
	s_mov_b32 s29, -1
	ds_read2_b64 v[2:5], v14 offset1:16
	ds_read2_b64 v[18:21], v14 offset0:32 offset1:48
	ds_read2_b64 v[22:25], v14 offset0:64 offset1:80
	v_add_nc_u32_e32 v15, 0x800, v14
	ds_read2_b64 v[26:29], v14 offset0:96 offset1:112
	ds_read2_b64 v[30:33], v14 offset0:128 offset1:144
	ds_read2_b64 v[34:37], v14 offset0:160 offset1:176
	ds_read2_b64 v[38:41], v14 offset0:192 offset1:208
	ds_read2_b64 v[42:45], v14 offset0:224 offset1:240
	ds_read2_b64 v[46:49], v15 offset1:16
	ds_read2_b64 v[50:53], v15 offset0:32 offset1:48
	ds_read2_b64 v[54:57], v15 offset0:64 offset1:80
	;; [unrolled: 1-line block ×7, first 2 shown]
	s_waitcnt lgkmcnt(11)
	v_max_f64 v[30:31], v[30:31], v[30:31]
	v_max_f64 v[32:33], v[32:33], v[32:33]
	s_waitcnt lgkmcnt(10)
	v_max_f64 v[34:35], v[34:35], v[34:35]
	v_max_f64 v[36:37], v[36:37], v[36:37]
	;; [unrolled: 3-line block ×3, first 2 shown]
	v_max_f64 v[14:15], v[2:3], v[2:3]
	v_max_f64 v[16:17], v[4:5], v[4:5]
	v_max_f64 v[18:19], v[18:19], v[18:19]
	v_max_f64 v[20:21], v[20:21], v[20:21]
	v_max_f64 v[22:23], v[22:23], v[22:23]
	v_max_f64 v[24:25], v[24:25], v[24:25]
	v_max_f64 v[26:27], v[26:27], v[26:27]
	v_max_f64 v[28:29], v[28:29], v[28:29]
	s_waitcnt lgkmcnt(8)
	v_max_f64 v[42:43], v[42:43], v[42:43]
	v_max_f64 v[44:45], v[44:45], v[44:45]
	s_waitcnt lgkmcnt(7)
	v_max_f64 v[46:47], v[46:47], v[46:47]
	v_max_f64 v[48:49], v[48:49], v[48:49]
	;; [unrolled: 3-line block ×9, first 2 shown]
	ds_read2st64_b64 v[2:5], v95 offset1:4
.LBB203_40:                             ;   Parent Loop BB203_30 Depth=1
                                        ;     Parent Loop BB203_39 Depth=2
                                        ; =>    This Inner Loop Header: Depth=3
	v_mov_b32_e32 v95, s30
	s_waitcnt lgkmcnt(0)
	v_max_f64 v[2:3], v[2:3], v[2:3]
	s_and_b32 vcc_lo, exec_lo, s29
	s_mov_b32 s29, 0
	s_mov_b32 s30, s11
	s_clause 0xf
	buffer_load_dword v98, v95, s[0:3], 0 offen
	buffer_load_dword v99, v95, s[0:3], 0 offen offset:4
	buffer_load_dword v100, v95, s[0:3], 0 offen offset:8
	buffer_load_dword v101, v95, s[0:3], 0 offen offset:12
	buffer_load_dword v102, v95, s[0:3], 0 offen offset:16
	buffer_load_dword v103, v95, s[0:3], 0 offen offset:20
	buffer_load_dword v104, v95, s[0:3], 0 offen offset:24
	buffer_load_dword v105, v95, s[0:3], 0 offen offset:28
	buffer_load_dword v106, v95, s[0:3], 0 offen offset:32
	buffer_load_dword v107, v95, s[0:3], 0 offen offset:36
	buffer_load_dword v108, v95, s[0:3], 0 offen offset:40
	buffer_load_dword v109, v95, s[0:3], 0 offen offset:44
	buffer_load_dword v110, v95, s[0:3], 0 offen offset:48
	buffer_load_dword v111, v95, s[0:3], 0 offen offset:52
	buffer_load_dword v112, v95, s[0:3], 0 offen offset:56
	buffer_load_dword v113, v95, s[0:3], 0 offen offset:60
	v_min_f64 v[96:97], v[14:15], v[2:3]
	s_waitcnt vmcnt(14)
	v_add_f64 v[96:97], v[96:97], v[98:99]
	buffer_store_dword v96, v95, s[0:3], 0 offen
	buffer_store_dword v97, v95, s[0:3], 0 offen offset:4
	v_min_f64 v[96:97], v[16:17], v[2:3]
	s_waitcnt vmcnt(12)
	v_add_f64 v[96:97], v[96:97], v[100:101]
	buffer_store_dword v96, v95, s[0:3], 0 offen offset:8
	buffer_store_dword v97, v95, s[0:3], 0 offen offset:12
	v_min_f64 v[96:97], v[18:19], v[2:3]
	s_waitcnt vmcnt(10)
	v_add_f64 v[96:97], v[96:97], v[102:103]
	buffer_store_dword v96, v95, s[0:3], 0 offen offset:16
	;; [unrolled: 5-line block ×7, first 2 shown]
	buffer_store_dword v97, v95, s[0:3], 0 offen offset:60
	s_clause 0x1
	buffer_load_dword v99, v95, s[0:3], 0 offen offset:68
	buffer_load_dword v98, v95, s[0:3], 0 offen offset:64
	v_min_f64 v[96:97], v[30:31], v[2:3]
	s_waitcnt vmcnt(0)
	v_add_f64 v[96:97], v[96:97], v[98:99]
	buffer_store_dword v97, v95, s[0:3], 0 offen offset:68
	buffer_store_dword v96, v95, s[0:3], 0 offen offset:64
	s_clause 0x1
	buffer_load_dword v98, v95, s[0:3], 0 offen offset:72
	buffer_load_dword v99, v95, s[0:3], 0 offen offset:76
	v_min_f64 v[96:97], v[32:33], v[2:3]
	s_waitcnt vmcnt(0)
	v_add_f64 v[96:97], v[96:97], v[98:99]
	buffer_store_dword v97, v95, s[0:3], 0 offen offset:76
	;; [unrolled: 8-line block ×22, first 2 shown]
	buffer_store_dword v96, v95, s[0:3], 0 offen offset:232
	s_clause 0x1
	buffer_load_dword v98, v95, s[0:3], 0 offen offset:240
	buffer_load_dword v99, v95, s[0:3], 0 offen offset:244
	v_min_f64 v[96:97], v[80:81], v[2:3]
	v_min_f64 v[2:3], v[82:83], v[2:3]
	s_waitcnt vmcnt(0)
	v_add_f64 v[96:97], v[96:97], v[98:99]
	buffer_store_dword v97, v95, s[0:3], 0 offen offset:244
	buffer_store_dword v96, v95, s[0:3], 0 offen offset:240
	s_clause 0x1
	buffer_load_dword v96, v95, s[0:3], 0 offen offset:248
	buffer_load_dword v97, v95, s[0:3], 0 offen offset:252
	s_waitcnt vmcnt(0)
	v_add_f64 v[2:3], v[2:3], v[96:97]
	buffer_store_dword v3, v95, s[0:3], 0 offen offset:252
	buffer_store_dword v2, v95, s[0:3], 0 offen offset:248
	v_mov_b32_e32 v2, v4
	v_mov_b32_e32 v3, v5
	s_cbranch_vccnz .LBB203_40
; %bb.41:                               ;   in Loop: Header=BB203_39 Depth=2
	s_add_i32 s9, s9, 1
	s_cmp_eq_u32 s9, 4
	s_cbranch_scc0 .LBB203_39
; %bb.42:                               ;   in Loop: Header=BB203_30 Depth=1
	v_or_b32_e32 v4, 4, v94
	v_mov_b32_e32 v76, 0
	v_mov_b32_e32 v78, 0
	;; [unrolled: 1-line block ×4, first 2 shown]
	v_min_i32_e32 v2, s22, v4
	v_cmp_le_i32_e32 vcc_lo, s42, v4
	ds_write2st64_b64 v86, v[8:9], v[6:7] offset1:4
	ds_write2st64_b64 v88, v[12:13], v[10:11] offset1:4
	s_waitcnt lgkmcnt(0)
	s_waitcnt_vscnt null, 0x0
	v_ashrrev_i32_e32 v3, 31, v2
	s_barrier
	buffer_gl0_inv
	v_lshlrev_b64 v[2:3], 3, v[2:3]
	v_add_co_u32 v2, s9, s20, v2
	v_add_co_ci_u32_e64 v3, null, s21, v3, s9
	s_nor_b32 s9, vcc_lo, s26
	s_and_saveexec_b32 s29, s9
	s_cbranch_execz .LBB203_44
; %bb.43:                               ;   in Loop: Header=BB203_30 Depth=1
	v_add_co_u32 v4, s9, v2, v70
	v_add_co_ci_u32_e64 v5, null, v3, v71, s9
	global_load_dwordx2 v[4:5], v[4:5], off
	s_waitcnt vmcnt(0)
	v_mul_f64 v[78:79], s[16:17], v[4:5]
.LBB203_44:                             ;   in Loop: Header=BB203_30 Depth=1
	s_or_b32 exec_lo, exec_lo, s29
	s_nor_b32 s29, vcc_lo, s10
	s_and_saveexec_b32 s9, s29
	s_cbranch_execz .LBB203_46
; %bb.45:                               ;   in Loop: Header=BB203_30 Depth=1
	v_add_co_u32 v2, vcc_lo, v2, v72
	v_add_co_ci_u32_e64 v3, null, v3, v73, vcc_lo
	global_load_dwordx2 v[2:3], v[2:3], off
	s_waitcnt vmcnt(0)
	v_mul_f64 v[76:77], s[16:17], v[2:3]
.LBB203_46:                             ;   in Loop: Header=BB203_30 Depth=1
	s_or_b32 exec_lo, exec_lo, s9
	v_add3_u32 v4, v85, s27, 4
	v_mov_b32_e32 v80, 0
	v_mov_b32_e32 v82, 0
	;; [unrolled: 1-line block ×4, first 2 shown]
	v_min_i32_e32 v2, s22, v4
	v_cmp_le_i32_e32 vcc_lo, s42, v4
	v_mad_i64_i32 v[2:3], null, v2, s24, 0
	v_lshlrev_b64 v[2:3], 3, v[2:3]
	v_add_co_u32 v2, s9, s18, v2
	v_add_co_ci_u32_e64 v3, null, s19, v3, s9
	s_or_b32 s9, s6, vcc_lo
	s_nor_b32 s9, s23, s9
	s_and_saveexec_b32 s29, s9
	s_cbranch_execz .LBB203_48
; %bb.47:                               ;   in Loop: Header=BB203_30 Depth=1
	v_add_co_u32 v4, s9, v2, v74
	v_add_co_ci_u32_e64 v5, null, v3, v75, s9
	global_load_dwordx2 v[4:5], v[4:5], off
	s_waitcnt vmcnt(0)
	v_mul_f64 v[82:83], s[16:17], v[4:5]
.LBB203_48:                             ;   in Loop: Header=BB203_30 Depth=1
	s_or_b32 exec_lo, exec_lo, s29
	s_or_b32 s9, s8, vcc_lo
	s_nor_b32 s29, s23, s9
	s_and_saveexec_b32 s9, s29
	s_cbranch_execz .LBB203_50
; %bb.49:                               ;   in Loop: Header=BB203_30 Depth=1
	v_add_co_u32 v2, vcc_lo, v2, v74
	v_add_co_ci_u32_e64 v3, null, v3, v75, vcc_lo
	global_load_dwordx2 v[2:3], v[2:3], off offset:512
	s_waitcnt vmcnt(0)
	v_mul_f64 v[80:81], s[16:17], v[2:3]
.LBB203_50:                             ;   in Loop: Header=BB203_30 Depth=1
	s_or_b32 exec_lo, exec_lo, s9
	s_mov_b32 s9, 0
.LBB203_51:                             ;   Parent Loop BB203_30 Depth=1
                                        ; =>  This Loop Header: Depth=2
                                        ;       Child Loop BB203_52 Depth 3
	s_lshl_b32 s29, s9, 3
	s_mov_b32 s30, 0
	v_add_nc_u32_e32 v30, s29, v87
	v_add_nc_u32_e32 v66, s29, v89
	s_mov_b32 s29, -1
	ds_read2_b64 v[2:5], v30 offset1:16
	ds_read2_b64 v[6:9], v30 offset0:32 offset1:48
	ds_read2_b64 v[10:13], v30 offset0:64 offset1:80
	;; [unrolled: 1-line block ×3, first 2 shown]
	v_add_nc_u32_e32 v62, 0x800, v30
	ds_read2_b64 v[18:21], v30 offset0:128 offset1:144
	ds_read2_b64 v[22:25], v30 offset0:160 offset1:176
	;; [unrolled: 1-line block ×4, first 2 shown]
	ds_read2_b64 v[34:37], v62 offset1:16
	ds_read2_b64 v[38:41], v62 offset0:32 offset1:48
	ds_read2_b64 v[42:45], v62 offset0:64 offset1:80
	;; [unrolled: 1-line block ×7, first 2 shown]
	ds_read2st64_b64 v[66:69], v66 offset1:4
.LBB203_52:                             ;   Parent Loop BB203_30 Depth=1
                                        ;     Parent Loop BB203_51 Depth=2
                                        ; =>    This Inner Loop Header: Depth=3
	s_waitcnt lgkmcnt(16)
	v_max_f64 v[94:95], v[2:3], v[2:3]
	s_waitcnt lgkmcnt(0)
	v_max_f64 v[66:67], v[66:67], v[66:67]
	s_and_b32 vcc_lo, exec_lo, s29
	s_mov_b32 s29, 0
	v_min_f64 v[95:96], v[94:95], v[66:67]
	v_mov_b32_e32 v94, s30
	s_mov_b32 s30, s11
	s_clause 0xf
	buffer_load_dword v97, v94, s[0:3], 0 offen
	buffer_load_dword v98, v94, s[0:3], 0 offen offset:4
	buffer_load_dword v99, v94, s[0:3], 0 offen offset:8
	buffer_load_dword v100, v94, s[0:3], 0 offen offset:12
	buffer_load_dword v101, v94, s[0:3], 0 offen offset:16
	buffer_load_dword v102, v94, s[0:3], 0 offen offset:20
	buffer_load_dword v103, v94, s[0:3], 0 offen offset:24
	buffer_load_dword v104, v94, s[0:3], 0 offen offset:28
	buffer_load_dword v105, v94, s[0:3], 0 offen offset:32
	buffer_load_dword v106, v94, s[0:3], 0 offen offset:36
	buffer_load_dword v107, v94, s[0:3], 0 offen offset:40
	buffer_load_dword v108, v94, s[0:3], 0 offen offset:44
	buffer_load_dword v109, v94, s[0:3], 0 offen offset:48
	buffer_load_dword v110, v94, s[0:3], 0 offen offset:52
	buffer_load_dword v111, v94, s[0:3], 0 offen offset:56
	buffer_load_dword v112, v94, s[0:3], 0 offen offset:60
	s_waitcnt vmcnt(14)
	v_add_f64 v[95:96], v[95:96], v[97:98]
	buffer_store_dword v95, v94, s[0:3], 0 offen
	buffer_store_dword v96, v94, s[0:3], 0 offen offset:4
	v_max_f64 v[95:96], v[4:5], v[4:5]
	v_min_f64 v[95:96], v[95:96], v[66:67]
	s_waitcnt vmcnt(12)
	v_add_f64 v[95:96], v[95:96], v[99:100]
	buffer_store_dword v95, v94, s[0:3], 0 offen offset:8
	buffer_store_dword v96, v94, s[0:3], 0 offen offset:12
	v_max_f64 v[95:96], v[6:7], v[6:7]
	v_min_f64 v[95:96], v[95:96], v[66:67]
	s_waitcnt vmcnt(10)
	v_add_f64 v[95:96], v[95:96], v[101:102]
	buffer_store_dword v95, v94, s[0:3], 0 offen offset:16
	;; [unrolled: 6-line block ×7, first 2 shown]
	buffer_store_dword v96, v94, s[0:3], 0 offen offset:60
	s_clause 0x1
	buffer_load_dword v98, v94, s[0:3], 0 offen offset:68
	buffer_load_dword v97, v94, s[0:3], 0 offen offset:64
	v_max_f64 v[95:96], v[18:19], v[18:19]
	v_min_f64 v[95:96], v[95:96], v[66:67]
	s_waitcnt vmcnt(0)
	v_add_f64 v[95:96], v[95:96], v[97:98]
	buffer_store_dword v96, v94, s[0:3], 0 offen offset:68
	buffer_store_dword v95, v94, s[0:3], 0 offen offset:64
	s_clause 0x1
	buffer_load_dword v97, v94, s[0:3], 0 offen offset:72
	buffer_load_dword v98, v94, s[0:3], 0 offen offset:76
	v_max_f64 v[95:96], v[20:21], v[20:21]
	v_min_f64 v[95:96], v[95:96], v[66:67]
	s_waitcnt vmcnt(0)
	v_add_f64 v[95:96], v[95:96], v[97:98]
	buffer_store_dword v96, v94, s[0:3], 0 offen offset:76
	;; [unrolled: 9-line block ×23, first 2 shown]
	buffer_store_dword v95, v94, s[0:3], 0 offen offset:240
	v_max_f64 v[95:96], v[64:65], v[64:65]
	v_min_f64 v[66:67], v[95:96], v[66:67]
	s_clause 0x1
	buffer_load_dword v95, v94, s[0:3], 0 offen offset:248
	buffer_load_dword v96, v94, s[0:3], 0 offen offset:252
	s_waitcnt vmcnt(0)
	v_add_f64 v[66:67], v[66:67], v[95:96]
	buffer_store_dword v67, v94, s[0:3], 0 offen offset:252
	buffer_store_dword v66, v94, s[0:3], 0 offen offset:248
	v_mov_b32_e32 v66, v68
	v_mov_b32_e32 v67, v69
	s_cbranch_vccnz .LBB203_52
; %bb.53:                               ;   in Loop: Header=BB203_51 Depth=2
	s_add_i32 s9, s9, 1
	s_cmp_eq_u32 s9, 4
	s_cbranch_scc0 .LBB203_51
; %bb.54:                               ;   in Loop: Header=BB203_30 Depth=1
	s_add_i32 s28, s28, 8
	s_add_i32 s27, s27, 8
	s_cmp_ge_i32 s28, s25
	ds_write2st64_b64 v92, v[78:79], v[76:77] offset1:4
	ds_write2st64_b64 v93, v[82:83], v[80:81] offset1:4
	s_waitcnt lgkmcnt(0)
	s_waitcnt_vscnt null, 0x0
	s_barrier
	buffer_gl0_inv
	s_cbranch_scc0 .LBB203_30
.LBB203_55:
	s_mov_b32 s6, 0
.LBB203_56:                             ; =>This Loop Header: Depth=1
                                        ;     Child Loop BB203_57 Depth 2
	s_lshl_b32 s8, s6, 3
	s_mov_b32 s9, 0
	v_add_nc_u32_e32 v6, s8, v90
	v_add_nc_u32_e32 v70, s8, v91
	s_mov_b32 s8, -1
	ds_read2_b64 v[2:5], v6 offset1:16
	ds_read2_b64 v[10:13], v6 offset0:32 offset1:48
	ds_read2_b64 v[14:17], v6 offset0:64 offset1:80
	v_add_nc_u32_e32 v7, 0x800, v6
	ds_read2_b64 v[18:21], v6 offset0:96 offset1:112
	ds_read2_b64 v[22:25], v6 offset0:128 offset1:144
	;; [unrolled: 1-line block ×5, first 2 shown]
	ds_read2_b64 v[38:41], v7 offset1:16
	ds_read2_b64 v[42:45], v7 offset0:32 offset1:48
	ds_read2_b64 v[46:49], v7 offset0:64 offset1:80
	;; [unrolled: 1-line block ×7, first 2 shown]
	s_waitcnt lgkmcnt(11)
	v_max_f64 v[22:23], v[22:23], v[22:23]
	v_max_f64 v[24:25], v[24:25], v[24:25]
	s_waitcnt lgkmcnt(10)
	v_max_f64 v[26:27], v[26:27], v[26:27]
	v_max_f64 v[28:29], v[28:29], v[28:29]
	;; [unrolled: 3-line block ×3, first 2 shown]
	v_max_f64 v[6:7], v[2:3], v[2:3]
	v_max_f64 v[8:9], v[4:5], v[4:5]
	;; [unrolled: 1-line block ×8, first 2 shown]
	s_waitcnt lgkmcnt(8)
	v_max_f64 v[34:35], v[34:35], v[34:35]
	v_max_f64 v[36:37], v[36:37], v[36:37]
	s_waitcnt lgkmcnt(7)
	v_max_f64 v[38:39], v[38:39], v[38:39]
	v_max_f64 v[40:41], v[40:41], v[40:41]
	;; [unrolled: 3-line block ×9, first 2 shown]
	ds_read2st64_b64 v[2:5], v70 offset1:4
.LBB203_57:                             ;   Parent Loop BB203_56 Depth=1
                                        ; =>  This Inner Loop Header: Depth=2
	v_mov_b32_e32 v70, s9
	s_waitcnt lgkmcnt(0)
	v_max_f64 v[2:3], v[2:3], v[2:3]
	s_and_b32 vcc_lo, exec_lo, s8
	s_mov_b32 s8, 0
	s_mov_b32 s9, s11
	s_clause 0xf
	buffer_load_dword v73, v70, s[0:3], 0 offen
	buffer_load_dword v74, v70, s[0:3], 0 offen offset:4
	buffer_load_dword v75, v70, s[0:3], 0 offen offset:8
	;; [unrolled: 1-line block ×15, first 2 shown]
	v_min_f64 v[71:72], v[6:7], v[2:3]
	s_waitcnt vmcnt(14)
	v_add_f64 v[71:72], v[71:72], v[73:74]
	buffer_store_dword v71, v70, s[0:3], 0 offen
	buffer_store_dword v72, v70, s[0:3], 0 offen offset:4
	v_min_f64 v[71:72], v[8:9], v[2:3]
	s_waitcnt vmcnt(12)
	v_add_f64 v[71:72], v[71:72], v[75:76]
	buffer_store_dword v71, v70, s[0:3], 0 offen offset:8
	buffer_store_dword v72, v70, s[0:3], 0 offen offset:12
	v_min_f64 v[71:72], v[10:11], v[2:3]
	s_waitcnt vmcnt(10)
	v_add_f64 v[71:72], v[71:72], v[77:78]
	buffer_store_dword v71, v70, s[0:3], 0 offen offset:16
	;; [unrolled: 5-line block ×7, first 2 shown]
	buffer_store_dword v72, v70, s[0:3], 0 offen offset:60
	s_clause 0x1
	buffer_load_dword v74, v70, s[0:3], 0 offen offset:68
	buffer_load_dword v73, v70, s[0:3], 0 offen offset:64
	v_min_f64 v[71:72], v[22:23], v[2:3]
	s_waitcnt vmcnt(0)
	v_add_f64 v[71:72], v[71:72], v[73:74]
	buffer_store_dword v72, v70, s[0:3], 0 offen offset:68
	buffer_store_dword v71, v70, s[0:3], 0 offen offset:64
	s_clause 0x1
	buffer_load_dword v73, v70, s[0:3], 0 offen offset:72
	buffer_load_dword v74, v70, s[0:3], 0 offen offset:76
	v_min_f64 v[71:72], v[24:25], v[2:3]
	s_waitcnt vmcnt(0)
	v_add_f64 v[71:72], v[71:72], v[73:74]
	buffer_store_dword v72, v70, s[0:3], 0 offen offset:76
	;; [unrolled: 8-line block ×22, first 2 shown]
	buffer_store_dword v71, v70, s[0:3], 0 offen offset:232
	s_clause 0x1
	buffer_load_dword v73, v70, s[0:3], 0 offen offset:240
	buffer_load_dword v74, v70, s[0:3], 0 offen offset:244
	v_min_f64 v[71:72], v[66:67], v[2:3]
	v_min_f64 v[2:3], v[68:69], v[2:3]
	s_waitcnt vmcnt(0)
	v_add_f64 v[71:72], v[71:72], v[73:74]
	buffer_store_dword v72, v70, s[0:3], 0 offen offset:244
	buffer_store_dword v71, v70, s[0:3], 0 offen offset:240
	s_clause 0x1
	buffer_load_dword v71, v70, s[0:3], 0 offen offset:248
	buffer_load_dword v72, v70, s[0:3], 0 offen offset:252
	s_waitcnt vmcnt(0)
	v_add_f64 v[2:3], v[2:3], v[71:72]
	buffer_store_dword v3, v70, s[0:3], 0 offen offset:252
	buffer_store_dword v2, v70, s[0:3], 0 offen offset:248
	v_mov_b32_e32 v2, v4
	v_mov_b32_e32 v3, v5
	s_cbranch_vccnz .LBB203_57
; %bb.58:                               ;   in Loop: Header=BB203_56 Depth=1
	s_add_i32 s6, s6, 1
	s_cmp_eq_u32 s6, 4
	s_cbranch_scc0 .LBB203_56
; %bb.59:
	s_clause 0x2
	s_load_dwordx2 s[8:9], s[4:5], 0x78
	s_load_dword s43, s[4:5], 0x58
	s_load_dword s42, s[4:5], 0x70
	v_add_nc_u32_e32 v71, s13, v1
	v_add_nc_u32_e32 v0, s12, v0
	v_cndmask_b32_e64 v70, 0, 1, s46
	v_cmp_gt_i32_e64 s13, s41, v71
	s_waitcnt lgkmcnt(0)
	s_mul_i32 s4, s9, s7
	v_mad_i64_i32 v[1:2], null, v71, s43, 0
	v_mad_i64_i32 v[3:4], null, v71, s42, 0
	s_mul_hi_u32 s5, s8, s7
	s_mul_i32 s6, s8, s7
	s_add_i32 s7, s5, s4
	v_cmp_gt_i32_e64 s4, s40, v0
	v_lshlrev_b64 v[5:6], 3, v[1:2]
	s_lshl_b64 s[6:7], s[6:7], 3
	v_lshlrev_b64 v[2:3], 3, v[3:4]
	s_add_u32 s47, s14, s6
	s_addc_u32 s48, s15, s7
	v_ashrrev_i32_e32 v1, 31, v0
	v_add_co_u32 v68, vcc_lo, s44, v5
	v_add_co_ci_u32_e64 v69, null, s45, v6, vcc_lo
	v_add_co_u32 v72, vcc_lo, s47, v2
	v_add_co_ci_u32_e64 v73, null, s48, v3, vcc_lo
	s_and_b32 s6, s13, s4
	s_and_saveexec_b32 s5, s6
	s_cbranch_execz .LBB203_64
; %bb.60:
	s_clause 0x1
	buffer_load_dword v2, off, s[0:3], 0
	buffer_load_dword v3, off, s[0:3], 0 offset:4
	v_lshlrev_b64 v[4:5], 3, v[0:1]
	s_andn2_b32 vcc_lo, exec_lo, s46
	s_cbranch_vccnz .LBB203_62
; %bb.61:
	v_add_co_u32 v6, vcc_lo, v68, v4
	v_add_co_ci_u32_e64 v7, null, v69, v5, vcc_lo
	global_load_dwordx2 v[6:7], v[6:7], off
	s_waitcnt vmcnt(0)
	v_mul_f64 v[6:7], s[38:39], v[6:7]
	s_branch .LBB203_63
.LBB203_62:
	v_mov_b32_e32 v6, 0
	v_mov_b32_e32 v7, 0
.LBB203_63:
	s_waitcnt vmcnt(0)
	v_add_f64 v[2:3], v[2:3], v[6:7]
	v_add_co_u32 v4, vcc_lo, v72, v4
	v_add_co_ci_u32_e64 v5, null, v73, v5, vcc_lo
	global_store_dwordx2 v[4:5], v[2:3], off
.LBB203_64:
	s_or_b32 exec_lo, exec_lo, s5
	v_add_nc_u32_e32 v2, 4, v0
	v_cmp_gt_i32_e64 s5, s40, v2
	v_ashrrev_i32_e32 v3, 31, v2
	s_and_b32 s7, s13, s5
	s_and_saveexec_b32 s6, s7
	s_cbranch_execz .LBB203_69
; %bb.65:
	s_clause 0x1
	buffer_load_dword v4, off, s[0:3], 0 offset:8
	buffer_load_dword v5, off, s[0:3], 0 offset:12
	v_lshlrev_b64 v[6:7], 3, v[2:3]
	s_andn2_b32 vcc_lo, exec_lo, s46
	s_cbranch_vccnz .LBB203_67
; %bb.66:
	v_add_co_u32 v8, vcc_lo, v68, v6
	v_add_co_ci_u32_e64 v9, null, v69, v7, vcc_lo
	global_load_dwordx2 v[8:9], v[8:9], off
	s_waitcnt vmcnt(0)
	v_mul_f64 v[8:9], s[38:39], v[8:9]
	s_branch .LBB203_68
.LBB203_67:
	v_mov_b32_e32 v8, 0
	v_mov_b32_e32 v9, 0
.LBB203_68:
	s_waitcnt vmcnt(0)
	v_add_f64 v[4:5], v[4:5], v[8:9]
	v_add_co_u32 v6, vcc_lo, v72, v6
	v_add_co_ci_u32_e64 v7, null, v73, v7, vcc_lo
	global_store_dwordx2 v[6:7], v[4:5], off
.LBB203_69:
	s_or_b32 exec_lo, exec_lo, s6
	v_add_nc_u32_e32 v4, 8, v0
	v_cmp_gt_i32_e64 s6, s40, v4
	v_ashrrev_i32_e32 v5, 31, v4
	s_and_b32 s8, s13, s6
	s_and_saveexec_b32 s7, s8
	s_cbranch_execz .LBB203_74
; %bb.70:
	s_clause 0x1
	buffer_load_dword v6, off, s[0:3], 0 offset:16
	buffer_load_dword v7, off, s[0:3], 0 offset:20
	v_lshlrev_b64 v[8:9], 3, v[4:5]
	s_andn2_b32 vcc_lo, exec_lo, s46
	s_cbranch_vccnz .LBB203_72
; %bb.71:
	v_add_co_u32 v10, vcc_lo, v68, v8
	v_add_co_ci_u32_e64 v11, null, v69, v9, vcc_lo
	global_load_dwordx2 v[10:11], v[10:11], off
	s_waitcnt vmcnt(0)
	v_mul_f64 v[10:11], s[38:39], v[10:11]
	s_branch .LBB203_73
.LBB203_72:
	v_mov_b32_e32 v10, 0
	v_mov_b32_e32 v11, 0
.LBB203_73:
	s_waitcnt vmcnt(0)
	v_add_f64 v[6:7], v[6:7], v[10:11]
	v_add_co_u32 v8, vcc_lo, v72, v8
	v_add_co_ci_u32_e64 v9, null, v73, v9, vcc_lo
	global_store_dwordx2 v[8:9], v[6:7], off
.LBB203_74:
	s_or_b32 exec_lo, exec_lo, s7
	v_add_nc_u32_e32 v6, 12, v0
	v_cmp_gt_i32_e64 s7, s40, v6
	v_ashrrev_i32_e32 v7, 31, v6
	s_and_b32 s9, s13, s7
	s_and_saveexec_b32 s8, s9
	s_cbranch_execz .LBB203_79
; %bb.75:
	s_clause 0x1
	buffer_load_dword v8, off, s[0:3], 0 offset:24
	buffer_load_dword v9, off, s[0:3], 0 offset:28
	v_lshlrev_b64 v[10:11], 3, v[6:7]
	s_andn2_b32 vcc_lo, exec_lo, s46
	s_cbranch_vccnz .LBB203_77
; %bb.76:
	v_add_co_u32 v12, vcc_lo, v68, v10
	v_add_co_ci_u32_e64 v13, null, v69, v11, vcc_lo
	global_load_dwordx2 v[12:13], v[12:13], off
	s_waitcnt vmcnt(0)
	v_mul_f64 v[12:13], s[38:39], v[12:13]
	s_branch .LBB203_78
.LBB203_77:
	v_mov_b32_e32 v12, 0
	v_mov_b32_e32 v13, 0
.LBB203_78:
	s_waitcnt vmcnt(0)
	v_add_f64 v[8:9], v[8:9], v[12:13]
	v_add_co_u32 v10, vcc_lo, v72, v10
	v_add_co_ci_u32_e64 v11, null, v73, v11, vcc_lo
	global_store_dwordx2 v[10:11], v[8:9], off
.LBB203_79:
	s_or_b32 exec_lo, exec_lo, s8
	v_add_nc_u32_e32 v8, 16, v0
	v_cmp_gt_i32_e64 s8, s40, v8
	v_ashrrev_i32_e32 v9, 31, v8
	s_and_b32 s10, s13, s8
	s_and_saveexec_b32 s9, s10
	s_cbranch_execz .LBB203_84
; %bb.80:
	s_clause 0x1
	buffer_load_dword v10, off, s[0:3], 0 offset:32
	buffer_load_dword v11, off, s[0:3], 0 offset:36
	v_lshlrev_b64 v[12:13], 3, v[8:9]
	s_andn2_b32 vcc_lo, exec_lo, s46
	s_cbranch_vccnz .LBB203_82
; %bb.81:
	v_add_co_u32 v14, vcc_lo, v68, v12
	v_add_co_ci_u32_e64 v15, null, v69, v13, vcc_lo
	global_load_dwordx2 v[14:15], v[14:15], off
	s_waitcnt vmcnt(0)
	v_mul_f64 v[14:15], s[38:39], v[14:15]
	s_branch .LBB203_83
.LBB203_82:
	v_mov_b32_e32 v14, 0
	v_mov_b32_e32 v15, 0
.LBB203_83:
	s_waitcnt vmcnt(0)
	v_add_f64 v[10:11], v[10:11], v[14:15]
	v_add_co_u32 v12, vcc_lo, v72, v12
	v_add_co_ci_u32_e64 v13, null, v73, v13, vcc_lo
	global_store_dwordx2 v[12:13], v[10:11], off
.LBB203_84:
	s_or_b32 exec_lo, exec_lo, s9
	v_add_nc_u32_e32 v10, 20, v0
	v_cmp_gt_i32_e64 s9, s40, v10
	v_ashrrev_i32_e32 v11, 31, v10
	s_and_b32 s11, s13, s9
	s_and_saveexec_b32 s10, s11
	s_cbranch_execz .LBB203_89
; %bb.85:
	s_clause 0x1
	buffer_load_dword v12, off, s[0:3], 0 offset:40
	buffer_load_dword v13, off, s[0:3], 0 offset:44
	v_lshlrev_b64 v[14:15], 3, v[10:11]
	s_andn2_b32 vcc_lo, exec_lo, s46
	s_cbranch_vccnz .LBB203_87
; %bb.86:
	v_add_co_u32 v16, vcc_lo, v68, v14
	v_add_co_ci_u32_e64 v17, null, v69, v15, vcc_lo
	global_load_dwordx2 v[16:17], v[16:17], off
	s_waitcnt vmcnt(0)
	v_mul_f64 v[16:17], s[38:39], v[16:17]
	s_branch .LBB203_88
.LBB203_87:
	v_mov_b32_e32 v16, 0
	v_mov_b32_e32 v17, 0
.LBB203_88:
	s_waitcnt vmcnt(0)
	v_add_f64 v[12:13], v[12:13], v[16:17]
	v_add_co_u32 v14, vcc_lo, v72, v14
	v_add_co_ci_u32_e64 v15, null, v73, v15, vcc_lo
	global_store_dwordx2 v[14:15], v[12:13], off
.LBB203_89:
	s_or_b32 exec_lo, exec_lo, s10
	v_add_nc_u32_e32 v12, 24, v0
	v_cmp_gt_i32_e64 s10, s40, v12
	v_ashrrev_i32_e32 v13, 31, v12
	s_and_b32 s12, s13, s10
	s_and_saveexec_b32 s11, s12
	s_cbranch_execz .LBB203_94
; %bb.90:
	s_clause 0x1
	buffer_load_dword v14, off, s[0:3], 0 offset:48
	buffer_load_dword v15, off, s[0:3], 0 offset:52
	v_lshlrev_b64 v[16:17], 3, v[12:13]
	s_andn2_b32 vcc_lo, exec_lo, s46
	s_cbranch_vccnz .LBB203_92
; %bb.91:
	v_add_co_u32 v18, vcc_lo, v68, v16
	v_add_co_ci_u32_e64 v19, null, v69, v17, vcc_lo
	global_load_dwordx2 v[18:19], v[18:19], off
	s_waitcnt vmcnt(0)
	v_mul_f64 v[18:19], s[38:39], v[18:19]
	s_branch .LBB203_93
.LBB203_92:
	v_mov_b32_e32 v18, 0
	v_mov_b32_e32 v19, 0
.LBB203_93:
	s_waitcnt vmcnt(0)
	v_add_f64 v[14:15], v[14:15], v[18:19]
	v_add_co_u32 v16, vcc_lo, v72, v16
	v_add_co_ci_u32_e64 v17, null, v73, v17, vcc_lo
	global_store_dwordx2 v[16:17], v[14:15], off
.LBB203_94:
	s_or_b32 exec_lo, exec_lo, s11
	v_add_nc_u32_e32 v14, 28, v0
	v_cmp_gt_i32_e64 s11, s40, v14
	v_ashrrev_i32_e32 v15, 31, v14
	s_and_b32 s14, s13, s11
	s_and_saveexec_b32 s12, s14
	s_cbranch_execz .LBB203_99
; %bb.95:
	s_clause 0x1
	buffer_load_dword v16, off, s[0:3], 0 offset:56
	buffer_load_dword v17, off, s[0:3], 0 offset:60
	v_lshlrev_b64 v[18:19], 3, v[14:15]
	s_andn2_b32 vcc_lo, exec_lo, s46
	s_cbranch_vccnz .LBB203_97
; %bb.96:
	v_add_co_u32 v20, vcc_lo, v68, v18
	v_add_co_ci_u32_e64 v21, null, v69, v19, vcc_lo
	global_load_dwordx2 v[20:21], v[20:21], off
	s_waitcnt vmcnt(0)
	v_mul_f64 v[20:21], s[38:39], v[20:21]
	s_branch .LBB203_98
.LBB203_97:
	v_mov_b32_e32 v20, 0
	v_mov_b32_e32 v21, 0
.LBB203_98:
	s_waitcnt vmcnt(0)
	v_add_f64 v[16:17], v[16:17], v[20:21]
	v_add_co_u32 v18, vcc_lo, v72, v18
	v_add_co_ci_u32_e64 v19, null, v73, v19, vcc_lo
	global_store_dwordx2 v[18:19], v[16:17], off
.LBB203_99:
	s_or_b32 exec_lo, exec_lo, s12
	v_add_nc_u32_e32 v16, 32, v0
	v_cmp_gt_i32_e64 s12, s40, v16
	v_ashrrev_i32_e32 v17, 31, v16
	s_and_b32 s15, s13, s12
	s_and_saveexec_b32 s14, s15
	s_cbranch_execz .LBB203_104
; %bb.100:
	s_clause 0x1
	buffer_load_dword v18, off, s[0:3], 0 offset:64
	buffer_load_dword v19, off, s[0:3], 0 offset:68
	v_lshlrev_b64 v[20:21], 3, v[16:17]
	s_andn2_b32 vcc_lo, exec_lo, s46
	s_cbranch_vccnz .LBB203_102
; %bb.101:
	v_add_co_u32 v22, vcc_lo, v68, v20
	v_add_co_ci_u32_e64 v23, null, v69, v21, vcc_lo
	global_load_dwordx2 v[22:23], v[22:23], off
	s_waitcnt vmcnt(0)
	v_mul_f64 v[22:23], s[38:39], v[22:23]
	s_branch .LBB203_103
.LBB203_102:
	v_mov_b32_e32 v22, 0
	v_mov_b32_e32 v23, 0
.LBB203_103:
	s_waitcnt vmcnt(0)
	v_add_f64 v[18:19], v[18:19], v[22:23]
	v_add_co_u32 v20, vcc_lo, v72, v20
	v_add_co_ci_u32_e64 v21, null, v73, v21, vcc_lo
	global_store_dwordx2 v[20:21], v[18:19], off
.LBB203_104:
	s_or_b32 exec_lo, exec_lo, s14
	v_add_nc_u32_e32 v18, 36, v0
	v_cmp_gt_i32_e64 s14, s40, v18
	v_ashrrev_i32_e32 v19, 31, v18
	s_and_b32 s16, s13, s14
	s_and_saveexec_b32 s15, s16
	s_cbranch_execz .LBB203_109
; %bb.105:
	s_clause 0x1
	buffer_load_dword v20, off, s[0:3], 0 offset:72
	buffer_load_dword v21, off, s[0:3], 0 offset:76
	v_lshlrev_b64 v[22:23], 3, v[18:19]
	s_andn2_b32 vcc_lo, exec_lo, s46
	s_cbranch_vccnz .LBB203_107
; %bb.106:
	v_add_co_u32 v24, vcc_lo, v68, v22
	v_add_co_ci_u32_e64 v25, null, v69, v23, vcc_lo
	global_load_dwordx2 v[24:25], v[24:25], off
	s_waitcnt vmcnt(0)
	v_mul_f64 v[24:25], s[38:39], v[24:25]
	s_branch .LBB203_108
.LBB203_107:
	v_mov_b32_e32 v24, 0
	v_mov_b32_e32 v25, 0
.LBB203_108:
	s_waitcnt vmcnt(0)
	v_add_f64 v[20:21], v[20:21], v[24:25]
	v_add_co_u32 v22, vcc_lo, v72, v22
	v_add_co_ci_u32_e64 v23, null, v73, v23, vcc_lo
	global_store_dwordx2 v[22:23], v[20:21], off
.LBB203_109:
	s_or_b32 exec_lo, exec_lo, s15
	v_add_nc_u32_e32 v20, 40, v0
	v_cmp_gt_i32_e64 s15, s40, v20
	v_ashrrev_i32_e32 v21, 31, v20
	s_and_b32 s17, s13, s15
	s_and_saveexec_b32 s16, s17
	s_cbranch_execz .LBB203_114
; %bb.110:
	s_clause 0x1
	buffer_load_dword v22, off, s[0:3], 0 offset:80
	buffer_load_dword v23, off, s[0:3], 0 offset:84
	v_lshlrev_b64 v[24:25], 3, v[20:21]
	s_andn2_b32 vcc_lo, exec_lo, s46
	s_cbranch_vccnz .LBB203_112
; %bb.111:
	v_add_co_u32 v26, vcc_lo, v68, v24
	v_add_co_ci_u32_e64 v27, null, v69, v25, vcc_lo
	global_load_dwordx2 v[26:27], v[26:27], off
	s_waitcnt vmcnt(0)
	v_mul_f64 v[26:27], s[38:39], v[26:27]
	s_branch .LBB203_113
.LBB203_112:
	v_mov_b32_e32 v26, 0
	v_mov_b32_e32 v27, 0
.LBB203_113:
	s_waitcnt vmcnt(0)
	v_add_f64 v[22:23], v[22:23], v[26:27]
	v_add_co_u32 v24, vcc_lo, v72, v24
	v_add_co_ci_u32_e64 v25, null, v73, v25, vcc_lo
	global_store_dwordx2 v[24:25], v[22:23], off
.LBB203_114:
	s_or_b32 exec_lo, exec_lo, s16
	v_add_nc_u32_e32 v22, 44, v0
	v_cmp_gt_i32_e64 s16, s40, v22
	v_ashrrev_i32_e32 v23, 31, v22
	s_and_b32 s18, s13, s16
	s_and_saveexec_b32 s17, s18
	s_cbranch_execz .LBB203_119
; %bb.115:
	s_clause 0x1
	buffer_load_dword v24, off, s[0:3], 0 offset:88
	buffer_load_dword v25, off, s[0:3], 0 offset:92
	v_lshlrev_b64 v[26:27], 3, v[22:23]
	s_andn2_b32 vcc_lo, exec_lo, s46
	s_cbranch_vccnz .LBB203_117
; %bb.116:
	v_add_co_u32 v28, vcc_lo, v68, v26
	v_add_co_ci_u32_e64 v29, null, v69, v27, vcc_lo
	global_load_dwordx2 v[28:29], v[28:29], off
	s_waitcnt vmcnt(0)
	v_mul_f64 v[28:29], s[38:39], v[28:29]
	s_branch .LBB203_118
.LBB203_117:
	v_mov_b32_e32 v28, 0
	v_mov_b32_e32 v29, 0
.LBB203_118:
	s_waitcnt vmcnt(0)
	v_add_f64 v[24:25], v[24:25], v[28:29]
	v_add_co_u32 v26, vcc_lo, v72, v26
	v_add_co_ci_u32_e64 v27, null, v73, v27, vcc_lo
	global_store_dwordx2 v[26:27], v[24:25], off
.LBB203_119:
	s_or_b32 exec_lo, exec_lo, s17
	v_add_nc_u32_e32 v24, 48, v0
	v_cmp_gt_i32_e64 s17, s40, v24
	v_ashrrev_i32_e32 v25, 31, v24
	s_and_b32 s19, s13, s17
	s_and_saveexec_b32 s18, s19
	s_cbranch_execz .LBB203_124
; %bb.120:
	s_clause 0x1
	buffer_load_dword v26, off, s[0:3], 0 offset:96
	buffer_load_dword v27, off, s[0:3], 0 offset:100
	v_lshlrev_b64 v[28:29], 3, v[24:25]
	s_andn2_b32 vcc_lo, exec_lo, s46
	s_cbranch_vccnz .LBB203_122
; %bb.121:
	v_add_co_u32 v30, vcc_lo, v68, v28
	v_add_co_ci_u32_e64 v31, null, v69, v29, vcc_lo
	global_load_dwordx2 v[30:31], v[30:31], off
	s_waitcnt vmcnt(0)
	v_mul_f64 v[30:31], s[38:39], v[30:31]
	s_branch .LBB203_123
.LBB203_122:
	v_mov_b32_e32 v30, 0
	v_mov_b32_e32 v31, 0
.LBB203_123:
	s_waitcnt vmcnt(0)
	v_add_f64 v[26:27], v[26:27], v[30:31]
	v_add_co_u32 v28, vcc_lo, v72, v28
	v_add_co_ci_u32_e64 v29, null, v73, v29, vcc_lo
	global_store_dwordx2 v[28:29], v[26:27], off
.LBB203_124:
	s_or_b32 exec_lo, exec_lo, s18
	v_add_nc_u32_e32 v26, 52, v0
	v_cmp_gt_i32_e64 s18, s40, v26
	v_ashrrev_i32_e32 v27, 31, v26
	s_and_b32 s20, s13, s18
	s_and_saveexec_b32 s19, s20
	s_cbranch_execz .LBB203_129
; %bb.125:
	s_clause 0x1
	buffer_load_dword v28, off, s[0:3], 0 offset:104
	buffer_load_dword v29, off, s[0:3], 0 offset:108
	v_lshlrev_b64 v[30:31], 3, v[26:27]
	s_andn2_b32 vcc_lo, exec_lo, s46
	s_cbranch_vccnz .LBB203_127
; %bb.126:
	v_add_co_u32 v32, vcc_lo, v68, v30
	v_add_co_ci_u32_e64 v33, null, v69, v31, vcc_lo
	global_load_dwordx2 v[32:33], v[32:33], off
	s_waitcnt vmcnt(0)
	v_mul_f64 v[32:33], s[38:39], v[32:33]
	s_branch .LBB203_128
.LBB203_127:
	v_mov_b32_e32 v32, 0
	v_mov_b32_e32 v33, 0
.LBB203_128:
	s_waitcnt vmcnt(0)
	v_add_f64 v[28:29], v[28:29], v[32:33]
	v_add_co_u32 v30, vcc_lo, v72, v30
	v_add_co_ci_u32_e64 v31, null, v73, v31, vcc_lo
	global_store_dwordx2 v[30:31], v[28:29], off
.LBB203_129:
	s_or_b32 exec_lo, exec_lo, s19
	v_add_nc_u32_e32 v28, 56, v0
	v_cmp_gt_i32_e64 s19, s40, v28
	v_ashrrev_i32_e32 v29, 31, v28
	s_and_b32 s21, s13, s19
	s_and_saveexec_b32 s20, s21
	s_cbranch_execz .LBB203_134
; %bb.130:
	s_clause 0x1
	buffer_load_dword v30, off, s[0:3], 0 offset:112
	buffer_load_dword v31, off, s[0:3], 0 offset:116
	v_lshlrev_b64 v[32:33], 3, v[28:29]
	s_andn2_b32 vcc_lo, exec_lo, s46
	s_cbranch_vccnz .LBB203_132
; %bb.131:
	v_add_co_u32 v34, vcc_lo, v68, v32
	v_add_co_ci_u32_e64 v35, null, v69, v33, vcc_lo
	global_load_dwordx2 v[34:35], v[34:35], off
	s_waitcnt vmcnt(0)
	v_mul_f64 v[34:35], s[38:39], v[34:35]
	s_branch .LBB203_133
.LBB203_132:
	v_mov_b32_e32 v34, 0
	v_mov_b32_e32 v35, 0
.LBB203_133:
	s_waitcnt vmcnt(0)
	v_add_f64 v[30:31], v[30:31], v[34:35]
	v_add_co_u32 v32, vcc_lo, v72, v32
	v_add_co_ci_u32_e64 v33, null, v73, v33, vcc_lo
	global_store_dwordx2 v[32:33], v[30:31], off
.LBB203_134:
	s_or_b32 exec_lo, exec_lo, s20
	v_add_nc_u32_e32 v30, 60, v0
	v_cmp_gt_i32_e64 s20, s40, v30
	v_ashrrev_i32_e32 v31, 31, v30
	s_and_b32 s22, s13, s20
	s_and_saveexec_b32 s21, s22
	s_cbranch_execz .LBB203_139
; %bb.135:
	s_clause 0x1
	buffer_load_dword v32, off, s[0:3], 0 offset:120
	buffer_load_dword v33, off, s[0:3], 0 offset:124
	v_lshlrev_b64 v[34:35], 3, v[30:31]
	s_andn2_b32 vcc_lo, exec_lo, s46
	s_cbranch_vccnz .LBB203_137
; %bb.136:
	v_add_co_u32 v36, vcc_lo, v68, v34
	v_add_co_ci_u32_e64 v37, null, v69, v35, vcc_lo
	global_load_dwordx2 v[36:37], v[36:37], off
	s_waitcnt vmcnt(0)
	v_mul_f64 v[36:37], s[38:39], v[36:37]
	s_branch .LBB203_138
.LBB203_137:
	v_mov_b32_e32 v36, 0
	v_mov_b32_e32 v37, 0
.LBB203_138:
	s_waitcnt vmcnt(0)
	v_add_f64 v[32:33], v[32:33], v[36:37]
	v_add_co_u32 v34, vcc_lo, v72, v34
	v_add_co_ci_u32_e64 v35, null, v73, v35, vcc_lo
	global_store_dwordx2 v[34:35], v[32:33], off
.LBB203_139:
	s_or_b32 exec_lo, exec_lo, s21
	v_add_nc_u32_e32 v32, 64, v0
	v_cmp_gt_i32_e64 s21, s40, v32
	v_ashrrev_i32_e32 v33, 31, v32
	s_and_b32 s23, s13, s21
	s_and_saveexec_b32 s22, s23
	s_cbranch_execz .LBB203_144
; %bb.140:
	s_clause 0x1
	buffer_load_dword v34, off, s[0:3], 0 offset:128
	buffer_load_dword v35, off, s[0:3], 0 offset:132
	v_lshlrev_b64 v[36:37], 3, v[32:33]
	s_andn2_b32 vcc_lo, exec_lo, s46
	s_cbranch_vccnz .LBB203_142
; %bb.141:
	v_add_co_u32 v38, vcc_lo, v68, v36
	v_add_co_ci_u32_e64 v39, null, v69, v37, vcc_lo
	global_load_dwordx2 v[38:39], v[38:39], off
	s_waitcnt vmcnt(0)
	v_mul_f64 v[38:39], s[38:39], v[38:39]
	s_branch .LBB203_143
.LBB203_142:
	v_mov_b32_e32 v38, 0
	v_mov_b32_e32 v39, 0
.LBB203_143:
	s_waitcnt vmcnt(0)
	v_add_f64 v[34:35], v[34:35], v[38:39]
	v_add_co_u32 v36, vcc_lo, v72, v36
	v_add_co_ci_u32_e64 v37, null, v73, v37, vcc_lo
	global_store_dwordx2 v[36:37], v[34:35], off
.LBB203_144:
	s_or_b32 exec_lo, exec_lo, s22
	v_add_nc_u32_e32 v34, 0x44, v0
	v_cmp_gt_i32_e64 s22, s40, v34
	v_ashrrev_i32_e32 v35, 31, v34
	s_and_b32 s24, s13, s22
	s_and_saveexec_b32 s23, s24
	s_cbranch_execz .LBB203_149
; %bb.145:
	s_clause 0x1
	buffer_load_dword v36, off, s[0:3], 0 offset:136
	buffer_load_dword v37, off, s[0:3], 0 offset:140
	v_lshlrev_b64 v[38:39], 3, v[34:35]
	s_andn2_b32 vcc_lo, exec_lo, s46
	s_cbranch_vccnz .LBB203_147
; %bb.146:
	v_add_co_u32 v40, vcc_lo, v68, v38
	v_add_co_ci_u32_e64 v41, null, v69, v39, vcc_lo
	global_load_dwordx2 v[40:41], v[40:41], off
	s_waitcnt vmcnt(0)
	v_mul_f64 v[40:41], s[38:39], v[40:41]
	s_branch .LBB203_148
.LBB203_147:
	v_mov_b32_e32 v40, 0
	v_mov_b32_e32 v41, 0
.LBB203_148:
	s_waitcnt vmcnt(0)
	v_add_f64 v[36:37], v[36:37], v[40:41]
	v_add_co_u32 v38, vcc_lo, v72, v38
	v_add_co_ci_u32_e64 v39, null, v73, v39, vcc_lo
	global_store_dwordx2 v[38:39], v[36:37], off
.LBB203_149:
	s_or_b32 exec_lo, exec_lo, s23
	v_add_nc_u32_e32 v36, 0x48, v0
	v_cmp_gt_i32_e64 s23, s40, v36
	v_ashrrev_i32_e32 v37, 31, v36
	s_and_b32 s25, s13, s23
	s_and_saveexec_b32 s24, s25
	s_cbranch_execz .LBB203_154
; %bb.150:
	s_clause 0x1
	buffer_load_dword v38, off, s[0:3], 0 offset:144
	buffer_load_dword v39, off, s[0:3], 0 offset:148
	v_lshlrev_b64 v[40:41], 3, v[36:37]
	s_andn2_b32 vcc_lo, exec_lo, s46
	s_cbranch_vccnz .LBB203_152
; %bb.151:
	v_add_co_u32 v42, vcc_lo, v68, v40
	v_add_co_ci_u32_e64 v43, null, v69, v41, vcc_lo
	global_load_dwordx2 v[42:43], v[42:43], off
	s_waitcnt vmcnt(0)
	v_mul_f64 v[42:43], s[38:39], v[42:43]
	s_branch .LBB203_153
.LBB203_152:
	v_mov_b32_e32 v42, 0
	v_mov_b32_e32 v43, 0
.LBB203_153:
	s_waitcnt vmcnt(0)
	v_add_f64 v[38:39], v[38:39], v[42:43]
	v_add_co_u32 v40, vcc_lo, v72, v40
	v_add_co_ci_u32_e64 v41, null, v73, v41, vcc_lo
	global_store_dwordx2 v[40:41], v[38:39], off
.LBB203_154:
	s_or_b32 exec_lo, exec_lo, s24
	v_add_nc_u32_e32 v38, 0x4c, v0
	v_cmp_gt_i32_e64 s24, s40, v38
	v_ashrrev_i32_e32 v39, 31, v38
	s_and_b32 s26, s13, s24
	s_and_saveexec_b32 s25, s26
	s_cbranch_execz .LBB203_159
; %bb.155:
	s_clause 0x1
	buffer_load_dword v40, off, s[0:3], 0 offset:152
	buffer_load_dword v41, off, s[0:3], 0 offset:156
	v_lshlrev_b64 v[42:43], 3, v[38:39]
	s_andn2_b32 vcc_lo, exec_lo, s46
	s_cbranch_vccnz .LBB203_157
; %bb.156:
	v_add_co_u32 v44, vcc_lo, v68, v42
	v_add_co_ci_u32_e64 v45, null, v69, v43, vcc_lo
	global_load_dwordx2 v[44:45], v[44:45], off
	s_waitcnt vmcnt(0)
	v_mul_f64 v[44:45], s[38:39], v[44:45]
	s_branch .LBB203_158
.LBB203_157:
	v_mov_b32_e32 v44, 0
	v_mov_b32_e32 v45, 0
.LBB203_158:
	s_waitcnt vmcnt(0)
	v_add_f64 v[40:41], v[40:41], v[44:45]
	v_add_co_u32 v42, vcc_lo, v72, v42
	v_add_co_ci_u32_e64 v43, null, v73, v43, vcc_lo
	global_store_dwordx2 v[42:43], v[40:41], off
.LBB203_159:
	s_or_b32 exec_lo, exec_lo, s25
	v_add_nc_u32_e32 v40, 0x50, v0
	v_cmp_gt_i32_e64 s25, s40, v40
	v_ashrrev_i32_e32 v41, 31, v40
	s_and_b32 s27, s13, s25
	s_and_saveexec_b32 s26, s27
	s_cbranch_execz .LBB203_164
; %bb.160:
	s_clause 0x1
	buffer_load_dword v42, off, s[0:3], 0 offset:160
	buffer_load_dword v43, off, s[0:3], 0 offset:164
	v_lshlrev_b64 v[44:45], 3, v[40:41]
	s_andn2_b32 vcc_lo, exec_lo, s46
	s_cbranch_vccnz .LBB203_162
; %bb.161:
	v_add_co_u32 v46, vcc_lo, v68, v44
	v_add_co_ci_u32_e64 v47, null, v69, v45, vcc_lo
	global_load_dwordx2 v[46:47], v[46:47], off
	s_waitcnt vmcnt(0)
	v_mul_f64 v[46:47], s[38:39], v[46:47]
	s_branch .LBB203_163
.LBB203_162:
	v_mov_b32_e32 v46, 0
	v_mov_b32_e32 v47, 0
.LBB203_163:
	s_waitcnt vmcnt(0)
	v_add_f64 v[42:43], v[42:43], v[46:47]
	v_add_co_u32 v44, vcc_lo, v72, v44
	v_add_co_ci_u32_e64 v45, null, v73, v45, vcc_lo
	global_store_dwordx2 v[44:45], v[42:43], off
.LBB203_164:
	s_or_b32 exec_lo, exec_lo, s26
	v_add_nc_u32_e32 v42, 0x54, v0
	v_cmp_gt_i32_e64 s26, s40, v42
	v_ashrrev_i32_e32 v43, 31, v42
	s_and_b32 s28, s13, s26
	s_and_saveexec_b32 s27, s28
	s_cbranch_execz .LBB203_169
; %bb.165:
	s_clause 0x1
	buffer_load_dword v44, off, s[0:3], 0 offset:168
	buffer_load_dword v45, off, s[0:3], 0 offset:172
	v_lshlrev_b64 v[46:47], 3, v[42:43]
	s_andn2_b32 vcc_lo, exec_lo, s46
	s_cbranch_vccnz .LBB203_167
; %bb.166:
	v_add_co_u32 v48, vcc_lo, v68, v46
	v_add_co_ci_u32_e64 v49, null, v69, v47, vcc_lo
	global_load_dwordx2 v[48:49], v[48:49], off
	s_waitcnt vmcnt(0)
	v_mul_f64 v[48:49], s[38:39], v[48:49]
	s_branch .LBB203_168
.LBB203_167:
	v_mov_b32_e32 v48, 0
	v_mov_b32_e32 v49, 0
.LBB203_168:
	s_waitcnt vmcnt(0)
	v_add_f64 v[44:45], v[44:45], v[48:49]
	v_add_co_u32 v46, vcc_lo, v72, v46
	v_add_co_ci_u32_e64 v47, null, v73, v47, vcc_lo
	global_store_dwordx2 v[46:47], v[44:45], off
.LBB203_169:
	s_or_b32 exec_lo, exec_lo, s27
	v_add_nc_u32_e32 v44, 0x58, v0
	v_cmp_gt_i32_e64 s27, s40, v44
	v_ashrrev_i32_e32 v45, 31, v44
	s_and_b32 s29, s13, s27
	s_and_saveexec_b32 s28, s29
	s_cbranch_execz .LBB203_174
; %bb.170:
	s_clause 0x1
	buffer_load_dword v46, off, s[0:3], 0 offset:176
	buffer_load_dword v47, off, s[0:3], 0 offset:180
	v_lshlrev_b64 v[48:49], 3, v[44:45]
	s_andn2_b32 vcc_lo, exec_lo, s46
	s_cbranch_vccnz .LBB203_172
; %bb.171:
	v_add_co_u32 v50, vcc_lo, v68, v48
	v_add_co_ci_u32_e64 v51, null, v69, v49, vcc_lo
	global_load_dwordx2 v[50:51], v[50:51], off
	s_waitcnt vmcnt(0)
	v_mul_f64 v[50:51], s[38:39], v[50:51]
	s_branch .LBB203_173
.LBB203_172:
	v_mov_b32_e32 v50, 0
	v_mov_b32_e32 v51, 0
.LBB203_173:
	s_waitcnt vmcnt(0)
	v_add_f64 v[46:47], v[46:47], v[50:51]
	v_add_co_u32 v48, vcc_lo, v72, v48
	v_add_co_ci_u32_e64 v49, null, v73, v49, vcc_lo
	global_store_dwordx2 v[48:49], v[46:47], off
.LBB203_174:
	s_or_b32 exec_lo, exec_lo, s28
	v_add_nc_u32_e32 v46, 0x5c, v0
	v_cmp_gt_i32_e64 s28, s40, v46
	v_ashrrev_i32_e32 v47, 31, v46
	s_and_b32 s30, s13, s28
	s_and_saveexec_b32 s29, s30
	s_cbranch_execz .LBB203_179
; %bb.175:
	s_clause 0x1
	buffer_load_dword v48, off, s[0:3], 0 offset:184
	buffer_load_dword v49, off, s[0:3], 0 offset:188
	v_lshlrev_b64 v[50:51], 3, v[46:47]
	s_andn2_b32 vcc_lo, exec_lo, s46
	s_cbranch_vccnz .LBB203_177
; %bb.176:
	v_add_co_u32 v52, vcc_lo, v68, v50
	v_add_co_ci_u32_e64 v53, null, v69, v51, vcc_lo
	global_load_dwordx2 v[52:53], v[52:53], off
	s_waitcnt vmcnt(0)
	v_mul_f64 v[52:53], s[38:39], v[52:53]
	s_branch .LBB203_178
.LBB203_177:
	v_mov_b32_e32 v52, 0
	v_mov_b32_e32 v53, 0
.LBB203_178:
	s_waitcnt vmcnt(0)
	v_add_f64 v[48:49], v[48:49], v[52:53]
	v_add_co_u32 v50, vcc_lo, v72, v50
	v_add_co_ci_u32_e64 v51, null, v73, v51, vcc_lo
	global_store_dwordx2 v[50:51], v[48:49], off
.LBB203_179:
	s_or_b32 exec_lo, exec_lo, s29
	v_add_nc_u32_e32 v48, 0x60, v0
	v_cmp_gt_i32_e64 s29, s40, v48
	v_ashrrev_i32_e32 v49, 31, v48
	s_and_b32 s31, s13, s29
	s_and_saveexec_b32 s30, s31
	s_cbranch_execz .LBB203_184
; %bb.180:
	s_clause 0x1
	buffer_load_dword v50, off, s[0:3], 0 offset:192
	buffer_load_dword v51, off, s[0:3], 0 offset:196
	v_lshlrev_b64 v[52:53], 3, v[48:49]
	s_andn2_b32 vcc_lo, exec_lo, s46
	s_cbranch_vccnz .LBB203_182
; %bb.181:
	v_add_co_u32 v54, vcc_lo, v68, v52
	v_add_co_ci_u32_e64 v55, null, v69, v53, vcc_lo
	global_load_dwordx2 v[54:55], v[54:55], off
	s_waitcnt vmcnt(0)
	v_mul_f64 v[54:55], s[38:39], v[54:55]
	s_branch .LBB203_183
.LBB203_182:
	v_mov_b32_e32 v54, 0
	v_mov_b32_e32 v55, 0
.LBB203_183:
	s_waitcnt vmcnt(0)
	v_add_f64 v[50:51], v[50:51], v[54:55]
	v_add_co_u32 v52, vcc_lo, v72, v52
	v_add_co_ci_u32_e64 v53, null, v73, v53, vcc_lo
	global_store_dwordx2 v[52:53], v[50:51], off
.LBB203_184:
	s_or_b32 exec_lo, exec_lo, s30
	v_add_nc_u32_e32 v50, 0x64, v0
	v_cmp_gt_i32_e64 s30, s40, v50
	v_ashrrev_i32_e32 v51, 31, v50
	s_and_b32 s33, s13, s30
	s_and_saveexec_b32 s31, s33
	s_cbranch_execz .LBB203_189
; %bb.185:
	s_clause 0x1
	buffer_load_dword v52, off, s[0:3], 0 offset:200
	buffer_load_dword v53, off, s[0:3], 0 offset:204
	v_lshlrev_b64 v[54:55], 3, v[50:51]
	s_andn2_b32 vcc_lo, exec_lo, s46
	s_cbranch_vccnz .LBB203_187
; %bb.186:
	v_add_co_u32 v56, vcc_lo, v68, v54
	v_add_co_ci_u32_e64 v57, null, v69, v55, vcc_lo
	global_load_dwordx2 v[56:57], v[56:57], off
	s_waitcnt vmcnt(0)
	v_mul_f64 v[56:57], s[38:39], v[56:57]
	s_branch .LBB203_188
.LBB203_187:
	v_mov_b32_e32 v56, 0
	v_mov_b32_e32 v57, 0
.LBB203_188:
	s_waitcnt vmcnt(0)
	v_add_f64 v[52:53], v[52:53], v[56:57]
	v_add_co_u32 v54, vcc_lo, v72, v54
	v_add_co_ci_u32_e64 v55, null, v73, v55, vcc_lo
	global_store_dwordx2 v[54:55], v[52:53], off
.LBB203_189:
	s_or_b32 exec_lo, exec_lo, s31
	v_add_nc_u32_e32 v52, 0x68, v0
	v_cmp_gt_i32_e64 s31, s40, v52
	v_ashrrev_i32_e32 v53, 31, v52
	s_and_b32 s34, s13, s31
	s_and_saveexec_b32 s33, s34
	s_cbranch_execz .LBB203_194
; %bb.190:
	s_clause 0x1
	buffer_load_dword v54, off, s[0:3], 0 offset:208
	buffer_load_dword v55, off, s[0:3], 0 offset:212
	v_lshlrev_b64 v[56:57], 3, v[52:53]
	s_andn2_b32 vcc_lo, exec_lo, s46
	s_cbranch_vccnz .LBB203_192
; %bb.191:
	v_add_co_u32 v58, vcc_lo, v68, v56
	v_add_co_ci_u32_e64 v59, null, v69, v57, vcc_lo
	global_load_dwordx2 v[58:59], v[58:59], off
	s_waitcnt vmcnt(0)
	v_mul_f64 v[58:59], s[38:39], v[58:59]
	s_branch .LBB203_193
.LBB203_192:
	v_mov_b32_e32 v58, 0
	v_mov_b32_e32 v59, 0
.LBB203_193:
	s_waitcnt vmcnt(0)
	v_add_f64 v[54:55], v[54:55], v[58:59]
	v_add_co_u32 v56, vcc_lo, v72, v56
	v_add_co_ci_u32_e64 v57, null, v73, v57, vcc_lo
	global_store_dwordx2 v[56:57], v[54:55], off
.LBB203_194:
	s_or_b32 exec_lo, exec_lo, s33
	v_add_nc_u32_e32 v54, 0x6c, v0
	v_cmp_gt_i32_e64 s33, s40, v54
	v_ashrrev_i32_e32 v55, 31, v54
	s_and_b32 s35, s13, s33
	s_and_saveexec_b32 s34, s35
	s_cbranch_execz .LBB203_199
; %bb.195:
	s_clause 0x1
	buffer_load_dword v56, off, s[0:3], 0 offset:216
	buffer_load_dword v57, off, s[0:3], 0 offset:220
	v_lshlrev_b64 v[58:59], 3, v[54:55]
	s_andn2_b32 vcc_lo, exec_lo, s46
	s_cbranch_vccnz .LBB203_197
; %bb.196:
	v_add_co_u32 v60, vcc_lo, v68, v58
	v_add_co_ci_u32_e64 v61, null, v69, v59, vcc_lo
	global_load_dwordx2 v[60:61], v[60:61], off
	s_waitcnt vmcnt(0)
	v_mul_f64 v[60:61], s[38:39], v[60:61]
	s_branch .LBB203_198
.LBB203_197:
	v_mov_b32_e32 v60, 0
	v_mov_b32_e32 v61, 0
.LBB203_198:
	s_waitcnt vmcnt(0)
	v_add_f64 v[56:57], v[56:57], v[60:61]
	v_add_co_u32 v58, vcc_lo, v72, v58
	v_add_co_ci_u32_e64 v59, null, v73, v59, vcc_lo
	global_store_dwordx2 v[58:59], v[56:57], off
.LBB203_199:
	s_or_b32 exec_lo, exec_lo, s34
	v_add_nc_u32_e32 v56, 0x70, v0
	v_cmp_gt_i32_e64 s34, s40, v56
	v_ashrrev_i32_e32 v57, 31, v56
	s_and_b32 s36, s13, s34
	s_and_saveexec_b32 s35, s36
	s_cbranch_execz .LBB203_204
; %bb.200:
	s_clause 0x1
	buffer_load_dword v58, off, s[0:3], 0 offset:224
	buffer_load_dword v59, off, s[0:3], 0 offset:228
	v_lshlrev_b64 v[60:61], 3, v[56:57]
	s_andn2_b32 vcc_lo, exec_lo, s46
	s_cbranch_vccnz .LBB203_202
; %bb.201:
	v_add_co_u32 v62, vcc_lo, v68, v60
	v_add_co_ci_u32_e64 v63, null, v69, v61, vcc_lo
	global_load_dwordx2 v[62:63], v[62:63], off
	s_waitcnt vmcnt(0)
	v_mul_f64 v[62:63], s[38:39], v[62:63]
	s_branch .LBB203_203
.LBB203_202:
	v_mov_b32_e32 v62, 0
	v_mov_b32_e32 v63, 0
.LBB203_203:
	s_waitcnt vmcnt(0)
	v_add_f64 v[58:59], v[58:59], v[62:63]
	v_add_co_u32 v60, vcc_lo, v72, v60
	v_add_co_ci_u32_e64 v61, null, v73, v61, vcc_lo
	global_store_dwordx2 v[60:61], v[58:59], off
.LBB203_204:
	s_or_b32 exec_lo, exec_lo, s35
	v_add_nc_u32_e32 v58, 0x74, v0
	v_cmp_gt_i32_e64 s35, s40, v58
	v_ashrrev_i32_e32 v59, 31, v58
	s_and_b32 s37, s13, s35
	s_and_saveexec_b32 s36, s37
	s_cbranch_execz .LBB203_209
; %bb.205:
	s_clause 0x1
	buffer_load_dword v60, off, s[0:3], 0 offset:232
	buffer_load_dword v61, off, s[0:3], 0 offset:236
	v_lshlrev_b64 v[62:63], 3, v[58:59]
	s_andn2_b32 vcc_lo, exec_lo, s46
	s_cbranch_vccnz .LBB203_207
; %bb.206:
	v_add_co_u32 v64, vcc_lo, v68, v62
	v_add_co_ci_u32_e64 v65, null, v69, v63, vcc_lo
	global_load_dwordx2 v[64:65], v[64:65], off
	s_waitcnt vmcnt(0)
	v_mul_f64 v[64:65], s[38:39], v[64:65]
	s_branch .LBB203_208
.LBB203_207:
	v_mov_b32_e32 v64, 0
	v_mov_b32_e32 v65, 0
.LBB203_208:
	s_waitcnt vmcnt(0)
	v_add_f64 v[60:61], v[60:61], v[64:65]
	v_add_co_u32 v62, vcc_lo, v72, v62
	v_add_co_ci_u32_e64 v63, null, v73, v63, vcc_lo
	global_store_dwordx2 v[62:63], v[60:61], off
.LBB203_209:
	s_or_b32 exec_lo, exec_lo, s36
	v_add_nc_u32_e32 v60, 0x78, v0
	v_cmp_gt_i32_e64 s36, s40, v60
	v_ashrrev_i32_e32 v61, 31, v60
	s_and_b32 s49, s13, s36
	s_and_saveexec_b32 s37, s49
	s_cbranch_execz .LBB203_214
; %bb.210:
	s_clause 0x1
	buffer_load_dword v62, off, s[0:3], 0 offset:240
	buffer_load_dword v63, off, s[0:3], 0 offset:244
	v_lshlrev_b64 v[64:65], 3, v[60:61]
	s_andn2_b32 vcc_lo, exec_lo, s46
	s_cbranch_vccnz .LBB203_212
; %bb.211:
	v_add_co_u32 v66, vcc_lo, v68, v64
	v_add_co_ci_u32_e64 v67, null, v69, v65, vcc_lo
	global_load_dwordx2 v[66:67], v[66:67], off
	s_waitcnt vmcnt(0)
	v_mul_f64 v[66:67], s[38:39], v[66:67]
	s_branch .LBB203_213
.LBB203_212:
	v_mov_b32_e32 v66, 0
	v_mov_b32_e32 v67, 0
.LBB203_213:
	s_waitcnt vmcnt(0)
	v_add_f64 v[62:63], v[62:63], v[66:67]
	v_add_co_u32 v64, vcc_lo, v72, v64
	v_add_co_ci_u32_e64 v65, null, v73, v65, vcc_lo
	global_store_dwordx2 v[64:65], v[62:63], off
.LBB203_214:
	s_or_b32 exec_lo, exec_lo, s37
	v_add_nc_u32_e32 v62, 0x7c, v0
	v_cmp_gt_i32_e64 s37, s40, v62
	v_ashrrev_i32_e32 v63, 31, v62
	s_and_b32 s40, s13, s37
	s_and_saveexec_b32 s13, s40
	s_cbranch_execz .LBB203_219
; %bb.215:
	s_clause 0x1
	buffer_load_dword v64, off, s[0:3], 0 offset:248
	buffer_load_dword v65, off, s[0:3], 0 offset:252
	v_lshlrev_b64 v[66:67], 3, v[62:63]
	s_andn2_b32 vcc_lo, exec_lo, s46
	s_cbranch_vccnz .LBB203_217
; %bb.216:
	v_add_co_u32 v68, vcc_lo, v68, v66
	v_add_co_ci_u32_e64 v69, null, v69, v67, vcc_lo
	global_load_dwordx2 v[68:69], v[68:69], off
	s_waitcnt vmcnt(0)
	v_mul_f64 v[68:69], s[38:39], v[68:69]
	s_branch .LBB203_218
.LBB203_217:
	v_mov_b32_e32 v68, 0
	v_mov_b32_e32 v69, 0
.LBB203_218:
	s_waitcnt vmcnt(0)
	v_add_f64 v[64:65], v[64:65], v[68:69]
	v_add_co_u32 v66, vcc_lo, v72, v66
	v_add_co_ci_u32_e64 v67, null, v73, v67, vcc_lo
	global_store_dwordx2 v[66:67], v[64:65], off
.LBB203_219:
	s_or_b32 exec_lo, exec_lo, s13
	v_add_nc_u32_e32 v68, 64, v71
	v_mad_i64_i32 v[64:65], null, v68, s43, 0
	v_mad_i64_i32 v[66:67], null, v68, s42, 0
	v_cmp_gt_i32_e64 s13, s41, v68
	v_lshlrev_b64 v[64:65], 3, v[64:65]
	s_and_b32 s4, s13, s4
	v_lshlrev_b64 v[66:67], 3, v[66:67]
	v_add_co_u32 v71, vcc_lo, s44, v64
	v_add_co_ci_u32_e64 v72, null, s45, v65, vcc_lo
	v_add_co_u32 v68, vcc_lo, s47, v66
	v_add_co_ci_u32_e64 v69, null, s48, v67, vcc_lo
	s_and_saveexec_b32 s40, s4
	s_xor_b32 s4, exec_lo, s40
	s_cbranch_execnz .LBB203_252
; %bb.220:
	s_or_b32 exec_lo, exec_lo, s4
	s_and_b32 s5, s13, s5
	s_and_saveexec_b32 s4, s5
	s_cbranch_execnz .LBB203_256
.LBB203_221:
	s_or_b32 exec_lo, exec_lo, s4
	s_and_b32 s5, s13, s6
	s_and_saveexec_b32 s4, s5
	s_cbranch_execnz .LBB203_260
.LBB203_222:
	s_or_b32 exec_lo, exec_lo, s4
	s_and_b32 s5, s13, s7
	s_and_saveexec_b32 s4, s5
	s_cbranch_execnz .LBB203_264
.LBB203_223:
	s_or_b32 exec_lo, exec_lo, s4
	s_and_b32 s5, s13, s8
	s_and_saveexec_b32 s4, s5
	s_cbranch_execnz .LBB203_268
.LBB203_224:
	s_or_b32 exec_lo, exec_lo, s4
	s_and_b32 s5, s13, s9
	s_and_saveexec_b32 s4, s5
	s_cbranch_execnz .LBB203_272
.LBB203_225:
	s_or_b32 exec_lo, exec_lo, s4
	s_and_b32 s5, s13, s10
	s_and_saveexec_b32 s4, s5
	s_cbranch_execnz .LBB203_276
.LBB203_226:
	s_or_b32 exec_lo, exec_lo, s4
	s_and_b32 s5, s13, s11
	s_and_saveexec_b32 s4, s5
	s_cbranch_execnz .LBB203_280
.LBB203_227:
	s_or_b32 exec_lo, exec_lo, s4
	s_and_b32 s5, s13, s12
	s_and_saveexec_b32 s4, s5
	s_cbranch_execnz .LBB203_284
.LBB203_228:
	s_or_b32 exec_lo, exec_lo, s4
	s_and_b32 s5, s13, s14
	s_and_saveexec_b32 s4, s5
	s_cbranch_execnz .LBB203_288
.LBB203_229:
	s_or_b32 exec_lo, exec_lo, s4
	s_and_b32 s5, s13, s15
	s_and_saveexec_b32 s4, s5
	s_cbranch_execnz .LBB203_292
.LBB203_230:
	s_or_b32 exec_lo, exec_lo, s4
	s_and_b32 s5, s13, s16
	s_and_saveexec_b32 s4, s5
	s_cbranch_execnz .LBB203_296
.LBB203_231:
	s_or_b32 exec_lo, exec_lo, s4
	s_and_b32 s5, s13, s17
	s_and_saveexec_b32 s4, s5
	s_cbranch_execnz .LBB203_300
.LBB203_232:
	s_or_b32 exec_lo, exec_lo, s4
	s_and_b32 s5, s13, s18
	s_and_saveexec_b32 s4, s5
	s_cbranch_execnz .LBB203_304
.LBB203_233:
	s_or_b32 exec_lo, exec_lo, s4
	s_and_b32 s5, s13, s19
	s_and_saveexec_b32 s4, s5
	s_cbranch_execnz .LBB203_308
.LBB203_234:
	s_or_b32 exec_lo, exec_lo, s4
	s_and_b32 s5, s13, s20
	s_and_saveexec_b32 s4, s5
	s_cbranch_execnz .LBB203_312
.LBB203_235:
	s_or_b32 exec_lo, exec_lo, s4
	s_and_b32 s5, s13, s21
	s_and_saveexec_b32 s4, s5
	s_cbranch_execnz .LBB203_316
.LBB203_236:
	s_or_b32 exec_lo, exec_lo, s4
	s_and_b32 s5, s13, s22
	s_and_saveexec_b32 s4, s5
	s_cbranch_execnz .LBB203_320
.LBB203_237:
	s_or_b32 exec_lo, exec_lo, s4
	s_and_b32 s5, s13, s23
	s_and_saveexec_b32 s4, s5
	s_cbranch_execnz .LBB203_324
.LBB203_238:
	s_or_b32 exec_lo, exec_lo, s4
	s_and_b32 s5, s13, s24
	s_and_saveexec_b32 s4, s5
	s_cbranch_execnz .LBB203_328
.LBB203_239:
	s_or_b32 exec_lo, exec_lo, s4
	s_and_b32 s5, s13, s25
	s_and_saveexec_b32 s4, s5
	s_cbranch_execnz .LBB203_332
.LBB203_240:
	s_or_b32 exec_lo, exec_lo, s4
	s_and_b32 s5, s13, s26
	s_and_saveexec_b32 s4, s5
	s_cbranch_execnz .LBB203_336
.LBB203_241:
	s_or_b32 exec_lo, exec_lo, s4
	s_and_b32 s5, s13, s27
	s_and_saveexec_b32 s4, s5
	s_cbranch_execnz .LBB203_340
.LBB203_242:
	s_or_b32 exec_lo, exec_lo, s4
	s_and_b32 s5, s13, s28
	s_and_saveexec_b32 s4, s5
	s_cbranch_execnz .LBB203_344
.LBB203_243:
	s_or_b32 exec_lo, exec_lo, s4
	s_and_b32 s5, s13, s29
	s_and_saveexec_b32 s4, s5
	s_cbranch_execnz .LBB203_348
.LBB203_244:
	s_or_b32 exec_lo, exec_lo, s4
	s_and_b32 s5, s13, s30
	s_and_saveexec_b32 s4, s5
	s_cbranch_execnz .LBB203_352
.LBB203_245:
	s_or_b32 exec_lo, exec_lo, s4
	s_and_b32 s5, s13, s31
	s_and_saveexec_b32 s4, s5
	s_cbranch_execnz .LBB203_356
.LBB203_246:
	s_or_b32 exec_lo, exec_lo, s4
	s_and_b32 s5, s13, s33
	s_and_saveexec_b32 s4, s5
	s_cbranch_execnz .LBB203_360
.LBB203_247:
	s_or_b32 exec_lo, exec_lo, s4
	s_and_b32 s5, s13, s34
	s_and_saveexec_b32 s4, s5
	s_cbranch_execnz .LBB203_364
.LBB203_248:
	s_or_b32 exec_lo, exec_lo, s4
	s_and_b32 s5, s13, s35
	s_and_saveexec_b32 s4, s5
	s_cbranch_execnz .LBB203_368
.LBB203_249:
	s_or_b32 exec_lo, exec_lo, s4
	s_and_b32 s5, s13, s36
	s_and_saveexec_b32 s4, s5
	s_cbranch_execnz .LBB203_372
.LBB203_250:
	s_or_b32 exec_lo, exec_lo, s4
	s_and_b32 s4, s13, s37
	s_and_saveexec_b32 s5, s4
	s_cbranch_execnz .LBB203_376
.LBB203_251:
	s_endpgm
.LBB203_252:
	s_clause 0x1
	buffer_load_dword v64, off, s[0:3], 0 offset:256
	buffer_load_dword v65, off, s[0:3], 0 offset:260
	v_lshlrev_b64 v[0:1], 3, v[0:1]
	s_andn2_b32 vcc_lo, exec_lo, s46
	s_cbranch_vccnz .LBB203_254
; %bb.253:
	v_add_co_u32 v66, vcc_lo, v71, v0
	v_add_co_ci_u32_e64 v67, null, v72, v1, vcc_lo
	global_load_dwordx2 v[66:67], v[66:67], off
	s_waitcnt vmcnt(0)
	v_mul_f64 v[66:67], s[38:39], v[66:67]
	s_branch .LBB203_255
.LBB203_254:
	v_mov_b32_e32 v66, 0
	v_mov_b32_e32 v67, 0
.LBB203_255:
	s_waitcnt vmcnt(0)
	v_add_f64 v[64:65], v[64:65], v[66:67]
	v_add_co_u32 v0, vcc_lo, v68, v0
	v_add_co_ci_u32_e64 v1, null, v69, v1, vcc_lo
	global_store_dwordx2 v[0:1], v[64:65], off
	s_or_b32 exec_lo, exec_lo, s4
	s_and_b32 s5, s13, s5
	s_and_saveexec_b32 s4, s5
	s_cbranch_execz .LBB203_221
.LBB203_256:
	s_clause 0x1
	buffer_load_dword v0, off, s[0:3], 0 offset:264
	buffer_load_dword v1, off, s[0:3], 0 offset:268
	v_cmp_ne_u32_e32 vcc_lo, 1, v70
	v_lshlrev_b64 v[2:3], 3, v[2:3]
	s_cbranch_vccnz .LBB203_258
; %bb.257:
	v_add_co_u32 v64, vcc_lo, v71, v2
	v_add_co_ci_u32_e64 v65, null, v72, v3, vcc_lo
	global_load_dwordx2 v[64:65], v[64:65], off
	s_waitcnt vmcnt(0)
	v_mul_f64 v[64:65], s[38:39], v[64:65]
	s_branch .LBB203_259
.LBB203_258:
	v_mov_b32_e32 v64, 0
	v_mov_b32_e32 v65, 0
.LBB203_259:
	s_waitcnt vmcnt(0)
	v_add_f64 v[0:1], v[0:1], v[64:65]
	v_add_co_u32 v2, vcc_lo, v68, v2
	v_add_co_ci_u32_e64 v3, null, v69, v3, vcc_lo
	global_store_dwordx2 v[2:3], v[0:1], off
	s_or_b32 exec_lo, exec_lo, s4
	s_and_b32 s5, s13, s6
	s_and_saveexec_b32 s4, s5
	s_cbranch_execz .LBB203_222
.LBB203_260:
	s_clause 0x1
	buffer_load_dword v0, off, s[0:3], 0 offset:272
	buffer_load_dword v1, off, s[0:3], 0 offset:276
	v_cmp_ne_u32_e32 vcc_lo, 1, v70
	v_lshlrev_b64 v[2:3], 3, v[4:5]
	s_cbranch_vccnz .LBB203_262
; %bb.261:
	v_add_co_u32 v4, vcc_lo, v71, v2
	v_add_co_ci_u32_e64 v5, null, v72, v3, vcc_lo
	global_load_dwordx2 v[4:5], v[4:5], off
	s_waitcnt vmcnt(0)
	v_mul_f64 v[4:5], s[38:39], v[4:5]
	s_branch .LBB203_263
.LBB203_262:
	v_mov_b32_e32 v4, 0
	v_mov_b32_e32 v5, 0
.LBB203_263:
	s_waitcnt vmcnt(0)
	v_add_f64 v[0:1], v[0:1], v[4:5]
	v_add_co_u32 v2, vcc_lo, v68, v2
	v_add_co_ci_u32_e64 v3, null, v69, v3, vcc_lo
	global_store_dwordx2 v[2:3], v[0:1], off
	s_or_b32 exec_lo, exec_lo, s4
	s_and_b32 s5, s13, s7
	s_and_saveexec_b32 s4, s5
	s_cbranch_execz .LBB203_223
.LBB203_264:
	s_clause 0x1
	buffer_load_dword v0, off, s[0:3], 0 offset:280
	buffer_load_dword v1, off, s[0:3], 0 offset:284
	v_cmp_ne_u32_e32 vcc_lo, 1, v70
	v_lshlrev_b64 v[2:3], 3, v[6:7]
	s_cbranch_vccnz .LBB203_266
; %bb.265:
	v_add_co_u32 v4, vcc_lo, v71, v2
	v_add_co_ci_u32_e64 v5, null, v72, v3, vcc_lo
	global_load_dwordx2 v[4:5], v[4:5], off
	s_waitcnt vmcnt(0)
	v_mul_f64 v[4:5], s[38:39], v[4:5]
	s_branch .LBB203_267
.LBB203_266:
	v_mov_b32_e32 v4, 0
	v_mov_b32_e32 v5, 0
.LBB203_267:
	s_waitcnt vmcnt(0)
	v_add_f64 v[0:1], v[0:1], v[4:5]
	v_add_co_u32 v2, vcc_lo, v68, v2
	v_add_co_ci_u32_e64 v3, null, v69, v3, vcc_lo
	global_store_dwordx2 v[2:3], v[0:1], off
	s_or_b32 exec_lo, exec_lo, s4
	s_and_b32 s5, s13, s8
	s_and_saveexec_b32 s4, s5
	s_cbranch_execz .LBB203_224
.LBB203_268:
	s_clause 0x1
	buffer_load_dword v0, off, s[0:3], 0 offset:288
	buffer_load_dword v1, off, s[0:3], 0 offset:292
	v_cmp_ne_u32_e32 vcc_lo, 1, v70
	v_lshlrev_b64 v[2:3], 3, v[8:9]
	s_cbranch_vccnz .LBB203_270
; %bb.269:
	v_add_co_u32 v4, vcc_lo, v71, v2
	v_add_co_ci_u32_e64 v5, null, v72, v3, vcc_lo
	global_load_dwordx2 v[4:5], v[4:5], off
	s_waitcnt vmcnt(0)
	v_mul_f64 v[4:5], s[38:39], v[4:5]
	s_branch .LBB203_271
.LBB203_270:
	v_mov_b32_e32 v4, 0
	v_mov_b32_e32 v5, 0
.LBB203_271:
	s_waitcnt vmcnt(0)
	v_add_f64 v[0:1], v[0:1], v[4:5]
	v_add_co_u32 v2, vcc_lo, v68, v2
	v_add_co_ci_u32_e64 v3, null, v69, v3, vcc_lo
	global_store_dwordx2 v[2:3], v[0:1], off
	s_or_b32 exec_lo, exec_lo, s4
	s_and_b32 s5, s13, s9
	s_and_saveexec_b32 s4, s5
	s_cbranch_execz .LBB203_225
.LBB203_272:
	s_clause 0x1
	buffer_load_dword v0, off, s[0:3], 0 offset:296
	buffer_load_dword v1, off, s[0:3], 0 offset:300
	v_cmp_ne_u32_e32 vcc_lo, 1, v70
	v_lshlrev_b64 v[2:3], 3, v[10:11]
	s_cbranch_vccnz .LBB203_274
; %bb.273:
	v_add_co_u32 v4, vcc_lo, v71, v2
	v_add_co_ci_u32_e64 v5, null, v72, v3, vcc_lo
	global_load_dwordx2 v[4:5], v[4:5], off
	s_waitcnt vmcnt(0)
	v_mul_f64 v[4:5], s[38:39], v[4:5]
	s_branch .LBB203_275
.LBB203_274:
	v_mov_b32_e32 v4, 0
	v_mov_b32_e32 v5, 0
.LBB203_275:
	s_waitcnt vmcnt(0)
	v_add_f64 v[0:1], v[0:1], v[4:5]
	v_add_co_u32 v2, vcc_lo, v68, v2
	v_add_co_ci_u32_e64 v3, null, v69, v3, vcc_lo
	global_store_dwordx2 v[2:3], v[0:1], off
	s_or_b32 exec_lo, exec_lo, s4
	s_and_b32 s5, s13, s10
	s_and_saveexec_b32 s4, s5
	s_cbranch_execz .LBB203_226
.LBB203_276:
	s_clause 0x1
	buffer_load_dword v0, off, s[0:3], 0 offset:304
	buffer_load_dword v1, off, s[0:3], 0 offset:308
	v_cmp_ne_u32_e32 vcc_lo, 1, v70
	v_lshlrev_b64 v[2:3], 3, v[12:13]
	s_cbranch_vccnz .LBB203_278
; %bb.277:
	v_add_co_u32 v4, vcc_lo, v71, v2
	v_add_co_ci_u32_e64 v5, null, v72, v3, vcc_lo
	global_load_dwordx2 v[4:5], v[4:5], off
	s_waitcnt vmcnt(0)
	v_mul_f64 v[4:5], s[38:39], v[4:5]
	s_branch .LBB203_279
.LBB203_278:
	v_mov_b32_e32 v4, 0
	v_mov_b32_e32 v5, 0
.LBB203_279:
	s_waitcnt vmcnt(0)
	v_add_f64 v[0:1], v[0:1], v[4:5]
	v_add_co_u32 v2, vcc_lo, v68, v2
	v_add_co_ci_u32_e64 v3, null, v69, v3, vcc_lo
	global_store_dwordx2 v[2:3], v[0:1], off
	s_or_b32 exec_lo, exec_lo, s4
	s_and_b32 s5, s13, s11
	s_and_saveexec_b32 s4, s5
	s_cbranch_execz .LBB203_227
.LBB203_280:
	s_clause 0x1
	buffer_load_dword v0, off, s[0:3], 0 offset:312
	buffer_load_dword v1, off, s[0:3], 0 offset:316
	v_cmp_ne_u32_e32 vcc_lo, 1, v70
	v_lshlrev_b64 v[2:3], 3, v[14:15]
	s_cbranch_vccnz .LBB203_282
; %bb.281:
	v_add_co_u32 v4, vcc_lo, v71, v2
	v_add_co_ci_u32_e64 v5, null, v72, v3, vcc_lo
	global_load_dwordx2 v[4:5], v[4:5], off
	s_waitcnt vmcnt(0)
	v_mul_f64 v[4:5], s[38:39], v[4:5]
	s_branch .LBB203_283
.LBB203_282:
	v_mov_b32_e32 v4, 0
	v_mov_b32_e32 v5, 0
.LBB203_283:
	s_waitcnt vmcnt(0)
	v_add_f64 v[0:1], v[0:1], v[4:5]
	v_add_co_u32 v2, vcc_lo, v68, v2
	v_add_co_ci_u32_e64 v3, null, v69, v3, vcc_lo
	global_store_dwordx2 v[2:3], v[0:1], off
	s_or_b32 exec_lo, exec_lo, s4
	s_and_b32 s5, s13, s12
	s_and_saveexec_b32 s4, s5
	s_cbranch_execz .LBB203_228
.LBB203_284:
	s_clause 0x1
	buffer_load_dword v0, off, s[0:3], 0 offset:320
	buffer_load_dword v1, off, s[0:3], 0 offset:324
	v_cmp_ne_u32_e32 vcc_lo, 1, v70
	v_lshlrev_b64 v[2:3], 3, v[16:17]
	s_cbranch_vccnz .LBB203_286
; %bb.285:
	v_add_co_u32 v4, vcc_lo, v71, v2
	v_add_co_ci_u32_e64 v5, null, v72, v3, vcc_lo
	global_load_dwordx2 v[4:5], v[4:5], off
	s_waitcnt vmcnt(0)
	v_mul_f64 v[4:5], s[38:39], v[4:5]
	s_branch .LBB203_287
.LBB203_286:
	v_mov_b32_e32 v4, 0
	v_mov_b32_e32 v5, 0
.LBB203_287:
	s_waitcnt vmcnt(0)
	v_add_f64 v[0:1], v[0:1], v[4:5]
	v_add_co_u32 v2, vcc_lo, v68, v2
	v_add_co_ci_u32_e64 v3, null, v69, v3, vcc_lo
	global_store_dwordx2 v[2:3], v[0:1], off
	s_or_b32 exec_lo, exec_lo, s4
	s_and_b32 s5, s13, s14
	s_and_saveexec_b32 s4, s5
	s_cbranch_execz .LBB203_229
.LBB203_288:
	s_clause 0x1
	buffer_load_dword v0, off, s[0:3], 0 offset:328
	buffer_load_dword v1, off, s[0:3], 0 offset:332
	v_cmp_ne_u32_e32 vcc_lo, 1, v70
	v_lshlrev_b64 v[2:3], 3, v[18:19]
	s_cbranch_vccnz .LBB203_290
; %bb.289:
	v_add_co_u32 v4, vcc_lo, v71, v2
	v_add_co_ci_u32_e64 v5, null, v72, v3, vcc_lo
	global_load_dwordx2 v[4:5], v[4:5], off
	s_waitcnt vmcnt(0)
	v_mul_f64 v[4:5], s[38:39], v[4:5]
	s_branch .LBB203_291
.LBB203_290:
	v_mov_b32_e32 v4, 0
	v_mov_b32_e32 v5, 0
.LBB203_291:
	s_waitcnt vmcnt(0)
	v_add_f64 v[0:1], v[0:1], v[4:5]
	v_add_co_u32 v2, vcc_lo, v68, v2
	v_add_co_ci_u32_e64 v3, null, v69, v3, vcc_lo
	global_store_dwordx2 v[2:3], v[0:1], off
	s_or_b32 exec_lo, exec_lo, s4
	s_and_b32 s5, s13, s15
	s_and_saveexec_b32 s4, s5
	s_cbranch_execz .LBB203_230
.LBB203_292:
	s_clause 0x1
	buffer_load_dword v0, off, s[0:3], 0 offset:336
	buffer_load_dword v1, off, s[0:3], 0 offset:340
	v_cmp_ne_u32_e32 vcc_lo, 1, v70
	v_lshlrev_b64 v[2:3], 3, v[20:21]
	s_cbranch_vccnz .LBB203_294
; %bb.293:
	v_add_co_u32 v4, vcc_lo, v71, v2
	v_add_co_ci_u32_e64 v5, null, v72, v3, vcc_lo
	global_load_dwordx2 v[4:5], v[4:5], off
	s_waitcnt vmcnt(0)
	v_mul_f64 v[4:5], s[38:39], v[4:5]
	s_branch .LBB203_295
.LBB203_294:
	v_mov_b32_e32 v4, 0
	v_mov_b32_e32 v5, 0
.LBB203_295:
	s_waitcnt vmcnt(0)
	v_add_f64 v[0:1], v[0:1], v[4:5]
	v_add_co_u32 v2, vcc_lo, v68, v2
	v_add_co_ci_u32_e64 v3, null, v69, v3, vcc_lo
	global_store_dwordx2 v[2:3], v[0:1], off
	s_or_b32 exec_lo, exec_lo, s4
	s_and_b32 s5, s13, s16
	s_and_saveexec_b32 s4, s5
	s_cbranch_execz .LBB203_231
.LBB203_296:
	s_clause 0x1
	buffer_load_dword v0, off, s[0:3], 0 offset:344
	buffer_load_dword v1, off, s[0:3], 0 offset:348
	v_cmp_ne_u32_e32 vcc_lo, 1, v70
	v_lshlrev_b64 v[2:3], 3, v[22:23]
	s_cbranch_vccnz .LBB203_298
; %bb.297:
	v_add_co_u32 v4, vcc_lo, v71, v2
	v_add_co_ci_u32_e64 v5, null, v72, v3, vcc_lo
	global_load_dwordx2 v[4:5], v[4:5], off
	s_waitcnt vmcnt(0)
	v_mul_f64 v[4:5], s[38:39], v[4:5]
	s_branch .LBB203_299
.LBB203_298:
	v_mov_b32_e32 v4, 0
	v_mov_b32_e32 v5, 0
.LBB203_299:
	s_waitcnt vmcnt(0)
	v_add_f64 v[0:1], v[0:1], v[4:5]
	v_add_co_u32 v2, vcc_lo, v68, v2
	v_add_co_ci_u32_e64 v3, null, v69, v3, vcc_lo
	global_store_dwordx2 v[2:3], v[0:1], off
	s_or_b32 exec_lo, exec_lo, s4
	s_and_b32 s5, s13, s17
	s_and_saveexec_b32 s4, s5
	s_cbranch_execz .LBB203_232
.LBB203_300:
	s_clause 0x1
	buffer_load_dword v0, off, s[0:3], 0 offset:352
	buffer_load_dword v1, off, s[0:3], 0 offset:356
	v_cmp_ne_u32_e32 vcc_lo, 1, v70
	v_lshlrev_b64 v[2:3], 3, v[24:25]
	s_cbranch_vccnz .LBB203_302
; %bb.301:
	v_add_co_u32 v4, vcc_lo, v71, v2
	v_add_co_ci_u32_e64 v5, null, v72, v3, vcc_lo
	global_load_dwordx2 v[4:5], v[4:5], off
	s_waitcnt vmcnt(0)
	v_mul_f64 v[4:5], s[38:39], v[4:5]
	s_branch .LBB203_303
.LBB203_302:
	v_mov_b32_e32 v4, 0
	v_mov_b32_e32 v5, 0
.LBB203_303:
	s_waitcnt vmcnt(0)
	v_add_f64 v[0:1], v[0:1], v[4:5]
	v_add_co_u32 v2, vcc_lo, v68, v2
	v_add_co_ci_u32_e64 v3, null, v69, v3, vcc_lo
	global_store_dwordx2 v[2:3], v[0:1], off
	s_or_b32 exec_lo, exec_lo, s4
	s_and_b32 s5, s13, s18
	s_and_saveexec_b32 s4, s5
	s_cbranch_execz .LBB203_233
.LBB203_304:
	s_clause 0x1
	buffer_load_dword v0, off, s[0:3], 0 offset:360
	buffer_load_dword v1, off, s[0:3], 0 offset:364
	v_cmp_ne_u32_e32 vcc_lo, 1, v70
	v_lshlrev_b64 v[2:3], 3, v[26:27]
	s_cbranch_vccnz .LBB203_306
; %bb.305:
	v_add_co_u32 v4, vcc_lo, v71, v2
	v_add_co_ci_u32_e64 v5, null, v72, v3, vcc_lo
	global_load_dwordx2 v[4:5], v[4:5], off
	s_waitcnt vmcnt(0)
	v_mul_f64 v[4:5], s[38:39], v[4:5]
	s_branch .LBB203_307
.LBB203_306:
	v_mov_b32_e32 v4, 0
	v_mov_b32_e32 v5, 0
.LBB203_307:
	s_waitcnt vmcnt(0)
	v_add_f64 v[0:1], v[0:1], v[4:5]
	v_add_co_u32 v2, vcc_lo, v68, v2
	v_add_co_ci_u32_e64 v3, null, v69, v3, vcc_lo
	global_store_dwordx2 v[2:3], v[0:1], off
	s_or_b32 exec_lo, exec_lo, s4
	s_and_b32 s5, s13, s19
	s_and_saveexec_b32 s4, s5
	s_cbranch_execz .LBB203_234
.LBB203_308:
	s_clause 0x1
	buffer_load_dword v0, off, s[0:3], 0 offset:368
	buffer_load_dword v1, off, s[0:3], 0 offset:372
	v_cmp_ne_u32_e32 vcc_lo, 1, v70
	v_lshlrev_b64 v[2:3], 3, v[28:29]
	s_cbranch_vccnz .LBB203_310
; %bb.309:
	v_add_co_u32 v4, vcc_lo, v71, v2
	v_add_co_ci_u32_e64 v5, null, v72, v3, vcc_lo
	global_load_dwordx2 v[4:5], v[4:5], off
	s_waitcnt vmcnt(0)
	v_mul_f64 v[4:5], s[38:39], v[4:5]
	s_branch .LBB203_311
.LBB203_310:
	v_mov_b32_e32 v4, 0
	v_mov_b32_e32 v5, 0
.LBB203_311:
	s_waitcnt vmcnt(0)
	v_add_f64 v[0:1], v[0:1], v[4:5]
	v_add_co_u32 v2, vcc_lo, v68, v2
	v_add_co_ci_u32_e64 v3, null, v69, v3, vcc_lo
	global_store_dwordx2 v[2:3], v[0:1], off
	s_or_b32 exec_lo, exec_lo, s4
	s_and_b32 s5, s13, s20
	s_and_saveexec_b32 s4, s5
	s_cbranch_execz .LBB203_235
.LBB203_312:
	s_clause 0x1
	buffer_load_dword v0, off, s[0:3], 0 offset:376
	buffer_load_dword v1, off, s[0:3], 0 offset:380
	v_cmp_ne_u32_e32 vcc_lo, 1, v70
	v_lshlrev_b64 v[2:3], 3, v[30:31]
	s_cbranch_vccnz .LBB203_314
; %bb.313:
	v_add_co_u32 v4, vcc_lo, v71, v2
	v_add_co_ci_u32_e64 v5, null, v72, v3, vcc_lo
	global_load_dwordx2 v[4:5], v[4:5], off
	s_waitcnt vmcnt(0)
	v_mul_f64 v[4:5], s[38:39], v[4:5]
	s_branch .LBB203_315
.LBB203_314:
	v_mov_b32_e32 v4, 0
	v_mov_b32_e32 v5, 0
.LBB203_315:
	s_waitcnt vmcnt(0)
	v_add_f64 v[0:1], v[0:1], v[4:5]
	v_add_co_u32 v2, vcc_lo, v68, v2
	v_add_co_ci_u32_e64 v3, null, v69, v3, vcc_lo
	global_store_dwordx2 v[2:3], v[0:1], off
	s_or_b32 exec_lo, exec_lo, s4
	s_and_b32 s5, s13, s21
	s_and_saveexec_b32 s4, s5
	s_cbranch_execz .LBB203_236
.LBB203_316:
	s_clause 0x1
	buffer_load_dword v0, off, s[0:3], 0 offset:384
	buffer_load_dword v1, off, s[0:3], 0 offset:388
	v_cmp_ne_u32_e32 vcc_lo, 1, v70
	v_lshlrev_b64 v[2:3], 3, v[32:33]
	s_cbranch_vccnz .LBB203_318
; %bb.317:
	v_add_co_u32 v4, vcc_lo, v71, v2
	v_add_co_ci_u32_e64 v5, null, v72, v3, vcc_lo
	global_load_dwordx2 v[4:5], v[4:5], off
	s_waitcnt vmcnt(0)
	v_mul_f64 v[4:5], s[38:39], v[4:5]
	s_branch .LBB203_319
.LBB203_318:
	v_mov_b32_e32 v4, 0
	v_mov_b32_e32 v5, 0
.LBB203_319:
	s_waitcnt vmcnt(0)
	v_add_f64 v[0:1], v[0:1], v[4:5]
	v_add_co_u32 v2, vcc_lo, v68, v2
	v_add_co_ci_u32_e64 v3, null, v69, v3, vcc_lo
	global_store_dwordx2 v[2:3], v[0:1], off
	s_or_b32 exec_lo, exec_lo, s4
	s_and_b32 s5, s13, s22
	s_and_saveexec_b32 s4, s5
	s_cbranch_execz .LBB203_237
.LBB203_320:
	s_clause 0x1
	buffer_load_dword v0, off, s[0:3], 0 offset:392
	buffer_load_dword v1, off, s[0:3], 0 offset:396
	v_cmp_ne_u32_e32 vcc_lo, 1, v70
	v_lshlrev_b64 v[2:3], 3, v[34:35]
	s_cbranch_vccnz .LBB203_322
; %bb.321:
	v_add_co_u32 v4, vcc_lo, v71, v2
	v_add_co_ci_u32_e64 v5, null, v72, v3, vcc_lo
	global_load_dwordx2 v[4:5], v[4:5], off
	s_waitcnt vmcnt(0)
	v_mul_f64 v[4:5], s[38:39], v[4:5]
	s_branch .LBB203_323
.LBB203_322:
	v_mov_b32_e32 v4, 0
	v_mov_b32_e32 v5, 0
.LBB203_323:
	s_waitcnt vmcnt(0)
	v_add_f64 v[0:1], v[0:1], v[4:5]
	v_add_co_u32 v2, vcc_lo, v68, v2
	v_add_co_ci_u32_e64 v3, null, v69, v3, vcc_lo
	global_store_dwordx2 v[2:3], v[0:1], off
	s_or_b32 exec_lo, exec_lo, s4
	s_and_b32 s5, s13, s23
	s_and_saveexec_b32 s4, s5
	s_cbranch_execz .LBB203_238
.LBB203_324:
	s_clause 0x1
	buffer_load_dword v0, off, s[0:3], 0 offset:400
	buffer_load_dword v1, off, s[0:3], 0 offset:404
	v_cmp_ne_u32_e32 vcc_lo, 1, v70
	v_lshlrev_b64 v[2:3], 3, v[36:37]
	s_cbranch_vccnz .LBB203_326
; %bb.325:
	v_add_co_u32 v4, vcc_lo, v71, v2
	v_add_co_ci_u32_e64 v5, null, v72, v3, vcc_lo
	global_load_dwordx2 v[4:5], v[4:5], off
	s_waitcnt vmcnt(0)
	v_mul_f64 v[4:5], s[38:39], v[4:5]
	s_branch .LBB203_327
.LBB203_326:
	v_mov_b32_e32 v4, 0
	v_mov_b32_e32 v5, 0
.LBB203_327:
	s_waitcnt vmcnt(0)
	v_add_f64 v[0:1], v[0:1], v[4:5]
	v_add_co_u32 v2, vcc_lo, v68, v2
	v_add_co_ci_u32_e64 v3, null, v69, v3, vcc_lo
	global_store_dwordx2 v[2:3], v[0:1], off
	s_or_b32 exec_lo, exec_lo, s4
	s_and_b32 s5, s13, s24
	s_and_saveexec_b32 s4, s5
	s_cbranch_execz .LBB203_239
.LBB203_328:
	s_clause 0x1
	buffer_load_dword v0, off, s[0:3], 0 offset:408
	buffer_load_dword v1, off, s[0:3], 0 offset:412
	v_cmp_ne_u32_e32 vcc_lo, 1, v70
	v_lshlrev_b64 v[2:3], 3, v[38:39]
	s_cbranch_vccnz .LBB203_330
; %bb.329:
	v_add_co_u32 v4, vcc_lo, v71, v2
	v_add_co_ci_u32_e64 v5, null, v72, v3, vcc_lo
	global_load_dwordx2 v[4:5], v[4:5], off
	s_waitcnt vmcnt(0)
	v_mul_f64 v[4:5], s[38:39], v[4:5]
	s_branch .LBB203_331
.LBB203_330:
	v_mov_b32_e32 v4, 0
	v_mov_b32_e32 v5, 0
.LBB203_331:
	s_waitcnt vmcnt(0)
	v_add_f64 v[0:1], v[0:1], v[4:5]
	v_add_co_u32 v2, vcc_lo, v68, v2
	v_add_co_ci_u32_e64 v3, null, v69, v3, vcc_lo
	global_store_dwordx2 v[2:3], v[0:1], off
	s_or_b32 exec_lo, exec_lo, s4
	s_and_b32 s5, s13, s25
	s_and_saveexec_b32 s4, s5
	s_cbranch_execz .LBB203_240
.LBB203_332:
	s_clause 0x1
	buffer_load_dword v0, off, s[0:3], 0 offset:416
	buffer_load_dword v1, off, s[0:3], 0 offset:420
	v_cmp_ne_u32_e32 vcc_lo, 1, v70
	v_lshlrev_b64 v[2:3], 3, v[40:41]
	s_cbranch_vccnz .LBB203_334
; %bb.333:
	v_add_co_u32 v4, vcc_lo, v71, v2
	v_add_co_ci_u32_e64 v5, null, v72, v3, vcc_lo
	global_load_dwordx2 v[4:5], v[4:5], off
	s_waitcnt vmcnt(0)
	v_mul_f64 v[4:5], s[38:39], v[4:5]
	s_branch .LBB203_335
.LBB203_334:
	v_mov_b32_e32 v4, 0
	v_mov_b32_e32 v5, 0
.LBB203_335:
	s_waitcnt vmcnt(0)
	v_add_f64 v[0:1], v[0:1], v[4:5]
	v_add_co_u32 v2, vcc_lo, v68, v2
	v_add_co_ci_u32_e64 v3, null, v69, v3, vcc_lo
	global_store_dwordx2 v[2:3], v[0:1], off
	s_or_b32 exec_lo, exec_lo, s4
	s_and_b32 s5, s13, s26
	s_and_saveexec_b32 s4, s5
	s_cbranch_execz .LBB203_241
.LBB203_336:
	s_clause 0x1
	buffer_load_dword v0, off, s[0:3], 0 offset:424
	buffer_load_dword v1, off, s[0:3], 0 offset:428
	v_cmp_ne_u32_e32 vcc_lo, 1, v70
	v_lshlrev_b64 v[2:3], 3, v[42:43]
	s_cbranch_vccnz .LBB203_338
; %bb.337:
	v_add_co_u32 v4, vcc_lo, v71, v2
	v_add_co_ci_u32_e64 v5, null, v72, v3, vcc_lo
	global_load_dwordx2 v[4:5], v[4:5], off
	s_waitcnt vmcnt(0)
	v_mul_f64 v[4:5], s[38:39], v[4:5]
	s_branch .LBB203_339
.LBB203_338:
	v_mov_b32_e32 v4, 0
	v_mov_b32_e32 v5, 0
.LBB203_339:
	s_waitcnt vmcnt(0)
	v_add_f64 v[0:1], v[0:1], v[4:5]
	v_add_co_u32 v2, vcc_lo, v68, v2
	v_add_co_ci_u32_e64 v3, null, v69, v3, vcc_lo
	global_store_dwordx2 v[2:3], v[0:1], off
	s_or_b32 exec_lo, exec_lo, s4
	s_and_b32 s5, s13, s27
	s_and_saveexec_b32 s4, s5
	s_cbranch_execz .LBB203_242
.LBB203_340:
	s_clause 0x1
	buffer_load_dword v0, off, s[0:3], 0 offset:432
	buffer_load_dword v1, off, s[0:3], 0 offset:436
	v_cmp_ne_u32_e32 vcc_lo, 1, v70
	v_lshlrev_b64 v[2:3], 3, v[44:45]
	s_cbranch_vccnz .LBB203_342
; %bb.341:
	v_add_co_u32 v4, vcc_lo, v71, v2
	v_add_co_ci_u32_e64 v5, null, v72, v3, vcc_lo
	global_load_dwordx2 v[4:5], v[4:5], off
	s_waitcnt vmcnt(0)
	v_mul_f64 v[4:5], s[38:39], v[4:5]
	s_branch .LBB203_343
.LBB203_342:
	v_mov_b32_e32 v4, 0
	v_mov_b32_e32 v5, 0
.LBB203_343:
	s_waitcnt vmcnt(0)
	v_add_f64 v[0:1], v[0:1], v[4:5]
	v_add_co_u32 v2, vcc_lo, v68, v2
	v_add_co_ci_u32_e64 v3, null, v69, v3, vcc_lo
	global_store_dwordx2 v[2:3], v[0:1], off
	s_or_b32 exec_lo, exec_lo, s4
	s_and_b32 s5, s13, s28
	s_and_saveexec_b32 s4, s5
	s_cbranch_execz .LBB203_243
.LBB203_344:
	s_clause 0x1
	buffer_load_dword v0, off, s[0:3], 0 offset:440
	buffer_load_dword v1, off, s[0:3], 0 offset:444
	v_cmp_ne_u32_e32 vcc_lo, 1, v70
	v_lshlrev_b64 v[2:3], 3, v[46:47]
	s_cbranch_vccnz .LBB203_346
; %bb.345:
	v_add_co_u32 v4, vcc_lo, v71, v2
	v_add_co_ci_u32_e64 v5, null, v72, v3, vcc_lo
	global_load_dwordx2 v[4:5], v[4:5], off
	s_waitcnt vmcnt(0)
	v_mul_f64 v[4:5], s[38:39], v[4:5]
	s_branch .LBB203_347
.LBB203_346:
	v_mov_b32_e32 v4, 0
	v_mov_b32_e32 v5, 0
.LBB203_347:
	s_waitcnt vmcnt(0)
	v_add_f64 v[0:1], v[0:1], v[4:5]
	v_add_co_u32 v2, vcc_lo, v68, v2
	v_add_co_ci_u32_e64 v3, null, v69, v3, vcc_lo
	global_store_dwordx2 v[2:3], v[0:1], off
	s_or_b32 exec_lo, exec_lo, s4
	s_and_b32 s5, s13, s29
	s_and_saveexec_b32 s4, s5
	s_cbranch_execz .LBB203_244
.LBB203_348:
	s_clause 0x1
	buffer_load_dword v0, off, s[0:3], 0 offset:448
	buffer_load_dword v1, off, s[0:3], 0 offset:452
	v_cmp_ne_u32_e32 vcc_lo, 1, v70
	v_lshlrev_b64 v[2:3], 3, v[48:49]
	s_cbranch_vccnz .LBB203_350
; %bb.349:
	v_add_co_u32 v4, vcc_lo, v71, v2
	v_add_co_ci_u32_e64 v5, null, v72, v3, vcc_lo
	global_load_dwordx2 v[4:5], v[4:5], off
	s_waitcnt vmcnt(0)
	v_mul_f64 v[4:5], s[38:39], v[4:5]
	s_branch .LBB203_351
.LBB203_350:
	v_mov_b32_e32 v4, 0
	v_mov_b32_e32 v5, 0
.LBB203_351:
	s_waitcnt vmcnt(0)
	v_add_f64 v[0:1], v[0:1], v[4:5]
	v_add_co_u32 v2, vcc_lo, v68, v2
	v_add_co_ci_u32_e64 v3, null, v69, v3, vcc_lo
	global_store_dwordx2 v[2:3], v[0:1], off
	s_or_b32 exec_lo, exec_lo, s4
	s_and_b32 s5, s13, s30
	s_and_saveexec_b32 s4, s5
	s_cbranch_execz .LBB203_245
.LBB203_352:
	s_clause 0x1
	buffer_load_dword v0, off, s[0:3], 0 offset:456
	buffer_load_dword v1, off, s[0:3], 0 offset:460
	v_cmp_ne_u32_e32 vcc_lo, 1, v70
	v_lshlrev_b64 v[2:3], 3, v[50:51]
	s_cbranch_vccnz .LBB203_354
; %bb.353:
	v_add_co_u32 v4, vcc_lo, v71, v2
	v_add_co_ci_u32_e64 v5, null, v72, v3, vcc_lo
	global_load_dwordx2 v[4:5], v[4:5], off
	s_waitcnt vmcnt(0)
	v_mul_f64 v[4:5], s[38:39], v[4:5]
	s_branch .LBB203_355
.LBB203_354:
	v_mov_b32_e32 v4, 0
	v_mov_b32_e32 v5, 0
.LBB203_355:
	s_waitcnt vmcnt(0)
	v_add_f64 v[0:1], v[0:1], v[4:5]
	v_add_co_u32 v2, vcc_lo, v68, v2
	v_add_co_ci_u32_e64 v3, null, v69, v3, vcc_lo
	global_store_dwordx2 v[2:3], v[0:1], off
	s_or_b32 exec_lo, exec_lo, s4
	s_and_b32 s5, s13, s31
	s_and_saveexec_b32 s4, s5
	s_cbranch_execz .LBB203_246
.LBB203_356:
	s_clause 0x1
	buffer_load_dword v0, off, s[0:3], 0 offset:464
	buffer_load_dword v1, off, s[0:3], 0 offset:468
	v_cmp_ne_u32_e32 vcc_lo, 1, v70
	v_lshlrev_b64 v[2:3], 3, v[52:53]
	s_cbranch_vccnz .LBB203_358
; %bb.357:
	v_add_co_u32 v4, vcc_lo, v71, v2
	v_add_co_ci_u32_e64 v5, null, v72, v3, vcc_lo
	global_load_dwordx2 v[4:5], v[4:5], off
	s_waitcnt vmcnt(0)
	v_mul_f64 v[4:5], s[38:39], v[4:5]
	s_branch .LBB203_359
.LBB203_358:
	v_mov_b32_e32 v4, 0
	v_mov_b32_e32 v5, 0
.LBB203_359:
	s_waitcnt vmcnt(0)
	v_add_f64 v[0:1], v[0:1], v[4:5]
	v_add_co_u32 v2, vcc_lo, v68, v2
	v_add_co_ci_u32_e64 v3, null, v69, v3, vcc_lo
	global_store_dwordx2 v[2:3], v[0:1], off
	s_or_b32 exec_lo, exec_lo, s4
	s_and_b32 s5, s13, s33
	s_and_saveexec_b32 s4, s5
	s_cbranch_execz .LBB203_247
.LBB203_360:
	s_clause 0x1
	buffer_load_dword v0, off, s[0:3], 0 offset:472
	buffer_load_dword v1, off, s[0:3], 0 offset:476
	v_cmp_ne_u32_e32 vcc_lo, 1, v70
	v_lshlrev_b64 v[2:3], 3, v[54:55]
	s_cbranch_vccnz .LBB203_362
; %bb.361:
	v_add_co_u32 v4, vcc_lo, v71, v2
	v_add_co_ci_u32_e64 v5, null, v72, v3, vcc_lo
	global_load_dwordx2 v[4:5], v[4:5], off
	s_waitcnt vmcnt(0)
	v_mul_f64 v[4:5], s[38:39], v[4:5]
	s_branch .LBB203_363
.LBB203_362:
	v_mov_b32_e32 v4, 0
	v_mov_b32_e32 v5, 0
.LBB203_363:
	s_waitcnt vmcnt(0)
	v_add_f64 v[0:1], v[0:1], v[4:5]
	v_add_co_u32 v2, vcc_lo, v68, v2
	v_add_co_ci_u32_e64 v3, null, v69, v3, vcc_lo
	global_store_dwordx2 v[2:3], v[0:1], off
	s_or_b32 exec_lo, exec_lo, s4
	s_and_b32 s5, s13, s34
	s_and_saveexec_b32 s4, s5
	s_cbranch_execz .LBB203_248
.LBB203_364:
	s_clause 0x1
	buffer_load_dword v0, off, s[0:3], 0 offset:480
	buffer_load_dword v1, off, s[0:3], 0 offset:484
	v_cmp_ne_u32_e32 vcc_lo, 1, v70
	v_lshlrev_b64 v[2:3], 3, v[56:57]
	s_cbranch_vccnz .LBB203_366
; %bb.365:
	v_add_co_u32 v4, vcc_lo, v71, v2
	v_add_co_ci_u32_e64 v5, null, v72, v3, vcc_lo
	global_load_dwordx2 v[4:5], v[4:5], off
	s_waitcnt vmcnt(0)
	v_mul_f64 v[4:5], s[38:39], v[4:5]
	s_branch .LBB203_367
.LBB203_366:
	v_mov_b32_e32 v4, 0
	v_mov_b32_e32 v5, 0
.LBB203_367:
	s_waitcnt vmcnt(0)
	v_add_f64 v[0:1], v[0:1], v[4:5]
	v_add_co_u32 v2, vcc_lo, v68, v2
	v_add_co_ci_u32_e64 v3, null, v69, v3, vcc_lo
	global_store_dwordx2 v[2:3], v[0:1], off
	s_or_b32 exec_lo, exec_lo, s4
	s_and_b32 s5, s13, s35
	s_and_saveexec_b32 s4, s5
	s_cbranch_execz .LBB203_249
.LBB203_368:
	s_clause 0x1
	buffer_load_dword v0, off, s[0:3], 0 offset:488
	buffer_load_dword v1, off, s[0:3], 0 offset:492
	v_cmp_ne_u32_e32 vcc_lo, 1, v70
	v_lshlrev_b64 v[2:3], 3, v[58:59]
	s_cbranch_vccnz .LBB203_370
; %bb.369:
	v_add_co_u32 v4, vcc_lo, v71, v2
	v_add_co_ci_u32_e64 v5, null, v72, v3, vcc_lo
	global_load_dwordx2 v[4:5], v[4:5], off
	s_waitcnt vmcnt(0)
	v_mul_f64 v[4:5], s[38:39], v[4:5]
	s_branch .LBB203_371
.LBB203_370:
	v_mov_b32_e32 v4, 0
	v_mov_b32_e32 v5, 0
.LBB203_371:
	s_waitcnt vmcnt(0)
	v_add_f64 v[0:1], v[0:1], v[4:5]
	v_add_co_u32 v2, vcc_lo, v68, v2
	v_add_co_ci_u32_e64 v3, null, v69, v3, vcc_lo
	global_store_dwordx2 v[2:3], v[0:1], off
	s_or_b32 exec_lo, exec_lo, s4
	s_and_b32 s5, s13, s36
	s_and_saveexec_b32 s4, s5
	s_cbranch_execz .LBB203_250
.LBB203_372:
	s_clause 0x1
	buffer_load_dword v0, off, s[0:3], 0 offset:496
	buffer_load_dword v1, off, s[0:3], 0 offset:500
	v_cmp_ne_u32_e32 vcc_lo, 1, v70
	v_lshlrev_b64 v[2:3], 3, v[60:61]
	s_cbranch_vccnz .LBB203_374
; %bb.373:
	v_add_co_u32 v4, vcc_lo, v71, v2
	v_add_co_ci_u32_e64 v5, null, v72, v3, vcc_lo
	global_load_dwordx2 v[4:5], v[4:5], off
	s_waitcnt vmcnt(0)
	v_mul_f64 v[4:5], s[38:39], v[4:5]
	s_branch .LBB203_375
.LBB203_374:
	v_mov_b32_e32 v4, 0
	v_mov_b32_e32 v5, 0
.LBB203_375:
	s_waitcnt vmcnt(0)
	v_add_f64 v[0:1], v[0:1], v[4:5]
	v_add_co_u32 v2, vcc_lo, v68, v2
	v_add_co_ci_u32_e64 v3, null, v69, v3, vcc_lo
	global_store_dwordx2 v[2:3], v[0:1], off
	s_or_b32 exec_lo, exec_lo, s4
	s_and_b32 s4, s13, s37
	s_and_saveexec_b32 s5, s4
	s_cbranch_execz .LBB203_251
.LBB203_376:
	s_clause 0x1
	buffer_load_dword v0, off, s[0:3], 0 offset:504
	buffer_load_dword v1, off, s[0:3], 0 offset:508
	v_cmp_ne_u32_e32 vcc_lo, 1, v70
	v_lshlrev_b64 v[2:3], 3, v[62:63]
	s_cbranch_vccnz .LBB203_378
; %bb.377:
	v_add_co_u32 v4, vcc_lo, v71, v2
	v_add_co_ci_u32_e64 v5, null, v72, v3, vcc_lo
	global_load_dwordx2 v[4:5], v[4:5], off
	s_waitcnt vmcnt(0)
	v_mul_f64 v[4:5], s[38:39], v[4:5]
	s_branch .LBB203_379
.LBB203_378:
	v_mov_b32_e32 v4, 0
	v_mov_b32_e32 v5, 0
.LBB203_379:
	s_waitcnt vmcnt(0)
	v_add_f64 v[0:1], v[0:1], v[4:5]
	v_add_co_u32 v2, vcc_lo, v68, v2
	v_add_co_ci_u32_e64 v3, null, v69, v3, vcc_lo
	global_store_dwordx2 v[2:3], v[0:1], off
	s_endpgm
	.section	.rodata,"a",@progbits
	.p2align	6, 0x0
	.amdhsa_kernel _ZN12_GLOBAL__N_120geam_min_plus_kernelIdddLi4ELi64ELi128ELi128ELi4ELi4ELi64ELi64ELi4ELc84ELc84ELb0ELb1ELb0EdKddEEviiiT16_PT17_ilS4_ilS2_S4_ilPT18_ili26rocblas_geam_ex_operation_
		.amdhsa_group_segment_fixed_size 16384
		.amdhsa_private_segment_fixed_size 528
		.amdhsa_kernarg_size 136
		.amdhsa_user_sgpr_count 6
		.amdhsa_user_sgpr_private_segment_buffer 1
		.amdhsa_user_sgpr_dispatch_ptr 0
		.amdhsa_user_sgpr_queue_ptr 0
		.amdhsa_user_sgpr_kernarg_segment_ptr 1
		.amdhsa_user_sgpr_dispatch_id 0
		.amdhsa_user_sgpr_flat_scratch_init 0
		.amdhsa_user_sgpr_private_segment_size 0
		.amdhsa_wavefront_size32 1
		.amdhsa_uses_dynamic_stack 0
		.amdhsa_system_sgpr_private_segment_wavefront_offset 1
		.amdhsa_system_sgpr_workgroup_id_x 1
		.amdhsa_system_sgpr_workgroup_id_y 0
		.amdhsa_system_sgpr_workgroup_id_z 1
		.amdhsa_system_sgpr_workgroup_info 0
		.amdhsa_system_vgpr_workitem_id 1
		.amdhsa_next_free_vgpr 114
		.amdhsa_next_free_sgpr 50
		.amdhsa_reserve_vcc 1
		.amdhsa_reserve_flat_scratch 0
		.amdhsa_float_round_mode_32 0
		.amdhsa_float_round_mode_16_64 0
		.amdhsa_float_denorm_mode_32 3
		.amdhsa_float_denorm_mode_16_64 3
		.amdhsa_dx10_clamp 1
		.amdhsa_ieee_mode 1
		.amdhsa_fp16_overflow 0
		.amdhsa_workgroup_processor_mode 1
		.amdhsa_memory_ordered 1
		.amdhsa_forward_progress 1
		.amdhsa_shared_vgpr_count 0
		.amdhsa_exception_fp_ieee_invalid_op 0
		.amdhsa_exception_fp_denorm_src 0
		.amdhsa_exception_fp_ieee_div_zero 0
		.amdhsa_exception_fp_ieee_overflow 0
		.amdhsa_exception_fp_ieee_underflow 0
		.amdhsa_exception_fp_ieee_inexact 0
		.amdhsa_exception_int_div_zero 0
	.end_amdhsa_kernel
	.section	.text._ZN12_GLOBAL__N_120geam_min_plus_kernelIdddLi4ELi64ELi128ELi128ELi4ELi4ELi64ELi64ELi4ELc84ELc84ELb0ELb1ELb0EdKddEEviiiT16_PT17_ilS4_ilS2_S4_ilPT18_ili26rocblas_geam_ex_operation_,"axG",@progbits,_ZN12_GLOBAL__N_120geam_min_plus_kernelIdddLi4ELi64ELi128ELi128ELi4ELi4ELi64ELi64ELi4ELc84ELc84ELb0ELb1ELb0EdKddEEviiiT16_PT17_ilS4_ilS2_S4_ilPT18_ili26rocblas_geam_ex_operation_,comdat
.Lfunc_end203:
	.size	_ZN12_GLOBAL__N_120geam_min_plus_kernelIdddLi4ELi64ELi128ELi128ELi4ELi4ELi64ELi64ELi4ELc84ELc84ELb0ELb1ELb0EdKddEEviiiT16_PT17_ilS4_ilS2_S4_ilPT18_ili26rocblas_geam_ex_operation_, .Lfunc_end203-_ZN12_GLOBAL__N_120geam_min_plus_kernelIdddLi4ELi64ELi128ELi128ELi4ELi4ELi64ELi64ELi4ELc84ELc84ELb0ELb1ELb0EdKddEEviiiT16_PT17_ilS4_ilS2_S4_ilPT18_ili26rocblas_geam_ex_operation_
                                        ; -- End function
	.set _ZN12_GLOBAL__N_120geam_min_plus_kernelIdddLi4ELi64ELi128ELi128ELi4ELi4ELi64ELi64ELi4ELc84ELc84ELb0ELb1ELb0EdKddEEviiiT16_PT17_ilS4_ilS2_S4_ilPT18_ili26rocblas_geam_ex_operation_.num_vgpr, 114
	.set _ZN12_GLOBAL__N_120geam_min_plus_kernelIdddLi4ELi64ELi128ELi128ELi4ELi4ELi64ELi64ELi4ELc84ELc84ELb0ELb1ELb0EdKddEEviiiT16_PT17_ilS4_ilS2_S4_ilPT18_ili26rocblas_geam_ex_operation_.num_agpr, 0
	.set _ZN12_GLOBAL__N_120geam_min_plus_kernelIdddLi4ELi64ELi128ELi128ELi4ELi4ELi64ELi64ELi4ELc84ELc84ELb0ELb1ELb0EdKddEEviiiT16_PT17_ilS4_ilS2_S4_ilPT18_ili26rocblas_geam_ex_operation_.numbered_sgpr, 50
	.set _ZN12_GLOBAL__N_120geam_min_plus_kernelIdddLi4ELi64ELi128ELi128ELi4ELi4ELi64ELi64ELi4ELc84ELc84ELb0ELb1ELb0EdKddEEviiiT16_PT17_ilS4_ilS2_S4_ilPT18_ili26rocblas_geam_ex_operation_.num_named_barrier, 0
	.set _ZN12_GLOBAL__N_120geam_min_plus_kernelIdddLi4ELi64ELi128ELi128ELi4ELi4ELi64ELi64ELi4ELc84ELc84ELb0ELb1ELb0EdKddEEviiiT16_PT17_ilS4_ilS2_S4_ilPT18_ili26rocblas_geam_ex_operation_.private_seg_size, 528
	.set _ZN12_GLOBAL__N_120geam_min_plus_kernelIdddLi4ELi64ELi128ELi128ELi4ELi4ELi64ELi64ELi4ELc84ELc84ELb0ELb1ELb0EdKddEEviiiT16_PT17_ilS4_ilS2_S4_ilPT18_ili26rocblas_geam_ex_operation_.uses_vcc, 1
	.set _ZN12_GLOBAL__N_120geam_min_plus_kernelIdddLi4ELi64ELi128ELi128ELi4ELi4ELi64ELi64ELi4ELc84ELc84ELb0ELb1ELb0EdKddEEviiiT16_PT17_ilS4_ilS2_S4_ilPT18_ili26rocblas_geam_ex_operation_.uses_flat_scratch, 0
	.set _ZN12_GLOBAL__N_120geam_min_plus_kernelIdddLi4ELi64ELi128ELi128ELi4ELi4ELi64ELi64ELi4ELc84ELc84ELb0ELb1ELb0EdKddEEviiiT16_PT17_ilS4_ilS2_S4_ilPT18_ili26rocblas_geam_ex_operation_.has_dyn_sized_stack, 0
	.set _ZN12_GLOBAL__N_120geam_min_plus_kernelIdddLi4ELi64ELi128ELi128ELi4ELi4ELi64ELi64ELi4ELc84ELc84ELb0ELb1ELb0EdKddEEviiiT16_PT17_ilS4_ilS2_S4_ilPT18_ili26rocblas_geam_ex_operation_.has_recursion, 0
	.set _ZN12_GLOBAL__N_120geam_min_plus_kernelIdddLi4ELi64ELi128ELi128ELi4ELi4ELi64ELi64ELi4ELc84ELc84ELb0ELb1ELb0EdKddEEviiiT16_PT17_ilS4_ilS2_S4_ilPT18_ili26rocblas_geam_ex_operation_.has_indirect_call, 0
	.section	.AMDGPU.csdata,"",@progbits
; Kernel info:
; codeLenInByte = 22384
; TotalNumSgprs: 52
; NumVgprs: 114
; ScratchSize: 528
; MemoryBound: 0
; FloatMode: 240
; IeeeMode: 1
; LDSByteSize: 16384 bytes/workgroup (compile time only)
; SGPRBlocks: 0
; VGPRBlocks: 14
; NumSGPRsForWavesPerEU: 52
; NumVGPRsForWavesPerEU: 114
; Occupancy: 8
; WaveLimiterHint : 0
; COMPUTE_PGM_RSRC2:SCRATCH_EN: 1
; COMPUTE_PGM_RSRC2:USER_SGPR: 6
; COMPUTE_PGM_RSRC2:TRAP_HANDLER: 0
; COMPUTE_PGM_RSRC2:TGID_X_EN: 1
; COMPUTE_PGM_RSRC2:TGID_Y_EN: 0
; COMPUTE_PGM_RSRC2:TGID_Z_EN: 1
; COMPUTE_PGM_RSRC2:TIDIG_COMP_CNT: 1
	.section	.text._ZN12_GLOBAL__N_120geam_ex_scale_kernelILi32ELi32EDF16_DF16_PKPKDF16_PKPDF16_EEviiT2_T3_lilT4_lil,"axG",@progbits,_ZN12_GLOBAL__N_120geam_ex_scale_kernelILi32ELi32EDF16_DF16_PKPKDF16_PKPDF16_EEviiT2_T3_lilT4_lil,comdat
	.globl	_ZN12_GLOBAL__N_120geam_ex_scale_kernelILi32ELi32EDF16_DF16_PKPKDF16_PKPDF16_EEviiT2_T3_lilT4_lil ; -- Begin function _ZN12_GLOBAL__N_120geam_ex_scale_kernelILi32ELi32EDF16_DF16_PKPKDF16_PKPDF16_EEviiT2_T3_lilT4_lil
	.p2align	8
	.type	_ZN12_GLOBAL__N_120geam_ex_scale_kernelILi32ELi32EDF16_DF16_PKPKDF16_PKPDF16_EEviiT2_T3_lilT4_lil,@function
_ZN12_GLOBAL__N_120geam_ex_scale_kernelILi32ELi32EDF16_DF16_PKPKDF16_PKPDF16_EEviiT2_T3_lilT4_lil: ; @_ZN12_GLOBAL__N_120geam_ex_scale_kernelILi32ELi32EDF16_DF16_PKPKDF16_PKPDF16_EEviiT2_T3_lilT4_lil
; %bb.0:
	s_load_dwordx4 s[0:3], s[4:5], 0x0
	s_mov_b32 s14, s7
	s_mov_b32 s15, 0
	s_waitcnt lgkmcnt(0)
	v_cmp_eq_f16_e64 s3, s2, 0
	s_and_b32 vcc_lo, exec_lo, s3
	s_cbranch_vccnz .LBB204_2
; %bb.1:
	s_load_dwordx4 s[8:11], s[4:5], 0x10
	s_lshl_b64 s[12:13], s[14:15], 3
	s_waitcnt lgkmcnt(0)
	s_add_u32 s8, s8, s12
	s_addc_u32 s9, s9, s13
	s_lshl_b64 s[10:11], s[10:11], 1
	s_load_dwordx2 s[8:9], s[8:9], 0x0
	s_waitcnt lgkmcnt(0)
	s_add_u32 s12, s8, s10
	s_addc_u32 s13, s9, s11
	s_branch .LBB204_3
.LBB204_2:
	s_mov_b64 s[12:13], 0
.LBB204_3:
	s_add_i32 s7, s0, -1
	s_ashr_i32 s8, s7, 31
	s_lshr_b32 s8, s8, 27
	s_add_i32 s7, s7, s8
	s_ashr_i32 s7, s7, 5
	s_add_i32 s8, s7, 1
	s_not_b32 s7, s7
	v_cvt_f32_u32_e32 v2, s8
	v_rcp_iflag_f32_e32 v2, v2
	v_mul_f32_e32 v2, 0x4f7ffffe, v2
	v_cvt_u32_f32_e32 v2, v2
	v_readfirstlane_b32 s9, v2
	s_mul_i32 s7, s7, s9
	s_mul_hi_u32 s7, s9, s7
	s_add_i32 s9, s9, s7
	s_mul_hi_u32 s7, s6, s9
	s_mul_i32 s9, s7, s8
	s_add_i32 s10, s7, 1
	s_sub_i32 s9, s6, s9
	s_sub_i32 s11, s9, s8
	s_cmp_ge_u32 s9, s8
	s_cselect_b32 s7, s10, s7
	s_cselect_b32 s9, s11, s9
	s_add_i32 s10, s7, 1
	s_cmp_ge_u32 s9, s8
	s_cselect_b32 s7, s10, s7
	s_mul_i32 s8, s7, s8
	v_lshl_add_u32 v4, s7, 5, v1
	s_sub_i32 s6, s6, s8
	v_lshl_add_u32 v0, s6, 5, v0
	s_mov_b32 s6, -1
	v_cmp_gt_u32_e32 vcc_lo, s0, v0
	v_cmp_gt_u32_e64 s0, s1, v4
	s_and_b32 s0, vcc_lo, s0
	s_and_saveexec_b32 s1, s0
	s_cbranch_execz .LBB204_9
; %bb.4:
	s_load_dwordx4 s[8:11], s[4:5], 0x30
	s_lshl_b64 s[0:1], s[14:15], 3
	v_mov_b32_e32 v1, 0
	v_mov_b32_e32 v3, v1
	;; [unrolled: 1-line block ×3, first 2 shown]
	s_waitcnt lgkmcnt(0)
	s_add_u32 s0, s8, s0
	s_addc_u32 s1, s9, s1
	s_andn2_b32 vcc_lo, exec_lo, s3
	s_load_dwordx2 s[0:1], s[0:1], 0x0
	s_cbranch_vccnz .LBB204_6
; %bb.5:
	v_mov_b32_e32 v3, 0
	v_mov_b32_e32 v2, v0
	s_mov_b32 s6, 0
.LBB204_6:
	s_andn2_b32 vcc_lo, exec_lo, s6
	s_cbranch_vccnz .LBB204_8
; %bb.7:
	s_load_dword s3, s[4:5], 0x20
	v_lshlrev_b64 v[0:1], 1, v[0:1]
	s_waitcnt lgkmcnt(0)
	v_mad_u64_u32 v[5:6], null, v4, s3, 0
	s_ashr_i32 s3, s3, 31
	v_mad_u64_u32 v[6:7], null, v4, s3, v[6:7]
	v_lshlrev_b64 v[5:6], 1, v[5:6]
	v_add_co_u32 v5, vcc_lo, s12, v5
	v_add_co_ci_u32_e64 v6, null, s13, v6, vcc_lo
	v_add_co_u32 v0, vcc_lo, v5, v0
	v_add_co_ci_u32_e64 v1, null, v6, v1, vcc_lo
	flat_load_ushort v0, v[0:1]
	s_waitcnt vmcnt(0) lgkmcnt(0)
	v_mul_f16_e32 v1, s2, v0
.LBB204_8:
	s_load_dword s4, s[4:5], 0x40
	s_lshl_b64 s[2:3], s[10:11], 1
	v_lshlrev_b64 v[2:3], 1, v[2:3]
	s_waitcnt lgkmcnt(0)
	s_add_u32 s0, s0, s2
	s_addc_u32 s1, s1, s3
	v_mad_u64_u32 v[5:6], null, v4, s4, 0
	s_ashr_i32 s2, s4, 31
	v_mov_b32_e32 v0, v6
	v_mad_u64_u32 v[6:7], null, v4, s2, v[0:1]
	v_lshlrev_b64 v[4:5], 1, v[5:6]
	v_add_co_u32 v0, vcc_lo, s0, v4
	v_add_co_ci_u32_e64 v4, null, s1, v5, vcc_lo
	v_add_co_u32 v2, vcc_lo, v0, v2
	v_add_co_ci_u32_e64 v3, null, v4, v3, vcc_lo
	flat_store_short v[2:3], v1
.LBB204_9:
	s_endpgm
	.section	.rodata,"a",@progbits
	.p2align	6, 0x0
	.amdhsa_kernel _ZN12_GLOBAL__N_120geam_ex_scale_kernelILi32ELi32EDF16_DF16_PKPKDF16_PKPDF16_EEviiT2_T3_lilT4_lil
		.amdhsa_group_segment_fixed_size 0
		.amdhsa_private_segment_fixed_size 0
		.amdhsa_kernarg_size 80
		.amdhsa_user_sgpr_count 6
		.amdhsa_user_sgpr_private_segment_buffer 1
		.amdhsa_user_sgpr_dispatch_ptr 0
		.amdhsa_user_sgpr_queue_ptr 0
		.amdhsa_user_sgpr_kernarg_segment_ptr 1
		.amdhsa_user_sgpr_dispatch_id 0
		.amdhsa_user_sgpr_flat_scratch_init 0
		.amdhsa_user_sgpr_private_segment_size 0
		.amdhsa_wavefront_size32 1
		.amdhsa_uses_dynamic_stack 0
		.amdhsa_system_sgpr_private_segment_wavefront_offset 0
		.amdhsa_system_sgpr_workgroup_id_x 1
		.amdhsa_system_sgpr_workgroup_id_y 0
		.amdhsa_system_sgpr_workgroup_id_z 1
		.amdhsa_system_sgpr_workgroup_info 0
		.amdhsa_system_vgpr_workitem_id 1
		.amdhsa_next_free_vgpr 8
		.amdhsa_next_free_sgpr 16
		.amdhsa_reserve_vcc 1
		.amdhsa_reserve_flat_scratch 0
		.amdhsa_float_round_mode_32 0
		.amdhsa_float_round_mode_16_64 0
		.amdhsa_float_denorm_mode_32 3
		.amdhsa_float_denorm_mode_16_64 3
		.amdhsa_dx10_clamp 1
		.amdhsa_ieee_mode 1
		.amdhsa_fp16_overflow 0
		.amdhsa_workgroup_processor_mode 1
		.amdhsa_memory_ordered 1
		.amdhsa_forward_progress 1
		.amdhsa_shared_vgpr_count 0
		.amdhsa_exception_fp_ieee_invalid_op 0
		.amdhsa_exception_fp_denorm_src 0
		.amdhsa_exception_fp_ieee_div_zero 0
		.amdhsa_exception_fp_ieee_overflow 0
		.amdhsa_exception_fp_ieee_underflow 0
		.amdhsa_exception_fp_ieee_inexact 0
		.amdhsa_exception_int_div_zero 0
	.end_amdhsa_kernel
	.section	.text._ZN12_GLOBAL__N_120geam_ex_scale_kernelILi32ELi32EDF16_DF16_PKPKDF16_PKPDF16_EEviiT2_T3_lilT4_lil,"axG",@progbits,_ZN12_GLOBAL__N_120geam_ex_scale_kernelILi32ELi32EDF16_DF16_PKPKDF16_PKPDF16_EEviiT2_T3_lilT4_lil,comdat
.Lfunc_end204:
	.size	_ZN12_GLOBAL__N_120geam_ex_scale_kernelILi32ELi32EDF16_DF16_PKPKDF16_PKPDF16_EEviiT2_T3_lilT4_lil, .Lfunc_end204-_ZN12_GLOBAL__N_120geam_ex_scale_kernelILi32ELi32EDF16_DF16_PKPKDF16_PKPDF16_EEviiT2_T3_lilT4_lil
                                        ; -- End function
	.set _ZN12_GLOBAL__N_120geam_ex_scale_kernelILi32ELi32EDF16_DF16_PKPKDF16_PKPDF16_EEviiT2_T3_lilT4_lil.num_vgpr, 8
	.set _ZN12_GLOBAL__N_120geam_ex_scale_kernelILi32ELi32EDF16_DF16_PKPKDF16_PKPDF16_EEviiT2_T3_lilT4_lil.num_agpr, 0
	.set _ZN12_GLOBAL__N_120geam_ex_scale_kernelILi32ELi32EDF16_DF16_PKPKDF16_PKPDF16_EEviiT2_T3_lilT4_lil.numbered_sgpr, 16
	.set _ZN12_GLOBAL__N_120geam_ex_scale_kernelILi32ELi32EDF16_DF16_PKPKDF16_PKPDF16_EEviiT2_T3_lilT4_lil.num_named_barrier, 0
	.set _ZN12_GLOBAL__N_120geam_ex_scale_kernelILi32ELi32EDF16_DF16_PKPKDF16_PKPDF16_EEviiT2_T3_lilT4_lil.private_seg_size, 0
	.set _ZN12_GLOBAL__N_120geam_ex_scale_kernelILi32ELi32EDF16_DF16_PKPKDF16_PKPDF16_EEviiT2_T3_lilT4_lil.uses_vcc, 1
	.set _ZN12_GLOBAL__N_120geam_ex_scale_kernelILi32ELi32EDF16_DF16_PKPKDF16_PKPDF16_EEviiT2_T3_lilT4_lil.uses_flat_scratch, 0
	.set _ZN12_GLOBAL__N_120geam_ex_scale_kernelILi32ELi32EDF16_DF16_PKPKDF16_PKPDF16_EEviiT2_T3_lilT4_lil.has_dyn_sized_stack, 0
	.set _ZN12_GLOBAL__N_120geam_ex_scale_kernelILi32ELi32EDF16_DF16_PKPKDF16_PKPDF16_EEviiT2_T3_lilT4_lil.has_recursion, 0
	.set _ZN12_GLOBAL__N_120geam_ex_scale_kernelILi32ELi32EDF16_DF16_PKPKDF16_PKPDF16_EEviiT2_T3_lilT4_lil.has_indirect_call, 0
	.section	.AMDGPU.csdata,"",@progbits
; Kernel info:
; codeLenInByte = 528
; TotalNumSgprs: 18
; NumVgprs: 8
; ScratchSize: 0
; MemoryBound: 0
; FloatMode: 240
; IeeeMode: 1
; LDSByteSize: 0 bytes/workgroup (compile time only)
; SGPRBlocks: 0
; VGPRBlocks: 0
; NumSGPRsForWavesPerEU: 18
; NumVGPRsForWavesPerEU: 8
; Occupancy: 16
; WaveLimiterHint : 1
; COMPUTE_PGM_RSRC2:SCRATCH_EN: 0
; COMPUTE_PGM_RSRC2:USER_SGPR: 6
; COMPUTE_PGM_RSRC2:TRAP_HANDLER: 0
; COMPUTE_PGM_RSRC2:TGID_X_EN: 1
; COMPUTE_PGM_RSRC2:TGID_Y_EN: 0
; COMPUTE_PGM_RSRC2:TGID_Z_EN: 1
; COMPUTE_PGM_RSRC2:TIDIG_COMP_CNT: 1
	.section	.text._ZN12_GLOBAL__N_120geam_ex_scale_kernelILi32ELi32EDF16_PKDF16_PKS2_PKPDF16_EEviiT2_T3_lilT4_lil,"axG",@progbits,_ZN12_GLOBAL__N_120geam_ex_scale_kernelILi32ELi32EDF16_PKDF16_PKS2_PKPDF16_EEviiT2_T3_lilT4_lil,comdat
	.globl	_ZN12_GLOBAL__N_120geam_ex_scale_kernelILi32ELi32EDF16_PKDF16_PKS2_PKPDF16_EEviiT2_T3_lilT4_lil ; -- Begin function _ZN12_GLOBAL__N_120geam_ex_scale_kernelILi32ELi32EDF16_PKDF16_PKS2_PKPDF16_EEviiT2_T3_lilT4_lil
	.p2align	8
	.type	_ZN12_GLOBAL__N_120geam_ex_scale_kernelILi32ELi32EDF16_PKDF16_PKS2_PKPDF16_EEviiT2_T3_lilT4_lil,@function
_ZN12_GLOBAL__N_120geam_ex_scale_kernelILi32ELi32EDF16_PKDF16_PKS2_PKPDF16_EEviiT2_T3_lilT4_lil: ; @_ZN12_GLOBAL__N_120geam_ex_scale_kernelILi32ELi32EDF16_PKDF16_PKS2_PKPDF16_EEviiT2_T3_lilT4_lil
; %bb.0:
	s_load_dwordx4 s[0:3], s[4:5], 0x8
	v_mov_b32_e32 v2, 0
	s_mov_b32 s12, s7
	s_mov_b32 s13, 0
	s_waitcnt lgkmcnt(0)
	global_load_ushort v4, v2, s[0:1]
	s_waitcnt vmcnt(0)
	v_cmp_eq_f16_e64 s0, 0, v4
	s_and_b32 vcc_lo, exec_lo, s0
	s_cbranch_vccnz .LBB205_2
; %bb.1:
	s_lshl_b64 s[8:9], s[12:13], 3
	s_load_dwordx2 s[10:11], s[4:5], 0x18
	s_add_u32 s2, s2, s8
	s_addc_u32 s3, s3, s9
	s_load_dwordx2 s[2:3], s[2:3], 0x0
	s_waitcnt lgkmcnt(0)
	s_lshl_b64 s[8:9], s[10:11], 1
	s_add_u32 s2, s2, s8
	s_addc_u32 s3, s3, s9
	s_branch .LBB205_3
.LBB205_2:
	s_mov_b64 s[2:3], 0
.LBB205_3:
	s_load_dwordx2 s[8:9], s[4:5], 0x0
	s_waitcnt lgkmcnt(0)
	s_add_i32 s1, s8, -1
	s_ashr_i32 s7, s1, 31
	s_lshr_b32 s7, s7, 27
	s_add_i32 s1, s1, s7
	s_ashr_i32 s1, s1, 5
	s_add_i32 s7, s1, 1
	s_not_b32 s1, s1
	v_cvt_f32_u32_e32 v2, s7
	v_rcp_iflag_f32_e32 v2, v2
	v_mul_f32_e32 v2, 0x4f7ffffe, v2
	v_cvt_u32_f32_e32 v2, v2
	v_readfirstlane_b32 s10, v2
	s_mul_i32 s1, s1, s10
	s_mul_hi_u32 s1, s10, s1
	s_add_i32 s10, s10, s1
	s_mul_hi_u32 s1, s6, s10
	s_mul_i32 s10, s1, s7
	s_add_i32 s11, s1, 1
	s_sub_i32 s10, s6, s10
	s_sub_i32 s14, s10, s7
	s_cmp_ge_u32 s10, s7
	s_cselect_b32 s1, s11, s1
	s_cselect_b32 s10, s14, s10
	s_add_i32 s11, s1, 1
	s_cmp_ge_u32 s10, s7
	s_mov_b32 s14, -1
	s_cselect_b32 s1, s11, s1
	s_mul_i32 s7, s1, s7
	v_lshl_add_u32 v5, s1, 5, v1
	s_sub_i32 s6, s6, s7
	v_lshl_add_u32 v0, s6, 5, v0
	v_cmp_gt_u32_e64 s1, s9, v5
	v_cmp_gt_u32_e32 vcc_lo, s8, v0
	s_and_b32 s1, vcc_lo, s1
	s_and_saveexec_b32 s6, s1
	s_cbranch_execz .LBB205_9
; %bb.4:
	s_load_dwordx4 s[8:11], s[4:5], 0x30
	s_lshl_b64 s[6:7], s[12:13], 3
	v_mov_b32_e32 v1, 0
	v_mov_b32_e32 v3, v1
	;; [unrolled: 1-line block ×3, first 2 shown]
	s_waitcnt lgkmcnt(0)
	s_add_u32 s6, s8, s6
	s_addc_u32 s7, s9, s7
	s_andn2_b32 vcc_lo, exec_lo, s0
	s_load_dwordx2 s[6:7], s[6:7], 0x0
	s_cbranch_vccnz .LBB205_6
; %bb.5:
	v_mov_b32_e32 v3, 0
	v_mov_b32_e32 v2, v0
	s_mov_b32 s14, 0
.LBB205_6:
	s_andn2_b32 vcc_lo, exec_lo, s14
	s_cbranch_vccnz .LBB205_8
; %bb.7:
	s_load_dword s0, s[4:5], 0x20
	v_lshlrev_b64 v[0:1], 1, v[0:1]
	s_waitcnt lgkmcnt(0)
	v_mad_u64_u32 v[6:7], null, v5, s0, 0
	s_ashr_i32 s0, s0, 31
	v_mad_u64_u32 v[7:8], null, v5, s0, v[7:8]
	v_lshlrev_b64 v[6:7], 1, v[6:7]
	v_add_co_u32 v6, vcc_lo, s2, v6
	v_add_co_ci_u32_e64 v7, null, s3, v7, vcc_lo
	v_add_co_u32 v0, vcc_lo, v6, v0
	v_add_co_ci_u32_e64 v1, null, v7, v1, vcc_lo
	flat_load_ushort v0, v[0:1]
	s_waitcnt vmcnt(0) lgkmcnt(0)
	v_mul_f16_e32 v1, v4, v0
.LBB205_8:
	s_load_dword s2, s[4:5], 0x40
	s_lshl_b64 s[0:1], s[10:11], 1
	v_lshlrev_b64 v[2:3], 1, v[2:3]
	s_waitcnt lgkmcnt(0)
	s_add_u32 s0, s6, s0
	s_addc_u32 s1, s7, s1
	v_mad_u64_u32 v[6:7], null, v5, s2, 0
	s_ashr_i32 s2, s2, 31
	v_mov_b32_e32 v0, v7
	v_mad_u64_u32 v[4:5], null, v5, s2, v[0:1]
	v_mov_b32_e32 v7, v4
	v_lshlrev_b64 v[4:5], 1, v[6:7]
	v_add_co_u32 v0, vcc_lo, s0, v4
	v_add_co_ci_u32_e64 v4, null, s1, v5, vcc_lo
	v_add_co_u32 v2, vcc_lo, v0, v2
	v_add_co_ci_u32_e64 v3, null, v4, v3, vcc_lo
	flat_store_short v[2:3], v1
.LBB205_9:
	s_endpgm
	.section	.rodata,"a",@progbits
	.p2align	6, 0x0
	.amdhsa_kernel _ZN12_GLOBAL__N_120geam_ex_scale_kernelILi32ELi32EDF16_PKDF16_PKS2_PKPDF16_EEviiT2_T3_lilT4_lil
		.amdhsa_group_segment_fixed_size 0
		.amdhsa_private_segment_fixed_size 0
		.amdhsa_kernarg_size 80
		.amdhsa_user_sgpr_count 6
		.amdhsa_user_sgpr_private_segment_buffer 1
		.amdhsa_user_sgpr_dispatch_ptr 0
		.amdhsa_user_sgpr_queue_ptr 0
		.amdhsa_user_sgpr_kernarg_segment_ptr 1
		.amdhsa_user_sgpr_dispatch_id 0
		.amdhsa_user_sgpr_flat_scratch_init 0
		.amdhsa_user_sgpr_private_segment_size 0
		.amdhsa_wavefront_size32 1
		.amdhsa_uses_dynamic_stack 0
		.amdhsa_system_sgpr_private_segment_wavefront_offset 0
		.amdhsa_system_sgpr_workgroup_id_x 1
		.amdhsa_system_sgpr_workgroup_id_y 0
		.amdhsa_system_sgpr_workgroup_id_z 1
		.amdhsa_system_sgpr_workgroup_info 0
		.amdhsa_system_vgpr_workitem_id 1
		.amdhsa_next_free_vgpr 9
		.amdhsa_next_free_sgpr 15
		.amdhsa_reserve_vcc 1
		.amdhsa_reserve_flat_scratch 0
		.amdhsa_float_round_mode_32 0
		.amdhsa_float_round_mode_16_64 0
		.amdhsa_float_denorm_mode_32 3
		.amdhsa_float_denorm_mode_16_64 3
		.amdhsa_dx10_clamp 1
		.amdhsa_ieee_mode 1
		.amdhsa_fp16_overflow 0
		.amdhsa_workgroup_processor_mode 1
		.amdhsa_memory_ordered 1
		.amdhsa_forward_progress 1
		.amdhsa_shared_vgpr_count 0
		.amdhsa_exception_fp_ieee_invalid_op 0
		.amdhsa_exception_fp_denorm_src 0
		.amdhsa_exception_fp_ieee_div_zero 0
		.amdhsa_exception_fp_ieee_overflow 0
		.amdhsa_exception_fp_ieee_underflow 0
		.amdhsa_exception_fp_ieee_inexact 0
		.amdhsa_exception_int_div_zero 0
	.end_amdhsa_kernel
	.section	.text._ZN12_GLOBAL__N_120geam_ex_scale_kernelILi32ELi32EDF16_PKDF16_PKS2_PKPDF16_EEviiT2_T3_lilT4_lil,"axG",@progbits,_ZN12_GLOBAL__N_120geam_ex_scale_kernelILi32ELi32EDF16_PKDF16_PKS2_PKPDF16_EEviiT2_T3_lilT4_lil,comdat
.Lfunc_end205:
	.size	_ZN12_GLOBAL__N_120geam_ex_scale_kernelILi32ELi32EDF16_PKDF16_PKS2_PKPDF16_EEviiT2_T3_lilT4_lil, .Lfunc_end205-_ZN12_GLOBAL__N_120geam_ex_scale_kernelILi32ELi32EDF16_PKDF16_PKS2_PKPDF16_EEviiT2_T3_lilT4_lil
                                        ; -- End function
	.set _ZN12_GLOBAL__N_120geam_ex_scale_kernelILi32ELi32EDF16_PKDF16_PKS2_PKPDF16_EEviiT2_T3_lilT4_lil.num_vgpr, 9
	.set _ZN12_GLOBAL__N_120geam_ex_scale_kernelILi32ELi32EDF16_PKDF16_PKS2_PKPDF16_EEviiT2_T3_lilT4_lil.num_agpr, 0
	.set _ZN12_GLOBAL__N_120geam_ex_scale_kernelILi32ELi32EDF16_PKDF16_PKS2_PKPDF16_EEviiT2_T3_lilT4_lil.numbered_sgpr, 15
	.set _ZN12_GLOBAL__N_120geam_ex_scale_kernelILi32ELi32EDF16_PKDF16_PKS2_PKPDF16_EEviiT2_T3_lilT4_lil.num_named_barrier, 0
	.set _ZN12_GLOBAL__N_120geam_ex_scale_kernelILi32ELi32EDF16_PKDF16_PKS2_PKPDF16_EEviiT2_T3_lilT4_lil.private_seg_size, 0
	.set _ZN12_GLOBAL__N_120geam_ex_scale_kernelILi32ELi32EDF16_PKDF16_PKS2_PKPDF16_EEviiT2_T3_lilT4_lil.uses_vcc, 1
	.set _ZN12_GLOBAL__N_120geam_ex_scale_kernelILi32ELi32EDF16_PKDF16_PKS2_PKPDF16_EEviiT2_T3_lilT4_lil.uses_flat_scratch, 0
	.set _ZN12_GLOBAL__N_120geam_ex_scale_kernelILi32ELi32EDF16_PKDF16_PKS2_PKPDF16_EEviiT2_T3_lilT4_lil.has_dyn_sized_stack, 0
	.set _ZN12_GLOBAL__N_120geam_ex_scale_kernelILi32ELi32EDF16_PKDF16_PKS2_PKPDF16_EEviiT2_T3_lilT4_lil.has_recursion, 0
	.set _ZN12_GLOBAL__N_120geam_ex_scale_kernelILi32ELi32EDF16_PKDF16_PKS2_PKPDF16_EEviiT2_T3_lilT4_lil.has_indirect_call, 0
	.section	.AMDGPU.csdata,"",@progbits
; Kernel info:
; codeLenInByte = 556
; TotalNumSgprs: 17
; NumVgprs: 9
; ScratchSize: 0
; MemoryBound: 0
; FloatMode: 240
; IeeeMode: 1
; LDSByteSize: 0 bytes/workgroup (compile time only)
; SGPRBlocks: 0
; VGPRBlocks: 1
; NumSGPRsForWavesPerEU: 17
; NumVGPRsForWavesPerEU: 9
; Occupancy: 16
; WaveLimiterHint : 1
; COMPUTE_PGM_RSRC2:SCRATCH_EN: 0
; COMPUTE_PGM_RSRC2:USER_SGPR: 6
; COMPUTE_PGM_RSRC2:TRAP_HANDLER: 0
; COMPUTE_PGM_RSRC2:TGID_X_EN: 1
; COMPUTE_PGM_RSRC2:TGID_Y_EN: 0
; COMPUTE_PGM_RSRC2:TGID_Z_EN: 1
; COMPUTE_PGM_RSRC2:TIDIG_COMP_CNT: 1
	.section	.text._ZN12_GLOBAL__N_120geam_ex_round_kernelILi32ELi32EDF16_DF16_PKPKDF16_PKPDF16_EEviiT2_T3_lilT4_lil,"axG",@progbits,_ZN12_GLOBAL__N_120geam_ex_round_kernelILi32ELi32EDF16_DF16_PKPKDF16_PKPDF16_EEviiT2_T3_lilT4_lil,comdat
	.globl	_ZN12_GLOBAL__N_120geam_ex_round_kernelILi32ELi32EDF16_DF16_PKPKDF16_PKPDF16_EEviiT2_T3_lilT4_lil ; -- Begin function _ZN12_GLOBAL__N_120geam_ex_round_kernelILi32ELi32EDF16_DF16_PKPKDF16_PKPDF16_EEviiT2_T3_lilT4_lil
	.p2align	8
	.type	_ZN12_GLOBAL__N_120geam_ex_round_kernelILi32ELi32EDF16_DF16_PKPKDF16_PKPDF16_EEviiT2_T3_lilT4_lil,@function
_ZN12_GLOBAL__N_120geam_ex_round_kernelILi32ELi32EDF16_DF16_PKPKDF16_PKPDF16_EEviiT2_T3_lilT4_lil: ; @_ZN12_GLOBAL__N_120geam_ex_round_kernelILi32ELi32EDF16_DF16_PKPKDF16_PKPDF16_EEviiT2_T3_lilT4_lil
; %bb.0:
	s_load_dwordx4 s[0:3], s[4:5], 0x0
	s_mov_b32 s14, s7
	s_mov_b32 s15, 0
	s_waitcnt lgkmcnt(0)
	v_cmp_eq_f16_e64 s3, s2, 0
	s_and_b32 vcc_lo, exec_lo, s3
	s_cbranch_vccnz .LBB206_2
; %bb.1:
	s_load_dwordx4 s[8:11], s[4:5], 0x10
	s_lshl_b64 s[12:13], s[14:15], 3
	s_waitcnt lgkmcnt(0)
	s_add_u32 s8, s8, s12
	s_addc_u32 s9, s9, s13
	s_lshl_b64 s[10:11], s[10:11], 1
	s_load_dwordx2 s[8:9], s[8:9], 0x0
	s_waitcnt lgkmcnt(0)
	s_add_u32 s12, s8, s10
	s_addc_u32 s13, s9, s11
	s_branch .LBB206_3
.LBB206_2:
	s_mov_b64 s[12:13], 0
.LBB206_3:
	s_add_i32 s7, s0, -1
	s_ashr_i32 s8, s7, 31
	s_lshr_b32 s8, s8, 27
	s_add_i32 s7, s7, s8
	s_ashr_i32 s7, s7, 5
	s_add_i32 s8, s7, 1
	s_not_b32 s7, s7
	v_cvt_f32_u32_e32 v2, s8
	v_rcp_iflag_f32_e32 v2, v2
	v_mul_f32_e32 v2, 0x4f7ffffe, v2
	v_cvt_u32_f32_e32 v2, v2
	v_readfirstlane_b32 s9, v2
	s_mul_i32 s7, s7, s9
	s_mul_hi_u32 s7, s9, s7
	s_add_i32 s9, s9, s7
	s_mul_hi_u32 s7, s6, s9
	s_mul_i32 s9, s7, s8
	s_add_i32 s10, s7, 1
	s_sub_i32 s9, s6, s9
	s_sub_i32 s11, s9, s8
	s_cmp_ge_u32 s9, s8
	s_cselect_b32 s7, s10, s7
	s_cselect_b32 s9, s11, s9
	s_add_i32 s10, s7, 1
	s_cmp_ge_u32 s9, s8
	s_cselect_b32 s7, s10, s7
	s_mul_i32 s8, s7, s8
	v_lshl_add_u32 v4, s7, 5, v1
	s_sub_i32 s6, s6, s8
	v_lshl_add_u32 v0, s6, 5, v0
	s_mov_b32 s6, -1
	v_cmp_gt_u32_e32 vcc_lo, s0, v0
	v_cmp_gt_u32_e64 s0, s1, v4
	s_and_b32 s0, vcc_lo, s0
	s_and_saveexec_b32 s1, s0
	s_cbranch_execz .LBB206_9
; %bb.4:
	s_load_dwordx4 s[8:11], s[4:5], 0x30
	s_lshl_b64 s[0:1], s[14:15], 3
	v_mov_b32_e32 v1, 0
	v_mov_b32_e32 v3, v1
	;; [unrolled: 1-line block ×3, first 2 shown]
	s_waitcnt lgkmcnt(0)
	s_add_u32 s0, s8, s0
	s_addc_u32 s1, s9, s1
	s_andn2_b32 vcc_lo, exec_lo, s3
	s_load_dwordx2 s[0:1], s[0:1], 0x0
	s_cbranch_vccnz .LBB206_6
; %bb.5:
	v_mov_b32_e32 v3, 0
	v_mov_b32_e32 v2, v0
	s_mov_b32 s6, 0
.LBB206_6:
	s_andn2_b32 vcc_lo, exec_lo, s6
	s_cbranch_vccnz .LBB206_8
; %bb.7:
	s_load_dword s3, s[4:5], 0x20
	v_lshlrev_b64 v[0:1], 1, v[0:1]
	s_waitcnt lgkmcnt(0)
	v_mad_u64_u32 v[5:6], null, v4, s3, 0
	s_ashr_i32 s3, s3, 31
	v_mad_u64_u32 v[6:7], null, v4, s3, v[6:7]
	v_lshlrev_b64 v[5:6], 1, v[5:6]
	v_add_co_u32 v5, vcc_lo, s12, v5
	v_add_co_ci_u32_e64 v6, null, s13, v6, vcc_lo
	v_add_co_u32 v0, vcc_lo, v5, v0
	v_add_co_ci_u32_e64 v1, null, v6, v1, vcc_lo
	flat_load_ushort v0, v[0:1]
	s_waitcnt vmcnt(0) lgkmcnt(0)
	v_mul_f16_e32 v1, s2, v0
.LBB206_8:
	s_load_dword s4, s[4:5], 0x40
	s_lshl_b64 s[2:3], s[10:11], 1
	v_lshlrev_b64 v[2:3], 1, v[2:3]
	s_waitcnt lgkmcnt(0)
	s_add_u32 s0, s0, s2
	s_addc_u32 s1, s1, s3
	v_mad_u64_u32 v[5:6], null, v4, s4, 0
	s_ashr_i32 s2, s4, 31
	v_mov_b32_e32 v0, v6
	v_mad_u64_u32 v[6:7], null, v4, s2, v[0:1]
	v_lshlrev_b64 v[4:5], 1, v[5:6]
	v_add_co_u32 v0, vcc_lo, s0, v4
	v_add_co_ci_u32_e64 v4, null, s1, v5, vcc_lo
	v_add_co_u32 v2, vcc_lo, v0, v2
	v_add_co_ci_u32_e64 v3, null, v4, v3, vcc_lo
	v_cmp_nlt_f16_e32 vcc_lo, 0, v1
	v_cndmask_b32_e32 v0, 0, v1, vcc_lo
	flat_store_short v[2:3], v0
.LBB206_9:
	s_endpgm
	.section	.rodata,"a",@progbits
	.p2align	6, 0x0
	.amdhsa_kernel _ZN12_GLOBAL__N_120geam_ex_round_kernelILi32ELi32EDF16_DF16_PKPKDF16_PKPDF16_EEviiT2_T3_lilT4_lil
		.amdhsa_group_segment_fixed_size 0
		.amdhsa_private_segment_fixed_size 0
		.amdhsa_kernarg_size 80
		.amdhsa_user_sgpr_count 6
		.amdhsa_user_sgpr_private_segment_buffer 1
		.amdhsa_user_sgpr_dispatch_ptr 0
		.amdhsa_user_sgpr_queue_ptr 0
		.amdhsa_user_sgpr_kernarg_segment_ptr 1
		.amdhsa_user_sgpr_dispatch_id 0
		.amdhsa_user_sgpr_flat_scratch_init 0
		.amdhsa_user_sgpr_private_segment_size 0
		.amdhsa_wavefront_size32 1
		.amdhsa_uses_dynamic_stack 0
		.amdhsa_system_sgpr_private_segment_wavefront_offset 0
		.amdhsa_system_sgpr_workgroup_id_x 1
		.amdhsa_system_sgpr_workgroup_id_y 0
		.amdhsa_system_sgpr_workgroup_id_z 1
		.amdhsa_system_sgpr_workgroup_info 0
		.amdhsa_system_vgpr_workitem_id 1
		.amdhsa_next_free_vgpr 8
		.amdhsa_next_free_sgpr 16
		.amdhsa_reserve_vcc 1
		.amdhsa_reserve_flat_scratch 0
		.amdhsa_float_round_mode_32 0
		.amdhsa_float_round_mode_16_64 0
		.amdhsa_float_denorm_mode_32 3
		.amdhsa_float_denorm_mode_16_64 3
		.amdhsa_dx10_clamp 1
		.amdhsa_ieee_mode 1
		.amdhsa_fp16_overflow 0
		.amdhsa_workgroup_processor_mode 1
		.amdhsa_memory_ordered 1
		.amdhsa_forward_progress 1
		.amdhsa_shared_vgpr_count 0
		.amdhsa_exception_fp_ieee_invalid_op 0
		.amdhsa_exception_fp_denorm_src 0
		.amdhsa_exception_fp_ieee_div_zero 0
		.amdhsa_exception_fp_ieee_overflow 0
		.amdhsa_exception_fp_ieee_underflow 0
		.amdhsa_exception_fp_ieee_inexact 0
		.amdhsa_exception_int_div_zero 0
	.end_amdhsa_kernel
	.section	.text._ZN12_GLOBAL__N_120geam_ex_round_kernelILi32ELi32EDF16_DF16_PKPKDF16_PKPDF16_EEviiT2_T3_lilT4_lil,"axG",@progbits,_ZN12_GLOBAL__N_120geam_ex_round_kernelILi32ELi32EDF16_DF16_PKPKDF16_PKPDF16_EEviiT2_T3_lilT4_lil,comdat
.Lfunc_end206:
	.size	_ZN12_GLOBAL__N_120geam_ex_round_kernelILi32ELi32EDF16_DF16_PKPKDF16_PKPDF16_EEviiT2_T3_lilT4_lil, .Lfunc_end206-_ZN12_GLOBAL__N_120geam_ex_round_kernelILi32ELi32EDF16_DF16_PKPKDF16_PKPDF16_EEviiT2_T3_lilT4_lil
                                        ; -- End function
	.set _ZN12_GLOBAL__N_120geam_ex_round_kernelILi32ELi32EDF16_DF16_PKPKDF16_PKPDF16_EEviiT2_T3_lilT4_lil.num_vgpr, 8
	.set _ZN12_GLOBAL__N_120geam_ex_round_kernelILi32ELi32EDF16_DF16_PKPKDF16_PKPDF16_EEviiT2_T3_lilT4_lil.num_agpr, 0
	.set _ZN12_GLOBAL__N_120geam_ex_round_kernelILi32ELi32EDF16_DF16_PKPKDF16_PKPDF16_EEviiT2_T3_lilT4_lil.numbered_sgpr, 16
	.set _ZN12_GLOBAL__N_120geam_ex_round_kernelILi32ELi32EDF16_DF16_PKPKDF16_PKPDF16_EEviiT2_T3_lilT4_lil.num_named_barrier, 0
	.set _ZN12_GLOBAL__N_120geam_ex_round_kernelILi32ELi32EDF16_DF16_PKPKDF16_PKPDF16_EEviiT2_T3_lilT4_lil.private_seg_size, 0
	.set _ZN12_GLOBAL__N_120geam_ex_round_kernelILi32ELi32EDF16_DF16_PKPKDF16_PKPDF16_EEviiT2_T3_lilT4_lil.uses_vcc, 1
	.set _ZN12_GLOBAL__N_120geam_ex_round_kernelILi32ELi32EDF16_DF16_PKPKDF16_PKPDF16_EEviiT2_T3_lilT4_lil.uses_flat_scratch, 0
	.set _ZN12_GLOBAL__N_120geam_ex_round_kernelILi32ELi32EDF16_DF16_PKPKDF16_PKPDF16_EEviiT2_T3_lilT4_lil.has_dyn_sized_stack, 0
	.set _ZN12_GLOBAL__N_120geam_ex_round_kernelILi32ELi32EDF16_DF16_PKPKDF16_PKPDF16_EEviiT2_T3_lilT4_lil.has_recursion, 0
	.set _ZN12_GLOBAL__N_120geam_ex_round_kernelILi32ELi32EDF16_DF16_PKPKDF16_PKPDF16_EEviiT2_T3_lilT4_lil.has_indirect_call, 0
	.section	.AMDGPU.csdata,"",@progbits
; Kernel info:
; codeLenInByte = 536
; TotalNumSgprs: 18
; NumVgprs: 8
; ScratchSize: 0
; MemoryBound: 0
; FloatMode: 240
; IeeeMode: 1
; LDSByteSize: 0 bytes/workgroup (compile time only)
; SGPRBlocks: 0
; VGPRBlocks: 0
; NumSGPRsForWavesPerEU: 18
; NumVGPRsForWavesPerEU: 8
; Occupancy: 16
; WaveLimiterHint : 1
; COMPUTE_PGM_RSRC2:SCRATCH_EN: 0
; COMPUTE_PGM_RSRC2:USER_SGPR: 6
; COMPUTE_PGM_RSRC2:TRAP_HANDLER: 0
; COMPUTE_PGM_RSRC2:TGID_X_EN: 1
; COMPUTE_PGM_RSRC2:TGID_Y_EN: 0
; COMPUTE_PGM_RSRC2:TGID_Z_EN: 1
; COMPUTE_PGM_RSRC2:TIDIG_COMP_CNT: 1
	.section	.text._ZN12_GLOBAL__N_120geam_min_plus_kernelIDF16_Dv2_DF16_S1_Li32ELi8ELi256ELi64ELi4ELi64ELi4ELi4ELi64ELc78ELc78ELb0ELb0ELb1EPKDF16_KS3_KPDF16_EEviiiT16_PT17_ilS9_ilS7_S9_ilPT18_ili26rocblas_geam_ex_operation_,"axG",@progbits,_ZN12_GLOBAL__N_120geam_min_plus_kernelIDF16_Dv2_DF16_S1_Li32ELi8ELi256ELi64ELi4ELi64ELi4ELi4ELi64ELc78ELc78ELb0ELb0ELb1EPKDF16_KS3_KPDF16_EEviiiT16_PT17_ilS9_ilS7_S9_ilPT18_ili26rocblas_geam_ex_operation_,comdat
	.globl	_ZN12_GLOBAL__N_120geam_min_plus_kernelIDF16_Dv2_DF16_S1_Li32ELi8ELi256ELi64ELi4ELi64ELi4ELi4ELi64ELc78ELc78ELb0ELb0ELb1EPKDF16_KS3_KPDF16_EEviiiT16_PT17_ilS9_ilS7_S9_ilPT18_ili26rocblas_geam_ex_operation_ ; -- Begin function _ZN12_GLOBAL__N_120geam_min_plus_kernelIDF16_Dv2_DF16_S1_Li32ELi8ELi256ELi64ELi4ELi64ELi4ELi4ELi64ELc78ELc78ELb0ELb0ELb1EPKDF16_KS3_KPDF16_EEviiiT16_PT17_ilS9_ilS7_S9_ilPT18_ili26rocblas_geam_ex_operation_
	.p2align	8
	.type	_ZN12_GLOBAL__N_120geam_min_plus_kernelIDF16_Dv2_DF16_S1_Li32ELi8ELi256ELi64ELi4ELi64ELi4ELi4ELi64ELc78ELc78ELb0ELb0ELb1EPKDF16_KS3_KPDF16_EEviiiT16_PT17_ilS9_ilS7_S9_ilPT18_ili26rocblas_geam_ex_operation_,@function
_ZN12_GLOBAL__N_120geam_min_plus_kernelIDF16_Dv2_DF16_S1_Li32ELi8ELi256ELi64ELi4ELi64ELi4ELi4ELi64ELc78ELc78ELb0ELb0ELb1EPKDF16_KS3_KPDF16_EEviiiT16_PT17_ilS9_ilS7_S9_ilPT18_ili26rocblas_geam_ex_operation_: ; @_ZN12_GLOBAL__N_120geam_min_plus_kernelIDF16_Dv2_DF16_S1_Li32ELi8ELi256ELi64ELi4ELi64ELi4ELi4ELi64ELc78ELc78ELb0ELb0ELb1EPKDF16_KS3_KPDF16_EEviiiT16_PT17_ilS9_ilS7_S9_ilPT18_ili26rocblas_geam_ex_operation_
; %bb.0:
	s_clause 0x1
	s_load_dwordx4 s[0:3], s[4:5], 0x10
	s_load_dwordx4 s[8:11], s[4:5], 0x28
	s_mov_b32 s18, s7
	s_mov_b32 s19, 0
	v_mov_b32_e32 v2, 0
	s_lshl_b64 s[16:17], s[18:19], 1
	s_waitcnt lgkmcnt(0)
	s_add_u32 s0, s0, s16
	s_addc_u32 s1, s1, s17
	global_load_ushort v47, v2, s[0:1]
	s_clause 0x1
	s_load_dwordx4 s[12:15], s[4:5], 0x40
	s_load_dwordx2 s[20:21], s[4:5], 0x50
	s_waitcnt lgkmcnt(0)
	s_add_u32 s22, s14, s16
	s_addc_u32 s23, s15, s17
	s_mov_b64 s[16:17], 0
	s_mov_b64 s[14:15], 0
	s_waitcnt vmcnt(0)
	v_cmp_eq_f16_e32 vcc_lo, 0, v47
	v_cmp_neq_f16_e64 s0, 0, v47
	s_and_b32 s1, exec_lo, vcc_lo
	s_mov_b32 vcc_lo, s1
	s_cbranch_vccnz .LBB207_2
; %bb.1:
	s_lshl_b64 s[14:15], s[18:19], 3
	s_add_u32 s2, s2, s14
	s_addc_u32 s3, s3, s15
	s_lshl_b64 s[8:9], s[8:9], 1
	s_load_dwordx2 s[2:3], s[2:3], 0x0
	s_waitcnt lgkmcnt(0)
	s_add_u32 s14, s2, s8
	s_addc_u32 s15, s3, s9
.LBB207_2:
	global_load_ushort v48, v2, s[22:23]
	v_cndmask_b32_e64 v2, 0, 1, s0
	s_andn2_b32 vcc_lo, exec_lo, s0
	v_cmp_ne_u32_e64 s2, 1, v2
	s_cbranch_vccnz .LBB207_4
; %bb.3:
	s_lshl_b64 s[8:9], s[18:19], 3
	s_add_u32 s8, s10, s8
	s_addc_u32 s9, s11, s9
	s_lshl_b64 s[10:11], s[12:13], 1
	s_load_dwordx2 s[8:9], s[8:9], 0x0
	s_waitcnt lgkmcnt(0)
	s_add_u32 s16, s8, s10
	s_addc_u32 s17, s9, s11
.LBB207_4:
	s_load_dwordx4 s[8:11], s[4:5], 0x60
	s_waitcnt vmcnt(0)
	v_cmp_eq_f16_e32 vcc_lo, 0, v48
	s_and_b32 s0, exec_lo, vcc_lo
	s_mov_b32 vcc_lo, s0
	s_cbranch_vccnz .LBB207_6
; %bb.5:
	s_lshl_b64 s[12:13], s[18:19], 3
	s_add_u32 s12, s20, s12
	s_addc_u32 s13, s21, s13
	s_waitcnt lgkmcnt(0)
	s_lshl_b64 s[8:9], s[8:9], 1
	s_load_dwordx2 s[12:13], s[12:13], 0x0
	s_waitcnt lgkmcnt(0)
	s_add_u32 s8, s12, s8
	s_addc_u32 s9, s13, s9
	s_branch .LBB207_7
.LBB207_6:
	s_waitcnt lgkmcnt(0)
	s_mov_b64 s[8:9], 0
.LBB207_7:
	s_clause 0x1
	s_load_dword s3, s[4:5], 0x0
	s_load_dword s12, s[4:5], 0x20
	s_lshl_b64 s[18:19], s[18:19], 3
	v_lshl_add_u32 v6, v1, 5, v0
	s_add_u32 s10, s10, s18
	s_addc_u32 s11, s11, s19
	v_lshrrev_b32_e32 v4, 6, v6
	v_and_b32_e32 v5, 63, v6
	s_waitcnt lgkmcnt(0)
	s_add_i32 s3, s3, -1
	s_ashr_i32 s7, s3, 31
	s_lshr_b32 s7, s7, 24
	s_add_i32 s3, s3, s7
	s_ashr_i32 s3, s3, 8
	s_add_i32 s7, s3, 1
	s_not_b32 s3, s3
	v_cvt_f32_u32_e32 v2, s7
	v_rcp_iflag_f32_e32 v2, v2
	v_mul_f32_e32 v2, 0x4f7ffffe, v2
	v_cvt_u32_f32_e32 v2, v2
	v_readfirstlane_b32 s13, v2
	v_mad_i64_i32 v[2:3], null, s12, v4, 0
	s_mul_i32 s3, s3, s13
	s_mul_hi_u32 s3, s13, s3
	v_lshlrev_b64 v[8:9], 1, v[2:3]
	s_add_i32 s13, s13, s3
	s_mul_hi_u32 s3, s6, s13
	s_mul_i32 s13, s3, s7
	s_add_i32 s18, s3, 1
	s_sub_i32 s13, s6, s13
	v_add_co_u32 v8, vcc_lo, s14, v8
	s_sub_i32 s19, s13, s7
	s_cmp_ge_u32 s13, s7
	v_add_co_ci_u32_e64 v9, null, s15, v9, vcc_lo
	s_cselect_b32 s3, s18, s3
	s_cselect_b32 s13, s19, s13
	s_add_i32 s18, s3, 1
	s_cmp_ge_u32 s13, s7
	s_mov_b32 s19, -1
	s_cselect_b32 s18, s18, s3
	s_and_b32 vcc_lo, exec_lo, s2
	s_mul_i32 s7, s18, s7
	s_sub_i32 s3, s6, s7
	s_lshl_b32 s3, s3, 8
	v_or_b32_e32 v2, s3, v5
	v_ashrrev_i32_e32 v3, 31, v2
	s_cbranch_vccnz .LBB207_9
; %bb.8:
	v_lshlrev_b64 v[10:11], 1, v[2:3]
	v_add_co_u32 v10, vcc_lo, v8, v10
	v_add_co_ci_u32_e64 v11, null, v9, v11, vcc_lo
	s_clause 0x1
	flat_load_ushort v7, v[10:11]
	flat_load_ushort v10, v[10:11] offset:128
	s_waitcnt vmcnt(1) lgkmcnt(1)
	v_mul_f16_e32 v11, v47, v7
	s_waitcnt vmcnt(0) lgkmcnt(0)
	v_mul_f16_e32 v7, v47, v10
	v_pack_b32_f16 v11, v11, 0
	s_branch .LBB207_10
.LBB207_9:
	v_mov_b32_e32 v11, 0
	v_mov_b32_e32 v7, 0
.LBB207_10:
	v_mov_b32_e32 v10, 0
	v_perm_b32 v37, v7, v11, 0x5040100
	s_ashr_i32 s13, s12, 31
	s_mov_b32 vcc_lo, s1
	s_cbranch_vccz .LBB207_12
; %bb.11:
	v_and_b32_e32 v38, 0xffff0000, v10
	s_mov_b32 s19, 0
.LBB207_12:
	v_mov_b32_e32 v11, 0
	v_mov_b32_e32 v7, 0
	s_andn2_b32 vcc_lo, exec_lo, s19
	s_cbranch_vccnz .LBB207_14
; %bb.13:
	v_lshlrev_b64 v[12:13], 1, v[2:3]
	v_add_co_u32 v7, vcc_lo, v8, v12
	v_add_co_ci_u32_e64 v8, null, v9, v13, vcc_lo
	s_clause 0x1
	flat_load_ushort v9, v[7:8] offset:256
	flat_load_ushort v7, v[7:8] offset:384
	s_waitcnt vmcnt(1) lgkmcnt(1)
	v_mul_f16_e32 v8, v47, v9
	s_waitcnt vmcnt(0) lgkmcnt(0)
	v_mul_f16_e32 v7, v47, v7
	v_bfi_b32 v38, 0xffff, v8, v10
.LBB207_14:
	s_load_dword s19, s[4:5], 0x38
	v_lshrrev_b32_e32 v12, 2, v6
	v_and_b32_e32 v6, 3, v0
	s_lshl_b32 s18, s18, 6
	s_and_b32 vcc_lo, exec_lo, s2
	v_add_nc_u32_e32 v8, s18, v12
	v_lshlrev_b32_e32 v6, 1, v6
	s_cbranch_vccnz .LBB207_16
; %bb.15:
	s_waitcnt lgkmcnt(0)
	v_mad_i64_i32 v[9:10], null, v8, s19, 0
	v_lshlrev_b64 v[9:10], 1, v[9:10]
	v_add_co_u32 v9, vcc_lo, s16, v9
	v_add_co_ci_u32_e64 v10, null, s17, v10, vcc_lo
	v_add_co_u32 v9, vcc_lo, v9, v6
	v_add_co_ci_u32_e64 v10, null, 0, v10, vcc_lo
	flat_load_ushort v9, v[9:10]
	s_waitcnt vmcnt(0) lgkmcnt(0)
	v_mul_f16_e32 v11, v47, v9
.LBB207_16:
	v_add_nc_u32_e32 v9, 4, v4
	v_mad_i64_i32 v[9:10], null, s12, v9, 0
	v_lshlrev_b64 v[9:10], 1, v[9:10]
	v_add_co_u32 v13, vcc_lo, s14, v9
	v_add_co_ci_u32_e64 v14, null, s15, v10, vcc_lo
	s_and_b32 vcc_lo, exec_lo, s2
	s_cbranch_vccnz .LBB207_19
; %bb.17:
	v_lshlrev_b64 v[9:10], 1, v[2:3]
	v_add_co_u32 v9, vcc_lo, v13, v9
	v_add_co_ci_u32_e64 v10, null, v14, v10, vcc_lo
	s_clause 0x1
	flat_load_ushort v15, v[9:10]
	flat_load_ushort v9, v[9:10] offset:128
	s_waitcnt vmcnt(1) lgkmcnt(0)
	v_mul_f16_e32 v10, v47, v15
	s_waitcnt vmcnt(0)
	v_mul_f16_e32 v9, v47, v9
	v_pack_b32_f16 v10, v10, 0
	v_mov_b32_e32 v15, 0
	v_perm_b32 v39, v9, v10, 0x5040100
	s_mov_b32 vcc_lo, s1
	s_cbranch_vccz .LBB207_20
.LBB207_18:
	v_and_b32_e32 v40, 0xffff0000, v15
	v_mov_b32_e32 v10, 0
	v_mov_b32_e32 v9, 0
	s_cbranch_execz .LBB207_21
	s_branch .LBB207_22
.LBB207_19:
	v_mov_b32_e32 v10, 0
	v_mov_b32_e32 v9, 0
	;; [unrolled: 1-line block ×3, first 2 shown]
	v_perm_b32 v39, v9, v10, 0x5040100
	s_mov_b32 vcc_lo, s1
	s_cbranch_vccnz .LBB207_18
.LBB207_20:
	v_mov_b32_e32 v10, 0
	v_mov_b32_e32 v9, 0
.LBB207_21:
	v_lshlrev_b64 v[2:3], 1, v[2:3]
	v_add_co_u32 v2, vcc_lo, v13, v2
	v_add_co_ci_u32_e64 v3, null, v14, v3, vcc_lo
	s_clause 0x1
	flat_load_ushort v9, v[2:3] offset:256
	flat_load_ushort v2, v[2:3] offset:384
	s_waitcnt vmcnt(1) lgkmcnt(0)
	v_mul_f16_e32 v3, v47, v9
	s_waitcnt vmcnt(0)
	v_mul_f16_e32 v9, v47, v2
	v_bfi_b32 v40, 0xffff, v3, v15
.LBB207_22:
	s_and_b32 vcc_lo, exec_lo, s2
	s_cbranch_vccnz .LBB207_24
; %bb.23:
	s_waitcnt lgkmcnt(0)
	v_mad_i64_i32 v[2:3], null, v8, s19, 0
	v_lshlrev_b64 v[2:3], 1, v[2:3]
	v_add_co_u32 v2, vcc_lo, s16, v2
	v_add_co_ci_u32_e64 v3, null, s17, v3, vcc_lo
	v_add_co_u32 v2, vcc_lo, v2, v6
	v_add_co_ci_u32_e64 v3, null, 0, v3, vcc_lo
	flat_load_ushort v2, v[2:3] offset:8
	s_waitcnt vmcnt(0) lgkmcnt(0)
	v_mul_f16_e32 v10, v47, v2
.LBB207_24:
	v_lshlrev_b32_e32 v3, 3, v5
	v_lshlrev_b32_e32 v88, 3, v1
	v_lshl_or_b32 v2, v12, 3, v6
	v_lshlrev_b32_e32 v89, 3, v0
	s_load_dwordx2 s[10:11], s[10:11], 0x0
	v_lshl_add_u32 v86, v4, 1, v3
	v_add_nc_u32_e32 v3, 0x1000, v88
	s_load_dword s20, s[4:5], 0x8
	ds_write_b16 v2, v11 offset:4096
	ds_write_b16 v86, v37
	ds_write_b16_d16_hi v86, v37 offset:512
	ds_write_b16 v86, v38 offset:1024
	ds_write_b16 v86, v7 offset:1536
	s_waitcnt lgkmcnt(0)
	s_barrier
	buffer_gl0_inv
	ds_read2_b64 v[11:14], v89 offset1:32
	ds_read2_b64 v[15:18], v3 offset1:8
	ds_read2_b64 v[19:22], v89 offset0:64 offset1:96
	ds_read2_b64 v[23:26], v89 offset0:128 offset1:160
	;; [unrolled: 1-line block ×4, first 2 shown]
	s_cmp_lt_i32 s20, 9
	s_waitcnt lgkmcnt(4)
	v_pk_add_f16 v35, v11, v15
	v_pk_add_f16 v36, v13, v15
	s_waitcnt lgkmcnt(3)
	v_pk_add_f16 v41, v19, v15
	v_pk_add_f16 v42, v21, v15
	;; [unrolled: 3-line block ×4, first 2 shown]
	v_pk_add_f16 v49, v11, v17
	v_pk_add_f16 v50, v13, v17
	;; [unrolled: 1-line block ×24, first 2 shown]
	s_waitcnt lgkmcnt(0)
	v_pk_add_f16 v73, v11, v31
	v_pk_add_f16 v74, v13, v31
	;; [unrolled: 1-line block ×13, first 2 shown]
	ds_read2_b64 v[15:18], v3 offset0:32 offset1:40
	v_pk_add_f16 v87, v25, v33
	v_pk_add_f16 v113, v27, v33
	;; [unrolled: 1-line block ×19, first 2 shown]
	ds_read2_b64 v[31:34], v3 offset0:48 offset1:56
	s_waitcnt lgkmcnt(1)
	v_pk_add_f16 v129, v11, v15
	v_pk_add_f16 v130, v13, v15
	;; [unrolled: 1-line block ×32, first 2 shown]
	s_waitcnt lgkmcnt(0)
	v_pk_add_f16 v156, v11, v31
	v_pk_add_f16 v157, v13, v31
	;; [unrolled: 1-line block ×31, first 2 shown]
	v_pk_min_f16 v35, 0x7c00, v35 op_sel_hi:[0,1]
	v_pk_add_f16 v30, v30, v34
	v_pk_min_f16 v34, 0x7c00, v36 op_sel_hi:[0,1]
	v_pk_min_f16 v36, 0x7c00, v41 op_sel_hi:[0,1]
	;; [unrolled: 1-line block ×3, first 2 shown]
	v_pk_min_f16 v123, v35, v57
	v_pk_min_f16 v35, 0x7c00, v43 op_sel_hi:[0,1]
	v_pk_min_f16 v120, v34, v58
	v_pk_min_f16 v34, 0x7c00, v44 op_sel_hi:[0,1]
	;; [unrolled: 2-line block ×17, first 2 shown]
	v_pk_min_f16 v15, 0x7c00, v15 op_sel_hi:[0,1]
	v_pk_min_f16 v102, v41, v70
	v_pk_min_f16 v95, v35, v94
	v_pk_min_f16 v35, 0x7c00, v81 op_sel_hi:[0,1]
	v_pk_min_f16 v94, v34, v116
	v_pk_min_f16 v34, 0x7c00, v82 op_sel_hi:[0,1]
	v_pk_min_f16 v41, 0x7c00, v75 op_sel_hi:[0,1]
	v_pk_min_f16 v98, v36, v91
	v_pk_min_f16 v91, v35, v119
	v_pk_min_f16 v35, 0x7c00, v83 op_sel_hi:[0,1]
	v_pk_min_f16 v90, v34, v121
	v_pk_min_f16 v34, 0x7c00, v87 op_sel_hi:[0,1]
	;; [unrolled: 2-line block ×3, first 2 shown]
	v_pk_min_f16 v3, 0x7c00, v3 op_sel_hi:[0,1]
	v_pk_min_f16 v97, v41, v92
	v_pk_min_f16 v36, 0x7c00, v79 op_sel_hi:[0,1]
	v_pk_min_f16 v41, 0x7c00, v80 op_sel_hi:[0,1]
	v_pk_min_f16 v87, v35, v122
	v_pk_min_f16 v35, 0x7c00, v113 op_sel_hi:[0,1]
	v_pk_min_f16 v83, v34, v126
	;; [unrolled: 2-line block ×5, first 2 shown]
	v_pk_min_f16 v92, v41, v118
	v_pk_min_f16 v36, 0x7c00, v84 op_sel_hi:[0,1]
	v_pk_min_f16 v41, 0x7c00, v85 op_sel_hi:[0,1]
	v_pk_min_f16 v82, v35, v127
	v_pk_min_f16 v35, 0x7c00, v131 op_sel_hi:[0,1]
	v_pk_min_f16 v81, v34, v128
	v_pk_min_f16 v34, 0x7c00, v132 op_sel_hi:[0,1]
	v_pk_min_f16 v16, 0x7c00, v138 op_sel_hi:[0,1]
	v_pk_min_f16 v66, v15, v155
	v_pk_min_f16 v15, 0x7c00, v160 op_sel_hi:[0,1]
	v_pk_min_f16 v63, v3, v159
	;; [unrolled: 2-line block ×3, first 2 shown]
	v_pk_min_f16 v84, v41, v125
	v_pk_min_f16 v36, 0x7c00, v129 op_sel_hi:[0,1]
	v_pk_min_f16 v41, 0x7c00, v130 op_sel_hi:[0,1]
	v_pk_min_f16 v78, v35, v144
	v_pk_min_f16 v35, 0x7c00, v133 op_sel_hi:[0,1]
	v_pk_min_f16 v77, v34, v145
	;; [unrolled: 2-line block ×3, first 2 shown]
	v_pk_min_f16 v16, 0x7c00, v17 op_sel_hi:[0,1]
	v_pk_min_f16 v17, 0x7c00, v156 op_sel_hi:[0,1]
	v_pk_min_f16 v62, v15, v162
	v_pk_min_f16 v15, 0x7c00, v168 op_sel_hi:[0,1]
	v_pk_min_f16 v61, v3, v163
	v_pk_min_f16 v3, 0x7c00, v31 op_sel_hi:[0,1]
	v_pk_min_f16 v11, 0x7c00, v11 op_sel_hi:[0,1]
	;; [unrolled: 1-line block ×3, first 2 shown]
	v_pk_min_f16 v80, v36, v142
	v_pk_min_f16 v79, v41, v143
	v_pk_min_f16 v36, 0x7c00, v134 op_sel_hi:[0,1]
	v_pk_min_f16 v41, 0x7c00, v135 op_sel_hi:[0,1]
	v_pk_min_f16 v76, v35, v146
	v_pk_min_f16 v35, 0x7c00, v139 op_sel_hi:[0,1]
	v_pk_min_f16 v72, v34, v149
	;; [unrolled: 2-line block ×3, first 2 shown]
	v_pk_min_f16 v64, v17, v158
	v_pk_min_f16 v16, 0x7c00, v164 op_sel_hi:[0,1]
	v_pk_min_f16 v17, 0x7c00, v165 op_sel_hi:[0,1]
	v_pk_min_f16 v58, v15, v33
	v_pk_min_f16 v15, 0x7c00, v19 op_sel_hi:[0,1]
	v_pk_min_f16 v57, v3, v32
	v_pk_min_f16 v56, v11, v12
	;; [unrolled: 1-line block ×3, first 2 shown]
	v_pk_min_f16 v3, 0x7c00, v21 op_sel_hi:[0,1]
	v_pk_min_f16 v11, 0x7c00, v23 op_sel_hi:[0,1]
	;; [unrolled: 1-line block ×5, first 2 shown]
	v_pk_min_f16 v75, v36, v147
	v_pk_min_f16 v74, v41, v148
	;; [unrolled: 1-line block ×12, first 2 shown]
	ds_write_b16 v2, v10 offset:4608
	ds_write_b16 v86, v39 offset:2048
	ds_write_b16_d16_hi v86, v39 offset:2560
	ds_write_b16 v86, v40 offset:3072
	ds_write_b16 v86, v9 offset:3584
	s_waitcnt lgkmcnt(0)
	s_barrier
	buffer_gl0_inv
	s_cbranch_scc1 .LBB207_47
; %bb.25:
	v_mad_i64_i32 v[10:11], null, s19, v8, 0
	v_lshl_or_b32 v5, s6, 8, v5
	v_add_nc_u32_e32 v113, 0x1000, v2
	v_add_nc_u32_e32 v117, 0x1200, v2
	s_lshl_b32 s6, s7, 8
	v_perm_b32 v40, v9, v40, 0x5040100
	v_subrev_nc_u32_e32 v5, s6, v5
	v_lshlrev_b64 v[2:3], 1, v[10:11]
	v_perm_b32 v38, v7, v38, 0x5040100
	v_add_nc_u32_e32 v7, 12, v4
	v_add_nc_u32_e32 v4, 8, v4
	v_or_b32_e32 v115, 0x1000, v88
	v_or_b32_e32 v116, 0x800, v86
	v_add_co_u32 v9, vcc_lo, v2, v6
	v_ashrrev_i32_e32 v6, 31, v5
	v_add_co_ci_u32_e64 v10, null, 0, v3, vcc_lo
	v_mad_i64_i32 v[2:3], null, v7, s12, 0
	v_mad_i64_i32 v[7:8], null, v4, s12, 0
	v_add_co_u32 v9, vcc_lo, s16, v9
	v_lshlrev_b64 v[4:5], 1, v[5:6]
	v_add_co_ci_u32_e64 v10, null, s17, v10, vcc_lo
	v_add_co_u32 v41, vcc_lo, v9, 16
	v_lshlrev_b64 v[43:44], 1, v[2:3]
	v_add_co_ci_u32_e64 v42, null, 0, v10, vcc_lo
	v_add_co_u32 v121, vcc_lo, s14, v4
	v_lshlrev_b64 v[45:46], 1, v[7:8]
	v_lshl_or_b32 v118, v0, 3, 0x800
	v_lshl_add_u32 v119, v1, 3, 0x1200
	v_add_co_ci_u32_e64 v122, null, s15, v5, vcc_lo
	s_add_i32 s14, s20, -8
	s_lshl_b64 s[6:7], s[12:13], 4
	s_mov_b32 s12, 0
	s_mov_b32 s13, -1
	s_mov_b32 vcc_lo, s1
                                        ; implicit-def: $vgpr2_vgpr3
	s_cbranch_vccz .LBB207_41
.LBB207_26:
	v_and_b32_e32 v2, 0xffff0000, v37
	v_mov_b32_e32 v3, v38
	v_mov_b32_e32 v4, 0
	s_cbranch_execz .LBB207_42
.LBB207_27:
	v_perm_b32 v37, v4, v2, 0x5040100
	s_mov_b32 s13, -1
	s_mov_b32 vcc_lo, s1
	s_cbranch_vccz .LBB207_43
.LBB207_28:
	v_and_b32_e32 v38, 0xffff0000, v3
	v_mov_b32_e32 v14, 0
	v_mov_b32_e32 v128, 0
	s_cbranch_execz .LBB207_44
.LBB207_29:
	s_and_b32 vcc_lo, exec_lo, s2
	s_cbranch_vccnz .LBB207_31
.LBB207_30:
	flat_load_ushort v2, v[41:42]
	s_waitcnt vmcnt(0) lgkmcnt(0)
	v_mul_f16_e32 v14, v47, v2
.LBB207_31:
	ds_read2_b64 v[10:13], v118 offset1:32
	ds_read2_b64 v[6:9], v118 offset0:64 offset1:96
	ds_read2_b64 v[2:5], v118 offset0:128 offset1:160
	;; [unrolled: 1-line block ×3, first 2 shown]
	ds_read2_b64 v[33:36], v119 offset1:8
	ds_read2_b64 v[29:32], v119 offset0:16 offset1:24
	ds_read2_b64 v[25:28], v119 offset0:32 offset1:40
	ds_read2_b64 v[21:24], v119 offset0:48 offset1:56
	s_mov_b32 s13, -1
	s_mov_b32 vcc_lo, s1
	ds_write_b16 v86, v37
	ds_write_b16_d16_hi v86, v37 offset:512
	ds_write_b16 v86, v38 offset:1024
	ds_write_b16 v86, v128 offset:1536
	ds_write_b16 v113, v14
	s_waitcnt lgkmcnt(0)
	s_barrier
	buffer_gl0_inv
                                        ; implicit-def: $vgpr14_vgpr15
	s_cbranch_vccz .LBB207_33
; %bb.32:
	v_and_b32_e32 v14, 0xffff0000, v39
	v_mov_b32_e32 v15, v40
	v_mov_b32_e32 v16, 0
	s_cbranch_execnz .LBB207_35
	s_branch .LBB207_34
.LBB207_33:
	v_mov_b32_e32 v16, 0
	s_andn2_b32 vcc_lo, exec_lo, s13
	s_cbranch_vccnz .LBB207_35
.LBB207_34:
	v_add_co_u32 v14, vcc_lo, v121, v43
	v_add_co_ci_u32_e64 v15, null, v122, v44, vcc_lo
	s_clause 0x1
	flat_load_ushort v16, v[14:15]
	flat_load_ushort v14, v[14:15] offset:128
	s_waitcnt vmcnt(1) lgkmcnt(1)
	v_mul_f16_e32 v15, v47, v16
	s_waitcnt vmcnt(0) lgkmcnt(0)
	v_mul_f16_e32 v16, v47, v14
	v_bfi_b32 v39, 0xffff, v15, v39
	v_mov_b32_e32 v14, v39
	v_mov_b32_e32 v15, v40
.LBB207_35:
	v_perm_b32 v124, v16, v14, 0x5040100
	s_mov_b32 s13, -1
	s_mov_b32 vcc_lo, s1
                                        ; implicit-def: $vgpr125
	s_cbranch_vccz .LBB207_45
; %bb.36:
	v_and_b32_e32 v125, 0xffff0000, v15
	v_mov_b32_e32 v126, 0
	v_mov_b32_e32 v127, 0
	s_cbranch_execz .LBB207_46
.LBB207_37:
	s_and_b32 vcc_lo, exec_lo, s2
	s_cbranch_vccnz .LBB207_39
.LBB207_38:
	flat_load_ushort v14, v[41:42] offset:8
	s_waitcnt vmcnt(0) lgkmcnt(0)
	v_mul_f16_e32 v126, v47, v14
.LBB207_39:
	v_pk_add_f16 v14, v10, v33
	v_pk_max_f16 v15, v123, v123
	v_pk_add_f16 v16, v12, v33
	v_pk_max_f16 v39, v120, v120
	;; [unrolled: 2-line block ×3, first 2 shown]
	v_pk_min_f16 v14, v15, v14
	v_pk_max_f16 v111, v111, v111
	v_pk_min_f16 v15, v39, v16
	v_pk_add_f16 v39, v8, v33
	v_pk_min_f16 v16, v114, v40
	v_pk_max_f16 v40, v112, v112
	v_pk_add_f16 v112, v2, v33
	v_pk_add_f16 v114, v4, v33
	;; [unrolled: 1-line block ×4, first 2 shown]
	v_pk_max_f16 v108, v108, v108
	v_pk_max_f16 v110, v110, v110
	;; [unrolled: 1-line block ×3, first 2 shown]
	v_pk_min_f16 v39, v40, v39
	v_pk_min_f16 v40, v111, v112
	;; [unrolled: 1-line block ×3, first 2 shown]
	v_pk_add_f16 v108, v10, v35
	v_pk_max_f16 v107, v107, v107
	v_pk_add_f16 v111, v12, v35
	v_pk_max_f16 v106, v106, v106
	v_pk_min_f16 v110, v110, v114
	v_pk_min_f16 v109, v109, v120
	v_pk_add_f16 v112, v6, v35
	v_pk_max_f16 v105, v105, v105
	v_pk_add_f16 v114, v8, v35
	v_pk_max_f16 v104, v104, v104
	v_pk_add_f16 v120, v2, v35
	v_pk_min_f16 v107, v107, v108
	v_pk_min_f16 v106, v106, v111
	v_pk_add_f16 v108, v4, v35
	v_pk_max_f16 v102, v102, v102
	v_pk_add_f16 v111, v17, v35
	v_pk_add_f16 v35, v19, v35
	v_pk_max_f16 v100, v100, v100
	v_pk_min_f16 v105, v105, v112
	v_pk_min_f16 v104, v104, v114
	v_pk_max_f16 v101, v101, v101
	v_pk_add_f16 v112, v10, v29
	v_pk_max_f16 v99, v99, v99
	v_pk_add_f16 v114, v12, v29
	v_pk_max_f16 v98, v98, v98
	v_pk_min_f16 v102, v102, v108
	v_pk_min_f16 v35, v100, v35
	v_pk_add_f16 v100, v6, v29
	v_pk_max_f16 v97, v97, v97
	v_pk_add_f16 v108, v8, v29
	v_pk_max_f16 v96, v96, v96
	v_pk_min_f16 v101, v101, v111
	v_pk_min_f16 v99, v99, v112
	;; [unrolled: 1-line block ×3, first 2 shown]
	v_pk_add_f16 v111, v2, v29
	v_pk_max_f16 v95, v95, v95
	v_pk_add_f16 v112, v4, v29
	v_pk_max_f16 v94, v94, v94
	v_pk_add_f16 v114, v17, v29
	v_pk_min_f16 v97, v97, v100
	v_pk_min_f16 v96, v96, v108
	v_pk_add_f16 v29, v19, v29
	v_pk_max_f16 v92, v92, v92
	v_pk_add_f16 v100, v10, v31
	v_pk_max_f16 v91, v91, v91
	;; [unrolled: 2-line block ×3, first 2 shown]
	v_pk_min_f16 v95, v95, v111
	v_pk_min_f16 v94, v94, v112
	v_pk_add_f16 v111, v6, v31
	v_pk_max_f16 v87, v87, v87
	v_pk_add_f16 v112, v8, v31
	v_pk_min_f16 v29, v92, v29
	v_pk_min_f16 v91, v91, v100
	;; [unrolled: 1-line block ×3, first 2 shown]
	v_pk_add_f16 v92, v2, v31
	v_pk_max_f16 v84, v84, v84
	v_pk_add_f16 v100, v4, v31
	v_pk_max_f16 v83, v83, v83
	v_pk_add_f16 v108, v17, v31
	v_pk_add_f16 v31, v19, v31
	v_pk_max_f16 v81, v81, v81
	v_pk_min_f16 v87, v87, v111
	v_pk_max_f16 v82, v82, v82
	v_pk_add_f16 v111, v10, v25
	v_pk_max_f16 v80, v80, v80
	v_pk_min_f16 v84, v84, v92
	v_pk_min_f16 v83, v83, v100
	;; [unrolled: 1-line block ×3, first 2 shown]
	v_pk_add_f16 v81, v12, v25
	v_pk_max_f16 v79, v79, v79
	v_pk_add_f16 v92, v6, v25
	v_pk_max_f16 v78, v78, v78
	;; [unrolled: 2-line block ×3, first 2 shown]
	v_pk_min_f16 v82, v82, v108
	v_pk_min_f16 v80, v80, v111
	v_pk_add_f16 v108, v2, v25
	v_pk_max_f16 v76, v76, v76
	v_pk_add_f16 v111, v4, v25
	v_pk_min_f16 v79, v79, v81
	v_pk_min_f16 v78, v78, v92
	;; [unrolled: 1-line block ×3, first 2 shown]
	v_pk_add_f16 v81, v17, v25
	v_pk_max_f16 v74, v74, v74
	v_pk_add_f16 v25, v19, v25
	v_pk_max_f16 v73, v73, v73
	;; [unrolled: 2-line block ×4, first 2 shown]
	v_pk_min_f16 v76, v76, v108
	v_pk_add_f16 v108, v6, v27
	v_pk_min_f16 v74, v74, v81
	v_pk_min_f16 v25, v73, v25
	;; [unrolled: 1-line block ×4, first 2 shown]
	v_pk_add_f16 v73, v8, v27
	v_pk_max_f16 v69, v69, v69
	v_pk_add_f16 v81, v2, v27
	v_pk_add_f16 v92, v4, v27
	v_pk_max_f16 v67, v67, v67
	v_pk_add_f16 v100, v17, v27
	v_pk_max_f16 v66, v66, v66
	;; [unrolled: 2-line block ×3, first 2 shown]
	v_pk_min_f16 v69, v69, v73
	v_pk_min_f16 v67, v67, v92
	;; [unrolled: 1-line block ×3, first 2 shown]
	v_pk_max_f16 v64, v64, v64
	v_pk_min_f16 v27, v65, v27
	v_pk_add_f16 v65, v10, v21
	v_pk_add_f16 v73, v12, v21
	v_pk_max_f16 v63, v63, v63
	v_pk_add_f16 v92, v8, v21
	v_pk_max_f16 v61, v61, v61
	;; [unrolled: 2-line block ×3, first 2 shown]
	v_pk_max_f16 v85, v85, v85
	v_pk_max_f16 v75, v75, v75
	;; [unrolled: 1-line block ×3, first 2 shown]
	v_pk_min_f16 v64, v64, v65
	v_pk_min_f16 v63, v63, v73
	;; [unrolled: 1-line block ×4, first 2 shown]
	v_pk_add_f16 v60, v4, v21
	v_pk_add_f16 v61, v17, v21
	;; [unrolled: 1-line block ×3, first 2 shown]
	v_pk_max_f16 v53, v53, v53
	v_pk_add_f16 v2, v2, v23
	v_pk_max_f16 v52, v52, v52
	v_pk_add_f16 v4, v4, v23
	;; [unrolled: 2-line block ×3, first 2 shown]
	v_pk_max_f16 v50, v50, v50
	v_pk_max_f16 v103, v103, v103
	;; [unrolled: 1-line block ×3, first 2 shown]
	v_pk_min_f16 v85, v85, v112
	v_pk_min_f16 v75, v75, v111
	;; [unrolled: 1-line block ×7, first 2 shown]
	v_pk_add_f16 v2, v19, v23
	v_pk_max_f16 v4, v49, v49
	v_pk_add_f16 v8, v11, v34
	v_pk_add_f16 v17, v13, v34
	v_pk_min_f16 v103, v103, v120
	v_pk_min_f16 v93, v93, v114
	v_pk_min_f16 v114, v4, v2
	v_pk_min_f16 v120, v14, v8
	v_pk_min_f16 v123, v15, v17
	v_pk_add_f16 v2, v3, v34
	v_pk_add_f16 v4, v5, v34
	v_pk_add_f16 v8, v18, v34
	v_pk_add_f16 v14, v20, v34
	v_pk_add_f16 v15, v11, v36
	v_pk_min_f16 v134, v40, v2
	v_pk_min_f16 v110, v110, v4
	v_pk_min_f16 v109, v109, v8
	v_pk_min_f16 v135, v33, v14
	v_pk_min_f16 v107, v107, v15
	v_pk_add_f16 v2, v13, v36
	v_pk_add_f16 v4, v7, v36
	v_pk_add_f16 v8, v9, v36
	;; [unrolled: 10-line block ×5, first 2 shown]
	v_pk_add_f16 v14, v9, v32
	v_pk_add_f16 v15, v3, v32
	v_pk_max_f16 v68, v68, v68
	v_pk_min_f16 v91, v91, v2
	v_pk_min_f16 v90, v90, v4
	;; [unrolled: 1-line block ×5, first 2 shown]
	v_pk_add_f16 v2, v5, v32
	v_pk_add_f16 v4, v18, v32
	;; [unrolled: 1-line block ×5, first 2 shown]
	v_pk_min_f16 v68, v68, v81
	v_pk_add_f16 v81, v6, v21
	v_pk_max_f16 v62, v62, v62
	v_pk_max_f16 v59, v59, v59
	;; [unrolled: 1-line block ×3, first 2 shown]
	v_pk_min_f16 v83, v83, v2
	v_pk_min_f16 v82, v82, v4
	;; [unrolled: 1-line block ×5, first 2 shown]
	v_pk_add_f16 v2, v7, v26
	v_pk_add_f16 v4, v9, v26
	;; [unrolled: 1-line block ×5, first 2 shown]
	v_pk_min_f16 v62, v62, v81
	v_pk_add_f16 v21, v19, v21
	v_pk_max_f16 v57, v57, v57
	v_pk_add_f16 v10, v10, v23
	v_pk_max_f16 v56, v56, v56
	;; [unrolled: 2-line block ×3, first 2 shown]
	v_pk_min_f16 v81, v59, v60
	v_pk_min_f16 v92, v58, v61
	;; [unrolled: 1-line block ×7, first 2 shown]
	v_pk_add_f16 v2, v20, v26
	v_pk_add_f16 v4, v11, v28
	v_pk_add_f16 v8, v13, v28
	v_pk_add_f16 v14, v7, v28
	v_pk_add_f16 v15, v9, v28
	v_pk_min_f16 v21, v57, v21
	v_pk_min_f16 v10, v56, v10
	;; [unrolled: 1-line block ×3, first 2 shown]
	v_pk_add_f16 v6, v6, v23
	v_pk_max_f16 v54, v54, v54
	v_pk_min_f16 v59, v25, v2
	v_pk_min_f16 v57, v72, v4
	;; [unrolled: 1-line block ×5, first 2 shown]
	v_pk_add_f16 v2, v3, v28
	v_pk_add_f16 v4, v5, v28
	;; [unrolled: 1-line block ×5, first 2 shown]
	v_pk_min_f16 v6, v54, v6
	v_pk_add_f16 v19, v7, v34
	v_pk_min_f16 v54, v68, v2
	v_pk_min_f16 v52, v67, v4
	;; [unrolled: 1-line block ×5, first 2 shown]
	v_pk_add_f16 v2, v13, v22
	v_pk_add_f16 v4, v7, v22
	;; [unrolled: 1-line block ×5, first 2 shown]
	v_pk_min_f16 v132, v16, v19
	v_pk_min_f16 v49, v63, v2
	;; [unrolled: 1-line block ×6, first 2 shown]
	ds_read2_b64 v[14:17], v89 offset1:32
	ds_read2_b64 v[62:65], v115 offset1:8
	v_pk_add_f16 v23, v9, v34
	v_pk_add_f16 v8, v11, v24
	;; [unrolled: 1-line block ×5, first 2 shown]
	v_pk_min_f16 v133, v39, v23
	v_pk_min_f16 v25, v10, v8
	;; [unrolled: 1-line block ×3, first 2 shown]
	ds_read2_b64 v[10:13], v89 offset0:64 offset1:96
	v_pk_min_f16 v27, v21, v4
	v_pk_add_f16 v21, v3, v24
	v_pk_add_f16 v2, v18, v22
	v_pk_min_f16 v22, v6, v7
	v_pk_add_f16 v19, v9, v24
	ds_read2_b64 v[6:9], v89 offset0:128 offset1:160
	v_pk_add_f16 v26, v5, v24
	v_pk_min_f16 v32, v108, v21
	v_pk_max_f16 v108, v120, v120
	v_pk_add_f16 v20, v20, v24
	s_waitcnt lgkmcnt(2)
	v_pk_add_f16 v70, v14, v62
	v_pk_min_f16 v28, v111, v26
	v_pk_add_f16 v111, v15, v63
	v_pk_min_f16 v31, v92, v2
	ds_read2_b64 v[2:5], v89 offset0:192 offset1:224
	v_pk_min_f16 v70, v108, v70
	v_pk_add_f16 v18, v18, v24
	v_pk_min_f16 v24, v114, v20
	v_pk_max_f16 v114, v123, v123
	s_waitcnt lgkmcnt(2)
	v_pk_add_f16 v72, v10, v62
	v_pk_add_f16 v73, v12, v62
	v_pk_min_f16 v123, v70, v111
	v_pk_max_f16 v70, v132, v132
	v_pk_max_f16 v111, v133, v133
	v_pk_min_f16 v26, v112, v18
	v_pk_add_f16 v71, v16, v62
	v_pk_add_f16 v112, v11, v63
	;; [unrolled: 1-line block ×3, first 2 shown]
	v_pk_min_f16 v70, v70, v72
	v_pk_min_f16 v73, v111, v73
	s_waitcnt lgkmcnt(1)
	v_pk_add_f16 v75, v8, v62
	v_pk_min_f16 v71, v114, v71
	v_pk_add_f16 v108, v17, v63
	v_pk_min_f16 v114, v70, v112
	v_pk_min_f16 v112, v73, v150
	v_pk_max_f16 v73, v110, v110
	v_pk_add_f16 v152, v9, v63
	v_pk_add_f16 v74, v6, v62
	s_waitcnt lgkmcnt(0)
	v_pk_add_f16 v76, v2, v62
	v_pk_add_f16 v62, v4, v62
	v_pk_min_f16 v73, v73, v75
	v_pk_min_f16 v120, v71, v108
	v_pk_max_f16 v108, v109, v109
	v_pk_add_f16 v92, v16, v64
	v_pk_add_f16 v151, v7, v63
	v_pk_min_f16 v110, v73, v152
	v_pk_max_f16 v73, v135, v135
	v_pk_add_f16 v153, v3, v63
	v_pk_add_f16 v63, v5, v63
	v_pk_min_f16 v76, v108, v76
	v_pk_max_f16 v106, v106, v106
	v_pk_min_f16 v62, v73, v62
	v_pk_add_f16 v81, v14, v64
	v_pk_add_f16 v155, v17, v65
	v_pk_min_f16 v109, v76, v153
	v_pk_max_f16 v76, v107, v107
	v_pk_min_f16 v108, v62, v63
	v_pk_min_f16 v63, v106, v92
	v_pk_add_f16 v139, v12, v64
	v_pk_add_f16 v154, v15, v65
	v_pk_min_f16 v76, v76, v81
	v_pk_min_f16 v34, v100, v19
	;; [unrolled: 1-line block ×3, first 2 shown]
	v_pk_max_f16 v63, v104, v104
	ds_read2_b64 v[66:69], v115 offset0:16 offset1:24
	v_pk_add_f16 v100, v10, v64
	v_pk_add_f16 v157, v13, v65
	v_pk_min_f16 v107, v76, v154
	v_pk_max_f16 v76, v105, v105
	v_pk_min_f16 v63, v63, v139
	v_pk_add_f16 v140, v6, v64
	v_pk_add_f16 v141, v8, v64
	;; [unrolled: 1-line block ×3, first 2 shown]
	v_pk_min_f16 v76, v76, v100
	v_pk_max_f16 v81, v103, v103
	v_pk_min_f16 v104, v63, v157
	v_pk_max_f16 v63, v102, v102
	v_pk_add_f16 v142, v2, v64
	v_pk_add_f16 v64, v4, v64
	;; [unrolled: 1-line block ×4, first 2 shown]
	v_pk_min_f16 v105, v76, v156
	v_pk_min_f16 v76, v81, v140
	;; [unrolled: 1-line block ×3, first 2 shown]
	v_pk_max_f16 v81, v136, v136
	v_perm_b32 v38, v128, v38, 0x5040100
	ds_read2_b64 v[128:131], v115 offset0:32 offset1:40
	ds_read2_b64 v[18:21], v115 offset0:48 offset1:56
	v_pk_add_f16 v160, v3, v65
	v_pk_add_f16 v65, v5, v65
	v_pk_min_f16 v103, v76, v158
	v_pk_max_f16 v76, v101, v101
	v_pk_min_f16 v102, v63, v159
	v_pk_min_f16 v63, v81, v64
	s_waitcnt lgkmcnt(2)
	v_pk_add_f16 v143, v14, v66
	v_pk_add_f16 v144, v16, v66
	;; [unrolled: 1-line block ×3, first 2 shown]
	v_pk_min_f16 v76, v76, v142
	v_pk_max_f16 v64, v99, v99
	v_pk_min_f16 v100, v63, v65
	v_pk_max_f16 v63, v98, v98
	v_pk_max_f16 v65, v97, v97
	;; [unrolled: 1-line block ×3, first 2 shown]
	v_pk_min_f16 v101, v76, v160
	v_pk_min_f16 v64, v64, v143
	v_pk_add_f16 v76, v15, v67
	v_pk_min_f16 v63, v63, v144
	v_pk_add_f16 v81, v17, v67
	;; [unrolled: 2-line block ×3, first 2 shown]
	v_pk_add_f16 v146, v12, v66
	v_pk_add_f16 v147, v6, v66
	;; [unrolled: 1-line block ×3, first 2 shown]
	v_pk_min_f16 v70, v70, v74
	v_pk_min_f16 v99, v64, v76
	v_pk_max_f16 v64, v96, v96
	v_pk_min_f16 v98, v63, v81
	v_pk_min_f16 v97, v65, v92
	v_pk_max_f16 v63, v95, v95
	v_pk_max_f16 v65, v94, v94
	v_pk_add_f16 v149, v2, v66
	v_pk_add_f16 v66, v4, v66
	;; [unrolled: 1-line block ×10, first 2 shown]
	s_waitcnt lgkmcnt(1)
	v_pk_add_f16 v134, v14, v128
	v_pk_add_f16 v74, v16, v128
	;; [unrolled: 1-line block ×3, first 2 shown]
	v_pk_min_f16 v111, v70, v151
	v_pk_add_f16 v70, v12, v128
	v_pk_add_f16 v150, v6, v128
	v_pk_add_f16 v135, v8, v128
	v_pk_add_f16 v151, v2, v128
	v_pk_add_f16 v73, v4, v128
	v_pk_add_f16 v128, v14, v130
	v_pk_add_f16 v62, v16, v130
	v_pk_add_f16 v152, v10, v130
	v_pk_add_f16 v153, v12, v130
	v_pk_add_f16 v154, v6, v130
	v_pk_add_f16 v155, v8, v130
	v_pk_add_f16 v139, v2, v130
	v_pk_add_f16 v130, v4, v130
	s_waitcnt lgkmcnt(0)
	v_pk_add_f16 v140, v14, v18
	v_pk_add_f16 v156, v16, v18
	;; [unrolled: 1-line block ×12, first 2 shown]
	v_pk_min_f16 v64, v64, v146
	v_pk_add_f16 v6, v6, v20
	v_pk_max_f16 v76, v93, v93
	v_pk_min_f16 v63, v63, v147
	v_pk_add_f16 v81, v13, v67
	v_pk_min_f16 v65, v65, v148
	v_pk_add_f16 v92, v7, v67
	v_pk_add_f16 v93, v9, v67
	;; [unrolled: 1-line block ×5, first 2 shown]
	v_pk_max_f16 v20, v91, v91
	v_pk_min_f16 v76, v76, v149
	v_pk_min_f16 v96, v64, v81
	v_pk_add_f16 v64, v3, v67
	v_pk_min_f16 v95, v63, v92
	v_pk_max_f16 v63, v137, v137
	v_pk_min_f16 v94, v65, v93
	v_pk_add_f16 v65, v5, v67
	v_pk_min_f16 v20, v20, v161
	v_pk_add_f16 v67, v15, v69
	v_pk_min_f16 v93, v76, v64
	v_pk_min_f16 v63, v63, v66
	v_pk_max_f16 v64, v90, v90
	v_pk_max_f16 v66, v87, v87
	v_pk_min_f16 v91, v20, v67
	v_pk_max_f16 v20, v85, v85
	v_pk_add_f16 v76, v17, v69
	v_pk_min_f16 v64, v64, v162
	v_pk_min_f16 v92, v63, v65
	v_pk_add_f16 v63, v13, v69
	v_pk_min_f16 v20, v20, v163
	v_pk_min_f16 v66, v66, v132
	v_pk_add_f16 v81, v11, v69
	v_pk_min_f16 v90, v64, v76
	v_pk_max_f16 v64, v84, v84
	v_pk_min_f16 v85, v20, v63
	v_pk_max_f16 v20, v138, v138
	v_pk_min_f16 v87, v66, v81
	v_pk_add_f16 v66, v7, v69
	v_pk_min_f16 v64, v64, v72
	v_pk_add_f16 v63, v5, v69
	v_pk_min_f16 v20, v20, v68
	v_pk_max_f16 v65, v83, v83
	v_pk_add_f16 v72, v9, v69
	v_pk_min_f16 v84, v64, v66
	v_pk_max_f16 v64, v80, v80
	v_pk_min_f16 v81, v20, v63
	v_pk_max_f16 v20, v77, v77
	v_pk_min_f16 v65, v65, v71
	v_pk_add_f16 v66, v15, v129
	v_pk_min_f16 v64, v64, v134
	v_pk_add_f16 v63, v13, v129
	v_pk_min_f16 v20, v20, v70
	v_pk_max_f16 v58, v58, v58
	v_pk_max_f16 v67, v82, v82
	v_pk_min_f16 v83, v65, v72
	v_pk_max_f16 v65, v79, v79
	v_pk_min_f16 v80, v64, v66
	v_pk_add_f16 v66, v3, v129
	v_pk_min_f16 v58, v58, v151
	v_pk_min_f16 v77, v20, v63
	v_pk_max_f16 v20, v59, v59
	v_pk_add_f16 v71, v3, v69
	v_pk_min_f16 v67, v67, v133
	v_pk_min_f16 v65, v65, v74
	;; [unrolled: 1-line block ×3, first 2 shown]
	v_pk_add_f16 v58, v5, v129
	v_pk_min_f16 v20, v20, v73
	v_pk_min_f16 v82, v67, v71
	v_pk_max_f16 v67, v78, v78
	v_pk_add_f16 v69, v11, v129
	v_pk_add_f16 v68, v17, v129
	v_pk_min_f16 v73, v20, v58
	v_pk_max_f16 v20, v53, v53
	v_pk_min_f16 v67, v67, v75
	v_pk_add_f16 v53, v13, v131
	v_pk_max_f16 v61, v61, v61
	v_pk_max_f16 v60, v60, v60
	v_pk_min_f16 v20, v20, v153
	v_pk_min_f16 v78, v67, v69
	v_pk_max_f16 v57, v57, v57
	v_pk_min_f16 v79, v65, v68
	v_pk_add_f16 v64, v7, v129
	v_pk_min_f16 v69, v20, v53
	v_pk_max_f16 v20, v50, v50
	v_pk_min_f16 v61, v61, v150
	v_pk_add_f16 v65, v9, v129
	v_pk_min_f16 v60, v60, v135
	v_pk_max_f16 v56, v56, v56
	v_pk_add_f16 v59, v15, v131
	v_pk_max_f16 v55, v55, v55
	v_pk_min_f16 v57, v57, v128
	v_pk_max_f16 v51, v51, v51
	v_pk_add_f16 v50, v5, v131
	v_pk_min_f16 v20, v20, v130
	v_pk_min_f16 v76, v61, v64
	;; [unrolled: 1-line block ×3, first 2 shown]
	v_pk_add_f16 v60, v17, v131
	v_pk_min_f16 v56, v56, v62
	v_pk_add_f16 v61, v11, v131
	v_pk_min_f16 v55, v55, v152
	v_pk_min_f16 v72, v57, v59
	v_pk_max_f16 v54, v54, v54
	v_pk_max_f16 v52, v52, v52
	v_pk_add_f16 v57, v3, v131
	v_pk_min_f16 v51, v51, v139
	v_pk_min_f16 v65, v20, v50
	v_pk_max_f16 v20, v33, v33
	v_pk_max_f16 v25, v25, v25
	;; [unrolled: 1-line block ×3, first 2 shown]
	v_pk_min_f16 v71, v56, v60
	v_pk_min_f16 v70, v55, v61
	v_pk_add_f16 v55, v7, v131
	v_pk_min_f16 v54, v54, v154
	v_pk_add_f16 v56, v9, v131
	v_pk_min_f16 v52, v52, v155
	v_pk_min_f16 v66, v51, v57
	v_pk_add_f16 v51, v15, v19
	v_pk_add_f16 v53, v11, v19
	;; [unrolled: 1-line block ×3, first 2 shown]
	v_pk_min_f16 v20, v20, v141
	v_pk_add_f16 v15, v15, v21
	v_pk_min_f16 v14, v25, v14
	v_pk_add_f16 v11, v11, v21
	v_pk_min_f16 v10, v22, v10
	v_pk_min_f16 v68, v54, v55
	v_pk_min_f16 v67, v52, v56
	v_pk_max_f16 v35, v35, v35
	v_pk_max_f16 v49, v49, v49
	;; [unrolled: 1-line block ×3, first 2 shown]
	v_pk_min_f16 v61, v20, v33
	v_pk_max_f16 v20, v27, v27
	v_pk_min_f16 v56, v14, v15
	v_pk_max_f16 v14, v34, v34
	;; [unrolled: 2-line block ×3, first 2 shown]
	v_pk_min_f16 v35, v35, v140
	v_pk_add_f16 v52, v17, v19
	v_pk_min_f16 v49, v49, v156
	v_pk_min_f16 v36, v36, v157
	v_pk_max_f16 v30, v30, v30
	v_pk_max_f16 v29, v29, v29
	;; [unrolled: 1-line block ×3, first 2 shown]
	v_pk_min_f16 v18, v20, v18
	v_pk_max_f16 v20, v23, v23
	v_pk_add_f16 v11, v13, v21
	v_pk_min_f16 v12, v14, v12
	v_pk_max_f16 v13, v28, v28
	v_pk_min_f16 v6, v10, v6
	v_pk_max_f16 v10, v26, v26
	v_pk_max_f16 v14, v24, v24
	v_pk_min_f16 v64, v35, v51
	v_pk_min_f16 v63, v49, v52
	v_pk_min_f16 v62, v36, v53
	v_pk_add_f16 v35, v7, v19
	v_pk_min_f16 v30, v30, v136
	v_pk_add_f16 v36, v9, v19
	v_pk_min_f16 v29, v29, v142
	;; [unrolled: 2-line block ×3, first 2 shown]
	v_pk_add_f16 v19, v5, v19
	v_pk_add_f16 v17, v17, v21
	v_pk_min_f16 v16, v20, v16
	v_pk_add_f16 v7, v7, v21
	v_pk_add_f16 v9, v9, v21
	v_pk_min_f16 v8, v13, v8
	v_pk_add_f16 v3, v3, v21
	v_pk_min_f16 v2, v10, v2
	;; [unrolled: 2-line block ×3, first 2 shown]
	v_add_co_u32 v41, vcc_lo, v41, 16
	v_add_co_ci_u32_e64 v42, null, 0, v42, vcc_lo
	v_add_co_u32 v121, vcc_lo, v121, s6
	v_perm_b32 v40, v127, v125, 0x5040100
	v_pk_min_f16 v60, v30, v35
	v_pk_min_f16 v59, v29, v36
	;; [unrolled: 1-line block ×10, first 2 shown]
	v_add_co_ci_u32_e64 v122, null, s7, v122, vcc_lo
	s_add_i32 s12, s12, 8
	ds_write_b16 v116, v124
	ds_write_b16_d16_hi v116, v124 offset:512
	ds_write_b16 v116, v125 offset:1024
	ds_write_b16 v116, v127 offset:1536
	ds_write_b16 v117, v126
	s_cmp_ge_i32 s12, s14
	s_waitcnt lgkmcnt(0)
	s_barrier
	buffer_gl0_inv
	s_cbranch_scc1 .LBB207_47
; %bb.40:
	v_mov_b32_e32 v39, v124
	s_mov_b32 s13, -1
	s_mov_b32 vcc_lo, s1
                                        ; implicit-def: $vgpr2_vgpr3
	s_cbranch_vccnz .LBB207_26
.LBB207_41:
	v_mov_b32_e32 v4, 0
	s_andn2_b32 vcc_lo, exec_lo, s13
	s_cbranch_vccnz .LBB207_27
.LBB207_42:
	v_add_co_u32 v2, vcc_lo, v121, v45
	v_add_co_ci_u32_e64 v3, null, v122, v46, vcc_lo
	s_clause 0x1
	flat_load_ushort v4, v[2:3]
	flat_load_ushort v2, v[2:3] offset:128
	s_waitcnt vmcnt(1) lgkmcnt(1)
	v_mul_f16_e32 v3, v47, v4
	s_waitcnt vmcnt(0) lgkmcnt(0)
	v_mul_f16_e32 v4, v47, v2
	v_bfi_b32 v37, 0xffff, v3, v37
	v_mov_b32_e32 v2, v37
	v_mov_b32_e32 v3, v38
	v_perm_b32 v37, v4, v2, 0x5040100
	s_mov_b32 s13, -1
	s_mov_b32 vcc_lo, s1
	s_cbranch_vccnz .LBB207_28
.LBB207_43:
	v_mov_b32_e32 v14, 0
	v_mov_b32_e32 v128, 0
	s_andn2_b32 vcc_lo, exec_lo, s13
	s_cbranch_vccnz .LBB207_29
.LBB207_44:
	v_add_co_u32 v4, vcc_lo, v121, v45
	v_add_co_ci_u32_e64 v5, null, v122, v46, vcc_lo
	s_clause 0x1
	flat_load_ushort v2, v[4:5] offset:256
	flat_load_ushort v4, v[4:5] offset:384
	s_waitcnt vmcnt(1) lgkmcnt(1)
	v_mul_f16_e32 v2, v47, v2
	s_waitcnt vmcnt(0) lgkmcnt(0)
	v_mul_f16_e32 v128, v47, v4
	v_bfi_b32 v38, 0xffff, v2, v3
	s_and_b32 vcc_lo, exec_lo, s2
	s_cbranch_vccz .LBB207_30
	s_branch .LBB207_31
.LBB207_45:
	v_mov_b32_e32 v126, 0
	v_mov_b32_e32 v127, 0
	s_andn2_b32 vcc_lo, exec_lo, s13
	s_cbranch_vccnz .LBB207_37
.LBB207_46:
	v_add_co_u32 v39, vcc_lo, v121, v43
	v_add_co_ci_u32_e64 v40, null, v122, v44, vcc_lo
	s_clause 0x1
	flat_load_ushort v14, v[39:40] offset:256
	flat_load_ushort v16, v[39:40] offset:384
	s_waitcnt vmcnt(1) lgkmcnt(1)
	v_mul_f16_e32 v14, v47, v14
	s_waitcnt vmcnt(0) lgkmcnt(0)
	v_mul_f16_e32 v127, v47, v16
	v_bfi_b32 v125, 0xffff, v14, v15
	s_and_b32 vcc_lo, exec_lo, s2
	s_cbranch_vccz .LBB207_38
	s_branch .LBB207_39
.LBB207_47:
	s_load_dword s6, s[4:5], 0x58
	v_add_nc_u32_e32 v86, s18, v1
	ds_read_b64 v[30:31], v89 offset:2048
	ds_read_b64 v[46:47], v88 offset:4608
	v_add_nc_u32_e32 v44, s3, v0
	v_cmp_neq_f16_e64 s2, 0, v48
	v_mov_b32_e32 v34, 0
	v_ashrrev_i32_e32 v45, 31, v44
	s_and_b32 vcc_lo, exec_lo, s2
	v_lshlrev_b64 v[28:29], 1, v[44:45]
	s_waitcnt lgkmcnt(0)
	v_mad_i64_i32 v[1:2], null, v86, s6, 0
	v_lshlrev_b64 v[0:1], 1, v[1:2]
	v_add_co_u32 v113, s1, s8, v0
	v_add_co_ci_u32_e64 v115, null, s9, v1, s1
	v_mov_b32_e32 v0, 0
	s_cbranch_vccz .LBB207_49
; %bb.48:
	v_add_co_u32 v0, vcc_lo, v113, v28
	v_add_co_ci_u32_e64 v1, null, v115, v29, vcc_lo
	flat_load_ushort v0, v[0:1]
	s_waitcnt vmcnt(0) lgkmcnt(0)
	v_mul_f16_e32 v0, v48, v0
	v_cvt_f32_f16_e32 v0, v0
.LBB207_49:
	s_clause 0x1
	s_load_dword s3, s[4:5], 0x70
	s_load_dwordx2 s[4:5], s[4:5], 0x78
	v_pk_add_f16 v2, v30, v46
	v_pk_add_f16 v13, v31, v47
	v_max_f16_e32 v3, v123, v123
	v_lshrrev_b32_e32 v4, 16, v123
	v_add_nc_u32_e32 v1, 0x800, v89
	v_lshrrev_b32_e32 v5, 16, v2
	v_lshrrev_b32_e32 v6, 16, v13
	v_add_nc_u32_e32 v12, 0x1000, v88
	v_min_f16_e32 v14, v3, v2
	ds_read_b64 v[24:25], v89 offset:3840
	ds_read_b64 v[26:27], v88 offset:5056
	v_min3_f16 v15, v4, v5, v6
	v_max_f32_e32 v37, v0, v0
	ds_read2_b64 v[8:11], v1 offset0:32 offset1:64
	ds_read2_b64 v[4:7], v1 offset0:96 offset1:128
	;; [unrolled: 1-line block ×3, first 2 shown]
	v_min3_f16 v33, v14, v13, v15
	ds_read2_b64 v[20:23], v12 offset0:72 offset1:80
	ds_read2_b64 v[16:19], v12 offset0:88 offset1:96
	ds_read2_b64 v[12:15], v12 offset0:104 offset1:112
	s_waitcnt lgkmcnt(0)
	v_mad_i64_i32 v[35:36], null, v86, s3, 0
	v_add_nc_u32_e32 v32, 32, v44
	s_lshl_b64 s[4:5], s[4:5], 1
	v_cvt_f32_f16_e32 v39, v33
	s_add_u32 s4, s10, s4
	s_addc_u32 s5, s11, s5
	v_ashrrev_i32_e32 v33, 31, v32
	v_lshlrev_b64 v[35:36], 1, v[35:36]
	v_cndmask_b32_e64 v38, 0, 1, s2
	v_min_f32_e32 v37, v37, v39
	v_lshlrev_b64 v[32:33], 1, v[32:33]
	v_cmp_ne_u32_e64 s1, 1, v38
	v_add_co_u32 v88, vcc_lo, s4, v35
	v_add_co_ci_u32_e64 v89, null, s5, v36, vcc_lo
	v_cvt_f16_f32_e32 v37, v37
	v_add_co_u32 v35, vcc_lo, v88, v28
	v_add_co_ci_u32_e64 v36, null, v89, v29, vcc_lo
	s_andn2_b32 vcc_lo, exec_lo, s2
	flat_store_short v[35:36], v37
	s_cbranch_vccnz .LBB207_51
; %bb.50:
	v_add_co_u32 v34, vcc_lo, v113, v32
	v_add_co_ci_u32_e64 v35, null, v115, v33, vcc_lo
	flat_load_ushort v34, v[34:35]
	s_waitcnt vmcnt(0) lgkmcnt(0)
	v_mul_f16_e32 v34, v48, v34
	v_cvt_f32_f16_e32 v34, v34
.LBB207_51:
	v_pk_add_f16 v35, v8, v46
	v_pk_add_f16 v36, v9, v47
	v_max_f16_e32 v37, v120, v120
	v_lshrrev_b32_e32 v38, 16, v120
	v_max_f32_e32 v34, v34, v34
	v_lshrrev_b32_e32 v39, 16, v35
	v_lshrrev_b32_e32 v40, 16, v36
	v_min_f16_e32 v35, v37, v35
	v_min3_f16 v37, v38, v39, v40
	v_add_co_u32 v39, vcc_lo, v88, v32
	v_add_co_ci_u32_e64 v40, null, v89, v33, vcc_lo
	v_min3_f16 v36, v35, v36, v37
	v_add_nc_u32_e32 v35, 64, v44
	v_mov_b32_e32 v38, 0
	s_and_b32 vcc_lo, exec_lo, s1
	v_cvt_f32_f16_e32 v37, v36
	v_ashrrev_i32_e32 v36, 31, v35
	v_min_f32_e32 v34, v34, v37
	v_cvt_f16_f32_e32 v37, v34
	v_lshlrev_b64 v[34:35], 1, v[35:36]
	v_mov_b32_e32 v36, 0
	flat_store_short v[39:40], v37
	s_cbranch_vccnz .LBB207_53
; %bb.52:
	v_add_co_u32 v36, vcc_lo, v113, v34
	v_add_co_ci_u32_e64 v37, null, v115, v35, vcc_lo
	flat_load_ushort v36, v[36:37]
	s_waitcnt vmcnt(0) lgkmcnt(0)
	v_mul_f16_e32 v36, v48, v36
	v_cvt_f32_f16_e32 v36, v36
.LBB207_53:
	v_pk_add_f16 v37, v10, v46
	v_pk_add_f16 v39, v11, v47
	v_max_f16_e32 v40, v114, v114
	v_lshrrev_b32_e32 v41, 16, v114
	v_max_f32_e32 v36, v36, v36
	v_lshrrev_b32_e32 v42, 16, v37
	v_lshrrev_b32_e32 v43, 16, v39
	v_min_f16_e32 v37, v40, v37
	v_min3_f16 v40, v41, v42, v43
	v_add_co_u32 v41, vcc_lo, v88, v34
	v_add_co_ci_u32_e64 v42, null, v89, v35, vcc_lo
	v_min3_f16 v37, v37, v39, v40
	v_add_nc_u32_e32 v39, 0x60, v44
	s_and_b32 vcc_lo, exec_lo, s1
	v_cvt_f32_f16_e32 v37, v37
	v_ashrrev_i32_e32 v40, 31, v39
	v_min_f32_e32 v36, v36, v37
	v_cvt_f16_f32_e32 v43, v36
	v_lshlrev_b64 v[36:37], 1, v[39:40]
	flat_store_short v[41:42], v43
	s_cbranch_vccnz .LBB207_55
; %bb.54:
	v_add_co_u32 v38, vcc_lo, v113, v36
	v_add_co_ci_u32_e64 v39, null, v115, v37, vcc_lo
	flat_load_ushort v38, v[38:39]
	s_waitcnt vmcnt(0) lgkmcnt(0)
	v_mul_f16_e32 v38, v48, v38
	v_cvt_f32_f16_e32 v38, v38
.LBB207_55:
	v_pk_add_f16 v39, v4, v46
	v_pk_add_f16 v40, v5, v47
	v_max_f16_e32 v41, v112, v112
	v_lshrrev_b32_e32 v42, 16, v112
	v_max_f32_e32 v38, v38, v38
	v_lshrrev_b32_e32 v43, 16, v39
	v_lshrrev_b32_e32 v45, 16, v40
	v_min_f16_e32 v39, v41, v39
	v_add_co_u32 v116, vcc_lo, v88, v36
	v_add_co_ci_u32_e64 v117, null, v89, v37, vcc_lo
	v_min3_f16 v41, v42, v43, v45
	s_and_b32 vcc_lo, exec_lo, s1
	v_min3_f16 v40, v39, v40, v41
	v_add_nc_u32_e32 v39, 0x80, v44
	v_cvt_f32_f16_e32 v41, v40
	v_ashrrev_i32_e32 v40, 31, v39
	v_min_f32_e32 v41, v38, v41
	v_lshlrev_b64 v[42:43], 1, v[39:40]
	v_mov_b32_e32 v38, 0
	v_mov_b32_e32 v39, 0
	v_cvt_f16_f32_e32 v41, v41
	flat_store_short v[116:117], v41
	s_cbranch_vccnz .LBB207_57
; %bb.56:
	v_add_co_u32 v39, vcc_lo, v113, v42
	v_add_co_ci_u32_e64 v40, null, v115, v43, vcc_lo
	flat_load_ushort v39, v[39:40]
	s_waitcnt vmcnt(0) lgkmcnt(0)
	v_mul_f16_e32 v39, v48, v39
	v_cvt_f32_f16_e32 v39, v39
.LBB207_57:
	v_pk_add_f16 v40, v6, v46
	v_pk_add_f16 v41, v7, v47
	v_max_f16_e32 v45, v111, v111
	v_lshrrev_b32_e32 v111, 16, v111
	v_max_f32_e32 v39, v39, v39
	v_lshrrev_b32_e32 v112, 16, v40
	v_lshrrev_b32_e32 v114, 16, v41
	v_min_f16_e32 v40, v45, v40
	v_min3_f16 v45, v111, v112, v114
	v_add_co_u32 v111, vcc_lo, v88, v42
	v_add_co_ci_u32_e64 v112, null, v89, v43, vcc_lo
	v_min3_f16 v41, v40, v41, v45
	v_add_nc_u32_e32 v40, 0xa0, v44
	s_and_b32 vcc_lo, exec_lo, s1
	v_cvt_f32_f16_e32 v45, v41
	v_ashrrev_i32_e32 v41, 31, v40
	v_min_f32_e32 v39, v39, v45
	v_lshlrev_b64 v[40:41], 1, v[40:41]
	v_cvt_f16_f32_e32 v39, v39
	flat_store_short v[111:112], v39
	s_cbranch_vccnz .LBB207_59
; %bb.58:
	v_add_co_u32 v38, vcc_lo, v113, v40
	v_add_co_ci_u32_e64 v39, null, v115, v41, vcc_lo
	flat_load_ushort v38, v[38:39]
	s_waitcnt vmcnt(0) lgkmcnt(0)
	v_mul_f16_e32 v38, v48, v38
	v_cvt_f32_f16_e32 v38, v38
.LBB207_59:
	v_pk_add_f16 v39, v0, v46
	v_pk_add_f16 v45, v1, v47
	v_max_f16_e32 v111, v110, v110
	v_lshrrev_b32_e32 v110, 16, v110
	v_max_f32_e32 v38, v38, v38
	v_lshrrev_b32_e32 v112, 16, v39
	v_lshrrev_b32_e32 v114, 16, v45
	v_min_f16_e32 v39, v111, v39
	v_add_nc_u32_e32 v111, 0xc0, v44
	v_add_co_u32 v116, vcc_lo, v88, v40
	v_min3_f16 v110, v110, v112, v114
	v_add_co_ci_u32_e64 v117, null, v89, v41, vcc_lo
	v_ashrrev_i32_e32 v112, 31, v111
	s_and_b32 vcc_lo, exec_lo, s1
	v_min3_f16 v39, v39, v45, v110
	v_mov_b32_e32 v110, 0
	v_mov_b32_e32 v45, 0
	v_cvt_f32_f16_e32 v39, v39
	v_min_f32_e32 v38, v38, v39
	v_cvt_f16_f32_e32 v114, v38
	v_lshlrev_b64 v[38:39], 1, v[111:112]
	flat_store_short v[116:117], v114
	s_cbranch_vccnz .LBB207_61
; %bb.60:
	v_add_co_u32 v111, vcc_lo, v113, v38
	v_add_co_ci_u32_e64 v112, null, v115, v39, vcc_lo
	flat_load_ushort v45, v[111:112]
	s_waitcnt vmcnt(0) lgkmcnt(0)
	v_mul_f16_e32 v45, v48, v45
	v_cvt_f32_f16_e32 v45, v45
.LBB207_61:
	v_pk_add_f16 v111, v2, v46
	v_pk_add_f16 v112, v3, v47
	v_max_f16_e32 v114, v109, v109
	v_lshrrev_b32_e32 v109, 16, v109
	v_add_nc_u32_e32 v44, 0xe0, v44
	v_lshrrev_b32_e32 v116, 16, v111
	v_lshrrev_b32_e32 v117, 16, v112
	v_min_f16_e32 v111, v114, v111
	v_min3_f16 v109, v109, v116, v117
	v_min3_f16 v109, v111, v112, v109
	v_max_f32_e32 v111, v45, v45
	v_ashrrev_i32_e32 v45, 31, v44
	v_cvt_f32_f16_e32 v109, v109
	v_lshlrev_b64 v[44:45], 1, v[44:45]
	v_min_f32_e32 v109, v111, v109
	v_add_co_u32 v111, vcc_lo, v88, v38
	v_add_co_ci_u32_e64 v112, null, v89, v39, vcc_lo
	v_cvt_f16_f32_e32 v109, v109
	s_and_b32 vcc_lo, exec_lo, s1
	flat_store_short v[111:112], v109
	s_cbranch_vccnz .LBB207_63
; %bb.62:
	v_add_co_u32 v109, vcc_lo, v113, v44
	v_add_co_ci_u32_e64 v110, null, v115, v45, vcc_lo
	flat_load_ushort v109, v[109:110]
	s_waitcnt vmcnt(0) lgkmcnt(0)
	v_mul_f16_e32 v109, v48, v109
	v_cvt_f32_f16_e32 v110, v109
.LBB207_63:
	v_pk_add_f16 v46, v24, v46
	v_pk_add_f16 v111, v25, v47
	v_max_f16_e32 v47, v108, v108
	v_lshrrev_b32_e32 v108, 16, v108
	v_add_nc_u32_e32 v109, 8, v86
	v_lshrrev_b32_e32 v112, 16, v46
	v_lshrrev_b32_e32 v113, 16, v111
	v_min_f16_e32 v114, v47, v46
	v_mad_i64_i32 v[46:47], null, v109, s6, 0
	v_min3_f16 v108, v108, v112, v113
	v_max_f32_e32 v112, v110, v110
	v_add_co_u32 v110, vcc_lo, v88, v44
	v_min3_f16 v108, v114, v111, v108
	v_lshlrev_b64 v[46:47], 1, v[46:47]
	v_add_co_ci_u32_e64 v111, null, v89, v45, vcc_lo
	v_cvt_f32_f16_e32 v108, v108
	v_add_co_u32 v46, vcc_lo, s8, v46
	v_add_co_ci_u32_e64 v47, null, s9, v47, vcc_lo
	v_min_f32_e32 v88, v112, v108
	v_mov_b32_e32 v108, 0
	s_and_b32 vcc_lo, exec_lo, s1
	v_cvt_f16_f32_e32 v89, v88
	v_mov_b32_e32 v88, 0
	flat_store_short v[110:111], v89
	s_cbranch_vccnz .LBB207_65
; %bb.64:
	v_add_co_u32 v88, vcc_lo, v46, v28
	v_add_co_ci_u32_e64 v89, null, v47, v29, vcc_lo
	flat_load_ushort v88, v[88:89]
	s_waitcnt vmcnt(0) lgkmcnt(0)
	v_mul_f16_e32 v88, v48, v88
	v_cvt_f32_f16_e32 v88, v88
.LBB207_65:
	v_pk_add_f16 v89, v30, v20
	v_pk_add_f16 v111, v31, v21
	v_max_f16_e32 v110, v107, v107
	v_lshrrev_b32_e32 v107, 16, v107
	v_lshrrev_b32_e32 v112, 16, v89
	;; [unrolled: 1-line block ×3, first 2 shown]
	v_min_f16_e32 v89, v110, v89
	v_mad_i64_i32 v[109:110], null, v109, s3, 0
	v_min3_f16 v107, v107, v112, v113
	v_min3_f16 v89, v89, v111, v107
	v_max_f32_e32 v107, v88, v88
	v_cvt_f32_f16_e32 v111, v89
	v_lshlrev_b64 v[88:89], 1, v[109:110]
	v_min_f32_e32 v107, v107, v111
	v_add_co_u32 v88, vcc_lo, s4, v88
	v_add_co_ci_u32_e64 v89, null, s5, v89, vcc_lo
	v_cvt_f16_f32_e32 v107, v107
	v_add_co_u32 v109, vcc_lo, v88, v28
	v_add_co_ci_u32_e64 v110, null, v89, v29, vcc_lo
	s_and_b32 vcc_lo, exec_lo, s1
	flat_store_short v[109:110], v107
	s_cbranch_vccnz .LBB207_67
; %bb.66:
	v_add_co_u32 v107, vcc_lo, v46, v32
	v_add_co_ci_u32_e64 v108, null, v47, v33, vcc_lo
	flat_load_ushort v107, v[107:108]
	s_waitcnt vmcnt(0) lgkmcnt(0)
	v_mul_f16_e32 v107, v48, v107
	v_cvt_f32_f16_e32 v108, v107
.LBB207_67:
	v_pk_add_f16 v107, v8, v20
	v_pk_add_f16 v109, v9, v21
	v_max_f16_e32 v110, v106, v106
	v_lshrrev_b32_e32 v106, 16, v106
	v_lshrrev_b32_e32 v111, 16, v107
	v_lshrrev_b32_e32 v112, 16, v109
	v_min_f16_e32 v107, v110, v107
	v_min3_f16 v106, v106, v111, v112
	v_min3_f16 v106, v107, v109, v106
	v_max_f32_e32 v107, v108, v108
	v_add_co_u32 v108, vcc_lo, v88, v32
	v_add_co_ci_u32_e64 v109, null, v89, v33, vcc_lo
	v_cvt_f32_f16_e32 v106, v106
	s_and_b32 vcc_lo, exec_lo, s1
	v_min_f32_e32 v106, v107, v106
	v_mov_b32_e32 v107, 0
	v_cvt_f16_f32_e32 v110, v106
	v_mov_b32_e32 v106, 0
	flat_store_short v[108:109], v110
	s_cbranch_vccnz .LBB207_69
; %bb.68:
	v_add_co_u32 v107, vcc_lo, v46, v34
	v_add_co_ci_u32_e64 v108, null, v47, v35, vcc_lo
	flat_load_ushort v107, v[107:108]
	s_waitcnt vmcnt(0) lgkmcnt(0)
	v_mul_f16_e32 v107, v48, v107
	v_cvt_f32_f16_e32 v107, v107
.LBB207_69:
	v_pk_add_f16 v108, v10, v20
	v_pk_add_f16 v109, v11, v21
	v_max_f16_e32 v110, v105, v105
	v_lshrrev_b32_e32 v105, 16, v105
	v_max_f32_e32 v107, v107, v107
	v_lshrrev_b32_e32 v111, 16, v108
	v_lshrrev_b32_e32 v112, 16, v109
	v_min_f16_e32 v108, v110, v108
	v_min3_f16 v105, v105, v111, v112
	v_min3_f16 v105, v108, v109, v105
	v_cvt_f32_f16_e32 v105, v105
	v_min_f32_e32 v105, v107, v105
	v_add_co_u32 v107, vcc_lo, v88, v34
	v_add_co_ci_u32_e64 v108, null, v89, v35, vcc_lo
	v_cvt_f16_f32_e32 v105, v105
	s_and_b32 vcc_lo, exec_lo, s1
	flat_store_short v[107:108], v105
	s_cbranch_vccnz .LBB207_71
; %bb.70:
	v_add_co_u32 v105, vcc_lo, v46, v36
	v_add_co_ci_u32_e64 v106, null, v47, v37, vcc_lo
	flat_load_ushort v105, v[105:106]
	s_waitcnt vmcnt(0) lgkmcnt(0)
	v_mul_f16_e32 v105, v48, v105
	v_cvt_f32_f16_e32 v106, v105
.LBB207_71:
	v_pk_add_f16 v105, v4, v20
	v_pk_add_f16 v107, v5, v21
	v_max_f16_e32 v108, v104, v104
	v_lshrrev_b32_e32 v104, 16, v104
	v_lshrrev_b32_e32 v109, 16, v105
	v_lshrrev_b32_e32 v110, 16, v107
	v_min_f16_e32 v105, v108, v105
	v_min3_f16 v104, v104, v109, v110
	v_min3_f16 v104, v105, v107, v104
	v_max_f32_e32 v105, v106, v106
	v_add_co_u32 v106, vcc_lo, v88, v36
	v_add_co_ci_u32_e64 v107, null, v89, v37, vcc_lo
	v_cvt_f32_f16_e32 v104, v104
	s_and_b32 vcc_lo, exec_lo, s1
	v_min_f32_e32 v104, v105, v104
	v_mov_b32_e32 v105, 0
	v_cvt_f16_f32_e32 v108, v104
	v_mov_b32_e32 v104, 0
	flat_store_short v[106:107], v108
	s_cbranch_vccnz .LBB207_73
; %bb.72:
	v_add_co_u32 v105, vcc_lo, v46, v42
	v_add_co_ci_u32_e64 v106, null, v47, v43, vcc_lo
	flat_load_ushort v105, v[105:106]
	s_waitcnt vmcnt(0) lgkmcnt(0)
	v_mul_f16_e32 v105, v48, v105
	v_cvt_f32_f16_e32 v105, v105
.LBB207_73:
	v_pk_add_f16 v106, v6, v20
	v_pk_add_f16 v107, v7, v21
	v_max_f16_e32 v108, v103, v103
	v_lshrrev_b32_e32 v103, 16, v103
	v_max_f32_e32 v105, v105, v105
	v_lshrrev_b32_e32 v109, 16, v106
	v_lshrrev_b32_e32 v110, 16, v107
	v_min_f16_e32 v106, v108, v106
	v_min3_f16 v103, v103, v109, v110
	v_min3_f16 v103, v106, v107, v103
	v_cvt_f32_f16_e32 v103, v103
	v_min_f32_e32 v103, v105, v103
	v_add_co_u32 v105, vcc_lo, v88, v42
	v_add_co_ci_u32_e64 v106, null, v89, v43, vcc_lo
	v_cvt_f16_f32_e32 v103, v103
	;; [unrolled: 54-line block ×3, first 2 shown]
	s_and_b32 vcc_lo, exec_lo, s1
	flat_store_short v[103:104], v101
	s_cbranch_vccnz .LBB207_79
; %bb.78:
	v_add_co_u32 v46, vcc_lo, v46, v44
	v_add_co_ci_u32_e64 v47, null, v47, v45, vcc_lo
	flat_load_ushort v46, v[46:47]
	s_waitcnt vmcnt(0) lgkmcnt(0)
	v_mul_f16_e32 v46, v48, v46
	v_cvt_f32_f16_e32 v102, v46
.LBB207_79:
	v_pk_add_f16 v20, v24, v20
	v_pk_add_f16 v47, v25, v21
	v_max_f16_e32 v21, v100, v100
	v_lshrrev_b32_e32 v100, 16, v100
	v_add_nc_u32_e32 v46, 16, v86
	v_lshrrev_b32_e32 v101, 16, v20
	v_lshrrev_b32_e32 v103, 16, v47
	v_min_f16_e32 v104, v21, v20
	v_max_f32_e32 v102, v102, v102
	v_mad_i64_i32 v[20:21], null, v46, s6, 0
	v_min3_f16 v100, v100, v101, v103
	v_min3_f16 v47, v104, v47, v100
	v_lshlrev_b64 v[20:21], 1, v[20:21]
	v_add_co_u32 v100, vcc_lo, v88, v44
	v_add_co_ci_u32_e64 v101, null, v89, v45, vcc_lo
	v_cvt_f32_f16_e32 v47, v47
	v_add_co_u32 v20, vcc_lo, s8, v20
	v_add_co_ci_u32_e64 v21, null, s9, v21, vcc_lo
	v_min_f32_e32 v47, v102, v47
	v_mov_b32_e32 v88, 0
	s_and_b32 vcc_lo, exec_lo, s1
	v_cvt_f16_f32_e32 v89, v47
	v_mov_b32_e32 v47, 0
	flat_store_short v[100:101], v89
	s_cbranch_vccnz .LBB207_81
; %bb.80:
	v_add_co_u32 v100, vcc_lo, v20, v28
	v_add_co_ci_u32_e64 v101, null, v21, v29, vcc_lo
	flat_load_ushort v47, v[100:101]
	s_waitcnt vmcnt(0) lgkmcnt(0)
	v_mul_f16_e32 v47, v48, v47
	v_cvt_f32_f16_e32 v47, v47
.LBB207_81:
	v_pk_add_f16 v89, v30, v22
	v_pk_add_f16 v101, v31, v23
	v_max_f16_e32 v100, v99, v99
	v_lshrrev_b32_e32 v99, 16, v99
	v_lshrrev_b32_e32 v102, 16, v89
	v_lshrrev_b32_e32 v103, 16, v101
	v_min_f16_e32 v89, v100, v89
	v_min3_f16 v102, v99, v102, v103
	v_mad_i64_i32 v[99:100], null, v46, s3, 0
	v_min3_f16 v46, v89, v101, v102
	v_max_f32_e32 v89, v47, v47
	v_cvt_f32_f16_e32 v101, v46
	v_lshlrev_b64 v[46:47], 1, v[99:100]
	v_min_f32_e32 v89, v89, v101
	v_add_co_u32 v46, vcc_lo, s4, v46
	v_add_co_ci_u32_e64 v47, null, s5, v47, vcc_lo
	v_cvt_f16_f32_e32 v89, v89
	v_add_co_u32 v99, vcc_lo, v46, v28
	v_add_co_ci_u32_e64 v100, null, v47, v29, vcc_lo
	s_and_b32 vcc_lo, exec_lo, s1
	flat_store_short v[99:100], v89
	s_cbranch_vccnz .LBB207_83
; %bb.82:
	v_add_co_u32 v88, vcc_lo, v20, v32
	v_add_co_ci_u32_e64 v89, null, v21, v33, vcc_lo
	flat_load_ushort v88, v[88:89]
	s_waitcnt vmcnt(0) lgkmcnt(0)
	v_mul_f16_e32 v88, v48, v88
	v_cvt_f32_f16_e32 v88, v88
.LBB207_83:
	v_pk_add_f16 v89, v8, v22
	v_pk_add_f16 v99, v9, v23
	v_max_f16_e32 v100, v98, v98
	v_lshrrev_b32_e32 v98, 16, v98
	v_max_f32_e32 v88, v88, v88
	v_lshrrev_b32_e32 v101, 16, v89
	v_lshrrev_b32_e32 v102, 16, v99
	v_min_f16_e32 v89, v100, v89
	v_min3_f16 v98, v98, v101, v102
	v_min3_f16 v89, v89, v99, v98
	v_add_co_u32 v98, vcc_lo, v46, v32
	v_add_co_ci_u32_e64 v99, null, v47, v33, vcc_lo
	v_cvt_f32_f16_e32 v89, v89
	s_and_b32 vcc_lo, exec_lo, s1
	v_min_f32_e32 v88, v88, v89
	v_mov_b32_e32 v89, 0
	v_cvt_f16_f32_e32 v100, v88
	v_mov_b32_e32 v88, 0
	flat_store_short v[98:99], v100
	s_cbranch_vccnz .LBB207_85
; %bb.84:
	v_add_co_u32 v98, vcc_lo, v20, v34
	v_add_co_ci_u32_e64 v99, null, v21, v35, vcc_lo
	flat_load_ushort v89, v[98:99]
	s_waitcnt vmcnt(0) lgkmcnt(0)
	v_mul_f16_e32 v89, v48, v89
	v_cvt_f32_f16_e32 v89, v89
.LBB207_85:
	v_pk_add_f16 v98, v10, v22
	v_pk_add_f16 v99, v11, v23
	v_max_f16_e32 v100, v97, v97
	v_lshrrev_b32_e32 v97, 16, v97
	v_max_f32_e32 v89, v89, v89
	v_lshrrev_b32_e32 v101, 16, v98
	v_lshrrev_b32_e32 v102, 16, v99
	v_min_f16_e32 v98, v100, v98
	v_min3_f16 v97, v97, v101, v102
	v_min3_f16 v97, v98, v99, v97
	v_cvt_f32_f16_e32 v97, v97
	v_min_f32_e32 v89, v89, v97
	v_add_co_u32 v97, vcc_lo, v46, v34
	v_add_co_ci_u32_e64 v98, null, v47, v35, vcc_lo
	v_cvt_f16_f32_e32 v89, v89
	s_and_b32 vcc_lo, exec_lo, s1
	flat_store_short v[97:98], v89
	s_cbranch_vccnz .LBB207_87
; %bb.86:
	v_add_co_u32 v88, vcc_lo, v20, v36
	v_add_co_ci_u32_e64 v89, null, v21, v37, vcc_lo
	flat_load_ushort v88, v[88:89]
	s_waitcnt vmcnt(0) lgkmcnt(0)
	v_mul_f16_e32 v88, v48, v88
	v_cvt_f32_f16_e32 v88, v88
.LBB207_87:
	v_pk_add_f16 v89, v4, v22
	v_pk_add_f16 v97, v5, v23
	v_max_f16_e32 v98, v96, v96
	v_lshrrev_b32_e32 v96, 16, v96
	v_max_f32_e32 v88, v88, v88
	v_lshrrev_b32_e32 v99, 16, v89
	v_lshrrev_b32_e32 v100, 16, v97
	v_min_f16_e32 v89, v98, v89
	v_min3_f16 v96, v96, v99, v100
	v_min3_f16 v89, v89, v97, v96
	v_add_co_u32 v96, vcc_lo, v46, v36
	v_add_co_ci_u32_e64 v97, null, v47, v37, vcc_lo
	v_cvt_f32_f16_e32 v89, v89
	s_and_b32 vcc_lo, exec_lo, s1
	v_min_f32_e32 v88, v88, v89
	v_mov_b32_e32 v89, 0
	v_cvt_f16_f32_e32 v98, v88
	v_mov_b32_e32 v88, 0
	flat_store_short v[96:97], v98
	s_cbranch_vccnz .LBB207_89
; %bb.88:
	v_add_co_u32 v96, vcc_lo, v20, v42
	v_add_co_ci_u32_e64 v97, null, v21, v43, vcc_lo
	flat_load_ushort v89, v[96:97]
	s_waitcnt vmcnt(0) lgkmcnt(0)
	v_mul_f16_e32 v89, v48, v89
	v_cvt_f32_f16_e32 v89, v89
.LBB207_89:
	v_pk_add_f16 v96, v6, v22
	v_pk_add_f16 v97, v7, v23
	v_max_f16_e32 v98, v95, v95
	v_lshrrev_b32_e32 v95, 16, v95
	v_max_f32_e32 v89, v89, v89
	v_lshrrev_b32_e32 v99, 16, v96
	v_lshrrev_b32_e32 v100, 16, v97
	v_min_f16_e32 v96, v98, v96
	v_min3_f16 v95, v95, v99, v100
	v_min3_f16 v95, v96, v97, v95
	v_cvt_f32_f16_e32 v95, v95
	v_min_f32_e32 v89, v89, v95
	v_add_co_u32 v95, vcc_lo, v46, v42
	v_add_co_ci_u32_e64 v96, null, v47, v43, vcc_lo
	v_cvt_f16_f32_e32 v89, v89
	;; [unrolled: 54-line block ×3, first 2 shown]
	s_and_b32 vcc_lo, exec_lo, s1
	flat_store_short v[93:94], v89
	s_cbranch_vccnz .LBB207_95
; %bb.94:
	v_add_co_u32 v20, vcc_lo, v20, v44
	v_add_co_ci_u32_e64 v21, null, v21, v45, vcc_lo
	flat_load_ushort v20, v[20:21]
	s_waitcnt vmcnt(0) lgkmcnt(0)
	v_mul_f16_e32 v20, v48, v20
	v_cvt_f32_f16_e32 v88, v20
.LBB207_95:
	v_pk_add_f16 v20, v24, v22
	v_pk_add_f16 v23, v25, v23
	v_max_f16_e32 v21, v92, v92
	v_lshrrev_b32_e32 v89, 16, v92
	v_add_nc_u32_e32 v22, 24, v86
	v_lshrrev_b32_e32 v92, 16, v20
	v_lshrrev_b32_e32 v93, 16, v23
	v_min_f16_e32 v94, v21, v20
	v_mad_i64_i32 v[20:21], null, v22, s6, 0
	v_min3_f16 v89, v89, v92, v93
	v_max_f32_e32 v92, v88, v88
	v_add_co_u32 v88, vcc_lo, v46, v44
	v_mov_b32_e32 v46, 0
	v_min3_f16 v23, v94, v23, v89
	v_lshlrev_b64 v[20:21], 1, v[20:21]
	v_add_co_ci_u32_e64 v89, null, v47, v45, vcc_lo
	v_cvt_f32_f16_e32 v23, v23
	v_add_co_u32 v20, vcc_lo, s8, v20
	v_add_co_ci_u32_e64 v21, null, s9, v21, vcc_lo
	v_min_f32_e32 v23, v92, v23
	s_and_b32 vcc_lo, exec_lo, s1
	v_cvt_f16_f32_e32 v47, v23
	v_mov_b32_e32 v23, 0
	flat_store_short v[88:89], v47
	s_cbranch_vccnz .LBB207_97
; %bb.96:
	v_add_co_u32 v88, vcc_lo, v20, v28
	v_add_co_ci_u32_e64 v89, null, v21, v29, vcc_lo
	flat_load_ushort v23, v[88:89]
	s_waitcnt vmcnt(0) lgkmcnt(0)
	v_mul_f16_e32 v23, v48, v23
	v_cvt_f32_f16_e32 v23, v23
.LBB207_97:
	v_pk_add_f16 v47, v30, v16
	v_pk_add_f16 v92, v31, v17
	v_max_f16_e32 v88, v91, v91
	v_lshrrev_b32_e32 v89, 16, v91
	v_lshrrev_b32_e32 v91, 16, v47
	;; [unrolled: 1-line block ×3, first 2 shown]
	v_min_f16_e32 v47, v88, v47
	v_min3_f16 v91, v89, v91, v93
	v_mad_i64_i32 v[88:89], null, v22, s3, 0
	v_min3_f16 v22, v47, v92, v91
	v_max_f32_e32 v47, v23, v23
	v_cvt_f32_f16_e32 v91, v22
	v_lshlrev_b64 v[22:23], 1, v[88:89]
	v_min_f32_e32 v47, v47, v91
	v_add_co_u32 v22, vcc_lo, s4, v22
	v_add_co_ci_u32_e64 v23, null, s5, v23, vcc_lo
	v_cvt_f16_f32_e32 v47, v47
	v_add_co_u32 v88, vcc_lo, v22, v28
	v_add_co_ci_u32_e64 v89, null, v23, v29, vcc_lo
	s_and_b32 vcc_lo, exec_lo, s1
	flat_store_short v[88:89], v47
	s_cbranch_vccnz .LBB207_99
; %bb.98:
	v_add_co_u32 v46, vcc_lo, v20, v32
	v_add_co_ci_u32_e64 v47, null, v21, v33, vcc_lo
	flat_load_ushort v46, v[46:47]
	s_waitcnt vmcnt(0) lgkmcnt(0)
	v_mul_f16_e32 v46, v48, v46
	v_cvt_f32_f16_e32 v46, v46
.LBB207_99:
	v_pk_add_f16 v47, v8, v16
	v_pk_add_f16 v88, v9, v17
	v_max_f16_e32 v89, v90, v90
	v_lshrrev_b32_e32 v90, 16, v90
	v_max_f32_e32 v46, v46, v46
	v_lshrrev_b32_e32 v91, 16, v47
	v_lshrrev_b32_e32 v92, 16, v88
	v_min_f16_e32 v47, v89, v47
	v_min3_f16 v89, v90, v91, v92
	v_min3_f16 v47, v47, v88, v89
	v_add_co_u32 v88, vcc_lo, v22, v32
	v_add_co_ci_u32_e64 v89, null, v23, v33, vcc_lo
	v_cvt_f32_f16_e32 v47, v47
	s_and_b32 vcc_lo, exec_lo, s1
	v_min_f32_e32 v46, v46, v47
	v_mov_b32_e32 v47, 0
	v_cvt_f16_f32_e32 v90, v46
	v_mov_b32_e32 v46, 0
	flat_store_short v[88:89], v90
	s_cbranch_vccnz .LBB207_101
; %bb.100:
	v_add_co_u32 v88, vcc_lo, v20, v34
	v_add_co_ci_u32_e64 v89, null, v21, v35, vcc_lo
	flat_load_ushort v47, v[88:89]
	s_waitcnt vmcnt(0) lgkmcnt(0)
	v_mul_f16_e32 v47, v48, v47
	v_cvt_f32_f16_e32 v47, v47
.LBB207_101:
	v_pk_add_f16 v88, v10, v16
	v_pk_add_f16 v89, v11, v17
	v_max_f16_e32 v90, v87, v87
	v_lshrrev_b32_e32 v87, 16, v87
	v_max_f32_e32 v47, v47, v47
	v_lshrrev_b32_e32 v91, 16, v88
	v_lshrrev_b32_e32 v92, 16, v89
	v_min_f16_e32 v88, v90, v88
	v_min3_f16 v87, v87, v91, v92
	v_min3_f16 v87, v88, v89, v87
	v_cvt_f32_f16_e32 v87, v87
	v_min_f32_e32 v47, v47, v87
	v_add_co_u32 v87, vcc_lo, v22, v34
	v_add_co_ci_u32_e64 v88, null, v23, v35, vcc_lo
	v_cvt_f16_f32_e32 v47, v47
	s_and_b32 vcc_lo, exec_lo, s1
	flat_store_short v[87:88], v47
	s_cbranch_vccnz .LBB207_103
; %bb.102:
	v_add_co_u32 v46, vcc_lo, v20, v36
	v_add_co_ci_u32_e64 v47, null, v21, v37, vcc_lo
	flat_load_ushort v46, v[46:47]
	s_waitcnt vmcnt(0) lgkmcnt(0)
	v_mul_f16_e32 v46, v48, v46
	v_cvt_f32_f16_e32 v46, v46
.LBB207_103:
	v_pk_add_f16 v47, v4, v16
	v_pk_add_f16 v87, v5, v17
	v_max_f16_e32 v88, v85, v85
	v_lshrrev_b32_e32 v85, 16, v85
	v_max_f32_e32 v46, v46, v46
	v_lshrrev_b32_e32 v89, 16, v47
	v_lshrrev_b32_e32 v90, 16, v87
	v_min_f16_e32 v47, v88, v47
	v_min3_f16 v85, v85, v89, v90
	v_min3_f16 v47, v47, v87, v85
	v_add_co_u32 v87, vcc_lo, v22, v36
	v_add_co_ci_u32_e64 v88, null, v23, v37, vcc_lo
	v_cvt_f32_f16_e32 v47, v47
	s_and_b32 vcc_lo, exec_lo, s1
	v_min_f32_e32 v46, v46, v47
	v_mov_b32_e32 v47, 0
	v_cvt_f16_f32_e32 v85, v46
	v_mov_b32_e32 v46, 0
	flat_store_short v[87:88], v85
	s_cbranch_vccnz .LBB207_105
; %bb.104:
	v_add_co_u32 v87, vcc_lo, v20, v42
	v_add_co_ci_u32_e64 v88, null, v21, v43, vcc_lo
	flat_load_ushort v47, v[87:88]
	s_waitcnt vmcnt(0) lgkmcnt(0)
	v_mul_f16_e32 v47, v48, v47
	v_cvt_f32_f16_e32 v47, v47
.LBB207_105:
	v_pk_add_f16 v85, v6, v16
	v_pk_add_f16 v87, v7, v17
	v_max_f16_e32 v88, v84, v84
	v_lshrrev_b32_e32 v84, 16, v84
	v_max_f32_e32 v47, v47, v47
	v_lshrrev_b32_e32 v89, 16, v85
	v_lshrrev_b32_e32 v90, 16, v87
	v_min_f16_e32 v85, v88, v85
	v_min3_f16 v84, v84, v89, v90
	v_min3_f16 v84, v85, v87, v84
	v_cvt_f32_f16_e32 v84, v84
	v_min_f32_e32 v47, v47, v84
	v_add_co_u32 v84, vcc_lo, v22, v42
	v_add_co_ci_u32_e64 v85, null, v23, v43, vcc_lo
	v_cvt_f16_f32_e32 v47, v47
	;; [unrolled: 54-line block ×3, first 2 shown]
	s_and_b32 vcc_lo, exec_lo, s1
	flat_store_short v[82:83], v47
	s_cbranch_vccnz .LBB207_111
; %bb.110:
	v_add_co_u32 v20, vcc_lo, v20, v44
	v_add_co_ci_u32_e64 v21, null, v21, v45, vcc_lo
	flat_load_ushort v20, v[20:21]
	s_waitcnt vmcnt(0) lgkmcnt(0)
	v_mul_f16_e32 v20, v48, v20
	v_cvt_f32_f16_e32 v46, v20
.LBB207_111:
	v_pk_add_f16 v16, v24, v16
	v_pk_add_f16 v21, v25, v17
	v_max_f16_e32 v17, v81, v81
	v_lshrrev_b32_e32 v47, 16, v81
	v_add_nc_u32_e32 v20, 32, v86
	v_lshrrev_b32_e32 v81, 16, v16
	v_lshrrev_b32_e32 v82, 16, v21
	v_min_f16_e32 v83, v17, v16
	v_mad_i64_i32 v[16:17], null, v20, s6, 0
	v_min3_f16 v47, v47, v81, v82
	v_max_f32_e32 v81, v46, v46
	v_add_co_u32 v46, vcc_lo, v22, v44
	v_mov_b32_e32 v22, 0
	v_min3_f16 v21, v83, v21, v47
	v_lshlrev_b64 v[16:17], 1, v[16:17]
	v_add_co_ci_u32_e64 v47, null, v23, v45, vcc_lo
	v_cvt_f32_f16_e32 v21, v21
	v_add_co_u32 v16, vcc_lo, s8, v16
	v_add_co_ci_u32_e64 v17, null, s9, v17, vcc_lo
	v_min_f32_e32 v21, v81, v21
	s_and_b32 vcc_lo, exec_lo, s1
	v_cvt_f16_f32_e32 v23, v21
	v_mov_b32_e32 v21, 0
	flat_store_short v[46:47], v23
	s_cbranch_vccnz .LBB207_113
; %bb.112:
	v_add_co_u32 v46, vcc_lo, v16, v28
	v_add_co_ci_u32_e64 v47, null, v17, v29, vcc_lo
	flat_load_ushort v21, v[46:47]
	s_waitcnt vmcnt(0) lgkmcnt(0)
	v_mul_f16_e32 v21, v48, v21
	v_cvt_f32_f16_e32 v21, v21
.LBB207_113:
	v_pk_add_f16 v23, v30, v18
	v_pk_add_f16 v81, v31, v19
	v_max_f16_e32 v46, v80, v80
	v_lshrrev_b32_e32 v47, 16, v80
	v_lshrrev_b32_e32 v80, 16, v23
	;; [unrolled: 1-line block ×3, first 2 shown]
	v_min_f16_e32 v23, v46, v23
	v_min3_f16 v80, v47, v80, v82
	v_mad_i64_i32 v[46:47], null, v20, s3, 0
	v_min3_f16 v20, v23, v81, v80
	v_max_f32_e32 v23, v21, v21
	v_cvt_f32_f16_e32 v80, v20
	v_lshlrev_b64 v[20:21], 1, v[46:47]
	v_min_f32_e32 v23, v23, v80
	v_add_co_u32 v20, vcc_lo, s4, v20
	v_add_co_ci_u32_e64 v21, null, s5, v21, vcc_lo
	v_cvt_f16_f32_e32 v23, v23
	v_add_co_u32 v46, vcc_lo, v20, v28
	v_add_co_ci_u32_e64 v47, null, v21, v29, vcc_lo
	s_and_b32 vcc_lo, exec_lo, s1
	flat_store_short v[46:47], v23
	s_cbranch_vccnz .LBB207_115
; %bb.114:
	v_add_co_u32 v22, vcc_lo, v16, v32
	v_add_co_ci_u32_e64 v23, null, v17, v33, vcc_lo
	flat_load_ushort v22, v[22:23]
	s_waitcnt vmcnt(0) lgkmcnt(0)
	v_mul_f16_e32 v22, v48, v22
	v_cvt_f32_f16_e32 v22, v22
.LBB207_115:
	v_pk_add_f16 v23, v8, v18
	v_pk_add_f16 v46, v9, v19
	v_max_f16_e32 v47, v79, v79
	v_lshrrev_b32_e32 v79, 16, v79
	v_max_f32_e32 v22, v22, v22
	v_lshrrev_b32_e32 v80, 16, v23
	v_lshrrev_b32_e32 v81, 16, v46
	v_min_f16_e32 v23, v47, v23
	v_min3_f16 v47, v79, v80, v81
	v_min3_f16 v23, v23, v46, v47
	v_add_co_u32 v46, vcc_lo, v20, v32
	v_add_co_ci_u32_e64 v47, null, v21, v33, vcc_lo
	v_cvt_f32_f16_e32 v23, v23
	s_and_b32 vcc_lo, exec_lo, s1
	v_min_f32_e32 v22, v22, v23
	v_mov_b32_e32 v23, 0
	v_cvt_f16_f32_e32 v79, v22
	v_mov_b32_e32 v22, 0
	flat_store_short v[46:47], v79
	s_cbranch_vccnz .LBB207_117
; %bb.116:
	v_add_co_u32 v46, vcc_lo, v16, v34
	v_add_co_ci_u32_e64 v47, null, v17, v35, vcc_lo
	flat_load_ushort v23, v[46:47]
	s_waitcnt vmcnt(0) lgkmcnt(0)
	v_mul_f16_e32 v23, v48, v23
	v_cvt_f32_f16_e32 v23, v23
.LBB207_117:
	v_pk_add_f16 v46, v10, v18
	v_pk_add_f16 v47, v11, v19
	v_max_f16_e32 v79, v78, v78
	v_lshrrev_b32_e32 v78, 16, v78
	v_max_f32_e32 v23, v23, v23
	v_lshrrev_b32_e32 v80, 16, v46
	v_lshrrev_b32_e32 v81, 16, v47
	v_min_f16_e32 v46, v79, v46
	v_min3_f16 v78, v78, v80, v81
	v_min3_f16 v46, v46, v47, v78
	v_cvt_f32_f16_e32 v46, v46
	v_min_f32_e32 v23, v23, v46
	v_add_co_u32 v46, vcc_lo, v20, v34
	v_add_co_ci_u32_e64 v47, null, v21, v35, vcc_lo
	v_cvt_f16_f32_e32 v23, v23
	s_and_b32 vcc_lo, exec_lo, s1
	flat_store_short v[46:47], v23
	s_cbranch_vccnz .LBB207_119
; %bb.118:
	v_add_co_u32 v22, vcc_lo, v16, v36
	v_add_co_ci_u32_e64 v23, null, v17, v37, vcc_lo
	flat_load_ushort v22, v[22:23]
	s_waitcnt vmcnt(0) lgkmcnt(0)
	v_mul_f16_e32 v22, v48, v22
	v_cvt_f32_f16_e32 v22, v22
.LBB207_119:
	v_pk_add_f16 v23, v4, v18
	v_pk_add_f16 v46, v5, v19
	v_max_f16_e32 v47, v77, v77
	v_lshrrev_b32_e32 v77, 16, v77
	v_max_f32_e32 v22, v22, v22
	v_lshrrev_b32_e32 v78, 16, v23
	v_lshrrev_b32_e32 v79, 16, v46
	v_min_f16_e32 v23, v47, v23
	v_min3_f16 v47, v77, v78, v79
	v_min3_f16 v23, v23, v46, v47
	v_add_co_u32 v46, vcc_lo, v20, v36
	v_add_co_ci_u32_e64 v47, null, v21, v37, vcc_lo
	v_cvt_f32_f16_e32 v23, v23
	s_and_b32 vcc_lo, exec_lo, s1
	v_min_f32_e32 v22, v22, v23
	v_mov_b32_e32 v23, 0
	v_cvt_f16_f32_e32 v77, v22
	v_mov_b32_e32 v22, 0
	flat_store_short v[46:47], v77
	s_cbranch_vccnz .LBB207_121
; %bb.120:
	v_add_co_u32 v46, vcc_lo, v16, v42
	v_add_co_ci_u32_e64 v47, null, v17, v43, vcc_lo
	flat_load_ushort v23, v[46:47]
	s_waitcnt vmcnt(0) lgkmcnt(0)
	v_mul_f16_e32 v23, v48, v23
	v_cvt_f32_f16_e32 v23, v23
.LBB207_121:
	v_pk_add_f16 v46, v6, v18
	v_pk_add_f16 v47, v7, v19
	v_max_f16_e32 v77, v76, v76
	v_lshrrev_b32_e32 v76, 16, v76
	v_max_f32_e32 v23, v23, v23
	v_lshrrev_b32_e32 v78, 16, v46
	v_lshrrev_b32_e32 v79, 16, v47
	v_min_f16_e32 v46, v77, v46
	v_min3_f16 v76, v76, v78, v79
	v_min3_f16 v46, v46, v47, v76
	v_cvt_f32_f16_e32 v46, v46
	v_min_f32_e32 v23, v23, v46
	v_add_co_u32 v46, vcc_lo, v20, v42
	v_add_co_ci_u32_e64 v47, null, v21, v43, vcc_lo
	v_cvt_f16_f32_e32 v23, v23
	;; [unrolled: 54-line block ×3, first 2 shown]
	s_and_b32 vcc_lo, exec_lo, s1
	flat_store_short v[46:47], v23
	s_cbranch_vccnz .LBB207_127
; %bb.126:
	v_add_co_u32 v16, vcc_lo, v16, v44
	v_add_co_ci_u32_e64 v17, null, v17, v45, vcc_lo
	flat_load_ushort v16, v[16:17]
	s_waitcnt vmcnt(0) lgkmcnt(0)
	v_mul_f16_e32 v16, v48, v16
	v_cvt_f32_f16_e32 v22, v16
.LBB207_127:
	v_pk_add_f16 v16, v24, v18
	v_pk_add_f16 v19, v25, v19
	v_max_f16_e32 v17, v73, v73
	v_lshrrev_b32_e32 v23, 16, v73
	v_add_nc_u32_e32 v18, 40, v86
	v_lshrrev_b32_e32 v46, 16, v16
	v_lshrrev_b32_e32 v47, 16, v19
	v_min_f16_e32 v73, v17, v16
	v_mad_i64_i32 v[16:17], null, v18, s6, 0
	v_min3_f16 v23, v23, v46, v47
	v_max_f32_e32 v46, v22, v22
	v_add_co_u32 v22, vcc_lo, v20, v44
	v_mov_b32_e32 v20, 0
	v_min3_f16 v19, v73, v19, v23
	v_lshlrev_b64 v[16:17], 1, v[16:17]
	v_add_co_ci_u32_e64 v23, null, v21, v45, vcc_lo
	v_cvt_f32_f16_e32 v19, v19
	v_add_co_u32 v16, vcc_lo, s8, v16
	v_add_co_ci_u32_e64 v17, null, s9, v17, vcc_lo
	v_min_f32_e32 v19, v46, v19
	s_and_b32 vcc_lo, exec_lo, s1
	v_cvt_f16_f32_e32 v21, v19
	v_mov_b32_e32 v19, 0
	flat_store_short v[22:23], v21
	s_cbranch_vccnz .LBB207_129
; %bb.128:
	v_add_co_u32 v21, vcc_lo, v16, v28
	v_add_co_ci_u32_e64 v22, null, v17, v29, vcc_lo
	flat_load_ushort v19, v[21:22]
	s_waitcnt vmcnt(0) lgkmcnt(0)
	v_mul_f16_e32 v19, v48, v19
	v_cvt_f32_f16_e32 v19, v19
.LBB207_129:
	v_pk_add_f16 v21, v30, v12
	v_pk_add_f16 v23, v31, v13
	v_max_f16_e32 v22, v72, v72
	v_lshrrev_b32_e32 v46, 16, v72
	v_lshrrev_b32_e32 v47, 16, v21
	;; [unrolled: 1-line block ×3, first 2 shown]
	v_min_f16_e32 v73, v22, v21
	v_mad_i64_i32 v[21:22], null, v18, s3, 0
	v_min3_f16 v46, v46, v47, v72
	v_min3_f16 v18, v73, v23, v46
	v_max_f32_e32 v23, v19, v19
	v_cvt_f32_f16_e32 v46, v18
	v_lshlrev_b64 v[18:19], 1, v[21:22]
	v_min_f32_e32 v21, v23, v46
	v_add_co_u32 v18, vcc_lo, s4, v18
	v_add_co_ci_u32_e64 v19, null, s5, v19, vcc_lo
	v_cvt_f16_f32_e32 v23, v21
	v_add_co_u32 v21, vcc_lo, v18, v28
	v_add_co_ci_u32_e64 v22, null, v19, v29, vcc_lo
	s_and_b32 vcc_lo, exec_lo, s1
	flat_store_short v[21:22], v23
	s_cbranch_vccnz .LBB207_131
; %bb.130:
	v_add_co_u32 v20, vcc_lo, v16, v32
	v_add_co_ci_u32_e64 v21, null, v17, v33, vcc_lo
	flat_load_ushort v20, v[20:21]
	s_waitcnt vmcnt(0) lgkmcnt(0)
	v_mul_f16_e32 v20, v48, v20
	v_cvt_f32_f16_e32 v20, v20
.LBB207_131:
	v_pk_add_f16 v21, v8, v12
	v_pk_add_f16 v22, v9, v13
	v_max_f16_e32 v23, v71, v71
	v_lshrrev_b32_e32 v46, 16, v71
	v_max_f32_e32 v20, v20, v20
	v_lshrrev_b32_e32 v47, 16, v21
	v_lshrrev_b32_e32 v71, 16, v22
	v_min_f16_e32 v21, v23, v21
	v_min3_f16 v23, v46, v47, v71
	v_min3_f16 v21, v21, v22, v23
	v_add_co_u32 v22, vcc_lo, v18, v32
	v_add_co_ci_u32_e64 v23, null, v19, v33, vcc_lo
	v_cvt_f32_f16_e32 v21, v21
	s_and_b32 vcc_lo, exec_lo, s1
	v_min_f32_e32 v20, v20, v21
	v_mov_b32_e32 v21, 0
	v_cvt_f16_f32_e32 v46, v20
	v_mov_b32_e32 v20, 0
	flat_store_short v[22:23], v46
	s_cbranch_vccnz .LBB207_133
; %bb.132:
	v_add_co_u32 v21, vcc_lo, v16, v34
	v_add_co_ci_u32_e64 v22, null, v17, v35, vcc_lo
	flat_load_ushort v21, v[21:22]
	s_waitcnt vmcnt(0) lgkmcnt(0)
	v_mul_f16_e32 v21, v48, v21
	v_cvt_f32_f16_e32 v21, v21
.LBB207_133:
	v_pk_add_f16 v22, v10, v12
	v_pk_add_f16 v23, v11, v13
	v_max_f16_e32 v46, v70, v70
	v_lshrrev_b32_e32 v47, 16, v70
	v_max_f32_e32 v21, v21, v21
	v_lshrrev_b32_e32 v70, 16, v22
	v_lshrrev_b32_e32 v71, 16, v23
	v_min_f16_e32 v22, v46, v22
	v_min3_f16 v46, v47, v70, v71
	v_min3_f16 v22, v22, v23, v46
	v_cvt_f32_f16_e32 v22, v22
	v_min_f32_e32 v21, v21, v22
	v_cvt_f16_f32_e32 v23, v21
	v_add_co_u32 v21, vcc_lo, v18, v34
	v_add_co_ci_u32_e64 v22, null, v19, v35, vcc_lo
	s_and_b32 vcc_lo, exec_lo, s1
	flat_store_short v[21:22], v23
	s_cbranch_vccnz .LBB207_135
; %bb.134:
	v_add_co_u32 v20, vcc_lo, v16, v36
	v_add_co_ci_u32_e64 v21, null, v17, v37, vcc_lo
	flat_load_ushort v20, v[20:21]
	s_waitcnt vmcnt(0) lgkmcnt(0)
	v_mul_f16_e32 v20, v48, v20
	v_cvt_f32_f16_e32 v20, v20
.LBB207_135:
	v_pk_add_f16 v21, v4, v12
	v_pk_add_f16 v22, v5, v13
	v_max_f16_e32 v23, v69, v69
	v_lshrrev_b32_e32 v46, 16, v69
	v_max_f32_e32 v20, v20, v20
	v_lshrrev_b32_e32 v47, 16, v21
	v_lshrrev_b32_e32 v69, 16, v22
	v_min_f16_e32 v21, v23, v21
	v_min3_f16 v23, v46, v47, v69
	v_min3_f16 v21, v21, v22, v23
	v_add_co_u32 v22, vcc_lo, v18, v36
	v_add_co_ci_u32_e64 v23, null, v19, v37, vcc_lo
	v_cvt_f32_f16_e32 v21, v21
	s_and_b32 vcc_lo, exec_lo, s1
	v_min_f32_e32 v20, v20, v21
	v_mov_b32_e32 v21, 0
	v_cvt_f16_f32_e32 v46, v20
	v_mov_b32_e32 v20, 0
	flat_store_short v[22:23], v46
	s_cbranch_vccnz .LBB207_137
; %bb.136:
	v_add_co_u32 v21, vcc_lo, v16, v42
	v_add_co_ci_u32_e64 v22, null, v17, v43, vcc_lo
	flat_load_ushort v21, v[21:22]
	s_waitcnt vmcnt(0) lgkmcnt(0)
	v_mul_f16_e32 v21, v48, v21
	v_cvt_f32_f16_e32 v21, v21
.LBB207_137:
	v_pk_add_f16 v22, v6, v12
	v_pk_add_f16 v23, v7, v13
	v_max_f16_e32 v46, v68, v68
	v_lshrrev_b32_e32 v47, 16, v68
	v_max_f32_e32 v21, v21, v21
	v_lshrrev_b32_e32 v68, 16, v22
	v_lshrrev_b32_e32 v69, 16, v23
	v_min_f16_e32 v22, v46, v22
	v_min3_f16 v46, v47, v68, v69
	v_min3_f16 v22, v22, v23, v46
	v_cvt_f32_f16_e32 v22, v22
	v_min_f32_e32 v21, v21, v22
	;; [unrolled: 54-line block ×3, first 2 shown]
	v_cvt_f16_f32_e32 v23, v21
	v_add_co_u32 v21, vcc_lo, v18, v38
	v_add_co_ci_u32_e64 v22, null, v19, v39, vcc_lo
	s_and_b32 vcc_lo, exec_lo, s1
	flat_store_short v[21:22], v23
	s_cbranch_vccnz .LBB207_143
; %bb.142:
	v_add_co_u32 v16, vcc_lo, v16, v44
	v_add_co_ci_u32_e64 v17, null, v17, v45, vcc_lo
	flat_load_ushort v16, v[16:17]
	s_waitcnt vmcnt(0) lgkmcnt(0)
	v_mul_f16_e32 v16, v48, v16
	v_cvt_f32_f16_e32 v20, v16
.LBB207_143:
	v_pk_add_f16 v12, v24, v12
	v_pk_add_f16 v17, v25, v13
	v_max_f16_e32 v13, v65, v65
	v_lshrrev_b32_e32 v21, 16, v65
	v_add_nc_u32_e32 v16, 48, v86
	v_lshrrev_b32_e32 v22, 16, v12
	v_lshrrev_b32_e32 v23, 16, v17
	v_min_f16_e32 v46, v13, v12
	v_mad_i64_i32 v[12:13], null, v16, s6, 0
	v_min3_f16 v21, v21, v22, v23
	v_max_f32_e32 v22, v20, v20
	v_add_co_u32 v20, vcc_lo, v18, v44
	v_mov_b32_e32 v18, 0
	v_min3_f16 v17, v46, v17, v21
	v_lshlrev_b64 v[12:13], 1, v[12:13]
	v_add_co_ci_u32_e64 v21, null, v19, v45, vcc_lo
	v_cvt_f32_f16_e32 v17, v17
	v_add_co_u32 v12, vcc_lo, s8, v12
	v_add_co_ci_u32_e64 v13, null, s9, v13, vcc_lo
	v_min_f32_e32 v17, v22, v17
	s_and_b32 vcc_lo, exec_lo, s1
	v_cvt_f16_f32_e32 v19, v17
	v_mov_b32_e32 v17, 0
	flat_store_short v[20:21], v19
	s_cbranch_vccnz .LBB207_145
; %bb.144:
	v_add_co_u32 v19, vcc_lo, v12, v28
	v_add_co_ci_u32_e64 v20, null, v13, v29, vcc_lo
	flat_load_ushort v17, v[19:20]
	s_waitcnt vmcnt(0) lgkmcnt(0)
	v_mul_f16_e32 v17, v48, v17
	v_cvt_f32_f16_e32 v17, v17
.LBB207_145:
	v_pk_add_f16 v19, v30, v14
	v_pk_add_f16 v21, v31, v15
	v_max_f16_e32 v20, v64, v64
	v_lshrrev_b32_e32 v22, 16, v64
	v_lshrrev_b32_e32 v23, 16, v19
	;; [unrolled: 1-line block ×3, first 2 shown]
	v_min_f16_e32 v47, v20, v19
	v_mad_i64_i32 v[19:20], null, v16, s3, 0
	v_min3_f16 v22, v22, v23, v46
	v_min3_f16 v16, v47, v21, v22
	v_max_f32_e32 v21, v17, v17
	v_cvt_f32_f16_e32 v22, v16
	v_lshlrev_b64 v[16:17], 1, v[19:20]
	v_min_f32_e32 v19, v21, v22
	v_add_co_u32 v16, vcc_lo, s4, v16
	v_add_co_ci_u32_e64 v17, null, s5, v17, vcc_lo
	v_cvt_f16_f32_e32 v21, v19
	v_add_co_u32 v19, vcc_lo, v16, v28
	v_add_co_ci_u32_e64 v20, null, v17, v29, vcc_lo
	s_and_b32 vcc_lo, exec_lo, s1
	flat_store_short v[19:20], v21
	s_cbranch_vccnz .LBB207_147
; %bb.146:
	v_add_co_u32 v18, vcc_lo, v12, v32
	v_add_co_ci_u32_e64 v19, null, v13, v33, vcc_lo
	flat_load_ushort v18, v[18:19]
	s_waitcnt vmcnt(0) lgkmcnt(0)
	v_mul_f16_e32 v18, v48, v18
	v_cvt_f32_f16_e32 v18, v18
.LBB207_147:
	v_pk_add_f16 v19, v8, v14
	v_pk_add_f16 v20, v9, v15
	v_max_f16_e32 v21, v63, v63
	v_lshrrev_b32_e32 v22, 16, v63
	v_max_f32_e32 v18, v18, v18
	v_lshrrev_b32_e32 v23, 16, v19
	v_lshrrev_b32_e32 v46, 16, v20
	v_min_f16_e32 v19, v21, v19
	v_min3_f16 v21, v22, v23, v46
	v_min3_f16 v19, v19, v20, v21
	v_add_co_u32 v20, vcc_lo, v16, v32
	v_add_co_ci_u32_e64 v21, null, v17, v33, vcc_lo
	v_cvt_f32_f16_e32 v19, v19
	s_and_b32 vcc_lo, exec_lo, s1
	v_min_f32_e32 v18, v18, v19
	v_mov_b32_e32 v19, 0
	v_cvt_f16_f32_e32 v22, v18
	v_mov_b32_e32 v18, 0
	flat_store_short v[20:21], v22
	s_cbranch_vccnz .LBB207_149
; %bb.148:
	v_add_co_u32 v19, vcc_lo, v12, v34
	v_add_co_ci_u32_e64 v20, null, v13, v35, vcc_lo
	flat_load_ushort v19, v[19:20]
	s_waitcnt vmcnt(0) lgkmcnt(0)
	v_mul_f16_e32 v19, v48, v19
	v_cvt_f32_f16_e32 v19, v19
.LBB207_149:
	v_pk_add_f16 v20, v10, v14
	v_pk_add_f16 v21, v11, v15
	v_max_f16_e32 v22, v62, v62
	v_lshrrev_b32_e32 v23, 16, v62
	v_max_f32_e32 v19, v19, v19
	v_lshrrev_b32_e32 v46, 16, v20
	v_lshrrev_b32_e32 v47, 16, v21
	v_min_f16_e32 v20, v22, v20
	v_min3_f16 v22, v23, v46, v47
	v_min3_f16 v20, v20, v21, v22
	v_cvt_f32_f16_e32 v20, v20
	v_min_f32_e32 v19, v19, v20
	v_cvt_f16_f32_e32 v21, v19
	v_add_co_u32 v19, vcc_lo, v16, v34
	v_add_co_ci_u32_e64 v20, null, v17, v35, vcc_lo
	s_and_b32 vcc_lo, exec_lo, s1
	flat_store_short v[19:20], v21
	s_cbranch_vccnz .LBB207_151
; %bb.150:
	v_add_co_u32 v18, vcc_lo, v12, v36
	v_add_co_ci_u32_e64 v19, null, v13, v37, vcc_lo
	flat_load_ushort v18, v[18:19]
	s_waitcnt vmcnt(0) lgkmcnt(0)
	v_mul_f16_e32 v18, v48, v18
	v_cvt_f32_f16_e32 v18, v18
.LBB207_151:
	v_pk_add_f16 v19, v4, v14
	v_pk_add_f16 v20, v5, v15
	v_max_f16_e32 v21, v61, v61
	v_lshrrev_b32_e32 v22, 16, v61
	v_max_f32_e32 v18, v18, v18
	v_lshrrev_b32_e32 v23, 16, v19
	v_lshrrev_b32_e32 v46, 16, v20
	v_min_f16_e32 v19, v21, v19
	v_min3_f16 v21, v22, v23, v46
	v_min3_f16 v19, v19, v20, v21
	v_add_co_u32 v20, vcc_lo, v16, v36
	v_add_co_ci_u32_e64 v21, null, v17, v37, vcc_lo
	v_cvt_f32_f16_e32 v19, v19
	s_and_b32 vcc_lo, exec_lo, s1
	v_min_f32_e32 v18, v18, v19
	v_mov_b32_e32 v19, 0
	v_cvt_f16_f32_e32 v22, v18
	v_mov_b32_e32 v18, 0
	flat_store_short v[20:21], v22
	s_cbranch_vccnz .LBB207_153
; %bb.152:
	v_add_co_u32 v19, vcc_lo, v12, v42
	v_add_co_ci_u32_e64 v20, null, v13, v43, vcc_lo
	flat_load_ushort v19, v[19:20]
	s_waitcnt vmcnt(0) lgkmcnt(0)
	v_mul_f16_e32 v19, v48, v19
	v_cvt_f32_f16_e32 v19, v19
.LBB207_153:
	v_pk_add_f16 v20, v6, v14
	v_pk_add_f16 v21, v7, v15
	v_max_f16_e32 v22, v60, v60
	v_lshrrev_b32_e32 v23, 16, v60
	v_max_f32_e32 v19, v19, v19
	v_lshrrev_b32_e32 v46, 16, v20
	v_lshrrev_b32_e32 v47, 16, v21
	v_min_f16_e32 v20, v22, v20
	v_min3_f16 v22, v23, v46, v47
	v_min3_f16 v20, v20, v21, v22
	v_cvt_f32_f16_e32 v20, v20
	v_min_f32_e32 v19, v19, v20
	;; [unrolled: 54-line block ×3, first 2 shown]
	v_cvt_f16_f32_e32 v21, v19
	v_add_co_u32 v19, vcc_lo, v16, v38
	v_add_co_ci_u32_e64 v20, null, v17, v39, vcc_lo
	s_and_b32 vcc_lo, exec_lo, s1
	flat_store_short v[19:20], v21
	s_cbranch_vccnz .LBB207_159
; %bb.158:
	v_add_co_u32 v12, vcc_lo, v12, v44
	v_add_co_ci_u32_e64 v13, null, v13, v45, vcc_lo
	flat_load_ushort v12, v[12:13]
	s_waitcnt vmcnt(0) lgkmcnt(0)
	v_mul_f16_e32 v12, v48, v12
	v_cvt_f32_f16_e32 v18, v12
.LBB207_159:
	v_pk_add_f16 v12, v24, v14
	v_pk_add_f16 v15, v25, v15
	v_max_f16_e32 v13, v57, v57
	v_lshrrev_b32_e32 v19, 16, v57
	v_add_nc_u32_e32 v14, 56, v86
	v_lshrrev_b32_e32 v20, 16, v12
	v_lshrrev_b32_e32 v21, 16, v15
	v_min_f16_e32 v22, v13, v12
	v_mad_i64_i32 v[12:13], null, v14, s6, 0
	v_min3_f16 v19, v19, v20, v21
	v_max_f32_e32 v20, v18, v18
	v_add_co_u32 v18, vcc_lo, v16, v44
	v_mov_b32_e32 v16, 0
	v_min3_f16 v15, v22, v15, v19
	v_lshlrev_b64 v[12:13], 1, v[12:13]
	v_add_co_ci_u32_e64 v19, null, v17, v45, vcc_lo
	v_cvt_f32_f16_e32 v15, v15
	v_add_co_u32 v12, vcc_lo, s8, v12
	v_add_co_ci_u32_e64 v13, null, s9, v13, vcc_lo
	v_min_f32_e32 v15, v20, v15
	s_and_b32 vcc_lo, exec_lo, s1
	v_cvt_f16_f32_e32 v17, v15
	v_mov_b32_e32 v15, 0
	flat_store_short v[18:19], v17
	s_cbranch_vccnz .LBB207_161
; %bb.160:
	v_add_co_u32 v17, vcc_lo, v12, v28
	v_add_co_ci_u32_e64 v18, null, v13, v29, vcc_lo
	flat_load_ushort v15, v[17:18]
	s_waitcnt vmcnt(0) lgkmcnt(0)
	v_mul_f16_e32 v15, v48, v15
	v_cvt_f32_f16_e32 v15, v15
.LBB207_161:
	v_pk_add_f16 v17, v30, v26
	v_pk_add_f16 v19, v31, v27
	v_max_f16_e32 v18, v56, v56
	v_lshrrev_b32_e32 v20, 16, v56
	v_lshrrev_b32_e32 v21, 16, v17
	;; [unrolled: 1-line block ×3, first 2 shown]
	v_min_f16_e32 v23, v18, v17
	v_mad_i64_i32 v[17:18], null, v14, s3, 0
	v_min3_f16 v20, v20, v21, v22
	v_min3_f16 v14, v23, v19, v20
	v_max_f32_e32 v19, v15, v15
	v_cvt_f32_f16_e32 v20, v14
	v_lshlrev_b64 v[14:15], 1, v[17:18]
	v_min_f32_e32 v17, v19, v20
	v_add_co_u32 v14, vcc_lo, s4, v14
	v_add_co_ci_u32_e64 v15, null, s5, v15, vcc_lo
	v_cvt_f16_f32_e32 v19, v17
	v_add_co_u32 v17, vcc_lo, v14, v28
	v_add_co_ci_u32_e64 v18, null, v15, v29, vcc_lo
	s_and_b32 vcc_lo, exec_lo, s1
	flat_store_short v[17:18], v19
	s_cbranch_vccnz .LBB207_163
; %bb.162:
	v_add_co_u32 v16, vcc_lo, v12, v32
	v_add_co_ci_u32_e64 v17, null, v13, v33, vcc_lo
	flat_load_ushort v16, v[16:17]
	s_waitcnt vmcnt(0) lgkmcnt(0)
	v_mul_f16_e32 v16, v48, v16
	v_cvt_f32_f16_e32 v16, v16
.LBB207_163:
	v_pk_add_f16 v8, v8, v26
	v_pk_add_f16 v9, v9, v27
	v_max_f16_e32 v17, v55, v55
	v_lshrrev_b32_e32 v18, 16, v55
	v_lshrrev_b32_e32 v19, 16, v8
	;; [unrolled: 1-line block ×3, first 2 shown]
	v_min_f16_e32 v8, v17, v8
	v_min3_f16 v17, v18, v19, v20
	v_min3_f16 v8, v8, v9, v17
	v_max_f32_e32 v9, v16, v16
	v_add_co_u32 v16, vcc_lo, v14, v32
	v_add_co_ci_u32_e64 v17, null, v15, v33, vcc_lo
	v_cvt_f32_f16_e32 v8, v8
	s_and_b32 vcc_lo, exec_lo, s1
	v_min_f32_e32 v8, v9, v8
	v_mov_b32_e32 v9, 0
	v_cvt_f16_f32_e32 v18, v8
	v_mov_b32_e32 v8, 0
	flat_store_short v[16:17], v18
	s_cbranch_vccnz .LBB207_165
; %bb.164:
	v_add_co_u32 v16, vcc_lo, v12, v34
	v_add_co_ci_u32_e64 v17, null, v13, v35, vcc_lo
	flat_load_ushort v9, v[16:17]
	s_waitcnt vmcnt(0) lgkmcnt(0)
	v_mul_f16_e32 v9, v48, v9
	v_cvt_f32_f16_e32 v9, v9
.LBB207_165:
	v_pk_add_f16 v10, v10, v26
	v_pk_add_f16 v11, v11, v27
	v_max_f16_e32 v16, v54, v54
	v_lshrrev_b32_e32 v17, 16, v54
	v_max_f32_e32 v9, v9, v9
	v_lshrrev_b32_e32 v18, 16, v10
	v_lshrrev_b32_e32 v19, 16, v11
	v_min_f16_e32 v10, v16, v10
	v_min3_f16 v16, v17, v18, v19
	v_min3_f16 v10, v10, v11, v16
	v_cvt_f32_f16_e32 v10, v10
	v_min_f32_e32 v9, v9, v10
	v_cvt_f16_f32_e32 v11, v9
	v_add_co_u32 v9, vcc_lo, v14, v34
	v_add_co_ci_u32_e64 v10, null, v15, v35, vcc_lo
	s_and_b32 vcc_lo, exec_lo, s1
	flat_store_short v[9:10], v11
	s_cbranch_vccnz .LBB207_167
; %bb.166:
	v_add_co_u32 v8, vcc_lo, v12, v36
	v_add_co_ci_u32_e64 v9, null, v13, v37, vcc_lo
	flat_load_ushort v8, v[8:9]
	s_waitcnt vmcnt(0) lgkmcnt(0)
	v_mul_f16_e32 v8, v48, v8
	v_cvt_f32_f16_e32 v8, v8
.LBB207_167:
	v_pk_add_f16 v4, v4, v26
	v_pk_add_f16 v5, v5, v27
	v_max_f16_e32 v9, v53, v53
	v_lshrrev_b32_e32 v10, 16, v53
	v_lshrrev_b32_e32 v11, 16, v4
	;; [unrolled: 1-line block ×3, first 2 shown]
	v_min_f16_e32 v4, v9, v4
	v_min3_f16 v9, v10, v11, v16
	v_min3_f16 v4, v4, v5, v9
	v_max_f32_e32 v5, v8, v8
	v_add_co_u32 v8, vcc_lo, v14, v36
	v_add_co_ci_u32_e64 v9, null, v15, v37, vcc_lo
	v_cvt_f32_f16_e32 v4, v4
	s_and_b32 vcc_lo, exec_lo, s1
	v_min_f32_e32 v4, v5, v4
	v_mov_b32_e32 v5, 0
	v_cvt_f16_f32_e32 v10, v4
	v_mov_b32_e32 v4, 0
	flat_store_short v[8:9], v10
	s_cbranch_vccnz .LBB207_169
; %bb.168:
	v_add_co_u32 v8, vcc_lo, v12, v42
	v_add_co_ci_u32_e64 v9, null, v13, v43, vcc_lo
	flat_load_ushort v5, v[8:9]
	s_waitcnt vmcnt(0) lgkmcnt(0)
	v_mul_f16_e32 v5, v48, v5
	v_cvt_f32_f16_e32 v5, v5
.LBB207_169:
	v_pk_add_f16 v6, v6, v26
	v_pk_add_f16 v7, v7, v27
	v_max_f16_e32 v8, v52, v52
	v_lshrrev_b32_e32 v9, 16, v52
	v_max_f32_e32 v5, v5, v5
	v_lshrrev_b32_e32 v10, 16, v6
	v_lshrrev_b32_e32 v11, 16, v7
	v_min_f16_e32 v6, v8, v6
	v_min3_f16 v8, v9, v10, v11
	v_min3_f16 v6, v6, v7, v8
	v_cvt_f32_f16_e32 v6, v6
	v_min_f32_e32 v5, v5, v6
	v_cvt_f16_f32_e32 v7, v5
	v_add_co_u32 v5, vcc_lo, v14, v42
	v_add_co_ci_u32_e64 v6, null, v15, v43, vcc_lo
	s_and_b32 vcc_lo, exec_lo, s1
	flat_store_short v[5:6], v7
	s_cbranch_vccnz .LBB207_171
; %bb.170:
	v_add_co_u32 v4, vcc_lo, v12, v40
	v_add_co_ci_u32_e64 v5, null, v13, v41, vcc_lo
	flat_load_ushort v4, v[4:5]
	s_waitcnt vmcnt(0) lgkmcnt(0)
	v_mul_f16_e32 v4, v48, v4
	v_cvt_f32_f16_e32 v4, v4
.LBB207_171:
	v_pk_add_f16 v0, v0, v26
	v_pk_add_f16 v1, v1, v27
	v_max_f16_e32 v5, v51, v51
	v_lshrrev_b32_e32 v6, 16, v51
	v_pk_add_f16 v3, v3, v27
	v_lshrrev_b32_e32 v7, 16, v0
	v_lshrrev_b32_e32 v8, 16, v1
	v_min_f16_e32 v0, v5, v0
	s_mov_b32 s1, -1
	v_min3_f16 v5, v6, v7, v8
	v_lshrrev_b32_e32 v6, 16, v50
	v_lshrrev_b32_e32 v8, 16, v3
	v_min3_f16 v0, v0, v1, v5
	v_pk_add_f16 v5, v2, v26
	v_max_f32_e32 v1, v4, v4
	v_max_f16_e32 v4, v50, v50
	v_cvt_f32_f16_e32 v0, v0
	v_lshrrev_b32_e32 v7, 16, v5
	v_min_f16_e32 v4, v4, v5
	v_min_f32_e32 v0, v1, v0
	v_min3_f16 v5, v6, v7, v8
	v_add_co_u32 v1, vcc_lo, v14, v40
	v_add_co_ci_u32_e64 v2, null, v15, v41, vcc_lo
	v_cvt_f16_f32_e32 v6, v0
	v_min3_f16 v0, v4, v3, v5
	s_mov_b32 vcc_lo, s0
	flat_store_short v[1:2], v6
	s_cbranch_vccz .LBB207_173
; %bb.172:
	v_cvt_f32_f16_e32 v1, v0
	s_mov_b32 s1, 0
	v_min_f32_e32 v1, 0, v1
	v_cvt_f16_f32_e32 v3, v1
	v_add_co_u32 v1, vcc_lo, v14, v38
	v_add_co_ci_u32_e64 v2, null, v15, v39, vcc_lo
	flat_store_short v[1:2], v3
.LBB207_173:
	v_mov_b32_e32 v1, 0
	s_andn2_b32 vcc_lo, exec_lo, s1
	s_cbranch_vccnz .LBB207_175
; %bb.174:
	v_add_co_u32 v1, vcc_lo, v12, v38
	v_add_co_ci_u32_e64 v2, null, v13, v39, vcc_lo
	flat_load_ushort v1, v[1:2]
	v_max_f16_e32 v2, v0, v0
	v_add_co_u32 v0, vcc_lo, v14, v38
	s_waitcnt vmcnt(0) lgkmcnt(0)
	v_mul_f16_e32 v3, v48, v1
	v_add_co_ci_u32_e64 v1, null, v15, v39, vcc_lo
	v_min_f16_e32 v4, v3, v2
	v_add_co_u32 v2, vcc_lo, v12, v44
	v_add_co_ci_u32_e64 v3, null, v13, v45, vcc_lo
	flat_store_short v[0:1], v4
	flat_load_ushort v0, v[2:3]
	s_waitcnt vmcnt(0) lgkmcnt(0)
	v_mul_f16_e32 v0, v48, v0
	v_cvt_f32_f16_e32 v1, v0
.LBB207_175:
	v_pk_add_f16 v0, v24, v26
	v_pk_add_f16 v2, v25, v27
	v_max_f16_e32 v3, v49, v49
	v_lshrrev_b32_e32 v4, 16, v49
	v_max_f32_e32 v1, v1, v1
	v_lshrrev_b32_e32 v5, 16, v0
	v_lshrrev_b32_e32 v6, 16, v2
	v_min_f16_e32 v0, v3, v0
	v_min3_f16 v3, v4, v5, v6
	v_min3_f16 v0, v0, v2, v3
	v_cvt_f32_f16_e32 v0, v0
	v_min_f32_e32 v0, v1, v0
	v_cvt_f16_f32_e32 v2, v0
	v_add_co_u32 v0, vcc_lo, v14, v44
	v_add_co_ci_u32_e64 v1, null, v15, v45, vcc_lo
	flat_store_short v[0:1], v2
	s_endpgm
	.section	.rodata,"a",@progbits
	.p2align	6, 0x0
	.amdhsa_kernel _ZN12_GLOBAL__N_120geam_min_plus_kernelIDF16_Dv2_DF16_S1_Li32ELi8ELi256ELi64ELi4ELi64ELi4ELi4ELi64ELc78ELc78ELb0ELb0ELb1EPKDF16_KS3_KPDF16_EEviiiT16_PT17_ilS9_ilS7_S9_ilPT18_ili26rocblas_geam_ex_operation_
		.amdhsa_group_segment_fixed_size 5120
		.amdhsa_private_segment_fixed_size 0
		.amdhsa_kernarg_size 136
		.amdhsa_user_sgpr_count 6
		.amdhsa_user_sgpr_private_segment_buffer 1
		.amdhsa_user_sgpr_dispatch_ptr 0
		.amdhsa_user_sgpr_queue_ptr 0
		.amdhsa_user_sgpr_kernarg_segment_ptr 1
		.amdhsa_user_sgpr_dispatch_id 0
		.amdhsa_user_sgpr_flat_scratch_init 0
		.amdhsa_user_sgpr_private_segment_size 0
		.amdhsa_wavefront_size32 1
		.amdhsa_uses_dynamic_stack 0
		.amdhsa_system_sgpr_private_segment_wavefront_offset 0
		.amdhsa_system_sgpr_workgroup_id_x 1
		.amdhsa_system_sgpr_workgroup_id_y 0
		.amdhsa_system_sgpr_workgroup_id_z 1
		.amdhsa_system_sgpr_workgroup_info 0
		.amdhsa_system_vgpr_workitem_id 1
		.amdhsa_next_free_vgpr 169
		.amdhsa_next_free_sgpr 24
		.amdhsa_reserve_vcc 1
		.amdhsa_reserve_flat_scratch 1
		.amdhsa_float_round_mode_32 0
		.amdhsa_float_round_mode_16_64 0
		.amdhsa_float_denorm_mode_32 3
		.amdhsa_float_denorm_mode_16_64 3
		.amdhsa_dx10_clamp 1
		.amdhsa_ieee_mode 1
		.amdhsa_fp16_overflow 0
		.amdhsa_workgroup_processor_mode 1
		.amdhsa_memory_ordered 1
		.amdhsa_forward_progress 1
		.amdhsa_shared_vgpr_count 0
		.amdhsa_exception_fp_ieee_invalid_op 0
		.amdhsa_exception_fp_denorm_src 0
		.amdhsa_exception_fp_ieee_div_zero 0
		.amdhsa_exception_fp_ieee_overflow 0
		.amdhsa_exception_fp_ieee_underflow 0
		.amdhsa_exception_fp_ieee_inexact 0
		.amdhsa_exception_int_div_zero 0
	.end_amdhsa_kernel
	.section	.text._ZN12_GLOBAL__N_120geam_min_plus_kernelIDF16_Dv2_DF16_S1_Li32ELi8ELi256ELi64ELi4ELi64ELi4ELi4ELi64ELc78ELc78ELb0ELb0ELb1EPKDF16_KS3_KPDF16_EEviiiT16_PT17_ilS9_ilS7_S9_ilPT18_ili26rocblas_geam_ex_operation_,"axG",@progbits,_ZN12_GLOBAL__N_120geam_min_plus_kernelIDF16_Dv2_DF16_S1_Li32ELi8ELi256ELi64ELi4ELi64ELi4ELi4ELi64ELc78ELc78ELb0ELb0ELb1EPKDF16_KS3_KPDF16_EEviiiT16_PT17_ilS9_ilS7_S9_ilPT18_ili26rocblas_geam_ex_operation_,comdat
.Lfunc_end207:
	.size	_ZN12_GLOBAL__N_120geam_min_plus_kernelIDF16_Dv2_DF16_S1_Li32ELi8ELi256ELi64ELi4ELi64ELi4ELi4ELi64ELc78ELc78ELb0ELb0ELb1EPKDF16_KS3_KPDF16_EEviiiT16_PT17_ilS9_ilS7_S9_ilPT18_ili26rocblas_geam_ex_operation_, .Lfunc_end207-_ZN12_GLOBAL__N_120geam_min_plus_kernelIDF16_Dv2_DF16_S1_Li32ELi8ELi256ELi64ELi4ELi64ELi4ELi4ELi64ELc78ELc78ELb0ELb0ELb1EPKDF16_KS3_KPDF16_EEviiiT16_PT17_ilS9_ilS7_S9_ilPT18_ili26rocblas_geam_ex_operation_
                                        ; -- End function
	.set _ZN12_GLOBAL__N_120geam_min_plus_kernelIDF16_Dv2_DF16_S1_Li32ELi8ELi256ELi64ELi4ELi64ELi4ELi4ELi64ELc78ELc78ELb0ELb0ELb1EPKDF16_KS3_KPDF16_EEviiiT16_PT17_ilS9_ilS7_S9_ilPT18_ili26rocblas_geam_ex_operation_.num_vgpr, 169
	.set _ZN12_GLOBAL__N_120geam_min_plus_kernelIDF16_Dv2_DF16_S1_Li32ELi8ELi256ELi64ELi4ELi64ELi4ELi4ELi64ELc78ELc78ELb0ELb0ELb1EPKDF16_KS3_KPDF16_EEviiiT16_PT17_ilS9_ilS7_S9_ilPT18_ili26rocblas_geam_ex_operation_.num_agpr, 0
	.set _ZN12_GLOBAL__N_120geam_min_plus_kernelIDF16_Dv2_DF16_S1_Li32ELi8ELi256ELi64ELi4ELi64ELi4ELi4ELi64ELc78ELc78ELb0ELb0ELb1EPKDF16_KS3_KPDF16_EEviiiT16_PT17_ilS9_ilS7_S9_ilPT18_ili26rocblas_geam_ex_operation_.numbered_sgpr, 24
	.set _ZN12_GLOBAL__N_120geam_min_plus_kernelIDF16_Dv2_DF16_S1_Li32ELi8ELi256ELi64ELi4ELi64ELi4ELi4ELi64ELc78ELc78ELb0ELb0ELb1EPKDF16_KS3_KPDF16_EEviiiT16_PT17_ilS9_ilS7_S9_ilPT18_ili26rocblas_geam_ex_operation_.num_named_barrier, 0
	.set _ZN12_GLOBAL__N_120geam_min_plus_kernelIDF16_Dv2_DF16_S1_Li32ELi8ELi256ELi64ELi4ELi64ELi4ELi4ELi64ELc78ELc78ELb0ELb0ELb1EPKDF16_KS3_KPDF16_EEviiiT16_PT17_ilS9_ilS7_S9_ilPT18_ili26rocblas_geam_ex_operation_.private_seg_size, 0
	.set _ZN12_GLOBAL__N_120geam_min_plus_kernelIDF16_Dv2_DF16_S1_Li32ELi8ELi256ELi64ELi4ELi64ELi4ELi4ELi64ELc78ELc78ELb0ELb0ELb1EPKDF16_KS3_KPDF16_EEviiiT16_PT17_ilS9_ilS7_S9_ilPT18_ili26rocblas_geam_ex_operation_.uses_vcc, 1
	.set _ZN12_GLOBAL__N_120geam_min_plus_kernelIDF16_Dv2_DF16_S1_Li32ELi8ELi256ELi64ELi4ELi64ELi4ELi4ELi64ELc78ELc78ELb0ELb0ELb1EPKDF16_KS3_KPDF16_EEviiiT16_PT17_ilS9_ilS7_S9_ilPT18_ili26rocblas_geam_ex_operation_.uses_flat_scratch, 1
	.set _ZN12_GLOBAL__N_120geam_min_plus_kernelIDF16_Dv2_DF16_S1_Li32ELi8ELi256ELi64ELi4ELi64ELi4ELi4ELi64ELc78ELc78ELb0ELb0ELb1EPKDF16_KS3_KPDF16_EEviiiT16_PT17_ilS9_ilS7_S9_ilPT18_ili26rocblas_geam_ex_operation_.has_dyn_sized_stack, 0
	.set _ZN12_GLOBAL__N_120geam_min_plus_kernelIDF16_Dv2_DF16_S1_Li32ELi8ELi256ELi64ELi4ELi64ELi4ELi4ELi64ELc78ELc78ELb0ELb0ELb1EPKDF16_KS3_KPDF16_EEviiiT16_PT17_ilS9_ilS7_S9_ilPT18_ili26rocblas_geam_ex_operation_.has_recursion, 0
	.set _ZN12_GLOBAL__N_120geam_min_plus_kernelIDF16_Dv2_DF16_S1_Li32ELi8ELi256ELi64ELi4ELi64ELi4ELi4ELi64ELc78ELc78ELb0ELb0ELb1EPKDF16_KS3_KPDF16_EEviiiT16_PT17_ilS9_ilS7_S9_ilPT18_ili26rocblas_geam_ex_operation_.has_indirect_call, 0
	.section	.AMDGPU.csdata,"",@progbits
; Kernel info:
; codeLenInByte = 19904
; TotalNumSgprs: 26
; NumVgprs: 169
; ScratchSize: 0
; MemoryBound: 0
; FloatMode: 240
; IeeeMode: 1
; LDSByteSize: 5120 bytes/workgroup (compile time only)
; SGPRBlocks: 0
; VGPRBlocks: 21
; NumSGPRsForWavesPerEU: 26
; NumVGPRsForWavesPerEU: 169
; Occupancy: 5
; WaveLimiterHint : 1
; COMPUTE_PGM_RSRC2:SCRATCH_EN: 0
; COMPUTE_PGM_RSRC2:USER_SGPR: 6
; COMPUTE_PGM_RSRC2:TRAP_HANDLER: 0
; COMPUTE_PGM_RSRC2:TGID_X_EN: 1
; COMPUTE_PGM_RSRC2:TGID_Y_EN: 0
; COMPUTE_PGM_RSRC2:TGID_Z_EN: 1
; COMPUTE_PGM_RSRC2:TIDIG_COMP_CNT: 1
	.section	.text._ZN12_GLOBAL__N_120geam_min_plus_kernelIDF16_Dv2_DF16_S1_Li32ELi8ELi256ELi64ELi4ELi64ELi4ELi4ELi64ELc78ELc78ELb1ELb0ELb1EDF16_KPKDF16_KPDF16_EEviiiT16_PT17_ilS9_ilS7_S9_ilPT18_ili26rocblas_geam_ex_operation_,"axG",@progbits,_ZN12_GLOBAL__N_120geam_min_plus_kernelIDF16_Dv2_DF16_S1_Li32ELi8ELi256ELi64ELi4ELi64ELi4ELi4ELi64ELc78ELc78ELb1ELb0ELb1EDF16_KPKDF16_KPDF16_EEviiiT16_PT17_ilS9_ilS7_S9_ilPT18_ili26rocblas_geam_ex_operation_,comdat
	.globl	_ZN12_GLOBAL__N_120geam_min_plus_kernelIDF16_Dv2_DF16_S1_Li32ELi8ELi256ELi64ELi4ELi64ELi4ELi4ELi64ELc78ELc78ELb1ELb0ELb1EDF16_KPKDF16_KPDF16_EEviiiT16_PT17_ilS9_ilS7_S9_ilPT18_ili26rocblas_geam_ex_operation_ ; -- Begin function _ZN12_GLOBAL__N_120geam_min_plus_kernelIDF16_Dv2_DF16_S1_Li32ELi8ELi256ELi64ELi4ELi64ELi4ELi4ELi64ELc78ELc78ELb1ELb0ELb1EDF16_KPKDF16_KPDF16_EEviiiT16_PT17_ilS9_ilS7_S9_ilPT18_ili26rocblas_geam_ex_operation_
	.p2align	8
	.type	_ZN12_GLOBAL__N_120geam_min_plus_kernelIDF16_Dv2_DF16_S1_Li32ELi8ELi256ELi64ELi4ELi64ELi4ELi4ELi64ELc78ELc78ELb1ELb0ELb1EDF16_KPKDF16_KPDF16_EEviiiT16_PT17_ilS9_ilS7_S9_ilPT18_ili26rocblas_geam_ex_operation_,@function
_ZN12_GLOBAL__N_120geam_min_plus_kernelIDF16_Dv2_DF16_S1_Li32ELi8ELi256ELi64ELi4ELi64ELi4ELi4ELi64ELc78ELc78ELb1ELb0ELb1EDF16_KPKDF16_KPDF16_EEviiiT16_PT17_ilS9_ilS7_S9_ilPT18_ili26rocblas_geam_ex_operation_: ; @_ZN12_GLOBAL__N_120geam_min_plus_kernelIDF16_Dv2_DF16_S1_Li32ELi8ELi256ELi64ELi4ELi64ELi4ELi4ELi64ELc78ELc78ELb1ELb0ELb1EDF16_KPKDF16_KPDF16_EEviiiT16_PT17_ilS9_ilS7_S9_ilPT18_ili26rocblas_geam_ex_operation_
; %bb.0:
	s_mov_b64 s[26:27], s[2:3]
	s_mov_b64 s[24:25], s[0:1]
	s_clause 0x1
	s_load_dwordx2 s[14:15], s[4:5], 0x8
	s_load_dwordx4 s[0:3], s[4:5], 0x20
	s_add_u32 s24, s24, s8
	s_mov_b32 s8, s7
	v_mov_b32_e32 v162, v1
	s_addc_u32 s25, s25, 0
	s_mov_b32 s9, 0
	s_waitcnt lgkmcnt(0)
	v_cmp_eq_f16_e64 s7, s15, 0
	s_and_b32 vcc_lo, exec_lo, s7
	s_cbranch_vccnz .LBB208_3
; %bb.1:
	s_load_dwordx2 s[10:11], s[4:5], 0x10
	s_lshl_b64 s[12:13], s[8:9], 3
	s_waitcnt lgkmcnt(0)
	s_add_u32 s10, s10, s12
	s_addc_u32 s11, s11, s13
	s_lshl_b64 s[0:1], s[0:1], 1
	s_load_dwordx2 s[10:11], s[10:11], 0x0
	s_waitcnt lgkmcnt(0)
	s_add_u32 s16, s10, s0
	s_addc_u32 s17, s11, s1
	s_andn2_b32 vcc_lo, exec_lo, s7
	s_cbranch_vccnz .LBB208_4
.LBB208_2:
	s_mov_b32 s21, 0
	s_mov_b32 s20, s8
	;; [unrolled: 1-line block ×3, first 2 shown]
	s_mov_b64 s[12:13], 0
	s_andn2_b32 vcc_lo, exec_lo, s0
	s_mov_b64 s[18:19], 0
	s_cbranch_vccz .LBB208_5
	s_branch .LBB208_6
.LBB208_3:
	s_mov_b64 s[16:17], 0
	s_andn2_b32 vcc_lo, exec_lo, s7
	s_cbranch_vccz .LBB208_2
.LBB208_4:
	s_mov_b64 s[20:21], s[8:9]
	s_mov_b64 s[12:13], 0
	;; [unrolled: 1-line block ×3, first 2 shown]
.LBB208_5:
	s_lshl_b64 s[0:1], s[8:9], 3
	s_load_dwordx2 s[8:9], s[4:5], 0x38
	s_add_u32 s0, s2, s0
	s_addc_u32 s1, s3, s1
	s_load_dwordx2 s[0:1], s[0:1], 0x0
	s_waitcnt lgkmcnt(0)
	s_lshl_b64 s[2:3], s[8:9], 1
	s_add_u32 s18, s0, s2
	s_addc_u32 s19, s1, s3
.LBB208_6:
	s_clause 0x1
	s_load_dword s15, s[4:5], 0x40
	s_load_dwordx4 s[8:11], s[4:5], 0x58
	s_waitcnt lgkmcnt(0)
	v_cmp_eq_f16_e64 s0, s15, 0
	s_and_b32 s0, exec_lo, s0
	s_mov_b32 vcc_lo, s0
	s_cbranch_vccnz .LBB208_8
; %bb.7:
	s_load_dwordx2 s[2:3], s[4:5], 0x48
	s_lshl_b64 s[12:13], s[20:21], 3
	s_waitcnt lgkmcnt(0)
	s_add_u32 s2, s2, s12
	s_addc_u32 s3, s3, s13
	s_lshl_b64 s[8:9], s[8:9], 1
	s_load_dwordx2 s[2:3], s[2:3], 0x0
	s_waitcnt lgkmcnt(0)
	s_add_u32 s12, s2, s8
	s_addc_u32 s13, s3, s9
.LBB208_8:
	s_load_dword s1, s[4:5], 0x0
	s_lshl_b64 s[2:3], s[20:21], 3
	s_clause 0x1
	s_load_dword s8, s[4:5], 0x18
	s_load_dword s7, s[4:5], 0x30
	s_add_u32 s2, s10, s2
	s_addc_u32 s3, s11, s3
	v_lshl_add_u32 v4, v162, 5, v0
	v_and_b32_e32 v5, 3, v0
	v_lshlrev_b32_e32 v118, 3, v162
	v_lshlrev_b32_e32 v185, 3, v0
	v_lshrrev_b32_e32 v6, 6, v4
	v_lshrrev_b32_e32 v13, 2, v4
	v_and_b32_e32 v14, 63, v4
	v_lshlrev_b32_e32 v127, 1, v5
	v_add_nc_u32_e32 v36, 0x1000, v118
	v_add_nc_u32_e32 v8, 4, v6
	s_waitcnt lgkmcnt(0)
	s_add_i32 s1, s1, -1
	v_mad_i64_i32 v[9:10], null, s8, v8, 0
	s_ashr_i32 s9, s1, 31
	s_lshr_b32 s9, s9, 24
	s_add_i32 s1, s1, s9
	s_ashr_i32 s1, s1, 8
	s_add_i32 s9, s1, 1
	s_not_b32 s1, s1
	v_cvt_f32_u32_e32 v1, s9
	v_rcp_iflag_f32_e32 v1, v1
	v_mul_f32_e32 v1, 0x4f7ffffe, v1
	v_cvt_u32_f32_e32 v1, v1
	v_readfirstlane_b32 s10, v1
	v_mad_i64_i32 v[1:2], null, s8, v6, 0
	s_mul_i32 s1, s1, s10
	s_mul_hi_u32 s1, s10, s1
	s_add_i32 s10, s10, s1
	v_lshlrev_b64 v[1:2], 1, v[1:2]
	s_mul_hi_u32 s1, s6, s10
	s_mul_i32 s10, s1, s9
	s_add_i32 s11, s1, 1
	s_sub_i32 s10, s6, s10
	v_add_co_u32 v1, vcc_lo, s16, v1
	s_sub_i32 s20, s10, s9
	s_cmp_ge_u32 s10, s9
	v_add_co_ci_u32_e64 v11, null, s17, v2, vcc_lo
	s_cselect_b32 s1, s11, s1
	s_cselect_b32 s10, s20, s10
	s_add_i32 s11, s1, 1
	s_cmp_ge_u32 s10, s9
	s_cselect_b32 s1, s11, s1
	s_lshl_b32 s10, s1, 6
	s_mul_i32 s1, s1, s9
	v_add_nc_u32_e32 v3, s10, v13
	s_sub_i32 s1, s6, s1
	s_lshl_b32 s1, s1, 8
	s_cmp_lt_i32 s14, 9
	v_mad_i64_i32 v[3:4], null, v3, s7, 0
	v_or_b32_e32 v7, s1, v14
	v_ashrrev_i32_e32 v8, 31, v7
	v_lshlrev_b64 v[4:5], 1, v[3:4]
	v_lshlrev_b64 v[2:3], 1, v[7:8]
	v_add_co_u32 v12, vcc_lo, s18, v4
	v_add_co_ci_u32_e64 v15, null, s19, v5, vcc_lo
	v_add_co_u32 v7, vcc_lo, v1, v2
	v_add_co_ci_u32_e64 v8, null, v11, v3, vcc_lo
	v_add_co_u32 v11, vcc_lo, v12, v127
	v_add_co_ci_u32_e64 v12, null, 0, v15, vcc_lo
	s_clause 0x3
	flat_load_ushort v15, v[7:8]
	flat_load_ushort v16, v[7:8] offset:128
	flat_load_ushort v17, v[7:8] offset:256
	;; [unrolled: 1-line block ×3, first 2 shown]
	flat_load_ushort v19, v[11:12]
	v_lshlrev_b64 v[7:8], 1, v[9:10]
	v_add_co_u32 v1, vcc_lo, s16, v7
	v_add_co_ci_u32_e64 v8, null, s17, v8, vcc_lo
	v_add_co_u32 v7, vcc_lo, v1, v2
	v_add_co_ci_u32_e64 v8, null, v8, v3, vcc_lo
	s_clause 0x3
	flat_load_ushort v40, v[7:8]
	flat_load_ushort v43, v[7:8] offset:128
	flat_load_ushort v44, v[7:8] offset:256
	;; [unrolled: 1-line block ×4, first 2 shown]
	v_lshlrev_b32_e32 v1, 3, v14
	s_load_dwordx2 s[2:3], s[2:3], 0x0
	v_lshl_add_u32 v41, v6, 1, v1
	v_lshl_or_b32 v1, v13, 3, v127
	s_waitcnt vmcnt(9) lgkmcnt(0)
	ds_write_b16 v41, v15
	s_waitcnt vmcnt(8)
	ds_write_b16 v41, v16 offset:512
	s_waitcnt vmcnt(7)
	ds_write_b16 v41, v17 offset:1024
	;; [unrolled: 2-line block ×4, first 2 shown]
	s_waitcnt vmcnt(0) lgkmcnt(0)
	s_barrier
	buffer_gl0_inv
	ds_read2_b64 v[8:11], v185 offset1:32
	ds_read2_b64 v[12:15], v36 offset1:8
	ds_read2_b64 v[16:19], v185 offset0:64 offset1:96
	ds_read2_b64 v[20:23], v185 offset0:128 offset1:160
	;; [unrolled: 1-line block ×6, first 2 shown]
	ds_write_b16 v41, v40 offset:2048
	ds_write_b16 v41, v43 offset:2560
	;; [unrolled: 1-line block ×4, first 2 shown]
	s_waitcnt lgkmcnt(10)
	v_pk_add_f16 v40, v8, v12
	v_pk_add_f16 v43, v10, v12
	s_waitcnt lgkmcnt(9)
	v_pk_add_f16 v44, v16, v12
	v_pk_add_f16 v45, v18, v12
	;; [unrolled: 3-line block ×4, first 2 shown]
	v_pk_add_f16 v49, v8, v14
	v_pk_add_f16 v50, v10, v14
	v_pk_add_f16 v51, v16, v14
	v_pk_add_f16 v52, v18, v14
	v_pk_add_f16 v53, v20, v14
	v_pk_add_f16 v54, v22, v14
	v_pk_add_f16 v55, v24, v14
	v_pk_add_f16 v14, v26, v14
	s_waitcnt lgkmcnt(6)
	v_pk_add_f16 v70, v8, v28
	v_pk_add_f16 v71, v10, v28
	v_pk_add_f16 v72, v16, v28
	v_pk_add_f16 v73, v18, v28
	v_pk_add_f16 v74, v20, v28
	v_pk_add_f16 v75, v22, v28
	v_pk_add_f16 v76, v24, v28
	v_pk_add_f16 v28, v26, v28
	v_pk_add_f16 v77, v8, v30
	v_pk_add_f16 v78, v10, v30
	v_pk_add_f16 v79, v16, v30
	v_pk_add_f16 v80, v18, v30
	v_pk_add_f16 v81, v20, v30
	v_pk_add_f16 v82, v22, v30
	v_pk_add_f16 v83, v24, v30
	v_pk_add_f16 v30, v26, v30
	s_waitcnt lgkmcnt(5)
	v_pk_add_f16 v90, v8, v32
	v_pk_add_f16 v91, v10, v32
	v_pk_add_f16 v92, v16, v32
	v_pk_add_f16 v93, v18, v32
	v_pk_add_f16 v94, v20, v32
	v_pk_add_f16 v95, v22, v32
	v_pk_add_f16 v96, v24, v32
	v_pk_add_f16 v32, v26, v32
	;; [unrolled: 17-line block ×3, first 2 shown]
	v_pk_add_f16 v108, v20, v36
	v_pk_add_f16 v109, v22, v36
	;; [unrolled: 1-line block ×8, first 2 shown]
	buffer_store_dword v41, off, s[24:27], 0 offset:112 ; 4-byte Folded Spill
	v_pk_add_f16 v56, v9, v13
	v_pk_add_f16 v57, v11, v13
	;; [unrolled: 1-line block ×64, first 2 shown]
	v_pk_min_f16 v39, 0x7c00, v40 op_sel_hi:[0,1]
	v_pk_min_f16 v40, 0x7c00, v43 op_sel_hi:[0,1]
	;; [unrolled: 1-line block ×64, first 2 shown]
	v_pk_min_f16 v39, v39, v56
	v_pk_min_f16 v40, v40, v57
	;; [unrolled: 1-line block ×64, first 2 shown]
	ds_write_b16 v1, v7 offset:4608
	s_waitcnt lgkmcnt(0)
	s_waitcnt_vscnt null, 0x0
	s_barrier
	buffer_gl0_inv
	s_cbranch_scc1 .LBB208_12
; %bb.9:
	v_add_nc_u32_e32 v7, 0x1000, v1
	v_add_nc_u32_e32 v1, 0x1200, v1
	v_mov_b32_e32 v139, v39
	v_mov_b32_e32 v132, v82
	;; [unrolled: 1-line block ×3, first 2 shown]
	buffer_store_dword v7, off, s[24:27], 0 offset:116 ; 4-byte Folded Spill
	buffer_store_dword v118, off, s[24:27], 0 offset:164 ; 4-byte Folded Spill
	v_or_b32_e32 v7, 0x1000, v118
	v_mov_b32_e32 v133, v58
	v_mov_b32_e32 v135, v56
	;; [unrolled: 1-line block ×4, first 2 shown]
	buffer_store_dword v7, off, s[24:27], 0 offset:120 ; 4-byte Folded Spill
	buffer_load_dword v7, off, s[24:27], 0 offset:112 ; 4-byte Folded Reload
	v_mov_b32_e32 v138, v40
	s_ashr_i32 s9, s8, 31
	s_add_i32 s11, s14, -8
	s_lshl_b64 s[6:7], s[8:9], 4
	s_waitcnt vmcnt(0)
	v_add_nc_u32_e32 v7, 0x800, v7
	buffer_store_dword v7, off, s[24:27], 0 offset:124 ; 4-byte Folded Spill
	buffer_store_dword v1, off, s[24:27], 0 offset:128 ; 4-byte Folded Spill
	;; [unrolled: 1-line block ×3, first 2 shown]
	v_lshl_or_b32 v0, v0, 3, 0x800
	buffer_store_dword v0, off, s[24:27], 0 offset:132 ; 4-byte Folded Spill
	buffer_store_dword v162, off, s[24:27], 0 offset:160 ; 4-byte Folded Spill
	v_lshl_add_u32 v0, v162, 3, 0x1200
	v_add_nc_u32_e32 v1, 8, v6
	v_add_nc_u32_e32 v6, 12, v6
	v_add_co_u32 v7, vcc_lo, v4, v127
	buffer_store_dword v0, off, s[24:27], 0 offset:136 ; 4-byte Folded Spill
	v_mad_i64_i32 v[0:1], null, v1, s8, 0
	v_add_co_ci_u32_e64 v8, null, 0, v5, vcc_lo
	v_mad_i64_i32 v[4:5], null, v6, s8, 0
	v_add_co_u32 v113, vcc_lo, s16, v2
	v_lshlrev_b64 v[0:1], 1, v[0:1]
	v_add_co_ci_u32_e64 v114, null, s17, v3, vcc_lo
	v_add_co_u32 v2, vcc_lo, s18, v7
	v_add_co_ci_u32_e64 v3, null, s19, v8, vcc_lo
	buffer_store_dword v0, off, s[24:27], 0 offset:140 ; 4-byte Folded Spill
	buffer_store_dword v1, off, s[24:27], 0 offset:144 ; 4-byte Folded Spill
	v_add_co_u32 v38, vcc_lo, v2, 24
	v_lshlrev_b64 v[0:1], 1, v[4:5]
	v_add_co_ci_u32_e64 v39, null, 0, v3, vcc_lo
	s_mov_b32 s8, 0
	buffer_store_dword v0, off, s[24:27], 0 offset:148 ; 4-byte Folded Spill
	buffer_store_dword v1, off, s[24:27], 0 offset:152 ; 4-byte Folded Spill
.LBB208_10:                             ; =>This Inner Loop Header: Depth=1
	buffer_store_dword v74, off, s[24:27], 0 offset:68 ; 4-byte Folded Spill
	buffer_store_dword v61, off, s[24:27], 0 offset:60 ; 4-byte Folded Spill
	;; [unrolled: 1-line block ×3, first 2 shown]
	s_clause 0x1
	buffer_load_dword v0, off, s[24:27], 0 offset:140
	buffer_load_dword v1, off, s[24:27], 0 offset:144
	v_mov_b32_e32 v116, v213
	v_mov_b32_e32 v41, v254
	;; [unrolled: 1-line block ×18, first 2 shown]
	s_add_i32 s8, s8, 8
	s_cmp_ge_i32 s8, s11
	s_waitcnt vmcnt(1)
	v_add_co_u32 v0, vcc_lo, v113, v0
	s_waitcnt vmcnt(0)
	v_add_co_ci_u32_e64 v1, null, v114, v1, vcc_lo
	s_clause 0x3
	flat_load_ushort v2, v[0:1]
	flat_load_ushort v3, v[0:1] offset:128
	flat_load_ushort v4, v[0:1] offset:256
	;; [unrolled: 1-line block ×3, first 2 shown]
	v_add_co_u32 v0, vcc_lo, -8, v38
	v_add_co_ci_u32_e64 v1, null, -1, v39, vcc_lo
	flat_load_ushort v6, v[0:1]
	buffer_load_dword v0, off, s[24:27], 0 offset:132 ; 4-byte Folded Reload
	s_waitcnt vmcnt(0)
	ds_read2_b64 v[7:10], v0 offset1:32
	ds_read2_b64 v[11:14], v0 offset0:64 offset1:96
	ds_read2_b64 v[15:18], v0 offset0:128 offset1:160
	;; [unrolled: 1-line block ×3, first 2 shown]
	buffer_load_dword v0, off, s[24:27], 0 offset:136 ; 4-byte Folded Reload
	s_waitcnt vmcnt(0)
	ds_read2_b64 v[23:26], v0 offset1:8
	ds_read2_b64 v[27:30], v0 offset0:16 offset1:24
	ds_read2_b64 v[31:34], v0 offset0:32 offset1:40
	;; [unrolled: 1-line block ×3, first 2 shown]
	s_waitcnt lgkmcnt(3)
	v_pk_add_f16 v111, v7, v23
	v_pk_add_f16 v241, v7, v25
	s_waitcnt lgkmcnt(1)
	v_pk_add_f16 v0, v21, v33
	v_pk_add_f16 v213, v7, v27
	;; [unrolled: 1-line block ×5, first 2 shown]
	buffer_store_dword v0, off, s[24:27], 0 offset:108 ; 4-byte Folded Spill
	s_waitcnt lgkmcnt(0)
	v_pk_add_f16 v0, v7, v49
	v_pk_add_f16 v1, v11, v23
	v_pk_add_f16 v254, v13, v23
	v_pk_add_f16 v251, v15, v23
	v_pk_add_f16 v248, v17, v23
	buffer_store_dword v0, off, s[24:27], 0 offset:96 ; 4-byte Folded Spill
	v_pk_add_f16 v0, v9, v49
	v_pk_add_f16 v245, v19, v23
	v_pk_add_f16 v243, v21, v23
	v_pk_add_f16 v236, v11, v25
	v_pk_add_f16 v233, v13, v25
	buffer_store_dword v0, off, s[24:27], 0 offset:92 ; 4-byte Folded Spill
	;; [unrolled: 6-line block ×9, first 2 shown]
	buffer_store_dword v7, off, s[24:27], 0 offset:104 ; 4-byte Folded Spill
	v_pk_add_f16 v7, v20, v52
	v_pk_add_f16 v0, v9, v51
	;; [unrolled: 1-line block ×5, first 2 shown]
	buffer_store_dword v7, off, s[24:27], 0 offset:100 ; 4-byte Folded Spill
	v_pk_add_f16 v7, v22, v52
	buffer_store_dword v0, off, s[24:27], 0 offset:52 ; 4-byte Folded Spill
	v_pk_add_f16 v0, v11, v51
	v_pk_add_f16 v53, v16, v24
	;; [unrolled: 1-line block ×3, first 2 shown]
	buffer_store_dword v7, off, s[24:27], 0 offset:24 ; 4-byte Folded Spill
	buffer_load_dword v7, off, s[24:27], 0 offset:112 ; 4-byte Folded Reload
	buffer_store_dword v0, off, s[24:27], 0 offset:44 ; 4-byte Folded Spill
	v_pk_add_f16 v0, v13, v51
	v_pk_add_f16 v112, v10, v26
	v_pk_add_f16 v45, v12, v26
	v_pk_add_f16 v255, v16, v26
	v_pk_add_f16 v252, v18, v26
	buffer_store_dword v0, off, s[24:27], 0 offset:40 ; 4-byte Folded Spill
	v_pk_add_f16 v0, v15, v51
	v_pk_add_f16 v249, v20, v26
	v_pk_add_f16 v240, v10, v28
	v_pk_add_f16 v238, v12, v28
	v_pk_add_f16 v235, v14, v28
	;; [unrolled: 6-line block ×6, first 2 shown]
	v_pk_add_f16 v176, v10, v34
	v_pk_add_f16 v174, v12, v34
	v_pk_add_f16 v172, v14, v34
	v_pk_add_f16 v171, v16, v34
	v_pk_add_f16 v170, v18, v34
	v_pk_add_f16 v168, v20, v34
	v_pk_add_f16 v162, v10, v50
	v_pk_add_f16 v161, v12, v50
	v_pk_add_f16 v160, v14, v50
	v_pk_add_f16 v159, v16, v50
	v_pk_add_f16 v157, v18, v50
	v_pk_add_f16 v156, v20, v50
	v_pk_add_f16 v146, v10, v52
	v_pk_add_f16 v144, v12, v52
	v_pk_add_f16 v142, v14, v52
	v_pk_add_f16 v140, v16, v52
	v_pk_add_f16 v47, v9, v23
	v_pk_add_f16 v239, v9, v25
	v_pk_add_f16 v210, v9, v27
	v_pk_add_f16 v187, v9, v29
	v_pk_add_f16 v167, v9, v31
	v_pk_add_f16 v150, v9, v33
	v_pk_add_f16 v61, v8, v24
	v_pk_add_f16 v37, v22, v24
	v_pk_add_f16 v35, v8, v26
	v_pk_add_f16 v246, v22, v26
	v_pk_add_f16 v242, v8, v28
	v_pk_add_f16 v223, v22, v28
	v_pk_add_f16 v220, v8, v30
	v_pk_add_f16 v202, v22, v30
	v_pk_add_f16 v199, v8, v32
	v_pk_add_f16 v180, v22, v32
	v_pk_add_f16 v178, v8, v34
	v_pk_add_f16 v166, v22, v34
	v_pk_add_f16 v164, v8, v50
	v_pk_add_f16 v155, v22, v50
	v_pk_add_f16 v148, v8, v52
	s_waitcnt vmcnt(0)
	ds_write_b16 v7, v2
	ds_write_b16 v7, v3 offset:512
	ds_write_b16 v7, v4 offset:1024
	;; [unrolled: 1-line block ×3, first 2 shown]
	buffer_load_dword v2, off, s[24:27], 0 offset:116 ; 4-byte Folded Reload
	s_waitcnt vmcnt(0)
	ds_write_b16 v2, v6
	s_waitcnt lgkmcnt(0)
	s_waitcnt_vscnt null, 0x0
	s_barrier
	buffer_gl0_inv
	s_clause 0x1
	buffer_load_dword v2, off, s[24:27], 0 offset:148
	buffer_load_dword v3, off, s[24:27], 0 offset:152
	s_waitcnt vmcnt(1)
	v_add_co_u32 v2, vcc_lo, v113, v2
	s_waitcnt vmcnt(0)
	v_add_co_ci_u32_e64 v3, null, v114, v3, vcc_lo
	flat_load_ushort v4, v[2:3]
	s_waitcnt vmcnt(0) lgkmcnt(0)
	buffer_store_dword v4, off, s[24:27], 0 ; 4-byte Folded Spill
	flat_load_ushort v4, v[2:3] offset:128
	s_waitcnt vmcnt(0) lgkmcnt(0)
	buffer_store_dword v4, off, s[24:27], 0 offset:4 ; 4-byte Folded Spill
	s_clause 0x1
	flat_load_ushort v4, v[2:3] offset:256
	flat_load_ushort v2, v[2:3] offset:384
	s_waitcnt vmcnt(1) lgkmcnt(1)
	buffer_store_dword v4, off, s[24:27], 0 offset:8 ; 4-byte Folded Spill
	s_waitcnt vmcnt(0) lgkmcnt(0)
	buffer_store_dword v2, off, s[24:27], 0 offset:12 ; 4-byte Folded Spill
	flat_load_ushort v2, v[38:39]
	v_add_co_u32 v38, vcc_lo, v38, 16
	v_add_co_ci_u32_e64 v39, null, 0, v39, vcc_lo
	v_add_co_u32 v113, vcc_lo, v113, s6
	v_add_co_ci_u32_e64 v114, null, s7, v114, vcc_lo
	s_waitcnt vmcnt(0) lgkmcnt(0)
	buffer_store_dword v2, off, s[24:27], 0 offset:16 ; 4-byte Folded Spill
	ds_read2_b64 v[18:21], v185 offset1:32
	ds_read2_b64 v[14:17], v185 offset0:64 offset1:96
	ds_read2_b64 v[10:13], v185 offset0:128 offset1:160
	;; [unrolled: 1-line block ×3, first 2 shown]
	buffer_load_dword v6, off, s[24:27], 0 offset:120 ; 4-byte Folded Reload
	s_waitcnt vmcnt(0)
	ds_read2_b64 v[30:33], v6 offset1:8
	ds_read2_b64 v[26:29], v6 offset0:16 offset1:24
	ds_read2_b64 v[22:25], v6 offset0:32 offset1:40
	;; [unrolled: 1-line block ×3, first 2 shown]
	s_waitcnt lgkmcnt(3)
	v_pk_add_f16 v62, v18, v30
	v_pk_add_f16 v63, v20, v30
	v_pk_add_f16 v64, v14, v30
	v_pk_add_f16 v65, v16, v30
	v_pk_add_f16 v66, v10, v30
	v_pk_add_f16 v67, v12, v30
	v_pk_add_f16 v68, v2, v30
	v_pk_add_f16 v69, v4, v30
	v_pk_add_f16 v70, v18, v32
	v_pk_add_f16 v71, v20, v32
	v_pk_add_f16 v72, v14, v32
	v_pk_add_f16 v73, v16, v32
	v_pk_add_f16 v74, v10, v32
	v_pk_add_f16 v75, v12, v32
	v_pk_add_f16 v76, v2, v32
	v_pk_add_f16 v115, v4, v32
	s_waitcnt lgkmcnt(2)
	v_pk_add_f16 v60, v18, v26
	v_pk_add_f16 v58, v20, v26
	v_pk_add_f16 v56, v14, v26
	v_pk_add_f16 v54, v16, v26
	v_pk_add_f16 v52, v10, v26
	v_pk_add_f16 v50, v12, v26
	v_pk_add_f16 v48, v2, v26
	v_pk_add_f16 v36, v4, v26
	v_pk_add_f16 v34, v18, v28
	v_pk_add_f16 v46, v20, v28
	v_pk_add_f16 v44, v14, v28
	v_pk_add_f16 v40, v16, v28
	v_pk_add_f16 v253, v10, v28
	v_pk_add_f16 v250, v12, v28
	v_pk_add_f16 v247, v2, v28
	v_pk_add_f16 v244, v4, v28
	;; [unrolled: 17-line block ×4, first 2 shown]
	v_pk_max_f16 v8, v139, v139
	v_pk_add_f16 v4, v19, v31
	v_pk_min_f16 v8, v8, v111
	v_pk_min_f16 v8, v8, v61
	v_pk_min_f16 v8, v8, v62
	v_pk_min_f16 v139, v8, v4
	v_pk_max_f16 v8, v138, v138
	v_pk_add_f16 v4, v21, v31
	v_pk_min_f16 v8, v8, v47
	v_pk_min_f16 v8, v8, v59
	v_pk_min_f16 v8, v8, v63
	v_pk_min_f16 v138, v8, v4
	;; [unrolled: 6-line block ×11, first 2 shown]
	v_pk_max_f16 v4, v130, v130
	v_pk_add_f16 v1, v17, v33
	v_pk_min_f16 v4, v4, v233
	v_pk_min_f16 v0, v4, v0
	buffer_load_dword v4, off, s[24:27], 0 offset:108 ; 4-byte Folded Reload
	v_pk_min_f16 v0, v0, v73
	v_pk_min_f16 v248, v0, v1
	v_pk_max_f16 v1, v129, v129
	v_pk_add_f16 v0, v11, v33
	v_pk_min_f16 v1, v1, v230
	v_pk_min_f16 v1, v1, v255
	v_pk_min_f16 v1, v1, v74
	v_pk_min_f16 v245, v1, v0
	v_pk_max_f16 v1, v110, v110
	v_pk_add_f16 v0, v13, v33
	v_pk_min_f16 v1, v1, v227
	v_pk_min_f16 v1, v1, v252
	;; [unrolled: 6-line block ×35, first 2 shown]
	v_pk_min_f16 v1, v1, v197
	v_pk_min_f16 v88, v1, v0
	v_pk_max_f16 v1, v121, v121
	v_pk_add_f16 v0, v5, v25
	s_waitcnt vmcnt(0)
	v_pk_min_f16 v1, v1, v4
	buffer_load_dword v4, off, s[24:27], 0 offset:96 ; 4-byte Folded Reload
	v_pk_min_f16 v1, v1, v166
	v_pk_min_f16 v1, v1, v194
	v_pk_min_f16 v121, v1, v0
	v_pk_max_f16 v1, v86, v86
	v_pk_add_f16 v0, v19, v7
	s_waitcnt vmcnt(0)
	v_pk_min_f16 v1, v1, v4
	buffer_load_dword v4, off, s[24:27], 0 offset:92 ; 4-byte Folded Reload
	v_pk_min_f16 v1, v1, v164
	;; [unrolled: 8-line block ×13, first 2 shown]
	v_pk_min_f16 v1, v1, v16
	v_pk_min_f16 v119, v1, v0
	buffer_load_dword v1, off, s[24:27], 0 offset:60 ; 4-byte Folded Reload
	v_pk_add_f16 v0, v11, v9
	s_waitcnt vmcnt(0)
	v_pk_max_f16 v1, v1, v1
	v_pk_min_f16 v1, v1, v4
	buffer_load_dword v4, off, s[24:27], 0 offset:32 ; 4-byte Folded Reload
	v_pk_min_f16 v1, v1, v140
	v_pk_min_f16 v1, v1, v14
	v_pk_min_f16 v61, v1, v0
	v_pk_max_f16 v1, v117, v117
	v_pk_add_f16 v0, v13, v9
	s_waitcnt vmcnt(0)
	v_pk_min_f16 v1, v1, v4
	buffer_load_dword v4, off, s[24:27], 0 offset:104 ; 4-byte Folded Reload
	s_waitcnt vmcnt(0)
	v_pk_min_f16 v1, v1, v4
	v_pk_min_f16 v1, v1, v10
	;; [unrolled: 1-line block ×3, first 2 shown]
	buffer_load_dword v1, off, s[24:27], 0 offset:48 ; 4-byte Folded Reload
	v_pk_add_f16 v0, v3, v9
	buffer_load_dword v3, off, s[24:27], 0 offset:28 ; 4-byte Folded Reload
	s_waitcnt vmcnt(1)
	v_pk_max_f16 v1, v1, v1
	s_waitcnt vmcnt(0)
	v_pk_min_f16 v1, v1, v3
	buffer_load_dword v3, off, s[24:27], 0 offset:100 ; 4-byte Folded Reload
	s_waitcnt vmcnt(0)
	v_pk_min_f16 v1, v1, v3
	v_pk_add_f16 v3, v5, v9
	v_pk_min_f16 v1, v1, v12
	v_pk_min_f16 v59, v1, v0
	s_clause 0x1
	buffer_load_dword v0, off, s[24:27], 0 offset:68
	buffer_load_dword v1, off, s[24:27], 0 offset:20
	s_waitcnt vmcnt(1)
	v_pk_max_f16 v0, v0, v0
	s_waitcnt vmcnt(0)
	v_pk_min_f16 v0, v0, v1
	buffer_load_dword v1, off, s[24:27], 0 offset:24 ; 4-byte Folded Reload
	s_waitcnt vmcnt(0)
	v_pk_min_f16 v0, v0, v1
	v_pk_min_f16 v0, v0, v2
	;; [unrolled: 1-line block ×3, first 2 shown]
	s_clause 0x1
	buffer_load_dword v0, off, s[24:27], 0 offset:124
	buffer_load_dword v1, off, s[24:27], 0
	s_waitcnt vmcnt(0)
	ds_write_b16 v0, v1
	buffer_load_dword v1, off, s[24:27], 0 offset:4 ; 4-byte Folded Reload
	s_waitcnt vmcnt(0)
	ds_write_b16 v0, v1 offset:512
	buffer_load_dword v1, off, s[24:27], 0 offset:8 ; 4-byte Folded Reload
	s_waitcnt vmcnt(0)
	ds_write_b16 v0, v1 offset:1024
	;; [unrolled: 3-line block ×3, first 2 shown]
	s_clause 0x1
	buffer_load_dword v0, off, s[24:27], 0 offset:128
	buffer_load_dword v1, off, s[24:27], 0 offset:16
	s_waitcnt vmcnt(0)
	ds_write_b16 v0, v1
	s_waitcnt lgkmcnt(0)
	s_waitcnt_vscnt null, 0x0
	s_barrier
	buffer_gl0_inv
	s_cbranch_scc0 .LBB208_10
; %bb.11:
	s_clause 0x2
	buffer_load_dword v0, off, s[24:27], 0 offset:156
	buffer_load_dword v162, off, s[24:27], 0 offset:160
	;; [unrolled: 1-line block ×3, first 2 shown]
	v_mov_b32_e32 v82, v132
	v_mov_b32_e32 v83, v134
	;; [unrolled: 1-line block ×8, first 2 shown]
.LBB208_12:
	s_load_dword s6, s[4:5], 0x50
	s_waitcnt vmcnt(1)
	v_add_nc_u32_e32 v111, s10, v162
	ds_read_b64 v[30:31], v185 offset:2048
	s_waitcnt vmcnt(0)
	ds_read_b64 v[46:47], v118 offset:4608
	v_add_nc_u32_e32 v44, s1, v0
	v_cmp_neq_f16_e64 s8, s15, 0
	v_mov_b32_e32 v34, 0
	v_ashrrev_i32_e32 v45, 31, v44
	s_and_b32 vcc_lo, exec_lo, s8
	v_lshlrev_b64 v[28:29], 1, v[44:45]
	s_waitcnt lgkmcnt(0)
	v_mad_i64_i32 v[1:2], null, v111, s6, 0
	v_lshlrev_b64 v[0:1], 1, v[1:2]
	v_add_co_u32 v48, s1, s12, v0
	v_add_co_ci_u32_e64 v49, null, s13, v1, s1
	v_mov_b32_e32 v0, 0
	s_cbranch_vccz .LBB208_14
; %bb.13:
	v_add_co_u32 v0, vcc_lo, v48, v28
	v_add_co_ci_u32_e64 v1, null, v49, v29, vcc_lo
	flat_load_ushort v0, v[0:1]
	s_waitcnt vmcnt(0) lgkmcnt(0)
	v_mul_f16_e32 v0, s15, v0
	v_cvt_f32_f16_e32 v0, v0
.LBB208_14:
	s_clause 0x1
	s_load_dword s7, s[4:5], 0x68
	s_load_dwordx2 s[4:5], s[4:5], 0x70
	v_pk_add_f16 v2, v30, v46
	v_pk_add_f16 v13, v31, v47
	v_max_f16_e32 v3, v39, v39
	v_lshrrev_b32_e32 v4, 16, v39
	v_add_nc_u32_e32 v1, 0x800, v185
	v_lshrrev_b32_e32 v5, 16, v2
	v_lshrrev_b32_e32 v6, 16, v13
	v_add_nc_u32_e32 v12, 0x1000, v118
	v_min_f16_e32 v14, v3, v2
	ds_read_b64 v[24:25], v185 offset:3840
	ds_read_b64 v[26:27], v118 offset:5056
	v_min3_f16 v15, v4, v5, v6
	v_max_f32_e32 v37, v0, v0
	ds_read2_b64 v[8:11], v1 offset0:32 offset1:64
	ds_read2_b64 v[4:7], v1 offset0:96 offset1:128
	;; [unrolled: 1-line block ×3, first 2 shown]
	v_min3_f16 v33, v14, v13, v15
	ds_read2_b64 v[20:23], v12 offset0:72 offset1:80
	ds_read2_b64 v[16:19], v12 offset0:88 offset1:96
	ds_read2_b64 v[12:15], v12 offset0:104 offset1:112
	s_waitcnt lgkmcnt(0)
	v_mad_i64_i32 v[35:36], null, v111, s7, 0
	v_add_nc_u32_e32 v32, 32, v44
	s_lshl_b64 s[4:5], s[4:5], 1
	v_cvt_f32_f16_e32 v39, v33
	s_add_u32 s2, s2, s4
	s_addc_u32 s3, s3, s5
	v_ashrrev_i32_e32 v33, 31, v32
	v_lshlrev_b64 v[35:36], 1, v[35:36]
	v_cndmask_b32_e64 v38, 0, 1, s8
	v_min_f32_e32 v37, v37, v39
	v_lshlrev_b64 v[32:33], 1, v[32:33]
	v_cmp_ne_u32_e64 s1, 1, v38
	v_add_co_u32 v50, vcc_lo, s2, v35
	v_add_co_ci_u32_e64 v51, null, s3, v36, vcc_lo
	v_cvt_f16_f32_e32 v37, v37
	v_add_co_u32 v35, vcc_lo, v50, v28
	v_add_co_ci_u32_e64 v36, null, v51, v29, vcc_lo
	s_andn2_b32 vcc_lo, exec_lo, s8
	flat_store_short v[35:36], v37
	s_cbranch_vccnz .LBB208_16
; %bb.15:
	v_add_co_u32 v34, vcc_lo, v48, v32
	v_add_co_ci_u32_e64 v35, null, v49, v33, vcc_lo
	flat_load_ushort v34, v[34:35]
	s_waitcnt vmcnt(0) lgkmcnt(0)
	v_mul_f16_e32 v34, s15, v34
	v_cvt_f32_f16_e32 v34, v34
.LBB208_16:
	v_pk_add_f16 v35, v8, v46
	v_pk_add_f16 v36, v9, v47
	v_max_f16_e32 v37, v40, v40
	v_lshrrev_b32_e32 v38, 16, v40
	v_max_f32_e32 v34, v34, v34
	v_lshrrev_b32_e32 v39, 16, v35
	v_lshrrev_b32_e32 v40, 16, v36
	v_min_f16_e32 v35, v37, v35
	v_min3_f16 v37, v38, v39, v40
	v_add_co_u32 v39, vcc_lo, v50, v32
	v_add_co_ci_u32_e64 v40, null, v51, v33, vcc_lo
	v_min3_f16 v36, v35, v36, v37
	v_add_nc_u32_e32 v35, 64, v44
	v_mov_b32_e32 v38, 0
	s_and_b32 vcc_lo, exec_lo, s1
	v_cvt_f32_f16_e32 v37, v36
	v_ashrrev_i32_e32 v36, 31, v35
	v_min_f32_e32 v34, v34, v37
	v_cvt_f16_f32_e32 v37, v34
	v_lshlrev_b64 v[34:35], 1, v[35:36]
	v_mov_b32_e32 v36, 0
	flat_store_short v[39:40], v37
	s_cbranch_vccnz .LBB208_18
; %bb.17:
	v_add_co_u32 v36, vcc_lo, v48, v34
	v_add_co_ci_u32_e64 v37, null, v49, v35, vcc_lo
	flat_load_ushort v36, v[36:37]
	s_waitcnt vmcnt(0) lgkmcnt(0)
	v_mul_f16_e32 v36, s15, v36
	v_cvt_f32_f16_e32 v36, v36
.LBB208_18:
	v_pk_add_f16 v37, v10, v46
	v_pk_add_f16 v39, v11, v47
	v_max_f16_e32 v40, v90, v90
	v_lshrrev_b32_e32 v41, 16, v90
	v_max_f32_e32 v36, v36, v36
	v_lshrrev_b32_e32 v42, 16, v37
	v_lshrrev_b32_e32 v45, 16, v39
	v_min_f16_e32 v37, v40, v37
	v_min3_f16 v40, v41, v42, v45
	v_add_co_u32 v41, vcc_lo, v50, v34
	v_add_co_ci_u32_e64 v42, null, v51, v35, vcc_lo
	v_min3_f16 v37, v37, v39, v40
	v_add_nc_u32_e32 v39, 0x60, v44
	s_and_b32 vcc_lo, exec_lo, s1
	v_cvt_f32_f16_e32 v37, v37
	v_ashrrev_i32_e32 v40, 31, v39
	v_min_f32_e32 v36, v36, v37
	v_cvt_f16_f32_e32 v45, v36
	v_lshlrev_b64 v[36:37], 1, v[39:40]
	flat_store_short v[41:42], v45
	s_cbranch_vccnz .LBB208_20
; %bb.19:
	v_add_co_u32 v38, vcc_lo, v48, v36
	v_add_co_ci_u32_e64 v39, null, v49, v37, vcc_lo
	flat_load_ushort v38, v[38:39]
	s_waitcnt vmcnt(0) lgkmcnt(0)
	v_mul_f16_e32 v38, s15, v38
	v_cvt_f32_f16_e32 v38, v38
.LBB208_20:
	v_pk_add_f16 v39, v4, v46
	v_pk_add_f16 v40, v5, v47
	v_max_f16_e32 v41, v43, v43
	v_lshrrev_b32_e32 v42, 16, v43
	v_max_f32_e32 v38, v38, v38
	v_lshrrev_b32_e32 v43, 16, v39
	v_lshrrev_b32_e32 v45, 16, v40
	v_min_f16_e32 v39, v41, v39
	v_add_co_u32 v52, vcc_lo, v50, v36
	v_add_co_ci_u32_e64 v53, null, v51, v37, vcc_lo
	v_min3_f16 v41, v42, v43, v45
	s_and_b32 vcc_lo, exec_lo, s1
	v_min3_f16 v40, v39, v40, v41
	v_add_nc_u32_e32 v39, 0x80, v44
	v_cvt_f32_f16_e32 v41, v40
	v_ashrrev_i32_e32 v40, 31, v39
	v_min_f32_e32 v41, v38, v41
	v_lshlrev_b64 v[42:43], 1, v[39:40]
	v_mov_b32_e32 v38, 0
	v_mov_b32_e32 v39, 0
	v_cvt_f16_f32_e32 v41, v41
	flat_store_short v[52:53], v41
	s_cbranch_vccnz .LBB208_22
; %bb.21:
	v_add_co_u32 v39, vcc_lo, v48, v42
	v_add_co_ci_u32_e64 v40, null, v49, v43, vcc_lo
	flat_load_ushort v39, v[39:40]
	s_waitcnt vmcnt(0) lgkmcnt(0)
	v_mul_f16_e32 v39, s15, v39
	v_cvt_f32_f16_e32 v39, v39
.LBB208_22:
	v_pk_add_f16 v40, v6, v46
	v_pk_add_f16 v41, v7, v47
	v_max_f16_e32 v45, v56, v56
	v_lshrrev_b32_e32 v52, 16, v56
	v_max_f32_e32 v39, v39, v39
	v_lshrrev_b32_e32 v53, 16, v40
	v_lshrrev_b32_e32 v54, 16, v41
	v_min_f16_e32 v40, v45, v40
	v_min3_f16 v45, v52, v53, v54
	v_add_co_u32 v52, vcc_lo, v50, v42
	v_add_co_ci_u32_e64 v53, null, v51, v43, vcc_lo
	v_min3_f16 v41, v40, v41, v45
	v_add_nc_u32_e32 v40, 0xa0, v44
	s_and_b32 vcc_lo, exec_lo, s1
	v_cvt_f32_f16_e32 v45, v41
	v_ashrrev_i32_e32 v41, 31, v40
	v_min_f32_e32 v39, v39, v45
	v_lshlrev_b64 v[40:41], 1, v[40:41]
	v_cvt_f16_f32_e32 v39, v39
	flat_store_short v[52:53], v39
	s_cbranch_vccnz .LBB208_24
; %bb.23:
	v_add_co_u32 v38, vcc_lo, v48, v40
	v_add_co_ci_u32_e64 v39, null, v49, v41, vcc_lo
	flat_load_ushort v38, v[38:39]
	s_waitcnt vmcnt(0) lgkmcnt(0)
	v_mul_f16_e32 v38, s15, v38
	v_cvt_f32_f16_e32 v38, v38
.LBB208_24:
	v_pk_add_f16 v39, v0, v46
	v_pk_add_f16 v45, v1, v47
	v_max_f16_e32 v52, v57, v57
	v_lshrrev_b32_e32 v53, 16, v57
	v_max_f32_e32 v38, v38, v38
	v_lshrrev_b32_e32 v54, 16, v39
	v_lshrrev_b32_e32 v55, 16, v45
	v_min_f16_e32 v39, v52, v39
	v_min3_f16 v52, v53, v54, v55
	v_add_nc_u32_e32 v53, 0xc0, v44
	v_add_co_u32 v55, vcc_lo, v50, v40
	v_add_co_ci_u32_e64 v56, null, v51, v41, vcc_lo
	v_min3_f16 v39, v39, v45, v52
	v_ashrrev_i32_e32 v54, 31, v53
	v_mov_b32_e32 v52, 0
	v_mov_b32_e32 v45, 0
	s_and_b32 vcc_lo, exec_lo, s1
	v_cvt_f32_f16_e32 v39, v39
	v_min_f32_e32 v38, v38, v39
	v_cvt_f16_f32_e32 v57, v38
	v_lshlrev_b64 v[38:39], 1, v[53:54]
	flat_store_short v[55:56], v57
	s_cbranch_vccnz .LBB208_26
; %bb.25:
	v_add_co_u32 v53, vcc_lo, v48, v38
	v_add_co_ci_u32_e64 v54, null, v49, v39, vcc_lo
	flat_load_ushort v45, v[53:54]
	s_waitcnt vmcnt(0) lgkmcnt(0)
	v_mul_f16_e32 v45, s15, v45
	v_cvt_f32_f16_e32 v45, v45
.LBB208_26:
	v_pk_add_f16 v53, v2, v46
	v_pk_add_f16 v54, v3, v47
	v_max_f16_e32 v55, v58, v58
	v_lshrrev_b32_e32 v56, 16, v58
	v_add_nc_u32_e32 v44, 0xe0, v44
	v_lshrrev_b32_e32 v57, 16, v53
	v_lshrrev_b32_e32 v58, 16, v54
	v_min_f16_e32 v53, v55, v53
	v_min3_f16 v55, v56, v57, v58
	v_min3_f16 v53, v53, v54, v55
	v_max_f32_e32 v54, v45, v45
	v_ashrrev_i32_e32 v45, 31, v44
	v_cvt_f32_f16_e32 v53, v53
	v_lshlrev_b64 v[44:45], 1, v[44:45]
	v_min_f32_e32 v55, v54, v53
	v_add_co_u32 v53, vcc_lo, v50, v38
	v_add_co_ci_u32_e64 v54, null, v51, v39, vcc_lo
	v_cvt_f16_f32_e32 v55, v55
	s_and_b32 vcc_lo, exec_lo, s1
	flat_store_short v[53:54], v55
	s_cbranch_vccnz .LBB208_28
; %bb.27:
	v_add_co_u32 v48, vcc_lo, v48, v44
	v_add_co_ci_u32_e64 v49, null, v49, v45, vcc_lo
	flat_load_ushort v48, v[48:49]
	s_waitcnt vmcnt(0) lgkmcnt(0)
	v_mul_f16_e32 v48, s15, v48
	v_cvt_f32_f16_e32 v52, v48
.LBB208_28:
	v_pk_add_f16 v46, v24, v46
	v_pk_add_f16 v49, v25, v47
	v_max_f16_e32 v47, v83, v83
	v_lshrrev_b32_e32 v53, 16, v83
	v_add_nc_u32_e32 v48, 8, v111
	v_lshrrev_b32_e32 v54, 16, v46
	v_lshrrev_b32_e32 v55, 16, v49
	v_min_f16_e32 v56, v47, v46
	v_mad_i64_i32 v[46:47], null, v48, s6, 0
	v_min3_f16 v53, v53, v54, v55
	v_max_f32_e32 v54, v52, v52
	v_add_co_u32 v52, vcc_lo, v50, v44
	v_mov_b32_e32 v50, 0
	v_min3_f16 v49, v56, v49, v53
	v_lshlrev_b64 v[46:47], 1, v[46:47]
	v_add_co_ci_u32_e64 v53, null, v51, v45, vcc_lo
	v_cvt_f32_f16_e32 v49, v49
	v_add_co_u32 v46, vcc_lo, s12, v46
	v_add_co_ci_u32_e64 v47, null, s13, v47, vcc_lo
	v_min_f32_e32 v49, v54, v49
	s_and_b32 vcc_lo, exec_lo, s1
	v_cvt_f16_f32_e32 v51, v49
	v_mov_b32_e32 v49, 0
	flat_store_short v[52:53], v51
	s_cbranch_vccnz .LBB208_30
; %bb.29:
	v_add_co_u32 v51, vcc_lo, v46, v28
	v_add_co_ci_u32_e64 v52, null, v47, v29, vcc_lo
	flat_load_ushort v49, v[51:52]
	s_waitcnt vmcnt(0) lgkmcnt(0)
	v_mul_f16_e32 v49, s15, v49
	v_cvt_f32_f16_e32 v49, v49
.LBB208_30:
	v_pk_add_f16 v51, v30, v20
	v_pk_add_f16 v53, v31, v21
	v_max_f16_e32 v52, v82, v82
	v_lshrrev_b32_e32 v54, 16, v82
	v_lshrrev_b32_e32 v55, 16, v51
	;; [unrolled: 1-line block ×3, first 2 shown]
	v_min_f16_e32 v57, v52, v51
	v_mad_i64_i32 v[51:52], null, v48, s7, 0
	v_min3_f16 v54, v54, v55, v56
	v_min3_f16 v48, v57, v53, v54
	v_max_f32_e32 v53, v49, v49
	v_cvt_f32_f16_e32 v54, v48
	v_lshlrev_b64 v[48:49], 1, v[51:52]
	v_min_f32_e32 v51, v53, v54
	v_add_co_u32 v48, vcc_lo, s2, v48
	v_add_co_ci_u32_e64 v49, null, s3, v49, vcc_lo
	v_cvt_f16_f32_e32 v53, v51
	v_add_co_u32 v51, vcc_lo, v48, v28
	v_add_co_ci_u32_e64 v52, null, v49, v29, vcc_lo
	s_and_b32 vcc_lo, exec_lo, s1
	flat_store_short v[51:52], v53
	s_cbranch_vccnz .LBB208_32
; %bb.31:
	v_add_co_u32 v50, vcc_lo, v46, v32
	v_add_co_ci_u32_e64 v51, null, v47, v33, vcc_lo
	flat_load_ushort v50, v[50:51]
	s_waitcnt vmcnt(0) lgkmcnt(0)
	v_mul_f16_e32 v50, s15, v50
	v_cvt_f32_f16_e32 v50, v50
.LBB208_32:
	v_pk_add_f16 v51, v8, v20
	v_pk_add_f16 v52, v9, v21
	v_max_f16_e32 v53, v254, v254
	v_lshrrev_b32_e32 v54, 16, v254
	v_max_f32_e32 v50, v50, v50
	v_lshrrev_b32_e32 v55, 16, v51
	v_lshrrev_b32_e32 v56, 16, v52
	v_min_f16_e32 v51, v53, v51
	v_min3_f16 v53, v54, v55, v56
	v_min3_f16 v51, v51, v52, v53
	v_add_co_u32 v52, vcc_lo, v48, v32
	v_add_co_ci_u32_e64 v53, null, v49, v33, vcc_lo
	v_cvt_f32_f16_e32 v51, v51
	s_and_b32 vcc_lo, exec_lo, s1
	v_min_f32_e32 v50, v50, v51
	v_mov_b32_e32 v51, 0
	v_cvt_f16_f32_e32 v54, v50
	v_mov_b32_e32 v50, 0
	flat_store_short v[52:53], v54
	s_cbranch_vccnz .LBB208_34
; %bb.33:
	v_add_co_u32 v51, vcc_lo, v46, v34
	v_add_co_ci_u32_e64 v52, null, v47, v35, vcc_lo
	flat_load_ushort v51, v[51:52]
	s_waitcnt vmcnt(0) lgkmcnt(0)
	v_mul_f16_e32 v51, s15, v51
	v_cvt_f32_f16_e32 v51, v51
.LBB208_34:
	v_pk_add_f16 v52, v10, v20
	v_pk_add_f16 v53, v11, v21
	v_max_f16_e32 v54, v131, v131
	v_lshrrev_b32_e32 v55, 16, v131
	v_max_f32_e32 v51, v51, v51
	v_lshrrev_b32_e32 v56, 16, v52
	v_lshrrev_b32_e32 v57, 16, v53
	v_min_f16_e32 v52, v54, v52
	v_min3_f16 v54, v55, v56, v57
	v_min3_f16 v52, v52, v53, v54
	v_cvt_f32_f16_e32 v52, v52
	v_min_f32_e32 v51, v51, v52
	v_cvt_f16_f32_e32 v53, v51
	v_add_co_u32 v51, vcc_lo, v48, v34
	v_add_co_ci_u32_e64 v52, null, v49, v35, vcc_lo
	s_and_b32 vcc_lo, exec_lo, s1
	flat_store_short v[51:52], v53
	s_cbranch_vccnz .LBB208_36
; %bb.35:
	v_add_co_u32 v50, vcc_lo, v46, v36
	v_add_co_ci_u32_e64 v51, null, v47, v37, vcc_lo
	flat_load_ushort v50, v[50:51]
	s_waitcnt vmcnt(0) lgkmcnt(0)
	v_mul_f16_e32 v50, s15, v50
	v_cvt_f32_f16_e32 v50, v50
.LBB208_36:
	v_pk_add_f16 v51, v4, v20
	v_pk_add_f16 v52, v5, v21
	v_max_f16_e32 v53, v248, v248
	v_lshrrev_b32_e32 v54, 16, v248
	v_max_f32_e32 v50, v50, v50
	v_lshrrev_b32_e32 v55, 16, v51
	v_lshrrev_b32_e32 v56, 16, v52
	v_min_f16_e32 v51, v53, v51
	v_min3_f16 v53, v54, v55, v56
	v_min3_f16 v51, v51, v52, v53
	v_add_co_u32 v52, vcc_lo, v48, v36
	v_add_co_ci_u32_e64 v53, null, v49, v37, vcc_lo
	v_cvt_f32_f16_e32 v51, v51
	s_and_b32 vcc_lo, exec_lo, s1
	v_min_f32_e32 v50, v50, v51
	v_mov_b32_e32 v51, 0
	v_cvt_f16_f32_e32 v54, v50
	v_mov_b32_e32 v50, 0
	flat_store_short v[52:53], v54
	s_cbranch_vccnz .LBB208_38
; %bb.37:
	v_add_co_u32 v51, vcc_lo, v46, v42
	v_add_co_ci_u32_e64 v52, null, v47, v43, vcc_lo
	flat_load_ushort v51, v[51:52]
	s_waitcnt vmcnt(0) lgkmcnt(0)
	v_mul_f16_e32 v51, s15, v51
	v_cvt_f32_f16_e32 v51, v51
.LBB208_38:
	v_pk_add_f16 v52, v6, v20
	v_pk_add_f16 v53, v7, v21
	v_max_f16_e32 v54, v245, v245
	v_lshrrev_b32_e32 v55, 16, v245
	v_max_f32_e32 v51, v51, v51
	v_lshrrev_b32_e32 v56, 16, v52
	v_lshrrev_b32_e32 v57, 16, v53
	v_min_f16_e32 v52, v54, v52
	v_min3_f16 v54, v55, v56, v57
	v_min3_f16 v52, v52, v53, v54
	v_cvt_f32_f16_e32 v52, v52
	v_min_f32_e32 v51, v51, v52
	;; [unrolled: 54-line block ×3, first 2 shown]
	v_cvt_f16_f32_e32 v53, v51
	v_add_co_u32 v51, vcc_lo, v48, v38
	v_add_co_ci_u32_e64 v52, null, v49, v39, vcc_lo
	s_and_b32 vcc_lo, exec_lo, s1
	flat_store_short v[51:52], v53
	s_cbranch_vccnz .LBB208_44
; %bb.43:
	v_add_co_u32 v46, vcc_lo, v46, v44
	v_add_co_ci_u32_e64 v47, null, v47, v45, vcc_lo
	flat_load_ushort v46, v[46:47]
	s_waitcnt vmcnt(0) lgkmcnt(0)
	v_mul_f16_e32 v46, s15, v46
	v_cvt_f32_f16_e32 v50, v46
.LBB208_44:
	v_pk_add_f16 v20, v24, v20
	v_pk_add_f16 v47, v25, v21
	v_max_f16_e32 v21, v108, v108
	v_lshrrev_b32_e32 v51, 16, v108
	v_add_nc_u32_e32 v46, 16, v111
	v_lshrrev_b32_e32 v52, 16, v20
	v_lshrrev_b32_e32 v53, 16, v47
	v_min_f16_e32 v54, v21, v20
	v_mad_i64_i32 v[20:21], null, v46, s6, 0
	v_min3_f16 v51, v51, v52, v53
	v_max_f32_e32 v52, v50, v50
	v_add_co_u32 v50, vcc_lo, v48, v44
	v_mov_b32_e32 v48, 0
	v_min3_f16 v47, v54, v47, v51
	v_lshlrev_b64 v[20:21], 1, v[20:21]
	v_add_co_ci_u32_e64 v51, null, v49, v45, vcc_lo
	v_cvt_f32_f16_e32 v47, v47
	v_add_co_u32 v20, vcc_lo, s12, v20
	v_add_co_ci_u32_e64 v21, null, s13, v21, vcc_lo
	v_min_f32_e32 v47, v52, v47
	s_and_b32 vcc_lo, exec_lo, s1
	v_cvt_f16_f32_e32 v49, v47
	v_mov_b32_e32 v47, 0
	flat_store_short v[50:51], v49
	s_cbranch_vccnz .LBB208_46
; %bb.45:
	v_add_co_u32 v49, vcc_lo, v20, v28
	v_add_co_ci_u32_e64 v50, null, v21, v29, vcc_lo
	flat_load_ushort v47, v[49:50]
	s_waitcnt vmcnt(0) lgkmcnt(0)
	v_mul_f16_e32 v47, s15, v47
	v_cvt_f32_f16_e32 v47, v47
.LBB208_46:
	v_pk_add_f16 v49, v30, v22
	v_pk_add_f16 v51, v31, v23
	v_max_f16_e32 v50, v236, v236
	v_lshrrev_b32_e32 v52, 16, v236
	v_lshrrev_b32_e32 v53, 16, v49
	v_lshrrev_b32_e32 v54, 16, v51
	v_min_f16_e32 v55, v50, v49
	v_mad_i64_i32 v[49:50], null, v46, s7, 0
	v_min3_f16 v52, v52, v53, v54
	v_min3_f16 v46, v55, v51, v52
	v_max_f32_e32 v51, v47, v47
	v_cvt_f32_f16_e32 v52, v46
	v_lshlrev_b64 v[46:47], 1, v[49:50]
	v_min_f32_e32 v49, v51, v52
	v_add_co_u32 v46, vcc_lo, s2, v46
	v_add_co_ci_u32_e64 v47, null, s3, v47, vcc_lo
	v_cvt_f16_f32_e32 v51, v49
	v_add_co_u32 v49, vcc_lo, v46, v28
	v_add_co_ci_u32_e64 v50, null, v47, v29, vcc_lo
	s_and_b32 vcc_lo, exec_lo, s1
	flat_store_short v[49:50], v51
	s_cbranch_vccnz .LBB208_48
; %bb.47:
	v_add_co_u32 v48, vcc_lo, v20, v32
	v_add_co_ci_u32_e64 v49, null, v21, v33, vcc_lo
	flat_load_ushort v48, v[48:49]
	s_waitcnt vmcnt(0) lgkmcnt(0)
	v_mul_f16_e32 v48, s15, v48
	v_cvt_f32_f16_e32 v48, v48
.LBB208_48:
	v_pk_add_f16 v49, v8, v22
	v_pk_add_f16 v50, v9, v23
	v_max_f16_e32 v51, v233, v233
	v_lshrrev_b32_e32 v52, 16, v233
	v_max_f32_e32 v48, v48, v48
	v_lshrrev_b32_e32 v53, 16, v49
	v_lshrrev_b32_e32 v54, 16, v50
	v_min_f16_e32 v49, v51, v49
	v_min3_f16 v51, v52, v53, v54
	v_min3_f16 v49, v49, v50, v51
	v_add_co_u32 v50, vcc_lo, v46, v32
	v_add_co_ci_u32_e64 v51, null, v47, v33, vcc_lo
	v_cvt_f32_f16_e32 v49, v49
	s_and_b32 vcc_lo, exec_lo, s1
	v_min_f32_e32 v48, v48, v49
	v_mov_b32_e32 v49, 0
	v_cvt_f16_f32_e32 v52, v48
	v_mov_b32_e32 v48, 0
	flat_store_short v[50:51], v52
	s_cbranch_vccnz .LBB208_50
; %bb.49:
	v_add_co_u32 v49, vcc_lo, v20, v34
	v_add_co_ci_u32_e64 v50, null, v21, v35, vcc_lo
	flat_load_ushort v49, v[49:50]
	s_waitcnt vmcnt(0) lgkmcnt(0)
	v_mul_f16_e32 v49, s15, v49
	v_cvt_f32_f16_e32 v49, v49
.LBB208_50:
	v_pk_add_f16 v50, v10, v22
	v_pk_add_f16 v51, v11, v23
	v_max_f16_e32 v52, v230, v230
	v_lshrrev_b32_e32 v53, 16, v230
	v_max_f32_e32 v49, v49, v49
	v_lshrrev_b32_e32 v54, 16, v50
	v_lshrrev_b32_e32 v55, 16, v51
	v_min_f16_e32 v50, v52, v50
	v_min3_f16 v52, v53, v54, v55
	v_min3_f16 v50, v50, v51, v52
	v_cvt_f32_f16_e32 v50, v50
	v_min_f32_e32 v49, v49, v50
	v_cvt_f16_f32_e32 v51, v49
	v_add_co_u32 v49, vcc_lo, v46, v34
	v_add_co_ci_u32_e64 v50, null, v47, v35, vcc_lo
	s_and_b32 vcc_lo, exec_lo, s1
	flat_store_short v[49:50], v51
	s_cbranch_vccnz .LBB208_52
; %bb.51:
	v_add_co_u32 v48, vcc_lo, v20, v36
	v_add_co_ci_u32_e64 v49, null, v21, v37, vcc_lo
	flat_load_ushort v48, v[48:49]
	s_waitcnt vmcnt(0) lgkmcnt(0)
	v_mul_f16_e32 v48, s15, v48
	v_cvt_f32_f16_e32 v48, v48
.LBB208_52:
	v_pk_add_f16 v49, v4, v22
	v_pk_add_f16 v50, v5, v23
	v_max_f16_e32 v51, v107, v107
	v_lshrrev_b32_e32 v52, 16, v107
	v_max_f32_e32 v48, v48, v48
	v_lshrrev_b32_e32 v53, 16, v49
	v_lshrrev_b32_e32 v54, 16, v50
	v_min_f16_e32 v49, v51, v49
	v_min3_f16 v51, v52, v53, v54
	v_min3_f16 v49, v49, v50, v51
	v_add_co_u32 v50, vcc_lo, v46, v36
	v_add_co_ci_u32_e64 v51, null, v47, v37, vcc_lo
	v_cvt_f32_f16_e32 v49, v49
	s_and_b32 vcc_lo, exec_lo, s1
	v_min_f32_e32 v48, v48, v49
	v_mov_b32_e32 v49, 0
	v_cvt_f16_f32_e32 v52, v48
	v_mov_b32_e32 v48, 0
	flat_store_short v[50:51], v52
	s_cbranch_vccnz .LBB208_54
; %bb.53:
	v_add_co_u32 v49, vcc_lo, v20, v42
	v_add_co_ci_u32_e64 v50, null, v21, v43, vcc_lo
	flat_load_ushort v49, v[49:50]
	s_waitcnt vmcnt(0) lgkmcnt(0)
	v_mul_f16_e32 v49, s15, v49
	v_cvt_f32_f16_e32 v49, v49
.LBB208_54:
	v_pk_add_f16 v50, v6, v22
	v_pk_add_f16 v51, v7, v23
	v_max_f16_e32 v52, v106, v106
	v_lshrrev_b32_e32 v53, 16, v106
	v_max_f32_e32 v49, v49, v49
	v_lshrrev_b32_e32 v54, 16, v50
	v_lshrrev_b32_e32 v55, 16, v51
	v_min_f16_e32 v50, v52, v50
	v_min3_f16 v52, v53, v54, v55
	v_min3_f16 v50, v50, v51, v52
	v_cvt_f32_f16_e32 v50, v50
	v_min_f32_e32 v49, v49, v50
	;; [unrolled: 54-line block ×3, first 2 shown]
	v_cvt_f16_f32_e32 v51, v49
	v_add_co_u32 v49, vcc_lo, v46, v38
	v_add_co_ci_u32_e64 v50, null, v47, v39, vcc_lo
	s_and_b32 vcc_lo, exec_lo, s1
	flat_store_short v[49:50], v51
	s_cbranch_vccnz .LBB208_60
; %bb.59:
	v_add_co_u32 v20, vcc_lo, v20, v44
	v_add_co_ci_u32_e64 v21, null, v21, v45, vcc_lo
	flat_load_ushort v20, v[20:21]
	s_waitcnt vmcnt(0) lgkmcnt(0)
	v_mul_f16_e32 v20, s15, v20
	v_cvt_f32_f16_e32 v48, v20
.LBB208_60:
	v_pk_add_f16 v20, v24, v22
	v_pk_add_f16 v23, v25, v23
	v_max_f16_e32 v21, v210, v210
	v_lshrrev_b32_e32 v49, 16, v210
	v_add_nc_u32_e32 v22, 24, v111
	v_lshrrev_b32_e32 v50, 16, v20
	v_lshrrev_b32_e32 v51, 16, v23
	v_min_f16_e32 v52, v21, v20
	v_mad_i64_i32 v[20:21], null, v22, s6, 0
	v_min3_f16 v49, v49, v50, v51
	v_max_f32_e32 v50, v48, v48
	v_add_co_u32 v48, vcc_lo, v46, v44
	v_mov_b32_e32 v46, 0
	v_min3_f16 v23, v52, v23, v49
	v_lshlrev_b64 v[20:21], 1, v[20:21]
	v_add_co_ci_u32_e64 v49, null, v47, v45, vcc_lo
	v_cvt_f32_f16_e32 v23, v23
	v_add_co_u32 v20, vcc_lo, s12, v20
	v_add_co_ci_u32_e64 v21, null, s13, v21, vcc_lo
	v_min_f32_e32 v23, v50, v23
	s_and_b32 vcc_lo, exec_lo, s1
	v_cvt_f16_f32_e32 v47, v23
	v_mov_b32_e32 v23, 0
	flat_store_short v[48:49], v47
	s_cbranch_vccnz .LBB208_62
; %bb.61:
	v_add_co_u32 v47, vcc_lo, v20, v28
	v_add_co_ci_u32_e64 v48, null, v21, v29, vcc_lo
	flat_load_ushort v23, v[47:48]
	s_waitcnt vmcnt(0) lgkmcnt(0)
	v_mul_f16_e32 v23, s15, v23
	v_cvt_f32_f16_e32 v23, v23
.LBB208_62:
	v_pk_add_f16 v47, v30, v16
	v_pk_add_f16 v49, v31, v17
	v_max_f16_e32 v48, v105, v105
	v_lshrrev_b32_e32 v50, 16, v105
	v_lshrrev_b32_e32 v51, 16, v47
	;; [unrolled: 1-line block ×3, first 2 shown]
	v_min_f16_e32 v53, v48, v47
	v_mad_i64_i32 v[47:48], null, v22, s7, 0
	v_min3_f16 v50, v50, v51, v52
	v_min3_f16 v22, v53, v49, v50
	v_max_f32_e32 v49, v23, v23
	v_cvt_f32_f16_e32 v50, v22
	v_lshlrev_b64 v[22:23], 1, v[47:48]
	v_min_f32_e32 v47, v49, v50
	v_add_co_u32 v22, vcc_lo, s2, v22
	v_add_co_ci_u32_e64 v23, null, s3, v23, vcc_lo
	v_cvt_f16_f32_e32 v49, v47
	v_add_co_u32 v47, vcc_lo, v22, v28
	v_add_co_ci_u32_e64 v48, null, v23, v29, vcc_lo
	s_and_b32 vcc_lo, exec_lo, s1
	flat_store_short v[47:48], v49
	s_cbranch_vccnz .LBB208_64
; %bb.63:
	v_add_co_u32 v46, vcc_lo, v20, v32
	v_add_co_ci_u32_e64 v47, null, v21, v33, vcc_lo
	flat_load_ushort v46, v[46:47]
	s_waitcnt vmcnt(0) lgkmcnt(0)
	v_mul_f16_e32 v46, s15, v46
	v_cvt_f32_f16_e32 v46, v46
.LBB208_64:
	v_pk_add_f16 v47, v8, v16
	v_pk_add_f16 v48, v9, v17
	v_max_f16_e32 v49, v204, v204
	v_lshrrev_b32_e32 v50, 16, v204
	v_max_f32_e32 v46, v46, v46
	v_lshrrev_b32_e32 v51, 16, v47
	v_lshrrev_b32_e32 v52, 16, v48
	v_min_f16_e32 v47, v49, v47
	v_min3_f16 v49, v50, v51, v52
	v_min3_f16 v47, v47, v48, v49
	v_add_co_u32 v48, vcc_lo, v22, v32
	v_add_co_ci_u32_e64 v49, null, v23, v33, vcc_lo
	v_cvt_f32_f16_e32 v47, v47
	s_and_b32 vcc_lo, exec_lo, s1
	v_min_f32_e32 v46, v46, v47
	v_mov_b32_e32 v47, 0
	v_cvt_f16_f32_e32 v50, v46
	v_mov_b32_e32 v46, 0
	flat_store_short v[48:49], v50
	s_cbranch_vccnz .LBB208_66
; %bb.65:
	v_add_co_u32 v47, vcc_lo, v20, v34
	v_add_co_ci_u32_e64 v48, null, v21, v35, vcc_lo
	flat_load_ushort v47, v[47:48]
	s_waitcnt vmcnt(0) lgkmcnt(0)
	v_mul_f16_e32 v47, s15, v47
	v_cvt_f32_f16_e32 v47, v47
.LBB208_66:
	v_pk_add_f16 v48, v10, v16
	v_pk_add_f16 v49, v11, v17
	v_max_f16_e32 v50, v201, v201
	v_lshrrev_b32_e32 v51, 16, v201
	v_max_f32_e32 v47, v47, v47
	v_lshrrev_b32_e32 v52, 16, v48
	v_lshrrev_b32_e32 v53, 16, v49
	v_min_f16_e32 v48, v50, v48
	v_min3_f16 v50, v51, v52, v53
	v_min3_f16 v48, v48, v49, v50
	v_cvt_f32_f16_e32 v48, v48
	v_min_f32_e32 v47, v47, v48
	v_cvt_f16_f32_e32 v49, v47
	v_add_co_u32 v47, vcc_lo, v22, v34
	v_add_co_ci_u32_e64 v48, null, v23, v35, vcc_lo
	s_and_b32 vcc_lo, exec_lo, s1
	flat_store_short v[47:48], v49
	s_cbranch_vccnz .LBB208_68
; %bb.67:
	v_add_co_u32 v46, vcc_lo, v20, v36
	v_add_co_ci_u32_e64 v47, null, v21, v37, vcc_lo
	flat_load_ushort v46, v[46:47]
	s_waitcnt vmcnt(0) lgkmcnt(0)
	v_mul_f16_e32 v46, s15, v46
	v_cvt_f32_f16_e32 v46, v46
.LBB208_68:
	v_pk_add_f16 v47, v4, v16
	v_pk_add_f16 v48, v5, v17
	v_max_f16_e32 v49, v104, v104
	v_lshrrev_b32_e32 v50, 16, v104
	v_max_f32_e32 v46, v46, v46
	v_lshrrev_b32_e32 v51, 16, v47
	v_lshrrev_b32_e32 v52, 16, v48
	v_min_f16_e32 v47, v49, v47
	v_min3_f16 v49, v50, v51, v52
	v_min3_f16 v47, v47, v48, v49
	v_add_co_u32 v48, vcc_lo, v22, v36
	v_add_co_ci_u32_e64 v49, null, v23, v37, vcc_lo
	v_cvt_f32_f16_e32 v47, v47
	s_and_b32 vcc_lo, exec_lo, s1
	v_min_f32_e32 v46, v46, v47
	v_mov_b32_e32 v47, 0
	v_cvt_f16_f32_e32 v50, v46
	v_mov_b32_e32 v46, 0
	flat_store_short v[48:49], v50
	s_cbranch_vccnz .LBB208_70
; %bb.69:
	v_add_co_u32 v47, vcc_lo, v20, v42
	v_add_co_ci_u32_e64 v48, null, v21, v43, vcc_lo
	flat_load_ushort v47, v[47:48]
	s_waitcnt vmcnt(0) lgkmcnt(0)
	v_mul_f16_e32 v47, s15, v47
	v_cvt_f32_f16_e32 v47, v47
.LBB208_70:
	v_pk_add_f16 v48, v6, v16
	v_pk_add_f16 v49, v7, v17
	v_max_f16_e32 v50, v103, v103
	v_lshrrev_b32_e32 v51, 16, v103
	v_max_f32_e32 v47, v47, v47
	v_lshrrev_b32_e32 v52, 16, v48
	v_lshrrev_b32_e32 v53, 16, v49
	v_min_f16_e32 v48, v50, v48
	v_min3_f16 v50, v51, v52, v53
	v_min3_f16 v48, v48, v49, v50
	v_cvt_f32_f16_e32 v48, v48
	v_min_f32_e32 v47, v47, v48
	v_cvt_f16_f32_e32 v49, v47
	v_add_co_u32 v47, vcc_lo, v22, v42
	v_add_co_ci_u32_e64 v48, null, v23, v43, vcc_lo
	s_and_b32 vcc_lo, exec_lo, s1
	flat_store_short v[47:48], v49
	s_cbranch_vccnz .LBB208_72
; %bb.71:
	v_add_co_u32 v46, vcc_lo, v20, v40
	v_add_co_ci_u32_e64 v47, null, v21, v41, vcc_lo
	flat_load_ushort v46, v[46:47]
	s_waitcnt vmcnt(0) lgkmcnt(0)
	v_mul_f16_e32 v46, s15, v46
	v_cvt_f32_f16_e32 v46, v46
.LBB208_72:
	v_pk_add_f16 v47, v0, v16
	v_pk_add_f16 v48, v1, v17
	v_max_f16_e32 v49, v192, v192
	v_lshrrev_b32_e32 v50, 16, v192
	v_max_f32_e32 v46, v46, v46
	v_lshrrev_b32_e32 v51, 16, v47
	v_lshrrev_b32_e32 v52, 16, v48
	v_min_f16_e32 v47, v49, v47
	v_min3_f16 v49, v50, v51, v52
	v_min3_f16 v47, v47, v48, v49
	v_add_co_u32 v48, vcc_lo, v22, v40
	v_add_co_ci_u32_e64 v49, null, v23, v41, vcc_lo
	v_cvt_f32_f16_e32 v47, v47
	s_and_b32 vcc_lo, exec_lo, s1
	v_min_f32_e32 v46, v46, v47
	v_mov_b32_e32 v47, 0
	v_cvt_f16_f32_e32 v50, v46
	v_mov_b32_e32 v46, 0
	flat_store_short v[48:49], v50
	s_cbranch_vccnz .LBB208_74
; %bb.73:
	v_add_co_u32 v47, vcc_lo, v20, v38
	v_add_co_ci_u32_e64 v48, null, v21, v39, vcc_lo
	flat_load_ushort v47, v[47:48]
	s_waitcnt vmcnt(0) lgkmcnt(0)
	v_mul_f16_e32 v47, s15, v47
	v_cvt_f32_f16_e32 v47, v47
.LBB208_74:
	v_pk_add_f16 v48, v2, v16
	v_pk_add_f16 v49, v3, v17
	v_max_f16_e32 v50, v102, v102
	v_lshrrev_b32_e32 v51, 16, v102
	v_max_f32_e32 v47, v47, v47
	v_lshrrev_b32_e32 v52, 16, v48
	v_lshrrev_b32_e32 v53, 16, v49
	v_min_f16_e32 v48, v50, v48
	v_min3_f16 v50, v51, v52, v53
	v_min3_f16 v48, v48, v49, v50
	v_cvt_f32_f16_e32 v48, v48
	v_min_f32_e32 v47, v47, v48
	v_cvt_f16_f32_e32 v49, v47
	v_add_co_u32 v47, vcc_lo, v22, v38
	v_add_co_ci_u32_e64 v48, null, v23, v39, vcc_lo
	s_and_b32 vcc_lo, exec_lo, s1
	flat_store_short v[47:48], v49
	s_cbranch_vccnz .LBB208_76
; %bb.75:
	v_add_co_u32 v20, vcc_lo, v20, v44
	v_add_co_ci_u32_e64 v21, null, v21, v45, vcc_lo
	flat_load_ushort v20, v[20:21]
	s_waitcnt vmcnt(0) lgkmcnt(0)
	v_mul_f16_e32 v20, s15, v20
	v_cvt_f32_f16_e32 v46, v20
.LBB208_76:
	v_pk_add_f16 v16, v24, v16
	v_pk_add_f16 v21, v25, v17
	v_max_f16_e32 v17, v187, v187
	v_lshrrev_b32_e32 v47, 16, v187
	v_add_nc_u32_e32 v20, 32, v111
	v_lshrrev_b32_e32 v48, 16, v16
	v_lshrrev_b32_e32 v49, 16, v21
	v_min_f16_e32 v50, v17, v16
	v_mad_i64_i32 v[16:17], null, v20, s6, 0
	v_min3_f16 v47, v47, v48, v49
	v_max_f32_e32 v48, v46, v46
	v_add_co_u32 v46, vcc_lo, v22, v44
	v_mov_b32_e32 v22, 0
	v_min3_f16 v21, v50, v21, v47
	v_lshlrev_b64 v[16:17], 1, v[16:17]
	v_add_co_ci_u32_e64 v47, null, v23, v45, vcc_lo
	v_cvt_f32_f16_e32 v21, v21
	v_add_co_u32 v16, vcc_lo, s12, v16
	v_add_co_ci_u32_e64 v17, null, s13, v17, vcc_lo
	v_min_f32_e32 v21, v48, v21
	s_and_b32 vcc_lo, exec_lo, s1
	v_cvt_f16_f32_e32 v23, v21
	v_mov_b32_e32 v21, 0
	flat_store_short v[46:47], v23
	s_cbranch_vccnz .LBB208_78
; %bb.77:
	v_add_co_u32 v46, vcc_lo, v16, v28
	v_add_co_ci_u32_e64 v47, null, v17, v29, vcc_lo
	flat_load_ushort v21, v[46:47]
	s_waitcnt vmcnt(0) lgkmcnt(0)
	v_mul_f16_e32 v21, s15, v21
	v_cvt_f32_f16_e32 v21, v21
.LBB208_78:
	v_pk_add_f16 v23, v30, v18
	v_pk_add_f16 v48, v31, v19
	v_max_f16_e32 v46, v101, v101
	v_lshrrev_b32_e32 v47, 16, v101
	v_lshrrev_b32_e32 v49, 16, v23
	;; [unrolled: 1-line block ×3, first 2 shown]
	v_min_f16_e32 v23, v46, v23
	v_min3_f16 v49, v47, v49, v50
	v_mad_i64_i32 v[46:47], null, v20, s7, 0
	v_min3_f16 v20, v23, v48, v49
	v_max_f32_e32 v23, v21, v21
	v_cvt_f32_f16_e32 v48, v20
	v_lshlrev_b64 v[20:21], 1, v[46:47]
	v_min_f32_e32 v23, v23, v48
	v_add_co_u32 v20, vcc_lo, s2, v20
	v_add_co_ci_u32_e64 v21, null, s3, v21, vcc_lo
	v_cvt_f16_f32_e32 v23, v23
	v_add_co_u32 v46, vcc_lo, v20, v28
	v_add_co_ci_u32_e64 v47, null, v21, v29, vcc_lo
	s_and_b32 vcc_lo, exec_lo, s1
	flat_store_short v[46:47], v23
	s_cbranch_vccnz .LBB208_80
; %bb.79:
	v_add_co_u32 v22, vcc_lo, v16, v32
	v_add_co_ci_u32_e64 v23, null, v17, v33, vcc_lo
	flat_load_ushort v22, v[22:23]
	s_waitcnt vmcnt(0) lgkmcnt(0)
	v_mul_f16_e32 v22, s15, v22
	v_cvt_f32_f16_e32 v22, v22
.LBB208_80:
	v_pk_add_f16 v23, v8, v18
	v_pk_add_f16 v46, v9, v19
	v_max_f16_e32 v47, v100, v100
	v_lshrrev_b32_e32 v48, 16, v100
	v_max_f32_e32 v22, v22, v22
	v_lshrrev_b32_e32 v49, 16, v23
	v_lshrrev_b32_e32 v50, 16, v46
	v_min_f16_e32 v23, v47, v23
	v_min3_f16 v47, v48, v49, v50
	v_min3_f16 v23, v23, v46, v47
	v_add_co_u32 v46, vcc_lo, v20, v32
	v_add_co_ci_u32_e64 v47, null, v21, v33, vcc_lo
	v_cvt_f32_f16_e32 v23, v23
	s_and_b32 vcc_lo, exec_lo, s1
	v_min_f32_e32 v22, v22, v23
	v_mov_b32_e32 v23, 0
	v_cvt_f16_f32_e32 v48, v22
	v_mov_b32_e32 v22, 0
	flat_store_short v[46:47], v48
	s_cbranch_vccnz .LBB208_82
; %bb.81:
	v_add_co_u32 v46, vcc_lo, v16, v34
	v_add_co_ci_u32_e64 v47, null, v17, v35, vcc_lo
	flat_load_ushort v23, v[46:47]
	s_waitcnt vmcnt(0) lgkmcnt(0)
	v_mul_f16_e32 v23, s15, v23
	v_cvt_f32_f16_e32 v23, v23
.LBB208_82:
	v_pk_add_f16 v46, v10, v18
	v_pk_add_f16 v47, v11, v19
	v_max_f16_e32 v48, v99, v99
	v_lshrrev_b32_e32 v49, 16, v99
	v_max_f32_e32 v23, v23, v23
	v_lshrrev_b32_e32 v50, 16, v46
	v_lshrrev_b32_e32 v51, 16, v47
	v_min_f16_e32 v46, v48, v46
	v_min3_f16 v48, v49, v50, v51
	v_min3_f16 v46, v46, v47, v48
	v_cvt_f32_f16_e32 v46, v46
	v_min_f32_e32 v23, v23, v46
	v_add_co_u32 v46, vcc_lo, v20, v34
	v_add_co_ci_u32_e64 v47, null, v21, v35, vcc_lo
	v_cvt_f16_f32_e32 v23, v23
	s_and_b32 vcc_lo, exec_lo, s1
	flat_store_short v[46:47], v23
	s_cbranch_vccnz .LBB208_84
; %bb.83:
	v_add_co_u32 v22, vcc_lo, v16, v36
	v_add_co_ci_u32_e64 v23, null, v17, v37, vcc_lo
	flat_load_ushort v22, v[22:23]
	s_waitcnt vmcnt(0) lgkmcnt(0)
	v_mul_f16_e32 v22, s15, v22
	v_cvt_f32_f16_e32 v22, v22
.LBB208_84:
	v_pk_add_f16 v23, v4, v18
	v_pk_add_f16 v46, v5, v19
	v_max_f16_e32 v47, v177, v177
	v_lshrrev_b32_e32 v48, 16, v177
	v_max_f32_e32 v22, v22, v22
	v_lshrrev_b32_e32 v49, 16, v23
	v_lshrrev_b32_e32 v50, 16, v46
	v_min_f16_e32 v23, v47, v23
	v_min3_f16 v47, v48, v49, v50
	v_min3_f16 v23, v23, v46, v47
	v_add_co_u32 v46, vcc_lo, v20, v36
	v_add_co_ci_u32_e64 v47, null, v21, v37, vcc_lo
	v_cvt_f32_f16_e32 v23, v23
	s_and_b32 vcc_lo, exec_lo, s1
	v_min_f32_e32 v22, v22, v23
	v_mov_b32_e32 v23, 0
	v_cvt_f16_f32_e32 v48, v22
	v_mov_b32_e32 v22, 0
	flat_store_short v[46:47], v48
	s_cbranch_vccnz .LBB208_86
; %bb.85:
	v_add_co_u32 v46, vcc_lo, v16, v42
	v_add_co_ci_u32_e64 v47, null, v17, v43, vcc_lo
	flat_load_ushort v23, v[46:47]
	s_waitcnt vmcnt(0) lgkmcnt(0)
	v_mul_f16_e32 v23, s15, v23
	v_cvt_f32_f16_e32 v23, v23
.LBB208_86:
	v_pk_add_f16 v46, v6, v18
	v_pk_add_f16 v47, v7, v19
	v_max_f16_e32 v48, v98, v98
	v_lshrrev_b32_e32 v49, 16, v98
	v_max_f32_e32 v23, v23, v23
	v_lshrrev_b32_e32 v50, 16, v46
	v_lshrrev_b32_e32 v51, 16, v47
	v_min_f16_e32 v46, v48, v46
	v_min3_f16 v48, v49, v50, v51
	v_min3_f16 v46, v46, v47, v48
	v_cvt_f32_f16_e32 v46, v46
	v_min_f32_e32 v23, v23, v46
	v_add_co_u32 v46, vcc_lo, v20, v42
	v_add_co_ci_u32_e64 v47, null, v21, v43, vcc_lo
	v_cvt_f16_f32_e32 v23, v23
	;; [unrolled: 54-line block ×3, first 2 shown]
	s_and_b32 vcc_lo, exec_lo, s1
	flat_store_short v[46:47], v23
	s_cbranch_vccnz .LBB208_92
; %bb.91:
	v_add_co_u32 v16, vcc_lo, v16, v44
	v_add_co_ci_u32_e64 v17, null, v17, v45, vcc_lo
	flat_load_ushort v16, v[16:17]
	s_waitcnt vmcnt(0) lgkmcnt(0)
	v_mul_f16_e32 v16, s15, v16
	v_cvt_f32_f16_e32 v22, v16
.LBB208_92:
	v_pk_add_f16 v16, v24, v18
	v_pk_add_f16 v19, v25, v19
	v_max_f16_e32 v17, v95, v95
	v_lshrrev_b32_e32 v23, 16, v95
	v_add_nc_u32_e32 v18, 40, v111
	v_lshrrev_b32_e32 v46, 16, v16
	v_lshrrev_b32_e32 v47, 16, v19
	v_min_f16_e32 v48, v17, v16
	v_mad_i64_i32 v[16:17], null, v18, s6, 0
	v_min3_f16 v23, v23, v46, v47
	v_max_f32_e32 v46, v22, v22
	v_add_co_u32 v22, vcc_lo, v20, v44
	v_mov_b32_e32 v20, 0
	v_min3_f16 v19, v48, v19, v23
	v_lshlrev_b64 v[16:17], 1, v[16:17]
	v_add_co_ci_u32_e64 v23, null, v21, v45, vcc_lo
	v_cvt_f32_f16_e32 v19, v19
	v_add_co_u32 v16, vcc_lo, s12, v16
	v_add_co_ci_u32_e64 v17, null, s13, v17, vcc_lo
	v_min_f32_e32 v19, v46, v19
	s_and_b32 vcc_lo, exec_lo, s1
	v_cvt_f16_f32_e32 v21, v19
	v_mov_b32_e32 v19, 0
	flat_store_short v[22:23], v21
	s_cbranch_vccnz .LBB208_94
; %bb.93:
	v_add_co_u32 v21, vcc_lo, v16, v28
	v_add_co_ci_u32_e64 v22, null, v17, v29, vcc_lo
	flat_load_ushort v19, v[21:22]
	s_waitcnt vmcnt(0) lgkmcnt(0)
	v_mul_f16_e32 v19, s15, v19
	v_cvt_f32_f16_e32 v19, v19
.LBB208_94:
	v_pk_add_f16 v21, v30, v12
	v_pk_add_f16 v23, v31, v13
	v_max_f16_e32 v22, v94, v94
	v_lshrrev_b32_e32 v46, 16, v94
	v_lshrrev_b32_e32 v47, 16, v21
	;; [unrolled: 1-line block ×3, first 2 shown]
	v_min_f16_e32 v49, v22, v21
	v_mad_i64_i32 v[21:22], null, v18, s7, 0
	v_min3_f16 v46, v46, v47, v48
	v_min3_f16 v18, v49, v23, v46
	v_max_f32_e32 v23, v19, v19
	v_cvt_f32_f16_e32 v46, v18
	v_lshlrev_b64 v[18:19], 1, v[21:22]
	v_min_f32_e32 v21, v23, v46
	v_add_co_u32 v18, vcc_lo, s2, v18
	v_add_co_ci_u32_e64 v19, null, s3, v19, vcc_lo
	v_cvt_f16_f32_e32 v23, v21
	v_add_co_u32 v21, vcc_lo, v18, v28
	v_add_co_ci_u32_e64 v22, null, v19, v29, vcc_lo
	s_and_b32 vcc_lo, exec_lo, s1
	flat_store_short v[21:22], v23
	s_cbranch_vccnz .LBB208_96
; %bb.95:
	v_add_co_u32 v20, vcc_lo, v16, v32
	v_add_co_ci_u32_e64 v21, null, v17, v33, vcc_lo
	flat_load_ushort v20, v[20:21]
	s_waitcnt vmcnt(0) lgkmcnt(0)
	v_mul_f16_e32 v20, s15, v20
	v_cvt_f32_f16_e32 v20, v20
.LBB208_96:
	v_pk_add_f16 v21, v8, v12
	v_pk_add_f16 v22, v9, v13
	v_max_f16_e32 v23, v93, v93
	v_lshrrev_b32_e32 v46, 16, v93
	v_max_f32_e32 v20, v20, v20
	v_lshrrev_b32_e32 v47, 16, v21
	v_lshrrev_b32_e32 v48, 16, v22
	v_min_f16_e32 v21, v23, v21
	v_min3_f16 v23, v46, v47, v48
	v_min3_f16 v21, v21, v22, v23
	v_add_co_u32 v22, vcc_lo, v18, v32
	v_add_co_ci_u32_e64 v23, null, v19, v33, vcc_lo
	v_cvt_f32_f16_e32 v21, v21
	s_and_b32 vcc_lo, exec_lo, s1
	v_min_f32_e32 v20, v20, v21
	v_mov_b32_e32 v21, 0
	v_cvt_f16_f32_e32 v46, v20
	v_mov_b32_e32 v20, 0
	flat_store_short v[22:23], v46
	s_cbranch_vccnz .LBB208_98
; %bb.97:
	v_add_co_u32 v21, vcc_lo, v16, v34
	v_add_co_ci_u32_e64 v22, null, v17, v35, vcc_lo
	flat_load_ushort v21, v[21:22]
	s_waitcnt vmcnt(0) lgkmcnt(0)
	v_mul_f16_e32 v21, s15, v21
	v_cvt_f32_f16_e32 v21, v21
.LBB208_98:
	v_pk_add_f16 v22, v10, v12
	v_pk_add_f16 v23, v11, v13
	v_max_f16_e32 v46, v149, v149
	v_lshrrev_b32_e32 v47, 16, v149
	v_max_f32_e32 v21, v21, v21
	v_lshrrev_b32_e32 v48, 16, v22
	v_lshrrev_b32_e32 v49, 16, v23
	v_min_f16_e32 v22, v46, v22
	v_min3_f16 v46, v47, v48, v49
	v_min3_f16 v22, v22, v23, v46
	v_cvt_f32_f16_e32 v22, v22
	v_min_f32_e32 v21, v21, v22
	v_cvt_f16_f32_e32 v23, v21
	v_add_co_u32 v21, vcc_lo, v18, v34
	v_add_co_ci_u32_e64 v22, null, v19, v35, vcc_lo
	s_and_b32 vcc_lo, exec_lo, s1
	flat_store_short v[21:22], v23
	s_cbranch_vccnz .LBB208_100
; %bb.99:
	v_add_co_u32 v20, vcc_lo, v16, v36
	v_add_co_ci_u32_e64 v21, null, v17, v37, vcc_lo
	flat_load_ushort v20, v[20:21]
	s_waitcnt vmcnt(0) lgkmcnt(0)
	v_mul_f16_e32 v20, s15, v20
	v_cvt_f32_f16_e32 v20, v20
.LBB208_100:
	v_pk_add_f16 v21, v4, v12
	v_pk_add_f16 v22, v5, v13
	v_max_f16_e32 v23, v147, v147
	v_lshrrev_b32_e32 v46, 16, v147
	v_max_f32_e32 v20, v20, v20
	v_lshrrev_b32_e32 v47, 16, v21
	v_lshrrev_b32_e32 v48, 16, v22
	v_min_f16_e32 v21, v23, v21
	v_min3_f16 v23, v46, v47, v48
	v_min3_f16 v21, v21, v22, v23
	v_add_co_u32 v22, vcc_lo, v18, v36
	v_add_co_ci_u32_e64 v23, null, v19, v37, vcc_lo
	v_cvt_f32_f16_e32 v21, v21
	s_and_b32 vcc_lo, exec_lo, s1
	v_min_f32_e32 v20, v20, v21
	v_mov_b32_e32 v21, 0
	v_cvt_f16_f32_e32 v46, v20
	v_mov_b32_e32 v20, 0
	flat_store_short v[22:23], v46
	s_cbranch_vccnz .LBB208_102
; %bb.101:
	v_add_co_u32 v21, vcc_lo, v16, v42
	v_add_co_ci_u32_e64 v22, null, v17, v43, vcc_lo
	flat_load_ushort v21, v[21:22]
	s_waitcnt vmcnt(0) lgkmcnt(0)
	v_mul_f16_e32 v21, s15, v21
	v_cvt_f32_f16_e32 v21, v21
.LBB208_102:
	v_pk_add_f16 v22, v6, v12
	v_pk_add_f16 v23, v7, v13
	v_max_f16_e32 v46, v115, v115
	v_lshrrev_b32_e32 v47, 16, v115
	v_max_f32_e32 v21, v21, v21
	v_lshrrev_b32_e32 v48, 16, v22
	v_lshrrev_b32_e32 v49, 16, v23
	v_min_f16_e32 v22, v46, v22
	v_min3_f16 v46, v47, v48, v49
	v_min3_f16 v22, v22, v23, v46
	v_cvt_f32_f16_e32 v22, v22
	v_min_f32_e32 v21, v21, v22
	;; [unrolled: 54-line block ×3, first 2 shown]
	v_cvt_f16_f32_e32 v23, v21
	v_add_co_u32 v21, vcc_lo, v18, v38
	v_add_co_ci_u32_e64 v22, null, v19, v39, vcc_lo
	s_and_b32 vcc_lo, exec_lo, s1
	flat_store_short v[21:22], v23
	s_cbranch_vccnz .LBB208_108
; %bb.107:
	v_add_co_u32 v16, vcc_lo, v16, v44
	v_add_co_ci_u32_e64 v17, null, v17, v45, vcc_lo
	flat_load_ushort v16, v[16:17]
	s_waitcnt vmcnt(0) lgkmcnt(0)
	v_mul_f16_e32 v16, s15, v16
	v_cvt_f32_f16_e32 v20, v16
.LBB208_108:
	v_pk_add_f16 v12, v24, v12
	v_pk_add_f16 v17, v25, v13
	v_max_f16_e32 v13, v121, v121
	v_lshrrev_b32_e32 v21, 16, v121
	v_add_nc_u32_e32 v16, 48, v111
	v_lshrrev_b32_e32 v22, 16, v12
	v_lshrrev_b32_e32 v23, 16, v17
	v_min_f16_e32 v46, v13, v12
	v_mad_i64_i32 v[12:13], null, v16, s6, 0
	v_min3_f16 v21, v21, v22, v23
	v_max_f32_e32 v22, v20, v20
	v_add_co_u32 v20, vcc_lo, v18, v44
	v_mov_b32_e32 v18, 0
	v_min3_f16 v17, v46, v17, v21
	v_lshlrev_b64 v[12:13], 1, v[12:13]
	v_add_co_ci_u32_e64 v21, null, v19, v45, vcc_lo
	v_cvt_f32_f16_e32 v17, v17
	v_add_co_u32 v12, vcc_lo, s12, v12
	v_add_co_ci_u32_e64 v13, null, s13, v13, vcc_lo
	v_min_f32_e32 v17, v22, v17
	s_and_b32 vcc_lo, exec_lo, s1
	v_cvt_f16_f32_e32 v19, v17
	v_mov_b32_e32 v17, 0
	flat_store_short v[20:21], v19
	s_cbranch_vccnz .LBB208_110
; %bb.109:
	v_add_co_u32 v19, vcc_lo, v12, v28
	v_add_co_ci_u32_e64 v20, null, v13, v29, vcc_lo
	flat_load_ushort v17, v[19:20]
	s_waitcnt vmcnt(0) lgkmcnt(0)
	v_mul_f16_e32 v17, s15, v17
	v_cvt_f32_f16_e32 v17, v17
.LBB208_110:
	v_pk_add_f16 v19, v30, v14
	v_pk_add_f16 v21, v31, v15
	v_max_f16_e32 v20, v86, v86
	v_lshrrev_b32_e32 v22, 16, v86
	v_lshrrev_b32_e32 v23, 16, v19
	;; [unrolled: 1-line block ×3, first 2 shown]
	v_min_f16_e32 v47, v20, v19
	v_mad_i64_i32 v[19:20], null, v16, s7, 0
	v_min3_f16 v22, v22, v23, v46
	v_min3_f16 v16, v47, v21, v22
	v_max_f32_e32 v21, v17, v17
	v_cvt_f32_f16_e32 v22, v16
	v_lshlrev_b64 v[16:17], 1, v[19:20]
	v_min_f32_e32 v19, v21, v22
	v_add_co_u32 v16, vcc_lo, s2, v16
	v_add_co_ci_u32_e64 v17, null, s3, v17, vcc_lo
	v_cvt_f16_f32_e32 v21, v19
	v_add_co_u32 v19, vcc_lo, v16, v28
	v_add_co_ci_u32_e64 v20, null, v17, v29, vcc_lo
	s_and_b32 vcc_lo, exec_lo, s1
	flat_store_short v[19:20], v21
	s_cbranch_vccnz .LBB208_112
; %bb.111:
	v_add_co_u32 v18, vcc_lo, v12, v32
	v_add_co_ci_u32_e64 v19, null, v13, v33, vcc_lo
	flat_load_ushort v18, v[18:19]
	s_waitcnt vmcnt(0) lgkmcnt(0)
	v_mul_f16_e32 v18, s15, v18
	v_cvt_f32_f16_e32 v18, v18
.LBB208_112:
	v_pk_add_f16 v19, v8, v14
	v_pk_add_f16 v20, v9, v15
	v_max_f16_e32 v21, v85, v85
	v_lshrrev_b32_e32 v22, 16, v85
	v_max_f32_e32 v18, v18, v18
	v_lshrrev_b32_e32 v23, 16, v19
	v_lshrrev_b32_e32 v46, 16, v20
	v_min_f16_e32 v19, v21, v19
	v_min3_f16 v21, v22, v23, v46
	v_min3_f16 v19, v19, v20, v21
	v_add_co_u32 v20, vcc_lo, v16, v32
	v_add_co_ci_u32_e64 v21, null, v17, v33, vcc_lo
	v_cvt_f32_f16_e32 v19, v19
	s_and_b32 vcc_lo, exec_lo, s1
	v_min_f32_e32 v18, v18, v19
	v_mov_b32_e32 v19, 0
	v_cvt_f16_f32_e32 v22, v18
	v_mov_b32_e32 v18, 0
	flat_store_short v[20:21], v22
	s_cbranch_vccnz .LBB208_114
; %bb.113:
	v_add_co_u32 v19, vcc_lo, v12, v34
	v_add_co_ci_u32_e64 v20, null, v13, v35, vcc_lo
	flat_load_ushort v19, v[19:20]
	s_waitcnt vmcnt(0) lgkmcnt(0)
	v_mul_f16_e32 v19, s15, v19
	v_cvt_f32_f16_e32 v19, v19
.LBB208_114:
	v_pk_add_f16 v20, v10, v14
	v_pk_add_f16 v21, v11, v15
	v_max_f16_e32 v22, v84, v84
	v_lshrrev_b32_e32 v23, 16, v84
	v_max_f32_e32 v19, v19, v19
	v_lshrrev_b32_e32 v46, 16, v20
	v_lshrrev_b32_e32 v47, 16, v21
	v_min_f16_e32 v20, v22, v20
	v_min3_f16 v22, v23, v46, v47
	v_min3_f16 v20, v20, v21, v22
	v_cvt_f32_f16_e32 v20, v20
	v_min_f32_e32 v19, v19, v20
	v_cvt_f16_f32_e32 v21, v19
	v_add_co_u32 v19, vcc_lo, v16, v34
	v_add_co_ci_u32_e64 v20, null, v17, v35, vcc_lo
	s_and_b32 vcc_lo, exec_lo, s1
	flat_store_short v[19:20], v21
	s_cbranch_vccnz .LBB208_116
; %bb.115:
	v_add_co_u32 v18, vcc_lo, v12, v36
	v_add_co_ci_u32_e64 v19, null, v13, v37, vcc_lo
	flat_load_ushort v18, v[18:19]
	s_waitcnt vmcnt(0) lgkmcnt(0)
	v_mul_f16_e32 v18, s15, v18
	v_cvt_f32_f16_e32 v18, v18
.LBB208_116:
	v_pk_add_f16 v19, v4, v14
	v_pk_add_f16 v20, v5, v15
	v_max_f16_e32 v21, v70, v70
	v_lshrrev_b32_e32 v22, 16, v70
	v_max_f32_e32 v18, v18, v18
	v_lshrrev_b32_e32 v23, 16, v19
	v_lshrrev_b32_e32 v46, 16, v20
	v_min_f16_e32 v19, v21, v19
	v_min3_f16 v21, v22, v23, v46
	v_min3_f16 v19, v19, v20, v21
	v_add_co_u32 v20, vcc_lo, v16, v36
	v_add_co_ci_u32_e64 v21, null, v17, v37, vcc_lo
	v_cvt_f32_f16_e32 v19, v19
	s_and_b32 vcc_lo, exec_lo, s1
	v_min_f32_e32 v18, v18, v19
	v_mov_b32_e32 v19, 0
	v_cvt_f16_f32_e32 v22, v18
	v_mov_b32_e32 v18, 0
	flat_store_short v[20:21], v22
	s_cbranch_vccnz .LBB208_118
; %bb.117:
	v_add_co_u32 v19, vcc_lo, v12, v42
	v_add_co_ci_u32_e64 v20, null, v13, v43, vcc_lo
	flat_load_ushort v19, v[19:20]
	s_waitcnt vmcnt(0) lgkmcnt(0)
	v_mul_f16_e32 v19, s15, v19
	v_cvt_f32_f16_e32 v19, v19
.LBB208_118:
	v_pk_add_f16 v20, v6, v14
	v_pk_add_f16 v21, v7, v15
	v_max_f16_e32 v22, v69, v69
	v_lshrrev_b32_e32 v23, 16, v69
	v_max_f32_e32 v19, v19, v19
	v_lshrrev_b32_e32 v46, 16, v20
	v_lshrrev_b32_e32 v47, 16, v21
	v_min_f16_e32 v20, v22, v20
	v_min3_f16 v22, v23, v46, v47
	v_min3_f16 v20, v20, v21, v22
	v_cvt_f32_f16_e32 v20, v20
	v_min_f32_e32 v19, v19, v20
	;; [unrolled: 54-line block ×3, first 2 shown]
	v_cvt_f16_f32_e32 v21, v19
	v_add_co_u32 v19, vcc_lo, v16, v38
	v_add_co_ci_u32_e64 v20, null, v17, v39, vcc_lo
	s_and_b32 vcc_lo, exec_lo, s1
	flat_store_short v[19:20], v21
	s_cbranch_vccnz .LBB208_124
; %bb.123:
	v_add_co_u32 v12, vcc_lo, v12, v44
	v_add_co_ci_u32_e64 v13, null, v13, v45, vcc_lo
	flat_load_ushort v12, v[12:13]
	s_waitcnt vmcnt(0) lgkmcnt(0)
	v_mul_f16_e32 v12, s15, v12
	v_cvt_f32_f16_e32 v18, v12
.LBB208_124:
	v_pk_add_f16 v12, v24, v14
	v_pk_add_f16 v15, v25, v15
	v_max_f16_e32 v13, v120, v120
	v_lshrrev_b32_e32 v19, 16, v120
	v_add_nc_u32_e32 v14, 56, v111
	v_lshrrev_b32_e32 v20, 16, v12
	v_lshrrev_b32_e32 v21, 16, v15
	v_min_f16_e32 v22, v13, v12
	v_mad_i64_i32 v[12:13], null, v14, s6, 0
	v_min3_f16 v19, v19, v20, v21
	v_max_f32_e32 v20, v18, v18
	v_add_co_u32 v18, vcc_lo, v16, v44
	v_mov_b32_e32 v16, 0
	v_min3_f16 v15, v22, v15, v19
	v_lshlrev_b64 v[12:13], 1, v[12:13]
	v_add_co_ci_u32_e64 v19, null, v17, v45, vcc_lo
	v_cvt_f32_f16_e32 v15, v15
	v_add_co_u32 v12, vcc_lo, s12, v12
	v_add_co_ci_u32_e64 v13, null, s13, v13, vcc_lo
	v_min_f32_e32 v15, v20, v15
	s_and_b32 vcc_lo, exec_lo, s1
	v_cvt_f16_f32_e32 v17, v15
	v_mov_b32_e32 v15, 0
	flat_store_short v[18:19], v17
	s_cbranch_vccnz .LBB208_126
; %bb.125:
	v_add_co_u32 v17, vcc_lo, v12, v28
	v_add_co_ci_u32_e64 v18, null, v13, v29, vcc_lo
	flat_load_ushort v15, v[17:18]
	s_waitcnt vmcnt(0) lgkmcnt(0)
	v_mul_f16_e32 v15, s15, v15
	v_cvt_f32_f16_e32 v15, v15
.LBB208_126:
	v_pk_add_f16 v17, v30, v26
	v_pk_add_f16 v19, v31, v27
	v_max_f16_e32 v18, v79, v79
	v_lshrrev_b32_e32 v20, 16, v79
	v_lshrrev_b32_e32 v21, 16, v17
	;; [unrolled: 1-line block ×3, first 2 shown]
	v_min_f16_e32 v23, v18, v17
	v_mad_i64_i32 v[17:18], null, v14, s7, 0
	v_min3_f16 v20, v20, v21, v22
	v_min3_f16 v14, v23, v19, v20
	v_max_f32_e32 v19, v15, v15
	v_cvt_f32_f16_e32 v20, v14
	v_lshlrev_b64 v[14:15], 1, v[17:18]
	v_min_f32_e32 v17, v19, v20
	v_add_co_u32 v14, vcc_lo, s2, v14
	v_add_co_ci_u32_e64 v15, null, s3, v15, vcc_lo
	v_cvt_f16_f32_e32 v19, v17
	v_add_co_u32 v17, vcc_lo, v14, v28
	v_add_co_ci_u32_e64 v18, null, v15, v29, vcc_lo
	s_and_b32 vcc_lo, exec_lo, s1
	flat_store_short v[17:18], v19
	s_cbranch_vccnz .LBB208_128
; %bb.127:
	v_add_co_u32 v16, vcc_lo, v12, v32
	v_add_co_ci_u32_e64 v17, null, v13, v33, vcc_lo
	flat_load_ushort v16, v[16:17]
	s_waitcnt vmcnt(0) lgkmcnt(0)
	v_mul_f16_e32 v16, s15, v16
	v_cvt_f32_f16_e32 v16, v16
.LBB208_128:
	v_pk_add_f16 v8, v8, v26
	v_pk_add_f16 v9, v9, v27
	v_max_f16_e32 v17, v78, v78
	v_lshrrev_b32_e32 v18, 16, v78
	v_lshrrev_b32_e32 v19, 16, v8
	;; [unrolled: 1-line block ×3, first 2 shown]
	v_min_f16_e32 v8, v17, v8
	v_min3_f16 v17, v18, v19, v20
	v_min3_f16 v8, v8, v9, v17
	v_max_f32_e32 v9, v16, v16
	v_add_co_u32 v16, vcc_lo, v14, v32
	v_add_co_ci_u32_e64 v17, null, v15, v33, vcc_lo
	v_cvt_f32_f16_e32 v8, v8
	s_and_b32 vcc_lo, exec_lo, s1
	v_min_f32_e32 v8, v9, v8
	v_mov_b32_e32 v9, 0
	v_cvt_f16_f32_e32 v18, v8
	v_mov_b32_e32 v8, 0
	flat_store_short v[16:17], v18
	s_cbranch_vccnz .LBB208_130
; %bb.129:
	v_add_co_u32 v16, vcc_lo, v12, v34
	v_add_co_ci_u32_e64 v17, null, v13, v35, vcc_lo
	flat_load_ushort v9, v[16:17]
	s_waitcnt vmcnt(0) lgkmcnt(0)
	v_mul_f16_e32 v9, s15, v9
	v_cvt_f32_f16_e32 v9, v9
.LBB208_130:
	v_pk_add_f16 v10, v10, v26
	v_pk_add_f16 v11, v11, v27
	v_max_f16_e32 v16, v77, v77
	v_lshrrev_b32_e32 v17, 16, v77
	v_max_f32_e32 v9, v9, v9
	v_lshrrev_b32_e32 v18, 16, v10
	v_lshrrev_b32_e32 v19, 16, v11
	v_min_f16_e32 v10, v16, v10
	v_min3_f16 v16, v17, v18, v19
	v_min3_f16 v10, v10, v11, v16
	v_cvt_f32_f16_e32 v10, v10
	v_min_f32_e32 v9, v9, v10
	v_cvt_f16_f32_e32 v11, v9
	v_add_co_u32 v9, vcc_lo, v14, v34
	v_add_co_ci_u32_e64 v10, null, v15, v35, vcc_lo
	s_and_b32 vcc_lo, exec_lo, s1
	flat_store_short v[9:10], v11
	s_cbranch_vccnz .LBB208_132
; %bb.131:
	v_add_co_u32 v8, vcc_lo, v12, v36
	v_add_co_ci_u32_e64 v9, null, v13, v37, vcc_lo
	flat_load_ushort v8, v[8:9]
	s_waitcnt vmcnt(0) lgkmcnt(0)
	v_mul_f16_e32 v8, s15, v8
	v_cvt_f32_f16_e32 v8, v8
.LBB208_132:
	v_pk_add_f16 v4, v4, v26
	v_pk_add_f16 v5, v5, v27
	v_max_f16_e32 v9, v119, v119
	v_lshrrev_b32_e32 v10, 16, v119
	v_lshrrev_b32_e32 v11, 16, v4
	;; [unrolled: 1-line block ×3, first 2 shown]
	v_min_f16_e32 v4, v9, v4
	v_min3_f16 v9, v10, v11, v16
	v_min3_f16 v4, v4, v5, v9
	v_max_f32_e32 v5, v8, v8
	v_add_co_u32 v8, vcc_lo, v14, v36
	v_add_co_ci_u32_e64 v9, null, v15, v37, vcc_lo
	v_cvt_f32_f16_e32 v4, v4
	s_and_b32 vcc_lo, exec_lo, s1
	v_min_f32_e32 v4, v5, v4
	v_mov_b32_e32 v5, 0
	v_cvt_f16_f32_e32 v10, v4
	v_mov_b32_e32 v4, 0
	flat_store_short v[8:9], v10
	s_cbranch_vccnz .LBB208_134
; %bb.133:
	v_add_co_u32 v8, vcc_lo, v12, v42
	v_add_co_ci_u32_e64 v9, null, v13, v43, vcc_lo
	flat_load_ushort v5, v[8:9]
	s_waitcnt vmcnt(0) lgkmcnt(0)
	v_mul_f16_e32 v5, s15, v5
	v_cvt_f32_f16_e32 v5, v5
.LBB208_134:
	v_pk_add_f16 v6, v6, v26
	v_pk_add_f16 v7, v7, v27
	v_max_f16_e32 v8, v61, v61
	v_lshrrev_b32_e32 v9, 16, v61
	v_max_f32_e32 v5, v5, v5
	v_lshrrev_b32_e32 v10, 16, v6
	v_lshrrev_b32_e32 v11, 16, v7
	v_min_f16_e32 v6, v8, v6
	v_min3_f16 v8, v9, v10, v11
	v_min3_f16 v6, v6, v7, v8
	v_cvt_f32_f16_e32 v6, v6
	v_min_f32_e32 v5, v5, v6
	v_cvt_f16_f32_e32 v7, v5
	v_add_co_u32 v5, vcc_lo, v14, v42
	v_add_co_ci_u32_e64 v6, null, v15, v43, vcc_lo
	s_and_b32 vcc_lo, exec_lo, s1
	flat_store_short v[5:6], v7
	s_cbranch_vccnz .LBB208_136
; %bb.135:
	v_add_co_u32 v4, vcc_lo, v12, v40
	v_add_co_ci_u32_e64 v5, null, v13, v41, vcc_lo
	flat_load_ushort v4, v[4:5]
	s_waitcnt vmcnt(0) lgkmcnt(0)
	v_mul_f16_e32 v4, s15, v4
	v_cvt_f32_f16_e32 v4, v4
.LBB208_136:
	v_pk_add_f16 v0, v0, v26
	v_pk_add_f16 v1, v1, v27
	v_max_f16_e32 v5, v117, v117
	v_lshrrev_b32_e32 v6, 16, v117
	v_pk_add_f16 v3, v3, v27
	v_lshrrev_b32_e32 v7, 16, v0
	v_lshrrev_b32_e32 v8, 16, v1
	v_min_f16_e32 v0, v5, v0
	s_mov_b32 s1, -1
	v_min3_f16 v5, v6, v7, v8
	v_lshrrev_b32_e32 v6, 16, v59
	v_lshrrev_b32_e32 v8, 16, v3
	v_min3_f16 v0, v0, v1, v5
	v_pk_add_f16 v5, v2, v26
	v_max_f32_e32 v1, v4, v4
	v_max_f16_e32 v4, v59, v59
	v_cvt_f32_f16_e32 v0, v0
	v_lshrrev_b32_e32 v7, 16, v5
	v_min_f16_e32 v4, v4, v5
	v_min_f32_e32 v0, v1, v0
	v_min3_f16 v5, v6, v7, v8
	v_add_co_u32 v1, vcc_lo, v14, v40
	v_add_co_ci_u32_e64 v2, null, v15, v41, vcc_lo
	v_cvt_f16_f32_e32 v6, v0
	v_min3_f16 v0, v4, v3, v5
	s_mov_b32 vcc_lo, s0
	flat_store_short v[1:2], v6
	s_cbranch_vccz .LBB208_138
; %bb.137:
	v_cvt_f32_f16_e32 v1, v0
	s_mov_b32 s1, 0
	v_min_f32_e32 v1, 0, v1
	v_cvt_f16_f32_e32 v3, v1
	v_add_co_u32 v1, vcc_lo, v14, v38
	v_add_co_ci_u32_e64 v2, null, v15, v39, vcc_lo
	flat_store_short v[1:2], v3
.LBB208_138:
	v_mov_b32_e32 v1, 0
	s_andn2_b32 vcc_lo, exec_lo, s1
	s_cbranch_vccnz .LBB208_140
; %bb.139:
	v_add_co_u32 v1, vcc_lo, v12, v38
	v_add_co_ci_u32_e64 v2, null, v13, v39, vcc_lo
	flat_load_ushort v1, v[1:2]
	v_max_f16_e32 v2, v0, v0
	v_add_co_u32 v0, vcc_lo, v14, v38
	s_waitcnt vmcnt(0) lgkmcnt(0)
	v_mul_f16_e32 v3, s15, v1
	v_add_co_ci_u32_e64 v1, null, v15, v39, vcc_lo
	v_min_f16_e32 v4, v3, v2
	v_add_co_u32 v2, vcc_lo, v12, v44
	v_add_co_ci_u32_e64 v3, null, v13, v45, vcc_lo
	flat_store_short v[0:1], v4
	flat_load_ushort v0, v[2:3]
	s_waitcnt vmcnt(0) lgkmcnt(0)
	v_mul_f16_e32 v0, s15, v0
	v_cvt_f32_f16_e32 v1, v0
.LBB208_140:
	v_pk_add_f16 v0, v24, v26
	v_pk_add_f16 v2, v25, v27
	v_max_f16_e32 v3, v74, v74
	v_lshrrev_b32_e32 v4, 16, v74
	v_max_f32_e32 v1, v1, v1
	v_lshrrev_b32_e32 v5, 16, v0
	v_lshrrev_b32_e32 v6, 16, v2
	v_min_f16_e32 v0, v3, v0
	v_min3_f16 v3, v4, v5, v6
	v_min3_f16 v0, v0, v2, v3
	v_cvt_f32_f16_e32 v0, v0
	v_min_f32_e32 v0, v1, v0
	v_cvt_f16_f32_e32 v2, v0
	v_add_co_u32 v0, vcc_lo, v14, v44
	v_add_co_ci_u32_e64 v1, null, v15, v45, vcc_lo
	flat_store_short v[0:1], v2
	s_endpgm
	.section	.rodata,"a",@progbits
	.p2align	6, 0x0
	.amdhsa_kernel _ZN12_GLOBAL__N_120geam_min_plus_kernelIDF16_Dv2_DF16_S1_Li32ELi8ELi256ELi64ELi4ELi64ELi4ELi4ELi64ELc78ELc78ELb1ELb0ELb1EDF16_KPKDF16_KPDF16_EEviiiT16_PT17_ilS9_ilS7_S9_ilPT18_ili26rocblas_geam_ex_operation_
		.amdhsa_group_segment_fixed_size 5120
		.amdhsa_private_segment_fixed_size 172
		.amdhsa_kernarg_size 128
		.amdhsa_user_sgpr_count 6
		.amdhsa_user_sgpr_private_segment_buffer 1
		.amdhsa_user_sgpr_dispatch_ptr 0
		.amdhsa_user_sgpr_queue_ptr 0
		.amdhsa_user_sgpr_kernarg_segment_ptr 1
		.amdhsa_user_sgpr_dispatch_id 0
		.amdhsa_user_sgpr_flat_scratch_init 0
		.amdhsa_user_sgpr_private_segment_size 0
		.amdhsa_wavefront_size32 1
		.amdhsa_uses_dynamic_stack 0
		.amdhsa_system_sgpr_private_segment_wavefront_offset 1
		.amdhsa_system_sgpr_workgroup_id_x 1
		.amdhsa_system_sgpr_workgroup_id_y 0
		.amdhsa_system_sgpr_workgroup_id_z 1
		.amdhsa_system_sgpr_workgroup_info 0
		.amdhsa_system_vgpr_workitem_id 1
		.amdhsa_next_free_vgpr 256
		.amdhsa_next_free_sgpr 28
		.amdhsa_reserve_vcc 1
		.amdhsa_reserve_flat_scratch 1
		.amdhsa_float_round_mode_32 0
		.amdhsa_float_round_mode_16_64 0
		.amdhsa_float_denorm_mode_32 3
		.amdhsa_float_denorm_mode_16_64 3
		.amdhsa_dx10_clamp 1
		.amdhsa_ieee_mode 1
		.amdhsa_fp16_overflow 0
		.amdhsa_workgroup_processor_mode 1
		.amdhsa_memory_ordered 1
		.amdhsa_forward_progress 1
		.amdhsa_shared_vgpr_count 0
		.amdhsa_exception_fp_ieee_invalid_op 0
		.amdhsa_exception_fp_denorm_src 0
		.amdhsa_exception_fp_ieee_div_zero 0
		.amdhsa_exception_fp_ieee_overflow 0
		.amdhsa_exception_fp_ieee_underflow 0
		.amdhsa_exception_fp_ieee_inexact 0
		.amdhsa_exception_int_div_zero 0
	.end_amdhsa_kernel
	.section	.text._ZN12_GLOBAL__N_120geam_min_plus_kernelIDF16_Dv2_DF16_S1_Li32ELi8ELi256ELi64ELi4ELi64ELi4ELi4ELi64ELc78ELc78ELb1ELb0ELb1EDF16_KPKDF16_KPDF16_EEviiiT16_PT17_ilS9_ilS7_S9_ilPT18_ili26rocblas_geam_ex_operation_,"axG",@progbits,_ZN12_GLOBAL__N_120geam_min_plus_kernelIDF16_Dv2_DF16_S1_Li32ELi8ELi256ELi64ELi4ELi64ELi4ELi4ELi64ELc78ELc78ELb1ELb0ELb1EDF16_KPKDF16_KPDF16_EEviiiT16_PT17_ilS9_ilS7_S9_ilPT18_ili26rocblas_geam_ex_operation_,comdat
.Lfunc_end208:
	.size	_ZN12_GLOBAL__N_120geam_min_plus_kernelIDF16_Dv2_DF16_S1_Li32ELi8ELi256ELi64ELi4ELi64ELi4ELi4ELi64ELc78ELc78ELb1ELb0ELb1EDF16_KPKDF16_KPDF16_EEviiiT16_PT17_ilS9_ilS7_S9_ilPT18_ili26rocblas_geam_ex_operation_, .Lfunc_end208-_ZN12_GLOBAL__N_120geam_min_plus_kernelIDF16_Dv2_DF16_S1_Li32ELi8ELi256ELi64ELi4ELi64ELi4ELi4ELi64ELc78ELc78ELb1ELb0ELb1EDF16_KPKDF16_KPDF16_EEviiiT16_PT17_ilS9_ilS7_S9_ilPT18_ili26rocblas_geam_ex_operation_
                                        ; -- End function
	.set _ZN12_GLOBAL__N_120geam_min_plus_kernelIDF16_Dv2_DF16_S1_Li32ELi8ELi256ELi64ELi4ELi64ELi4ELi4ELi64ELc78ELc78ELb1ELb0ELb1EDF16_KPKDF16_KPDF16_EEviiiT16_PT17_ilS9_ilS7_S9_ilPT18_ili26rocblas_geam_ex_operation_.num_vgpr, 256
	.set _ZN12_GLOBAL__N_120geam_min_plus_kernelIDF16_Dv2_DF16_S1_Li32ELi8ELi256ELi64ELi4ELi64ELi4ELi4ELi64ELc78ELc78ELb1ELb0ELb1EDF16_KPKDF16_KPDF16_EEviiiT16_PT17_ilS9_ilS7_S9_ilPT18_ili26rocblas_geam_ex_operation_.num_agpr, 0
	.set _ZN12_GLOBAL__N_120geam_min_plus_kernelIDF16_Dv2_DF16_S1_Li32ELi8ELi256ELi64ELi4ELi64ELi4ELi4ELi64ELc78ELc78ELb1ELb0ELb1EDF16_KPKDF16_KPDF16_EEviiiT16_PT17_ilS9_ilS7_S9_ilPT18_ili26rocblas_geam_ex_operation_.numbered_sgpr, 28
	.set _ZN12_GLOBAL__N_120geam_min_plus_kernelIDF16_Dv2_DF16_S1_Li32ELi8ELi256ELi64ELi4ELi64ELi4ELi4ELi64ELc78ELc78ELb1ELb0ELb1EDF16_KPKDF16_KPDF16_EEviiiT16_PT17_ilS9_ilS7_S9_ilPT18_ili26rocblas_geam_ex_operation_.num_named_barrier, 0
	.set _ZN12_GLOBAL__N_120geam_min_plus_kernelIDF16_Dv2_DF16_S1_Li32ELi8ELi256ELi64ELi4ELi64ELi4ELi4ELi64ELc78ELc78ELb1ELb0ELb1EDF16_KPKDF16_KPDF16_EEviiiT16_PT17_ilS9_ilS7_S9_ilPT18_ili26rocblas_geam_ex_operation_.private_seg_size, 172
	.set _ZN12_GLOBAL__N_120geam_min_plus_kernelIDF16_Dv2_DF16_S1_Li32ELi8ELi256ELi64ELi4ELi64ELi4ELi4ELi64ELc78ELc78ELb1ELb0ELb1EDF16_KPKDF16_KPDF16_EEviiiT16_PT17_ilS9_ilS7_S9_ilPT18_ili26rocblas_geam_ex_operation_.uses_vcc, 1
	.set _ZN12_GLOBAL__N_120geam_min_plus_kernelIDF16_Dv2_DF16_S1_Li32ELi8ELi256ELi64ELi4ELi64ELi4ELi4ELi64ELc78ELc78ELb1ELb0ELb1EDF16_KPKDF16_KPDF16_EEviiiT16_PT17_ilS9_ilS7_S9_ilPT18_ili26rocblas_geam_ex_operation_.uses_flat_scratch, 1
	.set _ZN12_GLOBAL__N_120geam_min_plus_kernelIDF16_Dv2_DF16_S1_Li32ELi8ELi256ELi64ELi4ELi64ELi4ELi4ELi64ELc78ELc78ELb1ELb0ELb1EDF16_KPKDF16_KPDF16_EEviiiT16_PT17_ilS9_ilS7_S9_ilPT18_ili26rocblas_geam_ex_operation_.has_dyn_sized_stack, 0
	.set _ZN12_GLOBAL__N_120geam_min_plus_kernelIDF16_Dv2_DF16_S1_Li32ELi8ELi256ELi64ELi4ELi64ELi4ELi4ELi64ELc78ELc78ELb1ELb0ELb1EDF16_KPKDF16_KPDF16_EEviiiT16_PT17_ilS9_ilS7_S9_ilPT18_ili26rocblas_geam_ex_operation_.has_recursion, 0
	.set _ZN12_GLOBAL__N_120geam_min_plus_kernelIDF16_Dv2_DF16_S1_Li32ELi8ELi256ELi64ELi4ELi64ELi4ELi4ELi64ELc78ELc78ELb1ELb0ELb1EDF16_KPKDF16_KPDF16_EEviiiT16_PT17_ilS9_ilS7_S9_ilPT18_ili26rocblas_geam_ex_operation_.has_indirect_call, 0
	.section	.AMDGPU.csdata,"",@progbits
; Kernel info:
; codeLenInByte = 19460
; TotalNumSgprs: 30
; NumVgprs: 256
; ScratchSize: 172
; MemoryBound: 0
; FloatMode: 240
; IeeeMode: 1
; LDSByteSize: 5120 bytes/workgroup (compile time only)
; SGPRBlocks: 0
; VGPRBlocks: 31
; NumSGPRsForWavesPerEU: 30
; NumVGPRsForWavesPerEU: 256
; Occupancy: 4
; WaveLimiterHint : 1
; COMPUTE_PGM_RSRC2:SCRATCH_EN: 1
; COMPUTE_PGM_RSRC2:USER_SGPR: 6
; COMPUTE_PGM_RSRC2:TRAP_HANDLER: 0
; COMPUTE_PGM_RSRC2:TGID_X_EN: 1
; COMPUTE_PGM_RSRC2:TGID_Y_EN: 0
; COMPUTE_PGM_RSRC2:TGID_Z_EN: 1
; COMPUTE_PGM_RSRC2:TIDIG_COMP_CNT: 1
	.section	.text._ZN12_GLOBAL__N_120geam_min_plus_kernelIDF16_Dv2_DF16_S1_Li32ELi8ELi256ELi64ELi4ELi64ELi4ELi4ELi64ELc78ELc78ELb0ELb0ELb1EDF16_KPKDF16_KPDF16_EEviiiT16_PT17_ilS9_ilS7_S9_ilPT18_ili26rocblas_geam_ex_operation_,"axG",@progbits,_ZN12_GLOBAL__N_120geam_min_plus_kernelIDF16_Dv2_DF16_S1_Li32ELi8ELi256ELi64ELi4ELi64ELi4ELi4ELi64ELc78ELc78ELb0ELb0ELb1EDF16_KPKDF16_KPDF16_EEviiiT16_PT17_ilS9_ilS7_S9_ilPT18_ili26rocblas_geam_ex_operation_,comdat
	.globl	_ZN12_GLOBAL__N_120geam_min_plus_kernelIDF16_Dv2_DF16_S1_Li32ELi8ELi256ELi64ELi4ELi64ELi4ELi4ELi64ELc78ELc78ELb0ELb0ELb1EDF16_KPKDF16_KPDF16_EEviiiT16_PT17_ilS9_ilS7_S9_ilPT18_ili26rocblas_geam_ex_operation_ ; -- Begin function _ZN12_GLOBAL__N_120geam_min_plus_kernelIDF16_Dv2_DF16_S1_Li32ELi8ELi256ELi64ELi4ELi64ELi4ELi4ELi64ELc78ELc78ELb0ELb0ELb1EDF16_KPKDF16_KPDF16_EEviiiT16_PT17_ilS9_ilS7_S9_ilPT18_ili26rocblas_geam_ex_operation_
	.p2align	8
	.type	_ZN12_GLOBAL__N_120geam_min_plus_kernelIDF16_Dv2_DF16_S1_Li32ELi8ELi256ELi64ELi4ELi64ELi4ELi4ELi64ELc78ELc78ELb0ELb0ELb1EDF16_KPKDF16_KPDF16_EEviiiT16_PT17_ilS9_ilS7_S9_ilPT18_ili26rocblas_geam_ex_operation_,@function
_ZN12_GLOBAL__N_120geam_min_plus_kernelIDF16_Dv2_DF16_S1_Li32ELi8ELi256ELi64ELi4ELi64ELi4ELi4ELi64ELc78ELc78ELb0ELb0ELb1EDF16_KPKDF16_KPDF16_EEviiiT16_PT17_ilS9_ilS7_S9_ilPT18_ili26rocblas_geam_ex_operation_: ; @_ZN12_GLOBAL__N_120geam_min_plus_kernelIDF16_Dv2_DF16_S1_Li32ELi8ELi256ELi64ELi4ELi64ELi4ELi4ELi64ELc78ELc78ELb0ELb0ELb1EDF16_KPKDF16_KPDF16_EEviiiT16_PT17_ilS9_ilS7_S9_ilPT18_ili26rocblas_geam_ex_operation_
; %bb.0:
	s_clause 0x1
	s_load_dwordx2 s[14:15], s[4:5], 0x8
	s_load_dwordx4 s[8:11], s[4:5], 0x20
	s_mov_b32 s2, s7
	s_mov_b32 s3, 0
	s_waitcnt lgkmcnt(0)
	v_cmp_eq_f16_e64 s0, s15, 0
	s_and_b32 s1, exec_lo, s0
	s_mov_b32 vcc_lo, s1
	s_cbranch_vccnz .LBB209_3
; %bb.1:
	s_load_dwordx2 s[12:13], s[4:5], 0x10
	s_lshl_b64 s[16:17], s[2:3], 3
	s_waitcnt lgkmcnt(0)
	s_add_u32 s12, s12, s16
	s_addc_u32 s13, s13, s17
	s_lshl_b64 s[8:9], s[8:9], 1
	s_load_dwordx2 s[12:13], s[12:13], 0x0
	s_waitcnt lgkmcnt(0)
	s_add_u32 s16, s12, s8
	s_addc_u32 s17, s13, s9
	s_andn2_b32 vcc_lo, exec_lo, s0
	s_cbranch_vccnz .LBB209_4
.LBB209_2:
	s_mov_b32 s21, 0
	s_mov_b32 s20, s2
	s_mov_b32 s0, s21
	s_mov_b64 s[12:13], 0
	s_andn2_b32 vcc_lo, exec_lo, s0
	s_mov_b64 s[18:19], 0
	s_cbranch_vccz .LBB209_5
	s_branch .LBB209_6
.LBB209_3:
	s_mov_b64 s[16:17], 0
	s_andn2_b32 vcc_lo, exec_lo, s0
	s_cbranch_vccz .LBB209_2
.LBB209_4:
	s_mov_b64 s[20:21], s[2:3]
	s_mov_b64 s[12:13], 0
	;; [unrolled: 1-line block ×3, first 2 shown]
.LBB209_5:
	s_lshl_b64 s[2:3], s[2:3], 3
	s_load_dwordx2 s[8:9], s[4:5], 0x38
	s_add_u32 s2, s10, s2
	s_addc_u32 s3, s11, s3
	s_load_dwordx2 s[2:3], s[2:3], 0x0
	s_waitcnt lgkmcnt(0)
	s_lshl_b64 s[8:9], s[8:9], 1
	s_add_u32 s18, s2, s8
	s_addc_u32 s19, s3, s9
.LBB209_6:
	s_clause 0x1
	s_load_dword s3, s[4:5], 0x40
	s_load_dwordx4 s[8:11], s[4:5], 0x58
	v_cmp_neq_f16_e64 s22, s15, 0
	s_waitcnt lgkmcnt(0)
	v_cmp_eq_f16_e64 s0, s3, 0
	s_and_b32 s0, exec_lo, s0
	s_mov_b32 vcc_lo, s0
	s_cbranch_vccnz .LBB209_8
; %bb.7:
	s_load_dwordx2 s[12:13], s[4:5], 0x48
	s_lshl_b64 s[24:25], s[20:21], 3
	s_waitcnt lgkmcnt(0)
	s_add_u32 s12, s12, s24
	s_addc_u32 s13, s13, s25
	s_lshl_b64 s[8:9], s[8:9], 1
	s_load_dwordx2 s[12:13], s[12:13], 0x0
	s_waitcnt lgkmcnt(0)
	s_add_u32 s12, s12, s8
	s_addc_u32 s13, s13, s9
.LBB209_8:
	s_load_dword s2, s[4:5], 0x0
	s_lshl_b64 s[8:9], s[20:21], 3
	s_load_dword s20, s[4:5], 0x18
	s_add_u32 s8, s10, s8
	s_addc_u32 s9, s11, s9
	v_lshl_add_u32 v6, v1, 5, v0
	v_cndmask_b32_e64 v7, 0, 1, s22
	v_lshrrev_b32_e32 v4, 6, v6
	v_and_b32_e32 v5, 63, v6
	s_waitcnt lgkmcnt(0)
	s_add_i32 s2, s2, -1
	s_ashr_i32 s7, s2, 31
	s_lshr_b32 s7, s7, 24
	s_add_i32 s2, s2, s7
	s_ashr_i32 s2, s2, 8
	s_add_i32 s7, s2, 1
	s_not_b32 s2, s2
	v_cvt_f32_u32_e32 v2, s7
	v_rcp_iflag_f32_e32 v2, v2
	v_mul_f32_e32 v2, 0x4f7ffffe, v2
	v_cvt_u32_f32_e32 v2, v2
	v_readfirstlane_b32 s10, v2
	v_mad_i64_i32 v[2:3], null, s20, v4, 0
	s_mul_i32 s2, s2, s10
	s_mul_hi_u32 s2, s10, s2
	v_lshlrev_b64 v[8:9], 1, v[2:3]
	s_add_i32 s10, s10, s2
	s_mul_hi_u32 s2, s6, s10
	s_mul_i32 s10, s2, s7
	s_add_i32 s11, s2, 1
	s_sub_i32 s10, s6, s10
	v_add_co_u32 v8, vcc_lo, s16, v8
	s_sub_i32 s21, s10, s7
	s_cmp_ge_u32 s10, s7
	v_add_co_ci_u32_e64 v9, null, s17, v9, vcc_lo
	s_cselect_b32 s2, s11, s2
	s_cselect_b32 s10, s21, s10
	s_add_i32 s11, s2, 1
	s_cmp_ge_u32 s10, s7
	s_cselect_b32 s11, s11, s2
	s_andn2_b32 vcc_lo, exec_lo, s22
	s_mul_i32 s7, s11, s7
	s_mov_b32 s22, -1
	s_sub_i32 s2, s6, s7
	s_lshl_b32 s10, s2, 8
	v_cmp_ne_u32_e64 s2, 1, v7
	v_or_b32_e32 v2, s10, v5
	v_ashrrev_i32_e32 v3, 31, v2
	s_cbranch_vccnz .LBB209_10
; %bb.9:
	v_lshlrev_b64 v[10:11], 1, v[2:3]
	v_add_co_u32 v10, vcc_lo, v8, v10
	v_add_co_ci_u32_e64 v11, null, v9, v11, vcc_lo
	s_clause 0x1
	flat_load_ushort v7, v[10:11]
	flat_load_ushort v10, v[10:11] offset:128
	s_waitcnt vmcnt(1) lgkmcnt(1)
	v_mul_f16_e32 v11, s15, v7
	s_waitcnt vmcnt(0) lgkmcnt(0)
	v_mul_f16_e32 v7, s15, v10
	v_pack_b32_f16 v11, v11, 0
	s_branch .LBB209_11
.LBB209_10:
	v_mov_b32_e32 v11, 0
	v_mov_b32_e32 v7, 0
.LBB209_11:
	v_mov_b32_e32 v10, 0
	v_perm_b32 v37, v7, v11, 0x5040100
	s_ashr_i32 s21, s20, 31
	s_mov_b32 vcc_lo, s1
	s_cbranch_vccz .LBB209_13
; %bb.12:
	v_and_b32_e32 v38, 0xffff0000, v10
	s_mov_b32 s22, 0
.LBB209_13:
	v_mov_b32_e32 v11, 0
	v_mov_b32_e32 v7, 0
	s_andn2_b32 vcc_lo, exec_lo, s22
	s_cbranch_vccnz .LBB209_15
; %bb.14:
	v_lshlrev_b64 v[12:13], 1, v[2:3]
	v_add_co_u32 v7, vcc_lo, v8, v12
	v_add_co_ci_u32_e64 v8, null, v9, v13, vcc_lo
	s_clause 0x1
	flat_load_ushort v9, v[7:8] offset:256
	flat_load_ushort v7, v[7:8] offset:384
	s_waitcnt vmcnt(1) lgkmcnt(1)
	v_mul_f16_e32 v8, s15, v9
	s_waitcnt vmcnt(0) lgkmcnt(0)
	v_mul_f16_e32 v7, s15, v7
	v_bfi_b32 v38, 0xffff, v8, v10
.LBB209_15:
	s_load_dword s22, s[4:5], 0x30
	v_lshrrev_b32_e32 v12, 2, v6
	v_and_b32_e32 v6, 3, v0
	s_lshl_b32 s11, s11, 6
	s_and_b32 vcc_lo, exec_lo, s2
	v_add_nc_u32_e32 v8, s11, v12
	v_lshlrev_b32_e32 v6, 1, v6
	s_cbranch_vccnz .LBB209_17
; %bb.16:
	s_waitcnt lgkmcnt(0)
	v_mad_i64_i32 v[9:10], null, v8, s22, 0
	v_lshlrev_b64 v[9:10], 1, v[9:10]
	v_add_co_u32 v9, vcc_lo, s18, v9
	v_add_co_ci_u32_e64 v10, null, s19, v10, vcc_lo
	v_add_co_u32 v9, vcc_lo, v9, v6
	v_add_co_ci_u32_e64 v10, null, 0, v10, vcc_lo
	flat_load_ushort v9, v[9:10]
	s_waitcnt vmcnt(0) lgkmcnt(0)
	v_mul_f16_e32 v11, s15, v9
.LBB209_17:
	v_add_nc_u32_e32 v9, 4, v4
	v_mad_i64_i32 v[9:10], null, s20, v9, 0
	v_lshlrev_b64 v[9:10], 1, v[9:10]
	v_add_co_u32 v13, vcc_lo, s16, v9
	v_add_co_ci_u32_e64 v14, null, s17, v10, vcc_lo
	s_and_b32 vcc_lo, exec_lo, s2
	s_cbranch_vccnz .LBB209_20
; %bb.18:
	v_lshlrev_b64 v[9:10], 1, v[2:3]
	v_add_co_u32 v9, vcc_lo, v13, v9
	v_add_co_ci_u32_e64 v10, null, v14, v10, vcc_lo
	s_clause 0x1
	flat_load_ushort v15, v[9:10]
	flat_load_ushort v9, v[9:10] offset:128
	s_waitcnt vmcnt(1) lgkmcnt(0)
	v_mul_f16_e32 v10, s15, v15
	s_waitcnt vmcnt(0)
	v_mul_f16_e32 v9, s15, v9
	v_pack_b32_f16 v10, v10, 0
	v_mov_b32_e32 v15, 0
	v_perm_b32 v39, v9, v10, 0x5040100
	s_mov_b32 vcc_lo, s1
	s_cbranch_vccz .LBB209_21
.LBB209_19:
	v_and_b32_e32 v40, 0xffff0000, v15
	v_mov_b32_e32 v10, 0
	v_mov_b32_e32 v9, 0
	s_cbranch_execz .LBB209_22
	s_branch .LBB209_23
.LBB209_20:
	v_mov_b32_e32 v10, 0
	v_mov_b32_e32 v9, 0
	;; [unrolled: 1-line block ×3, first 2 shown]
	v_perm_b32 v39, v9, v10, 0x5040100
	s_mov_b32 vcc_lo, s1
	s_cbranch_vccnz .LBB209_19
.LBB209_21:
	v_mov_b32_e32 v10, 0
	v_mov_b32_e32 v9, 0
.LBB209_22:
	v_lshlrev_b64 v[2:3], 1, v[2:3]
	v_add_co_u32 v2, vcc_lo, v13, v2
	v_add_co_ci_u32_e64 v3, null, v14, v3, vcc_lo
	s_clause 0x1
	flat_load_ushort v9, v[2:3] offset:256
	flat_load_ushort v2, v[2:3] offset:384
	s_waitcnt vmcnt(1) lgkmcnt(0)
	v_mul_f16_e32 v3, s15, v9
	s_waitcnt vmcnt(0)
	v_mul_f16_e32 v9, s15, v2
	v_bfi_b32 v40, 0xffff, v3, v15
.LBB209_23:
	s_and_b32 vcc_lo, exec_lo, s2
	s_cbranch_vccnz .LBB209_25
; %bb.24:
	s_waitcnt lgkmcnt(0)
	v_mad_i64_i32 v[2:3], null, v8, s22, 0
	v_lshlrev_b64 v[2:3], 1, v[2:3]
	v_add_co_u32 v2, vcc_lo, s18, v2
	v_add_co_ci_u32_e64 v3, null, s19, v3, vcc_lo
	v_add_co_u32 v2, vcc_lo, v2, v6
	v_add_co_ci_u32_e64 v3, null, 0, v3, vcc_lo
	flat_load_ushort v2, v[2:3] offset:8
	s_waitcnt vmcnt(0) lgkmcnt(0)
	v_mul_f16_e32 v10, s15, v2
.LBB209_25:
	v_lshlrev_b32_e32 v3, 3, v5
	v_lshlrev_b32_e32 v87, 3, v1
	v_lshl_or_b32 v2, v12, 3, v6
	v_lshlrev_b32_e32 v88, 3, v0
	s_load_dwordx2 s[8:9], s[8:9], 0x0
	v_lshl_add_u32 v47, v4, 1, v3
	v_add_nc_u32_e32 v3, 0x1000, v87
	s_cmp_lt_i32 s14, 9
	ds_write_b16 v2, v11 offset:4096
	ds_write_b16 v47, v37
	ds_write_b16_d16_hi v47, v37 offset:512
	ds_write_b16 v47, v38 offset:1024
	ds_write_b16 v47, v7 offset:1536
	s_waitcnt lgkmcnt(0)
	s_barrier
	buffer_gl0_inv
	ds_read2_b64 v[11:14], v88 offset1:32
	ds_read2_b64 v[15:18], v3 offset1:8
	ds_read2_b64 v[19:22], v88 offset0:64 offset1:96
	ds_read2_b64 v[23:26], v88 offset0:128 offset1:160
	;; [unrolled: 1-line block ×4, first 2 shown]
	s_waitcnt lgkmcnt(4)
	v_pk_add_f16 v35, v11, v15
	v_pk_add_f16 v36, v13, v15
	s_waitcnt lgkmcnt(3)
	v_pk_add_f16 v41, v19, v15
	v_pk_add_f16 v42, v21, v15
	;; [unrolled: 3-line block ×4, first 2 shown]
	v_pk_add_f16 v48, v11, v17
	v_pk_add_f16 v49, v13, v17
	;; [unrolled: 1-line block ×24, first 2 shown]
	s_waitcnt lgkmcnt(0)
	v_pk_add_f16 v72, v11, v31
	v_pk_add_f16 v73, v13, v31
	v_pk_add_f16 v74, v19, v31
	v_pk_add_f16 v75, v21, v31
	v_pk_add_f16 v76, v23, v31
	v_pk_add_f16 v77, v25, v31
	v_pk_add_f16 v78, v27, v31
	v_pk_add_f16 v79, v29, v31
	v_pk_add_f16 v80, v11, v33
	v_pk_add_f16 v81, v13, v33
	v_pk_add_f16 v82, v19, v33
	v_pk_add_f16 v83, v21, v33
	v_pk_add_f16 v84, v23, v33
	ds_read2_b64 v[15:18], v3 offset0:32 offset1:40
	v_pk_add_f16 v112, v25, v33
	v_pk_add_f16 v113, v27, v33
	;; [unrolled: 1-line block ×19, first 2 shown]
	ds_read2_b64 v[31:34], v3 offset0:48 offset1:56
	s_waitcnt lgkmcnt(1)
	v_pk_add_f16 v128, v11, v15
	v_pk_add_f16 v129, v13, v15
	;; [unrolled: 1-line block ×32, first 2 shown]
	s_waitcnt lgkmcnt(0)
	v_pk_add_f16 v155, v11, v31
	v_pk_add_f16 v156, v13, v31
	;; [unrolled: 1-line block ×31, first 2 shown]
	v_pk_min_f16 v35, 0x7c00, v35 op_sel_hi:[0,1]
	v_pk_min_f16 v36, 0x7c00, v36 op_sel_hi:[0,1]
	;; [unrolled: 1-line block ×3, first 2 shown]
	v_pk_add_f16 v30, v30, v34
	v_pk_min_f16 v34, 0x7c00, v43 op_sel_hi:[0,1]
	v_pk_min_f16 v42, 0x7c00, v42 op_sel_hi:[0,1]
	v_pk_min_f16 v121, v35, v56
	v_pk_min_f16 v120, v36, v57
	v_pk_min_f16 v116, v41, v58
	v_pk_min_f16 v35, 0x7c00, v44 op_sel_hi:[0,1]
	v_pk_min_f16 v36, 0x7c00, v45 op_sel_hi:[0,1]
	v_pk_min_f16 v41, 0x7c00, v46 op_sel_hi:[0,1]
	v_pk_min_f16 v110, v34, v60
	v_pk_min_f16 v34, 0x7c00, v49 op_sel_hi:[0,1]
	v_pk_min_f16 v111, v42, v59
	v_pk_min_f16 v42, 0x7c00, v48 op_sel_hi:[0,1]
	v_pk_min_f16 v109, v35, v61
	v_pk_min_f16 v108, v36, v62
	v_pk_min_f16 v107, v41, v63
	v_pk_min_f16 v35, 0x7c00, v50 op_sel_hi:[0,1]
	v_pk_min_f16 v36, 0x7c00, v51 op_sel_hi:[0,1]
	v_pk_min_f16 v41, 0x7c00, v52 op_sel_hi:[0,1]
	v_pk_min_f16 v105, v34, v65
	v_pk_min_f16 v34, 0x7c00, v54 op_sel_hi:[0,1]
	v_pk_min_f16 v106, v42, v64
	;; [unrolled: 10-line block ×4, first 2 shown]
	v_pk_min_f16 v42, 0x7c00, v79 op_sel_hi:[0,1]
	v_pk_min_f16 v94, v35, v91
	v_pk_min_f16 v93, v36, v92
	;; [unrolled: 1-line block ×3, first 2 shown]
	v_pk_min_f16 v35, 0x7c00, v81 op_sel_hi:[0,1]
	v_pk_min_f16 v36, 0x7c00, v82 op_sel_hi:[0,1]
	;; [unrolled: 1-line block ×3, first 2 shown]
	v_pk_min_f16 v90, v34, v118
	v_pk_min_f16 v34, 0x7c00, v112 op_sel_hi:[0,1]
	v_pk_min_f16 v15, 0x7c00, v15 op_sel_hi:[0,1]
	;; [unrolled: 1-line block ×3, first 2 shown]
	v_pk_min_f16 v91, v42, v117
	v_pk_min_f16 v42, 0x7c00, v84 op_sel_hi:[0,1]
	v_pk_min_f16 v89, v35, v119
	v_pk_min_f16 v86, v36, v122
	;; [unrolled: 1-line block ×3, first 2 shown]
	v_pk_min_f16 v35, 0x7c00, v113 op_sel_hi:[0,1]
	v_pk_min_f16 v36, 0x7c00, v114 op_sel_hi:[0,1]
	;; [unrolled: 1-line block ×3, first 2 shown]
	v_pk_min_f16 v82, v34, v125
	v_pk_min_f16 v34, 0x7c00, v130 op_sel_hi:[0,1]
	v_pk_min_f16 v72, v15, v16
	v_pk_min_f16 v15, 0x7c00, v139 op_sel_hi:[0,1]
	v_pk_min_f16 v16, 0x7c00, v140 op_sel_hi:[0,1]
	v_pk_min_f16 v66, v3, v153
	v_pk_min_f16 v3, 0x7c00, v156 op_sel_hi:[0,1]
	v_pk_min_f16 v83, v42, v124
	;; [unrolled: 2-line block ×3, first 2 shown]
	v_pk_min_f16 v80, v36, v127
	v_pk_min_f16 v79, v41, v141
	v_pk_min_f16 v35, 0x7c00, v131 op_sel_hi:[0,1]
	v_pk_min_f16 v36, 0x7c00, v132 op_sel_hi:[0,1]
	;; [unrolled: 1-line block ×3, first 2 shown]
	v_pk_min_f16 v77, v34, v143
	v_pk_min_f16 v34, 0x7c00, v135 op_sel_hi:[0,1]
	v_pk_min_f16 v17, 0x7c00, v17 op_sel_hi:[0,1]
	v_pk_min_f16 v67, v15, v152
	v_pk_min_f16 v65, v16, v154
	v_pk_min_f16 v15, 0x7c00, v159 op_sel_hi:[0,1]
	v_pk_min_f16 v16, 0x7c00, v160 op_sel_hi:[0,1]
	v_pk_min_f16 v62, v3, v158
	v_pk_min_f16 v3, 0x7c00, v167 op_sel_hi:[0,1]
	v_pk_min_f16 v11, 0x7c00, v11 op_sel_hi:[0,1]
	;; [unrolled: 1-line block ×3, first 2 shown]
	v_pk_min_f16 v78, v42, v142
	v_pk_min_f16 v42, 0x7c00, v134 op_sel_hi:[0,1]
	v_pk_min_f16 v76, v35, v144
	v_pk_min_f16 v75, v36, v145
	v_pk_min_f16 v74, v41, v146
	v_pk_min_f16 v35, 0x7c00, v136 op_sel_hi:[0,1]
	v_pk_min_f16 v36, 0x7c00, v137 op_sel_hi:[0,1]
	;; [unrolled: 1-line block ×3, first 2 shown]
	v_pk_min_f16 v71, v34, v148
	v_pk_min_f16 v34, 0x7c00, v155 op_sel_hi:[0,1]
	v_pk_min_f16 v64, v17, v18
	v_pk_min_f16 v17, 0x7c00, v163 op_sel_hi:[0,1]
	v_pk_min_f16 v18, 0x7c00, v164 op_sel_hi:[0,1]
	v_pk_min_f16 v61, v15, v161
	v_pk_min_f16 v60, v16, v162
	v_pk_min_f16 v15, 0x7c00, v31 op_sel_hi:[0,1]
	v_pk_min_f16 v16, 0x7c00, v19 op_sel_hi:[0,1]
	v_pk_min_f16 v57, v3, v33
	v_pk_min_f16 v55, v11, v12
	;; [unrolled: 1-line block ×3, first 2 shown]
	v_pk_min_f16 v3, 0x7c00, v21 op_sel_hi:[0,1]
	v_pk_min_f16 v11, 0x7c00, v23 op_sel_hi:[0,1]
	;; [unrolled: 1-line block ×5, first 2 shown]
	v_pk_min_f16 v73, v42, v147
	v_pk_min_f16 v70, v35, v149
	;; [unrolled: 1-line block ×14, first 2 shown]
	ds_write_b16 v2, v10 offset:4608
	ds_write_b16 v47, v39 offset:2048
	ds_write_b16_d16_hi v47, v39 offset:2560
	ds_write_b16 v47, v40 offset:3072
	ds_write_b16 v47, v9 offset:3584
	s_waitcnt lgkmcnt(0)
	s_barrier
	buffer_gl0_inv
	s_cbranch_scc1 .LBB209_48
; %bb.26:
	v_mad_i64_i32 v[10:11], null, s22, v8, 0
	v_lshl_or_b32 v5, s6, 8, v5
	v_add_nc_u32_e32 v84, 0x1000, v2
	v_add_nc_u32_e32 v114, 0x1200, v2
	s_lshl_b32 s6, s7, 8
	v_perm_b32 v40, v9, v40, 0x5040100
	v_subrev_nc_u32_e32 v5, s6, v5
	v_lshlrev_b64 v[2:3], 1, v[10:11]
	v_perm_b32 v38, v7, v38, 0x5040100
	v_add_nc_u32_e32 v7, 12, v4
	v_add_nc_u32_e32 v4, 8, v4
	v_or_b32_e32 v112, 0x1000, v87
	v_or_b32_e32 v113, 0x800, v47
	v_add_co_u32 v9, vcc_lo, v2, v6
	v_ashrrev_i32_e32 v6, 31, v5
	v_add_co_ci_u32_e64 v10, null, 0, v3, vcc_lo
	v_mad_i64_i32 v[2:3], null, v7, s20, 0
	v_mad_i64_i32 v[7:8], null, v4, s20, 0
	v_add_co_u32 v9, vcc_lo, s18, v9
	v_lshlrev_b64 v[4:5], 1, v[5:6]
	v_add_co_ci_u32_e64 v10, null, s19, v10, vcc_lo
	v_add_co_u32 v41, vcc_lo, v9, 16
	v_lshlrev_b64 v[43:44], 1, v[2:3]
	v_add_co_ci_u32_e64 v42, null, 0, v10, vcc_lo
	v_add_co_u32 v118, vcc_lo, s16, v4
	v_lshlrev_b64 v[45:46], 1, v[7:8]
	v_lshl_or_b32 v115, v0, 3, 0x800
	v_lshl_add_u32 v117, v1, 3, 0x1200
	v_add_co_ci_u32_e64 v119, null, s17, v5, vcc_lo
	s_add_i32 s14, s14, -8
	s_lshl_b64 s[6:7], s[20:21], 4
	s_mov_b32 s16, 0
	s_mov_b32 s17, -1
	s_mov_b32 vcc_lo, s1
                                        ; implicit-def: $vgpr2_vgpr3
	s_cbranch_vccz .LBB209_42
.LBB209_27:
	v_and_b32_e32 v2, 0xffff0000, v37
	v_mov_b32_e32 v3, v38
	v_mov_b32_e32 v4, 0
	s_cbranch_execz .LBB209_43
.LBB209_28:
	v_perm_b32 v37, v4, v2, 0x5040100
	s_mov_b32 s17, -1
	s_mov_b32 vcc_lo, s1
	s_cbranch_vccz .LBB209_44
.LBB209_29:
	v_and_b32_e32 v38, 0xffff0000, v3
	v_mov_b32_e32 v14, 0
	v_mov_b32_e32 v126, 0
	s_cbranch_execz .LBB209_45
.LBB209_30:
	s_and_b32 vcc_lo, exec_lo, s2
	s_cbranch_vccnz .LBB209_32
.LBB209_31:
	flat_load_ushort v2, v[41:42]
	s_waitcnt vmcnt(0) lgkmcnt(0)
	v_mul_f16_e32 v14, s15, v2
.LBB209_32:
	ds_read2_b64 v[10:13], v115 offset1:32
	ds_read2_b64 v[6:9], v115 offset0:64 offset1:96
	ds_read2_b64 v[2:5], v115 offset0:128 offset1:160
	;; [unrolled: 1-line block ×3, first 2 shown]
	ds_read2_b64 v[33:36], v117 offset1:8
	ds_read2_b64 v[29:32], v117 offset0:16 offset1:24
	ds_read2_b64 v[25:28], v117 offset0:32 offset1:40
	;; [unrolled: 1-line block ×3, first 2 shown]
	s_mov_b32 s17, -1
	s_mov_b32 vcc_lo, s1
	ds_write_b16 v47, v37
	ds_write_b16_d16_hi v47, v37 offset:512
	ds_write_b16 v47, v38 offset:1024
	ds_write_b16 v47, v126 offset:1536
	ds_write_b16 v84, v14
	s_waitcnt lgkmcnt(0)
	s_barrier
	buffer_gl0_inv
                                        ; implicit-def: $vgpr14_vgpr15
	s_cbranch_vccz .LBB209_34
; %bb.33:
	v_and_b32_e32 v14, 0xffff0000, v39
	v_mov_b32_e32 v15, v40
	v_mov_b32_e32 v16, 0
	s_cbranch_execnz .LBB209_36
	s_branch .LBB209_35
.LBB209_34:
	v_mov_b32_e32 v16, 0
	s_andn2_b32 vcc_lo, exec_lo, s17
	s_cbranch_vccnz .LBB209_36
.LBB209_35:
	v_add_co_u32 v14, vcc_lo, v118, v43
	v_add_co_ci_u32_e64 v15, null, v119, v44, vcc_lo
	s_clause 0x1
	flat_load_ushort v16, v[14:15]
	flat_load_ushort v14, v[14:15] offset:128
	s_waitcnt vmcnt(1) lgkmcnt(1)
	v_mul_f16_e32 v15, s15, v16
	s_waitcnt vmcnt(0) lgkmcnt(0)
	v_mul_f16_e32 v16, s15, v14
	v_bfi_b32 v39, 0xffff, v15, v39
	v_mov_b32_e32 v14, v39
	v_mov_b32_e32 v15, v40
.LBB209_36:
	v_perm_b32 v122, v16, v14, 0x5040100
	s_mov_b32 s17, -1
	s_mov_b32 vcc_lo, s1
                                        ; implicit-def: $vgpr123
	s_cbranch_vccz .LBB209_46
; %bb.37:
	v_and_b32_e32 v123, 0xffff0000, v15
	v_mov_b32_e32 v124, 0
	v_mov_b32_e32 v125, 0
	s_cbranch_execz .LBB209_47
.LBB209_38:
	s_and_b32 vcc_lo, exec_lo, s2
	s_cbranch_vccnz .LBB209_40
.LBB209_39:
	flat_load_ushort v14, v[41:42] offset:8
	s_waitcnt vmcnt(0) lgkmcnt(0)
	v_mul_f16_e32 v124, s15, v14
.LBB209_40:
	v_pk_add_f16 v14, v10, v33
	v_pk_max_f16 v15, v121, v121
	v_pk_add_f16 v16, v12, v33
	v_pk_max_f16 v39, v120, v120
	;; [unrolled: 2-line block ×3, first 2 shown]
	v_pk_min_f16 v14, v15, v14
	v_pk_max_f16 v110, v110, v110
	v_pk_min_f16 v15, v39, v16
	v_pk_add_f16 v39, v8, v33
	v_pk_min_f16 v16, v116, v40
	v_pk_max_f16 v40, v111, v111
	v_pk_add_f16 v111, v2, v33
	v_pk_add_f16 v116, v4, v33
	;; [unrolled: 1-line block ×4, first 2 shown]
	v_pk_max_f16 v107, v107, v107
	v_pk_max_f16 v109, v109, v109
	;; [unrolled: 1-line block ×3, first 2 shown]
	v_pk_min_f16 v39, v40, v39
	v_pk_min_f16 v40, v110, v111
	;; [unrolled: 1-line block ×3, first 2 shown]
	v_pk_add_f16 v107, v10, v35
	v_pk_max_f16 v106, v106, v106
	v_pk_add_f16 v110, v12, v35
	v_pk_max_f16 v105, v105, v105
	v_pk_min_f16 v109, v109, v116
	v_pk_min_f16 v108, v108, v120
	v_pk_add_f16 v111, v6, v35
	v_pk_max_f16 v104, v104, v104
	v_pk_add_f16 v116, v8, v35
	v_pk_max_f16 v103, v103, v103
	v_pk_add_f16 v120, v2, v35
	v_pk_min_f16 v106, v106, v107
	v_pk_min_f16 v105, v105, v110
	v_pk_add_f16 v107, v4, v35
	v_pk_max_f16 v101, v101, v101
	v_pk_add_f16 v110, v17, v35
	v_pk_add_f16 v35, v19, v35
	v_pk_max_f16 v99, v99, v99
	v_pk_min_f16 v104, v104, v111
	v_pk_min_f16 v103, v103, v116
	v_pk_max_f16 v100, v100, v100
	v_pk_add_f16 v111, v10, v29
	v_pk_max_f16 v98, v98, v98
	v_pk_add_f16 v116, v12, v29
	v_pk_max_f16 v97, v97, v97
	v_pk_min_f16 v101, v101, v107
	v_pk_min_f16 v35, v99, v35
	v_pk_add_f16 v99, v6, v29
	v_pk_max_f16 v96, v96, v96
	v_pk_add_f16 v107, v8, v29
	v_pk_max_f16 v95, v95, v95
	v_pk_min_f16 v100, v100, v110
	v_pk_min_f16 v98, v98, v111
	;; [unrolled: 1-line block ×3, first 2 shown]
	v_pk_add_f16 v110, v2, v29
	v_pk_max_f16 v94, v94, v94
	v_pk_add_f16 v111, v4, v29
	v_pk_max_f16 v93, v93, v93
	v_pk_add_f16 v116, v17, v29
	v_pk_min_f16 v96, v96, v99
	v_pk_min_f16 v95, v95, v107
	v_pk_add_f16 v29, v19, v29
	v_pk_max_f16 v91, v91, v91
	v_pk_add_f16 v99, v10, v31
	v_pk_max_f16 v90, v90, v90
	;; [unrolled: 2-line block ×3, first 2 shown]
	v_pk_min_f16 v94, v94, v110
	v_pk_min_f16 v93, v93, v111
	v_pk_add_f16 v110, v6, v31
	v_pk_max_f16 v86, v86, v86
	v_pk_add_f16 v111, v8, v31
	v_pk_min_f16 v29, v91, v29
	v_pk_min_f16 v90, v90, v99
	;; [unrolled: 1-line block ×3, first 2 shown]
	v_pk_add_f16 v91, v2, v31
	v_pk_max_f16 v83, v83, v83
	v_pk_add_f16 v99, v4, v31
	v_pk_max_f16 v82, v82, v82
	v_pk_add_f16 v107, v17, v31
	v_pk_add_f16 v31, v19, v31
	v_pk_max_f16 v80, v80, v80
	v_pk_min_f16 v86, v86, v110
	v_pk_max_f16 v81, v81, v81
	v_pk_add_f16 v110, v10, v25
	v_pk_max_f16 v79, v79, v79
	v_pk_min_f16 v83, v83, v91
	v_pk_min_f16 v82, v82, v99
	;; [unrolled: 1-line block ×3, first 2 shown]
	v_pk_add_f16 v80, v12, v25
	v_pk_max_f16 v78, v78, v78
	v_pk_add_f16 v91, v6, v25
	v_pk_max_f16 v77, v77, v77
	;; [unrolled: 2-line block ×3, first 2 shown]
	v_pk_min_f16 v81, v81, v107
	v_pk_min_f16 v79, v79, v110
	v_pk_add_f16 v107, v2, v25
	v_pk_max_f16 v75, v75, v75
	v_pk_add_f16 v110, v4, v25
	v_pk_min_f16 v78, v78, v80
	v_pk_min_f16 v77, v77, v91
	;; [unrolled: 1-line block ×3, first 2 shown]
	v_pk_add_f16 v80, v17, v25
	v_pk_max_f16 v73, v73, v73
	v_pk_add_f16 v25, v19, v25
	v_pk_max_f16 v72, v72, v72
	;; [unrolled: 2-line block ×4, first 2 shown]
	v_pk_min_f16 v75, v75, v107
	v_pk_add_f16 v107, v6, v27
	v_pk_min_f16 v73, v73, v80
	v_pk_min_f16 v25, v72, v25
	;; [unrolled: 1-line block ×4, first 2 shown]
	v_pk_add_f16 v72, v8, v27
	v_pk_max_f16 v68, v68, v68
	v_pk_add_f16 v80, v2, v27
	v_pk_add_f16 v91, v4, v27
	v_pk_max_f16 v66, v66, v66
	v_pk_add_f16 v99, v17, v27
	v_pk_max_f16 v65, v65, v65
	;; [unrolled: 2-line block ×3, first 2 shown]
	v_pk_min_f16 v68, v68, v72
	v_pk_min_f16 v66, v66, v91
	;; [unrolled: 1-line block ×3, first 2 shown]
	v_pk_max_f16 v63, v63, v63
	v_pk_min_f16 v27, v64, v27
	v_pk_add_f16 v64, v10, v21
	v_pk_add_f16 v72, v12, v21
	v_pk_max_f16 v62, v62, v62
	v_pk_add_f16 v91, v8, v21
	v_pk_max_f16 v60, v60, v60
	v_pk_add_f16 v99, v2, v21
	v_pk_max_f16 v59, v59, v59
	v_pk_max_f16 v85, v85, v85
	v_pk_max_f16 v74, v74, v74
	;; [unrolled: 1-line block ×3, first 2 shown]
	v_pk_min_f16 v63, v63, v64
	v_pk_min_f16 v62, v62, v72
	;; [unrolled: 1-line block ×4, first 2 shown]
	v_pk_add_f16 v59, v4, v21
	v_pk_add_f16 v60, v17, v21
	;; [unrolled: 1-line block ×3, first 2 shown]
	v_pk_max_f16 v52, v52, v52
	v_pk_add_f16 v2, v2, v23
	v_pk_max_f16 v51, v51, v51
	v_pk_add_f16 v4, v4, v23
	;; [unrolled: 2-line block ×3, first 2 shown]
	v_pk_max_f16 v49, v49, v49
	v_pk_max_f16 v102, v102, v102
	;; [unrolled: 1-line block ×3, first 2 shown]
	v_pk_min_f16 v85, v85, v111
	v_pk_min_f16 v74, v74, v110
	v_pk_min_f16 v69, v69, v107
	v_pk_min_f16 v99, v52, v8
	v_pk_min_f16 v107, v51, v2
	v_pk_min_f16 v110, v50, v4
	v_pk_min_f16 v111, v49, v17
	v_pk_add_f16 v2, v19, v23
	v_pk_max_f16 v4, v48, v48
	v_pk_add_f16 v8, v11, v34
	v_pk_add_f16 v17, v13, v34
	v_pk_min_f16 v102, v102, v120
	v_pk_min_f16 v92, v92, v116
	v_pk_min_f16 v116, v4, v2
	v_pk_min_f16 v120, v14, v8
	v_pk_min_f16 v121, v15, v17
	v_pk_add_f16 v2, v3, v34
	v_pk_add_f16 v4, v5, v34
	v_pk_add_f16 v8, v18, v34
	v_pk_add_f16 v14, v20, v34
	v_pk_add_f16 v15, v11, v36
	v_pk_min_f16 v132, v40, v2
	v_pk_min_f16 v109, v109, v4
	v_pk_min_f16 v108, v108, v8
	v_pk_min_f16 v133, v33, v14
	v_pk_min_f16 v106, v106, v15
	v_pk_add_f16 v2, v13, v36
	v_pk_add_f16 v4, v7, v36
	v_pk_add_f16 v8, v9, v36
	;; [unrolled: 10-line block ×5, first 2 shown]
	v_pk_add_f16 v14, v9, v32
	v_pk_add_f16 v15, v3, v32
	v_pk_max_f16 v67, v67, v67
	v_pk_min_f16 v90, v90, v2
	v_pk_min_f16 v89, v89, v4
	;; [unrolled: 1-line block ×5, first 2 shown]
	v_pk_add_f16 v2, v5, v32
	v_pk_add_f16 v4, v18, v32
	;; [unrolled: 1-line block ×5, first 2 shown]
	v_pk_min_f16 v67, v67, v80
	v_pk_add_f16 v80, v6, v21
	v_pk_max_f16 v61, v61, v61
	v_pk_max_f16 v58, v58, v58
	;; [unrolled: 1-line block ×3, first 2 shown]
	v_pk_min_f16 v82, v82, v2
	v_pk_min_f16 v81, v81, v4
	;; [unrolled: 1-line block ×5, first 2 shown]
	v_pk_add_f16 v2, v7, v26
	v_pk_add_f16 v4, v9, v26
	;; [unrolled: 1-line block ×5, first 2 shown]
	v_pk_min_f16 v61, v61, v80
	v_pk_add_f16 v21, v19, v21
	v_pk_max_f16 v56, v56, v56
	v_pk_add_f16 v10, v10, v23
	v_pk_max_f16 v55, v55, v55
	;; [unrolled: 2-line block ×3, first 2 shown]
	v_pk_min_f16 v80, v58, v59
	v_pk_min_f16 v91, v57, v60
	v_pk_min_f16 v77, v77, v2
	v_pk_min_f16 v76, v76, v4
	v_pk_min_f16 v60, v75, v8
	v_pk_min_f16 v59, v74, v14
	v_pk_min_f16 v57, v73, v15
	v_pk_add_f16 v2, v20, v26
	v_pk_add_f16 v4, v11, v28
	v_pk_add_f16 v8, v13, v28
	v_pk_add_f16 v14, v7, v28
	v_pk_add_f16 v15, v9, v28
	v_pk_min_f16 v21, v56, v21
	v_pk_min_f16 v10, v55, v10
	;; [unrolled: 1-line block ×3, first 2 shown]
	v_pk_add_f16 v6, v6, v23
	v_pk_max_f16 v53, v53, v53
	v_pk_min_f16 v58, v25, v2
	v_pk_min_f16 v56, v71, v4
	;; [unrolled: 1-line block ×5, first 2 shown]
	v_pk_add_f16 v2, v3, v28
	v_pk_add_f16 v4, v5, v28
	;; [unrolled: 1-line block ×5, first 2 shown]
	v_pk_min_f16 v6, v53, v6
	v_pk_add_f16 v19, v7, v34
	v_pk_min_f16 v53, v67, v2
	v_pk_min_f16 v51, v66, v4
	v_pk_min_f16 v50, v65, v8
	v_pk_min_f16 v49, v27, v14
	v_pk_min_f16 v35, v63, v15
	v_pk_add_f16 v2, v13, v22
	v_pk_add_f16 v4, v7, v22
	;; [unrolled: 1-line block ×5, first 2 shown]
	v_pk_min_f16 v130, v16, v19
	v_pk_min_f16 v48, v62, v2
	;; [unrolled: 1-line block ×6, first 2 shown]
	ds_read2_b64 v[14:17], v88 offset1:32
	ds_read2_b64 v[61:64], v112 offset1:8
	v_pk_add_f16 v23, v9, v34
	v_pk_add_f16 v8, v11, v24
	;; [unrolled: 1-line block ×5, first 2 shown]
	v_pk_min_f16 v131, v39, v23
	v_pk_min_f16 v25, v10, v8
	;; [unrolled: 1-line block ×3, first 2 shown]
	ds_read2_b64 v[10:13], v88 offset0:64 offset1:96
	v_pk_min_f16 v27, v21, v4
	v_pk_add_f16 v21, v3, v24
	v_pk_add_f16 v2, v18, v22
	v_pk_min_f16 v22, v6, v7
	v_pk_add_f16 v19, v9, v24
	ds_read2_b64 v[6:9], v88 offset0:128 offset1:160
	v_pk_add_f16 v26, v5, v24
	v_pk_min_f16 v32, v107, v21
	v_pk_max_f16 v107, v120, v120
	v_pk_add_f16 v20, v20, v24
	s_waitcnt lgkmcnt(2)
	v_pk_add_f16 v69, v14, v61
	v_pk_min_f16 v28, v110, v26
	v_pk_add_f16 v110, v15, v62
	v_pk_min_f16 v31, v91, v2
	ds_read2_b64 v[2:5], v88 offset0:192 offset1:224
	v_pk_min_f16 v69, v107, v69
	v_pk_add_f16 v18, v18, v24
	v_pk_min_f16 v24, v116, v20
	v_pk_max_f16 v116, v121, v121
	s_waitcnt lgkmcnt(2)
	v_pk_add_f16 v71, v10, v61
	v_pk_add_f16 v72, v12, v61
	v_pk_min_f16 v121, v69, v110
	v_pk_max_f16 v69, v130, v130
	v_pk_max_f16 v110, v131, v131
	v_pk_min_f16 v26, v111, v18
	v_pk_add_f16 v70, v16, v61
	v_pk_add_f16 v111, v11, v62
	;; [unrolled: 1-line block ×3, first 2 shown]
	v_pk_min_f16 v69, v69, v71
	v_pk_min_f16 v72, v110, v72
	s_waitcnt lgkmcnt(1)
	v_pk_add_f16 v74, v8, v61
	v_pk_min_f16 v70, v116, v70
	v_pk_add_f16 v107, v17, v62
	v_pk_min_f16 v116, v69, v111
	v_pk_min_f16 v111, v72, v148
	v_pk_max_f16 v72, v109, v109
	v_pk_add_f16 v150, v9, v62
	v_pk_add_f16 v73, v6, v61
	s_waitcnt lgkmcnt(0)
	v_pk_add_f16 v75, v2, v61
	v_pk_add_f16 v61, v4, v61
	v_pk_min_f16 v72, v72, v74
	v_pk_min_f16 v120, v70, v107
	v_pk_max_f16 v107, v108, v108
	v_pk_add_f16 v91, v16, v63
	v_pk_add_f16 v149, v7, v62
	v_pk_min_f16 v109, v72, v150
	v_pk_max_f16 v72, v133, v133
	v_pk_add_f16 v151, v3, v62
	v_pk_add_f16 v62, v5, v62
	v_pk_min_f16 v75, v107, v75
	v_pk_max_f16 v105, v105, v105
	v_pk_min_f16 v61, v72, v61
	v_pk_add_f16 v80, v14, v63
	v_pk_add_f16 v153, v17, v64
	v_pk_min_f16 v108, v75, v151
	v_pk_max_f16 v75, v106, v106
	v_pk_min_f16 v107, v61, v62
	v_pk_min_f16 v62, v105, v91
	v_pk_add_f16 v137, v12, v63
	v_pk_add_f16 v152, v15, v64
	v_pk_min_f16 v75, v75, v80
	v_pk_min_f16 v34, v99, v19
	;; [unrolled: 1-line block ×3, first 2 shown]
	v_pk_max_f16 v62, v103, v103
	ds_read2_b64 v[65:68], v112 offset0:16 offset1:24
	v_pk_add_f16 v99, v10, v63
	v_pk_add_f16 v155, v13, v64
	v_pk_min_f16 v106, v75, v152
	v_pk_max_f16 v75, v104, v104
	v_pk_min_f16 v62, v62, v137
	v_pk_add_f16 v138, v6, v63
	v_pk_add_f16 v139, v8, v63
	v_pk_add_f16 v154, v11, v64
	v_pk_min_f16 v75, v75, v99
	v_pk_max_f16 v80, v102, v102
	v_pk_min_f16 v103, v62, v155
	v_pk_max_f16 v62, v101, v101
	v_pk_add_f16 v140, v2, v63
	v_pk_add_f16 v63, v4, v63
	;; [unrolled: 1-line block ×4, first 2 shown]
	v_pk_min_f16 v104, v75, v154
	v_pk_min_f16 v75, v80, v138
	;; [unrolled: 1-line block ×3, first 2 shown]
	v_pk_max_f16 v80, v134, v134
	v_perm_b32 v38, v126, v38, 0x5040100
	ds_read2_b64 v[126:129], v112 offset0:32 offset1:40
	ds_read2_b64 v[18:21], v112 offset0:48 offset1:56
	v_pk_add_f16 v158, v3, v64
	v_pk_add_f16 v64, v5, v64
	v_pk_min_f16 v102, v75, v156
	v_pk_max_f16 v75, v100, v100
	v_pk_min_f16 v101, v62, v157
	v_pk_min_f16 v62, v80, v63
	s_waitcnt lgkmcnt(2)
	v_pk_add_f16 v141, v14, v65
	v_pk_add_f16 v142, v16, v65
	;; [unrolled: 1-line block ×3, first 2 shown]
	v_pk_min_f16 v75, v75, v140
	v_pk_max_f16 v63, v98, v98
	v_pk_min_f16 v99, v62, v64
	v_pk_max_f16 v62, v97, v97
	v_pk_max_f16 v64, v96, v96
	;; [unrolled: 1-line block ×3, first 2 shown]
	v_pk_min_f16 v100, v75, v158
	v_pk_min_f16 v63, v63, v141
	v_pk_add_f16 v75, v15, v66
	v_pk_min_f16 v62, v62, v142
	v_pk_add_f16 v80, v17, v66
	;; [unrolled: 2-line block ×3, first 2 shown]
	v_pk_add_f16 v144, v12, v65
	v_pk_add_f16 v145, v6, v65
	;; [unrolled: 1-line block ×3, first 2 shown]
	v_pk_min_f16 v69, v69, v73
	v_pk_min_f16 v98, v63, v75
	v_pk_max_f16 v63, v95, v95
	v_pk_min_f16 v97, v62, v80
	v_pk_min_f16 v96, v64, v91
	v_pk_max_f16 v62, v94, v94
	v_pk_max_f16 v64, v93, v93
	v_pk_add_f16 v147, v2, v65
	v_pk_add_f16 v65, v4, v65
	;; [unrolled: 1-line block ×10, first 2 shown]
	s_waitcnt lgkmcnt(1)
	v_pk_add_f16 v132, v14, v126
	v_pk_add_f16 v73, v16, v126
	;; [unrolled: 1-line block ×3, first 2 shown]
	v_pk_min_f16 v110, v69, v149
	v_pk_add_f16 v69, v12, v126
	v_pk_add_f16 v148, v6, v126
	;; [unrolled: 1-line block ×13, first 2 shown]
	s_waitcnt lgkmcnt(0)
	v_pk_add_f16 v138, v14, v18
	v_pk_add_f16 v154, v16, v18
	;; [unrolled: 1-line block ×12, first 2 shown]
	v_pk_min_f16 v63, v63, v144
	v_pk_add_f16 v6, v6, v20
	v_pk_max_f16 v75, v92, v92
	v_pk_min_f16 v62, v62, v145
	v_pk_add_f16 v80, v13, v66
	v_pk_min_f16 v64, v64, v146
	v_pk_add_f16 v91, v7, v66
	v_pk_add_f16 v92, v9, v66
	;; [unrolled: 1-line block ×5, first 2 shown]
	v_pk_max_f16 v20, v90, v90
	v_pk_min_f16 v75, v75, v147
	v_pk_min_f16 v95, v63, v80
	v_pk_add_f16 v63, v3, v66
	v_pk_min_f16 v94, v62, v91
	v_pk_max_f16 v62, v135, v135
	v_pk_min_f16 v93, v64, v92
	v_pk_add_f16 v64, v5, v66
	v_pk_min_f16 v20, v20, v159
	v_pk_add_f16 v66, v15, v68
	v_pk_min_f16 v92, v75, v63
	v_pk_min_f16 v62, v62, v65
	v_pk_max_f16 v63, v89, v89
	v_pk_max_f16 v65, v86, v86
	v_pk_min_f16 v90, v20, v66
	v_pk_max_f16 v20, v85, v85
	v_pk_add_f16 v75, v17, v68
	v_pk_min_f16 v63, v63, v160
	v_pk_min_f16 v91, v62, v64
	v_pk_add_f16 v62, v13, v68
	v_pk_min_f16 v20, v20, v161
	v_pk_min_f16 v65, v65, v130
	v_pk_add_f16 v80, v11, v68
	v_pk_min_f16 v89, v63, v75
	v_pk_max_f16 v63, v83, v83
	v_pk_min_f16 v85, v20, v62
	v_pk_max_f16 v20, v136, v136
	v_pk_min_f16 v86, v65, v80
	v_pk_add_f16 v65, v7, v68
	v_pk_min_f16 v63, v63, v71
	v_pk_add_f16 v62, v5, v68
	v_pk_min_f16 v20, v20, v67
	v_pk_max_f16 v64, v82, v82
	v_pk_add_f16 v71, v9, v68
	v_pk_min_f16 v83, v63, v65
	v_pk_max_f16 v63, v79, v79
	v_pk_min_f16 v80, v20, v62
	v_pk_max_f16 v20, v76, v76
	v_pk_min_f16 v64, v64, v70
	v_pk_add_f16 v65, v15, v127
	v_pk_min_f16 v63, v63, v132
	v_pk_add_f16 v62, v13, v127
	v_pk_min_f16 v20, v20, v69
	v_pk_max_f16 v57, v57, v57
	v_pk_max_f16 v66, v81, v81
	v_pk_min_f16 v82, v64, v71
	v_pk_max_f16 v64, v78, v78
	v_pk_min_f16 v79, v63, v65
	v_pk_add_f16 v65, v3, v127
	v_pk_min_f16 v57, v57, v149
	v_pk_min_f16 v76, v20, v62
	v_pk_max_f16 v20, v58, v58
	v_pk_add_f16 v70, v3, v68
	v_pk_min_f16 v66, v66, v131
	v_pk_min_f16 v64, v64, v73
	;; [unrolled: 1-line block ×3, first 2 shown]
	v_pk_add_f16 v57, v5, v127
	v_pk_min_f16 v20, v20, v72
	v_pk_min_f16 v81, v66, v70
	v_pk_max_f16 v66, v77, v77
	v_pk_add_f16 v68, v11, v127
	v_pk_add_f16 v67, v17, v127
	v_pk_min_f16 v72, v20, v57
	v_pk_max_f16 v20, v52, v52
	v_pk_min_f16 v66, v66, v74
	v_pk_add_f16 v52, v13, v129
	v_pk_max_f16 v60, v60, v60
	v_pk_max_f16 v59, v59, v59
	v_pk_min_f16 v20, v20, v151
	v_pk_min_f16 v77, v66, v68
	v_pk_max_f16 v56, v56, v56
	v_pk_min_f16 v78, v64, v67
	v_pk_add_f16 v63, v7, v127
	v_pk_min_f16 v68, v20, v52
	v_pk_max_f16 v20, v49, v49
	v_pk_min_f16 v60, v60, v148
	v_pk_add_f16 v64, v9, v127
	v_pk_min_f16 v59, v59, v133
	v_pk_max_f16 v55, v55, v55
	v_pk_add_f16 v58, v15, v129
	v_pk_max_f16 v54, v54, v54
	v_pk_min_f16 v56, v56, v126
	v_pk_max_f16 v50, v50, v50
	v_pk_add_f16 v49, v5, v129
	v_pk_min_f16 v20, v20, v128
	v_pk_min_f16 v75, v60, v63
	;; [unrolled: 1-line block ×3, first 2 shown]
	v_pk_add_f16 v59, v17, v129
	v_pk_min_f16 v55, v55, v61
	v_pk_add_f16 v60, v11, v129
	v_pk_min_f16 v54, v54, v150
	v_pk_min_f16 v71, v56, v58
	v_pk_max_f16 v53, v53, v53
	v_pk_max_f16 v51, v51, v51
	v_pk_add_f16 v56, v3, v129
	v_pk_min_f16 v50, v50, v137
	v_pk_min_f16 v64, v20, v49
	v_pk_max_f16 v20, v33, v33
	v_pk_max_f16 v25, v25, v25
	;; [unrolled: 1-line block ×3, first 2 shown]
	v_pk_min_f16 v70, v55, v59
	v_pk_min_f16 v69, v54, v60
	v_pk_add_f16 v54, v7, v129
	v_pk_min_f16 v53, v53, v152
	v_pk_add_f16 v55, v9, v129
	v_pk_min_f16 v51, v51, v153
	v_pk_min_f16 v65, v50, v56
	v_pk_add_f16 v50, v15, v19
	v_pk_add_f16 v52, v11, v19
	;; [unrolled: 1-line block ×3, first 2 shown]
	v_pk_min_f16 v20, v20, v139
	v_pk_add_f16 v15, v15, v21
	v_pk_min_f16 v14, v25, v14
	v_pk_add_f16 v11, v11, v21
	v_pk_min_f16 v10, v22, v10
	v_pk_min_f16 v67, v53, v54
	v_pk_min_f16 v66, v51, v55
	v_pk_max_f16 v35, v35, v35
	v_pk_max_f16 v48, v48, v48
	v_pk_max_f16 v36, v36, v36
	v_pk_min_f16 v60, v20, v33
	v_pk_max_f16 v20, v27, v27
	v_pk_min_f16 v55, v14, v15
	v_pk_max_f16 v14, v34, v34
	;; [unrolled: 2-line block ×3, first 2 shown]
	v_pk_min_f16 v35, v35, v138
	v_pk_add_f16 v51, v17, v19
	v_pk_min_f16 v48, v48, v154
	v_pk_min_f16 v36, v36, v155
	v_pk_max_f16 v30, v30, v30
	v_pk_max_f16 v29, v29, v29
	;; [unrolled: 1-line block ×3, first 2 shown]
	v_pk_min_f16 v18, v20, v18
	v_pk_max_f16 v20, v23, v23
	v_pk_add_f16 v11, v13, v21
	v_pk_min_f16 v12, v14, v12
	v_pk_max_f16 v13, v28, v28
	v_pk_min_f16 v6, v10, v6
	v_pk_max_f16 v10, v26, v26
	v_pk_max_f16 v14, v24, v24
	v_pk_min_f16 v63, v35, v50
	v_pk_min_f16 v62, v48, v51
	;; [unrolled: 1-line block ×3, first 2 shown]
	v_pk_add_f16 v35, v7, v19
	v_pk_min_f16 v30, v30, v134
	v_pk_add_f16 v36, v9, v19
	v_pk_min_f16 v29, v29, v140
	;; [unrolled: 2-line block ×3, first 2 shown]
	v_pk_add_f16 v19, v5, v19
	v_pk_add_f16 v17, v17, v21
	v_pk_min_f16 v16, v20, v16
	v_pk_add_f16 v7, v7, v21
	v_pk_add_f16 v9, v9, v21
	v_pk_min_f16 v8, v13, v8
	v_pk_add_f16 v3, v3, v21
	v_pk_min_f16 v2, v10, v2
	;; [unrolled: 2-line block ×3, first 2 shown]
	v_add_co_u32 v41, vcc_lo, v41, 16
	v_add_co_ci_u32_e64 v42, null, 0, v42, vcc_lo
	v_add_co_u32 v118, vcc_lo, v118, s6
	v_perm_b32 v40, v125, v123, 0x5040100
	v_pk_min_f16 v59, v30, v35
	v_pk_min_f16 v58, v29, v36
	;; [unrolled: 1-line block ×10, first 2 shown]
	v_add_co_ci_u32_e64 v119, null, s7, v119, vcc_lo
	s_add_i32 s16, s16, 8
	ds_write_b16 v113, v122
	ds_write_b16_d16_hi v113, v122 offset:512
	ds_write_b16 v113, v123 offset:1024
	ds_write_b16 v113, v125 offset:1536
	ds_write_b16 v114, v124
	s_cmp_ge_i32 s16, s14
	s_waitcnt lgkmcnt(0)
	s_barrier
	buffer_gl0_inv
	s_cbranch_scc1 .LBB209_48
; %bb.41:
	v_mov_b32_e32 v39, v122
	s_mov_b32 s17, -1
	s_mov_b32 vcc_lo, s1
                                        ; implicit-def: $vgpr2_vgpr3
	s_cbranch_vccnz .LBB209_27
.LBB209_42:
	v_mov_b32_e32 v4, 0
	s_andn2_b32 vcc_lo, exec_lo, s17
	s_cbranch_vccnz .LBB209_28
.LBB209_43:
	v_add_co_u32 v2, vcc_lo, v118, v45
	v_add_co_ci_u32_e64 v3, null, v119, v46, vcc_lo
	s_clause 0x1
	flat_load_ushort v4, v[2:3]
	flat_load_ushort v2, v[2:3] offset:128
	s_waitcnt vmcnt(1) lgkmcnt(1)
	v_mul_f16_e32 v3, s15, v4
	s_waitcnt vmcnt(0) lgkmcnt(0)
	v_mul_f16_e32 v4, s15, v2
	v_bfi_b32 v37, 0xffff, v3, v37
	v_mov_b32_e32 v2, v37
	v_mov_b32_e32 v3, v38
	v_perm_b32 v37, v4, v2, 0x5040100
	s_mov_b32 s17, -1
	s_mov_b32 vcc_lo, s1
	s_cbranch_vccnz .LBB209_29
.LBB209_44:
	v_mov_b32_e32 v14, 0
	v_mov_b32_e32 v126, 0
	s_andn2_b32 vcc_lo, exec_lo, s17
	s_cbranch_vccnz .LBB209_30
.LBB209_45:
	v_add_co_u32 v4, vcc_lo, v118, v45
	v_add_co_ci_u32_e64 v5, null, v119, v46, vcc_lo
	s_clause 0x1
	flat_load_ushort v2, v[4:5] offset:256
	flat_load_ushort v4, v[4:5] offset:384
	s_waitcnt vmcnt(1) lgkmcnt(1)
	v_mul_f16_e32 v2, s15, v2
	s_waitcnt vmcnt(0) lgkmcnt(0)
	v_mul_f16_e32 v126, s15, v4
	v_bfi_b32 v38, 0xffff, v2, v3
	s_and_b32 vcc_lo, exec_lo, s2
	s_cbranch_vccz .LBB209_31
	s_branch .LBB209_32
.LBB209_46:
	v_mov_b32_e32 v124, 0
	v_mov_b32_e32 v125, 0
	s_andn2_b32 vcc_lo, exec_lo, s17
	s_cbranch_vccnz .LBB209_38
.LBB209_47:
	v_add_co_u32 v39, vcc_lo, v118, v43
	v_add_co_ci_u32_e64 v40, null, v119, v44, vcc_lo
	s_clause 0x1
	flat_load_ushort v14, v[39:40] offset:256
	flat_load_ushort v16, v[39:40] offset:384
	s_waitcnt vmcnt(1) lgkmcnt(1)
	v_mul_f16_e32 v14, s15, v14
	s_waitcnt vmcnt(0) lgkmcnt(0)
	v_mul_f16_e32 v125, s15, v16
	v_bfi_b32 v123, 0xffff, v14, v15
	s_and_b32 vcc_lo, exec_lo, s2
	s_cbranch_vccz .LBB209_39
	s_branch .LBB209_40
.LBB209_48:
	s_load_dword s2, s[4:5], 0x50
	v_add_nc_u32_e32 v84, s11, v1
	ds_read_b64 v[30:31], v88 offset:2048
	ds_read_b64 v[46:47], v87 offset:4608
	v_add_nc_u32_e32 v44, s10, v0
	v_cmp_neq_f16_e64 s7, s3, 0
	v_mov_b32_e32 v34, 0
	v_ashrrev_i32_e32 v45, 31, v44
	s_and_b32 vcc_lo, exec_lo, s7
	v_lshlrev_b64 v[28:29], 1, v[44:45]
	s_waitcnt lgkmcnt(0)
	v_mad_i64_i32 v[1:2], null, v84, s2, 0
	v_lshlrev_b64 v[0:1], 1, v[1:2]
	v_add_co_u32 v112, s1, s12, v0
	v_add_co_ci_u32_e64 v113, null, s13, v1, s1
	v_mov_b32_e32 v0, 0
	s_cbranch_vccz .LBB209_50
; %bb.49:
	v_add_co_u32 v0, vcc_lo, v112, v28
	v_add_co_ci_u32_e64 v1, null, v113, v29, vcc_lo
	flat_load_ushort v0, v[0:1]
	s_waitcnt vmcnt(0) lgkmcnt(0)
	v_mul_f16_e32 v0, s3, v0
	v_cvt_f32_f16_e32 v0, v0
.LBB209_50:
	s_clause 0x1
	s_load_dword s6, s[4:5], 0x68
	s_load_dwordx2 s[4:5], s[4:5], 0x70
	v_pk_add_f16 v2, v30, v46
	v_pk_add_f16 v13, v31, v47
	v_max_f16_e32 v3, v121, v121
	v_lshrrev_b32_e32 v4, 16, v121
	v_add_nc_u32_e32 v1, 0x800, v88
	v_lshrrev_b32_e32 v5, 16, v2
	v_lshrrev_b32_e32 v6, 16, v13
	v_add_nc_u32_e32 v12, 0x1000, v87
	v_min_f16_e32 v14, v3, v2
	ds_read_b64 v[24:25], v88 offset:3840
	ds_read_b64 v[26:27], v87 offset:5056
	v_min3_f16 v15, v4, v5, v6
	v_max_f32_e32 v37, v0, v0
	ds_read2_b64 v[8:11], v1 offset0:32 offset1:64
	ds_read2_b64 v[4:7], v1 offset0:96 offset1:128
	;; [unrolled: 1-line block ×3, first 2 shown]
	v_min3_f16 v33, v14, v13, v15
	ds_read2_b64 v[20:23], v12 offset0:72 offset1:80
	ds_read2_b64 v[16:19], v12 offset0:88 offset1:96
	;; [unrolled: 1-line block ×3, first 2 shown]
	s_waitcnt lgkmcnt(0)
	v_mad_i64_i32 v[35:36], null, v84, s6, 0
	v_add_nc_u32_e32 v32, 32, v44
	s_lshl_b64 s[4:5], s[4:5], 1
	v_cvt_f32_f16_e32 v39, v33
	s_add_u32 s4, s8, s4
	s_addc_u32 s5, s9, s5
	v_ashrrev_i32_e32 v33, 31, v32
	v_lshlrev_b64 v[35:36], 1, v[35:36]
	v_cndmask_b32_e64 v38, 0, 1, s7
	v_min_f32_e32 v37, v37, v39
	v_lshlrev_b64 v[32:33], 1, v[32:33]
	v_cmp_ne_u32_e64 s1, 1, v38
	v_add_co_u32 v87, vcc_lo, s4, v35
	v_add_co_ci_u32_e64 v88, null, s5, v36, vcc_lo
	v_cvt_f16_f32_e32 v37, v37
	v_add_co_u32 v35, vcc_lo, v87, v28
	v_add_co_ci_u32_e64 v36, null, v88, v29, vcc_lo
	s_andn2_b32 vcc_lo, exec_lo, s7
	flat_store_short v[35:36], v37
	s_cbranch_vccnz .LBB209_52
; %bb.51:
	v_add_co_u32 v34, vcc_lo, v112, v32
	v_add_co_ci_u32_e64 v35, null, v113, v33, vcc_lo
	flat_load_ushort v34, v[34:35]
	s_waitcnt vmcnt(0) lgkmcnt(0)
	v_mul_f16_e32 v34, s3, v34
	v_cvt_f32_f16_e32 v34, v34
.LBB209_52:
	v_pk_add_f16 v35, v8, v46
	v_pk_add_f16 v36, v9, v47
	v_max_f16_e32 v37, v120, v120
	v_lshrrev_b32_e32 v38, 16, v120
	v_max_f32_e32 v34, v34, v34
	v_lshrrev_b32_e32 v39, 16, v35
	v_lshrrev_b32_e32 v40, 16, v36
	v_min_f16_e32 v35, v37, v35
	v_min3_f16 v37, v38, v39, v40
	v_add_co_u32 v39, vcc_lo, v87, v32
	v_add_co_ci_u32_e64 v40, null, v88, v33, vcc_lo
	v_min3_f16 v36, v35, v36, v37
	v_add_nc_u32_e32 v35, 64, v44
	v_mov_b32_e32 v38, 0
	s_and_b32 vcc_lo, exec_lo, s1
	v_cvt_f32_f16_e32 v37, v36
	v_ashrrev_i32_e32 v36, 31, v35
	v_min_f32_e32 v34, v34, v37
	v_cvt_f16_f32_e32 v37, v34
	v_lshlrev_b64 v[34:35], 1, v[35:36]
	v_mov_b32_e32 v36, 0
	flat_store_short v[39:40], v37
	s_cbranch_vccnz .LBB209_54
; %bb.53:
	v_add_co_u32 v36, vcc_lo, v112, v34
	v_add_co_ci_u32_e64 v37, null, v113, v35, vcc_lo
	flat_load_ushort v36, v[36:37]
	s_waitcnt vmcnt(0) lgkmcnt(0)
	v_mul_f16_e32 v36, s3, v36
	v_cvt_f32_f16_e32 v36, v36
.LBB209_54:
	v_pk_add_f16 v37, v10, v46
	v_pk_add_f16 v39, v11, v47
	v_max_f16_e32 v40, v116, v116
	v_lshrrev_b32_e32 v41, 16, v116
	v_max_f32_e32 v36, v36, v36
	v_lshrrev_b32_e32 v42, 16, v37
	v_lshrrev_b32_e32 v43, 16, v39
	v_min_f16_e32 v37, v40, v37
	v_min3_f16 v40, v41, v42, v43
	v_add_co_u32 v41, vcc_lo, v87, v34
	v_add_co_ci_u32_e64 v42, null, v88, v35, vcc_lo
	v_min3_f16 v37, v37, v39, v40
	v_add_nc_u32_e32 v39, 0x60, v44
	s_and_b32 vcc_lo, exec_lo, s1
	v_cvt_f32_f16_e32 v37, v37
	v_ashrrev_i32_e32 v40, 31, v39
	v_min_f32_e32 v36, v36, v37
	v_cvt_f16_f32_e32 v43, v36
	v_lshlrev_b64 v[36:37], 1, v[39:40]
	flat_store_short v[41:42], v43
	s_cbranch_vccnz .LBB209_56
; %bb.55:
	v_add_co_u32 v38, vcc_lo, v112, v36
	v_add_co_ci_u32_e64 v39, null, v113, v37, vcc_lo
	flat_load_ushort v38, v[38:39]
	s_waitcnt vmcnt(0) lgkmcnt(0)
	v_mul_f16_e32 v38, s3, v38
	v_cvt_f32_f16_e32 v38, v38
.LBB209_56:
	v_pk_add_f16 v39, v4, v46
	v_pk_add_f16 v40, v5, v47
	v_max_f16_e32 v41, v111, v111
	v_lshrrev_b32_e32 v42, 16, v111
	v_max_f32_e32 v38, v38, v38
	v_lshrrev_b32_e32 v43, 16, v39
	v_lshrrev_b32_e32 v45, 16, v40
	v_min_f16_e32 v39, v41, v39
	v_add_co_u32 v114, vcc_lo, v87, v36
	v_add_co_ci_u32_e64 v115, null, v88, v37, vcc_lo
	v_min3_f16 v41, v42, v43, v45
	s_and_b32 vcc_lo, exec_lo, s1
	v_min3_f16 v40, v39, v40, v41
	v_add_nc_u32_e32 v39, 0x80, v44
	v_cvt_f32_f16_e32 v41, v40
	v_ashrrev_i32_e32 v40, 31, v39
	v_min_f32_e32 v41, v38, v41
	v_lshlrev_b64 v[42:43], 1, v[39:40]
	v_mov_b32_e32 v38, 0
	v_mov_b32_e32 v39, 0
	v_cvt_f16_f32_e32 v41, v41
	flat_store_short v[114:115], v41
	s_cbranch_vccnz .LBB209_58
; %bb.57:
	v_add_co_u32 v39, vcc_lo, v112, v42
	v_add_co_ci_u32_e64 v40, null, v113, v43, vcc_lo
	flat_load_ushort v39, v[39:40]
	s_waitcnt vmcnt(0) lgkmcnt(0)
	v_mul_f16_e32 v39, s3, v39
	v_cvt_f32_f16_e32 v39, v39
.LBB209_58:
	v_pk_add_f16 v40, v6, v46
	v_pk_add_f16 v41, v7, v47
	v_max_f16_e32 v45, v110, v110
	v_lshrrev_b32_e32 v110, 16, v110
	v_max_f32_e32 v39, v39, v39
	v_lshrrev_b32_e32 v111, 16, v40
	v_lshrrev_b32_e32 v114, 16, v41
	v_min_f16_e32 v40, v45, v40
	v_min3_f16 v45, v110, v111, v114
	v_add_co_u32 v110, vcc_lo, v87, v42
	v_add_co_ci_u32_e64 v111, null, v88, v43, vcc_lo
	v_min3_f16 v41, v40, v41, v45
	v_add_nc_u32_e32 v40, 0xa0, v44
	s_and_b32 vcc_lo, exec_lo, s1
	v_cvt_f32_f16_e32 v45, v41
	v_ashrrev_i32_e32 v41, 31, v40
	v_min_f32_e32 v39, v39, v45
	v_lshlrev_b64 v[40:41], 1, v[40:41]
	v_cvt_f16_f32_e32 v39, v39
	flat_store_short v[110:111], v39
	s_cbranch_vccnz .LBB209_60
; %bb.59:
	v_add_co_u32 v38, vcc_lo, v112, v40
	v_add_co_ci_u32_e64 v39, null, v113, v41, vcc_lo
	flat_load_ushort v38, v[38:39]
	s_waitcnt vmcnt(0) lgkmcnt(0)
	v_mul_f16_e32 v38, s3, v38
	v_cvt_f32_f16_e32 v38, v38
.LBB209_60:
	v_pk_add_f16 v39, v0, v46
	v_pk_add_f16 v45, v1, v47
	v_max_f16_e32 v110, v109, v109
	v_lshrrev_b32_e32 v109, 16, v109
	v_max_f32_e32 v38, v38, v38
	v_lshrrev_b32_e32 v111, 16, v39
	v_lshrrev_b32_e32 v114, 16, v45
	v_min_f16_e32 v39, v110, v39
	v_add_nc_u32_e32 v110, 0xc0, v44
	v_min3_f16 v109, v109, v111, v114
	v_add_co_u32 v114, vcc_lo, v87, v40
	v_ashrrev_i32_e32 v111, 31, v110
	v_add_co_ci_u32_e64 v115, null, v88, v41, vcc_lo
	v_min3_f16 v39, v39, v45, v109
	v_mov_b32_e32 v109, 0
	v_mov_b32_e32 v45, 0
	s_and_b32 vcc_lo, exec_lo, s1
	v_cvt_f32_f16_e32 v39, v39
	v_min_f32_e32 v38, v38, v39
	v_cvt_f16_f32_e32 v116, v38
	v_lshlrev_b64 v[38:39], 1, v[110:111]
	flat_store_short v[114:115], v116
	s_cbranch_vccnz .LBB209_62
; %bb.61:
	v_add_co_u32 v110, vcc_lo, v112, v38
	v_add_co_ci_u32_e64 v111, null, v113, v39, vcc_lo
	flat_load_ushort v45, v[110:111]
	s_waitcnt vmcnt(0) lgkmcnt(0)
	v_mul_f16_e32 v45, s3, v45
	v_cvt_f32_f16_e32 v45, v45
.LBB209_62:
	v_pk_add_f16 v110, v2, v46
	v_pk_add_f16 v111, v3, v47
	v_max_f16_e32 v114, v108, v108
	v_lshrrev_b32_e32 v108, 16, v108
	v_add_nc_u32_e32 v44, 0xe0, v44
	v_lshrrev_b32_e32 v115, 16, v110
	v_lshrrev_b32_e32 v116, 16, v111
	v_min_f16_e32 v110, v114, v110
	v_min3_f16 v108, v108, v115, v116
	v_min3_f16 v108, v110, v111, v108
	v_max_f32_e32 v110, v45, v45
	v_ashrrev_i32_e32 v45, 31, v44
	v_cvt_f32_f16_e32 v108, v108
	v_lshlrev_b64 v[44:45], 1, v[44:45]
	v_min_f32_e32 v108, v110, v108
	v_add_co_u32 v110, vcc_lo, v87, v38
	v_add_co_ci_u32_e64 v111, null, v88, v39, vcc_lo
	v_cvt_f16_f32_e32 v108, v108
	s_and_b32 vcc_lo, exec_lo, s1
	flat_store_short v[110:111], v108
	s_cbranch_vccnz .LBB209_64
; %bb.63:
	v_add_co_u32 v108, vcc_lo, v112, v44
	v_add_co_ci_u32_e64 v109, null, v113, v45, vcc_lo
	flat_load_ushort v108, v[108:109]
	s_waitcnt vmcnt(0) lgkmcnt(0)
	v_mul_f16_e32 v108, s3, v108
	v_cvt_f32_f16_e32 v109, v108
.LBB209_64:
	v_pk_add_f16 v46, v24, v46
	v_pk_add_f16 v110, v25, v47
	v_max_f16_e32 v47, v107, v107
	v_lshrrev_b32_e32 v107, 16, v107
	v_add_nc_u32_e32 v108, 8, v84
	v_lshrrev_b32_e32 v111, 16, v46
	v_lshrrev_b32_e32 v112, 16, v110
	v_min_f16_e32 v113, v47, v46
	v_mad_i64_i32 v[46:47], null, v108, s2, 0
	v_min3_f16 v107, v107, v111, v112
	v_max_f32_e32 v111, v109, v109
	v_add_co_u32 v109, vcc_lo, v87, v44
	v_min3_f16 v107, v113, v110, v107
	v_lshlrev_b64 v[46:47], 1, v[46:47]
	v_add_co_ci_u32_e64 v110, null, v88, v45, vcc_lo
	v_cvt_f32_f16_e32 v107, v107
	v_add_co_u32 v46, vcc_lo, s12, v46
	v_add_co_ci_u32_e64 v47, null, s13, v47, vcc_lo
	v_min_f32_e32 v87, v111, v107
	v_mov_b32_e32 v107, 0
	s_and_b32 vcc_lo, exec_lo, s1
	v_cvt_f16_f32_e32 v88, v87
	v_mov_b32_e32 v87, 0
	flat_store_short v[109:110], v88
	s_cbranch_vccnz .LBB209_66
; %bb.65:
	v_add_co_u32 v87, vcc_lo, v46, v28
	v_add_co_ci_u32_e64 v88, null, v47, v29, vcc_lo
	flat_load_ushort v87, v[87:88]
	s_waitcnt vmcnt(0) lgkmcnt(0)
	v_mul_f16_e32 v87, s3, v87
	v_cvt_f32_f16_e32 v87, v87
.LBB209_66:
	v_pk_add_f16 v88, v30, v20
	v_pk_add_f16 v110, v31, v21
	v_max_f16_e32 v109, v106, v106
	v_lshrrev_b32_e32 v106, 16, v106
	v_lshrrev_b32_e32 v111, 16, v88
	;; [unrolled: 1-line block ×3, first 2 shown]
	v_min_f16_e32 v88, v109, v88
	v_mad_i64_i32 v[108:109], null, v108, s6, 0
	v_min3_f16 v106, v106, v111, v112
	v_min3_f16 v88, v88, v110, v106
	v_max_f32_e32 v106, v87, v87
	v_cvt_f32_f16_e32 v110, v88
	v_lshlrev_b64 v[87:88], 1, v[108:109]
	v_min_f32_e32 v106, v106, v110
	v_add_co_u32 v87, vcc_lo, s4, v87
	v_add_co_ci_u32_e64 v88, null, s5, v88, vcc_lo
	v_cvt_f16_f32_e32 v106, v106
	v_add_co_u32 v108, vcc_lo, v87, v28
	v_add_co_ci_u32_e64 v109, null, v88, v29, vcc_lo
	s_and_b32 vcc_lo, exec_lo, s1
	flat_store_short v[108:109], v106
	s_cbranch_vccnz .LBB209_68
; %bb.67:
	v_add_co_u32 v106, vcc_lo, v46, v32
	v_add_co_ci_u32_e64 v107, null, v47, v33, vcc_lo
	flat_load_ushort v106, v[106:107]
	s_waitcnt vmcnt(0) lgkmcnt(0)
	v_mul_f16_e32 v106, s3, v106
	v_cvt_f32_f16_e32 v107, v106
.LBB209_68:
	v_pk_add_f16 v106, v8, v20
	v_pk_add_f16 v108, v9, v21
	v_max_f16_e32 v109, v105, v105
	v_lshrrev_b32_e32 v105, 16, v105
	v_lshrrev_b32_e32 v110, 16, v106
	v_lshrrev_b32_e32 v111, 16, v108
	v_min_f16_e32 v106, v109, v106
	v_min3_f16 v105, v105, v110, v111
	v_min3_f16 v105, v106, v108, v105
	v_max_f32_e32 v106, v107, v107
	v_add_co_u32 v107, vcc_lo, v87, v32
	v_add_co_ci_u32_e64 v108, null, v88, v33, vcc_lo
	v_cvt_f32_f16_e32 v105, v105
	s_and_b32 vcc_lo, exec_lo, s1
	v_min_f32_e32 v105, v106, v105
	v_mov_b32_e32 v106, 0
	v_cvt_f16_f32_e32 v109, v105
	v_mov_b32_e32 v105, 0
	flat_store_short v[107:108], v109
	s_cbranch_vccnz .LBB209_70
; %bb.69:
	v_add_co_u32 v106, vcc_lo, v46, v34
	v_add_co_ci_u32_e64 v107, null, v47, v35, vcc_lo
	flat_load_ushort v106, v[106:107]
	s_waitcnt vmcnt(0) lgkmcnt(0)
	v_mul_f16_e32 v106, s3, v106
	v_cvt_f32_f16_e32 v106, v106
.LBB209_70:
	v_pk_add_f16 v107, v10, v20
	v_pk_add_f16 v108, v11, v21
	v_max_f16_e32 v109, v104, v104
	v_lshrrev_b32_e32 v104, 16, v104
	v_max_f32_e32 v106, v106, v106
	v_lshrrev_b32_e32 v110, 16, v107
	v_lshrrev_b32_e32 v111, 16, v108
	v_min_f16_e32 v107, v109, v107
	v_min3_f16 v104, v104, v110, v111
	v_min3_f16 v104, v107, v108, v104
	v_cvt_f32_f16_e32 v104, v104
	v_min_f32_e32 v104, v106, v104
	v_add_co_u32 v106, vcc_lo, v87, v34
	v_add_co_ci_u32_e64 v107, null, v88, v35, vcc_lo
	v_cvt_f16_f32_e32 v104, v104
	s_and_b32 vcc_lo, exec_lo, s1
	flat_store_short v[106:107], v104
	s_cbranch_vccnz .LBB209_72
; %bb.71:
	v_add_co_u32 v104, vcc_lo, v46, v36
	v_add_co_ci_u32_e64 v105, null, v47, v37, vcc_lo
	flat_load_ushort v104, v[104:105]
	s_waitcnt vmcnt(0) lgkmcnt(0)
	v_mul_f16_e32 v104, s3, v104
	v_cvt_f32_f16_e32 v105, v104
.LBB209_72:
	v_pk_add_f16 v104, v4, v20
	v_pk_add_f16 v106, v5, v21
	v_max_f16_e32 v107, v103, v103
	v_lshrrev_b32_e32 v103, 16, v103
	v_lshrrev_b32_e32 v108, 16, v104
	v_lshrrev_b32_e32 v109, 16, v106
	v_min_f16_e32 v104, v107, v104
	v_min3_f16 v103, v103, v108, v109
	v_min3_f16 v103, v104, v106, v103
	v_max_f32_e32 v104, v105, v105
	v_add_co_u32 v105, vcc_lo, v87, v36
	v_add_co_ci_u32_e64 v106, null, v88, v37, vcc_lo
	v_cvt_f32_f16_e32 v103, v103
	s_and_b32 vcc_lo, exec_lo, s1
	v_min_f32_e32 v103, v104, v103
	v_mov_b32_e32 v104, 0
	v_cvt_f16_f32_e32 v107, v103
	v_mov_b32_e32 v103, 0
	flat_store_short v[105:106], v107
	s_cbranch_vccnz .LBB209_74
; %bb.73:
	v_add_co_u32 v104, vcc_lo, v46, v42
	v_add_co_ci_u32_e64 v105, null, v47, v43, vcc_lo
	flat_load_ushort v104, v[104:105]
	s_waitcnt vmcnt(0) lgkmcnt(0)
	v_mul_f16_e32 v104, s3, v104
	v_cvt_f32_f16_e32 v104, v104
.LBB209_74:
	v_pk_add_f16 v105, v6, v20
	v_pk_add_f16 v106, v7, v21
	v_max_f16_e32 v107, v102, v102
	v_lshrrev_b32_e32 v102, 16, v102
	v_max_f32_e32 v104, v104, v104
	v_lshrrev_b32_e32 v108, 16, v105
	v_lshrrev_b32_e32 v109, 16, v106
	v_min_f16_e32 v105, v107, v105
	v_min3_f16 v102, v102, v108, v109
	v_min3_f16 v102, v105, v106, v102
	v_cvt_f32_f16_e32 v102, v102
	v_min_f32_e32 v102, v104, v102
	v_add_co_u32 v104, vcc_lo, v87, v42
	v_add_co_ci_u32_e64 v105, null, v88, v43, vcc_lo
	v_cvt_f16_f32_e32 v102, v102
	;; [unrolled: 54-line block ×3, first 2 shown]
	s_and_b32 vcc_lo, exec_lo, s1
	flat_store_short v[102:103], v100
	s_cbranch_vccnz .LBB209_80
; %bb.79:
	v_add_co_u32 v46, vcc_lo, v46, v44
	v_add_co_ci_u32_e64 v47, null, v47, v45, vcc_lo
	flat_load_ushort v46, v[46:47]
	s_waitcnt vmcnt(0) lgkmcnt(0)
	v_mul_f16_e32 v46, s3, v46
	v_cvt_f32_f16_e32 v101, v46
.LBB209_80:
	v_pk_add_f16 v20, v24, v20
	v_pk_add_f16 v47, v25, v21
	v_max_f16_e32 v21, v99, v99
	v_lshrrev_b32_e32 v99, 16, v99
	v_add_nc_u32_e32 v46, 16, v84
	v_lshrrev_b32_e32 v100, 16, v20
	v_lshrrev_b32_e32 v102, 16, v47
	v_min_f16_e32 v103, v21, v20
	v_max_f32_e32 v101, v101, v101
	v_mad_i64_i32 v[20:21], null, v46, s2, 0
	v_min3_f16 v99, v99, v100, v102
	v_min3_f16 v47, v103, v47, v99
	v_lshlrev_b64 v[20:21], 1, v[20:21]
	v_add_co_u32 v99, vcc_lo, v87, v44
	v_add_co_ci_u32_e64 v100, null, v88, v45, vcc_lo
	v_cvt_f32_f16_e32 v47, v47
	v_add_co_u32 v20, vcc_lo, s12, v20
	v_add_co_ci_u32_e64 v21, null, s13, v21, vcc_lo
	v_min_f32_e32 v47, v101, v47
	v_mov_b32_e32 v87, 0
	s_and_b32 vcc_lo, exec_lo, s1
	v_cvt_f16_f32_e32 v88, v47
	v_mov_b32_e32 v47, 0
	flat_store_short v[99:100], v88
	s_cbranch_vccnz .LBB209_82
; %bb.81:
	v_add_co_u32 v99, vcc_lo, v20, v28
	v_add_co_ci_u32_e64 v100, null, v21, v29, vcc_lo
	flat_load_ushort v47, v[99:100]
	s_waitcnt vmcnt(0) lgkmcnt(0)
	v_mul_f16_e32 v47, s3, v47
	v_cvt_f32_f16_e32 v47, v47
.LBB209_82:
	v_pk_add_f16 v88, v30, v22
	v_pk_add_f16 v100, v31, v23
	v_max_f16_e32 v99, v98, v98
	v_lshrrev_b32_e32 v98, 16, v98
	v_lshrrev_b32_e32 v101, 16, v88
	;; [unrolled: 1-line block ×3, first 2 shown]
	v_min_f16_e32 v88, v99, v88
	v_min3_f16 v101, v98, v101, v102
	v_mad_i64_i32 v[98:99], null, v46, s6, 0
	v_min3_f16 v46, v88, v100, v101
	v_max_f32_e32 v88, v47, v47
	v_cvt_f32_f16_e32 v100, v46
	v_lshlrev_b64 v[46:47], 1, v[98:99]
	v_min_f32_e32 v88, v88, v100
	v_add_co_u32 v46, vcc_lo, s4, v46
	v_add_co_ci_u32_e64 v47, null, s5, v47, vcc_lo
	v_cvt_f16_f32_e32 v88, v88
	v_add_co_u32 v98, vcc_lo, v46, v28
	v_add_co_ci_u32_e64 v99, null, v47, v29, vcc_lo
	s_and_b32 vcc_lo, exec_lo, s1
	flat_store_short v[98:99], v88
	s_cbranch_vccnz .LBB209_84
; %bb.83:
	v_add_co_u32 v87, vcc_lo, v20, v32
	v_add_co_ci_u32_e64 v88, null, v21, v33, vcc_lo
	flat_load_ushort v87, v[87:88]
	s_waitcnt vmcnt(0) lgkmcnt(0)
	v_mul_f16_e32 v87, s3, v87
	v_cvt_f32_f16_e32 v87, v87
.LBB209_84:
	v_pk_add_f16 v88, v8, v22
	v_pk_add_f16 v98, v9, v23
	v_max_f16_e32 v99, v97, v97
	v_lshrrev_b32_e32 v97, 16, v97
	v_max_f32_e32 v87, v87, v87
	v_lshrrev_b32_e32 v100, 16, v88
	v_lshrrev_b32_e32 v101, 16, v98
	v_min_f16_e32 v88, v99, v88
	v_min3_f16 v97, v97, v100, v101
	v_min3_f16 v88, v88, v98, v97
	v_add_co_u32 v97, vcc_lo, v46, v32
	v_add_co_ci_u32_e64 v98, null, v47, v33, vcc_lo
	v_cvt_f32_f16_e32 v88, v88
	s_and_b32 vcc_lo, exec_lo, s1
	v_min_f32_e32 v87, v87, v88
	v_mov_b32_e32 v88, 0
	v_cvt_f16_f32_e32 v99, v87
	v_mov_b32_e32 v87, 0
	flat_store_short v[97:98], v99
	s_cbranch_vccnz .LBB209_86
; %bb.85:
	v_add_co_u32 v97, vcc_lo, v20, v34
	v_add_co_ci_u32_e64 v98, null, v21, v35, vcc_lo
	flat_load_ushort v88, v[97:98]
	s_waitcnt vmcnt(0) lgkmcnt(0)
	v_mul_f16_e32 v88, s3, v88
	v_cvt_f32_f16_e32 v88, v88
.LBB209_86:
	v_pk_add_f16 v97, v10, v22
	v_pk_add_f16 v98, v11, v23
	v_max_f16_e32 v99, v96, v96
	v_lshrrev_b32_e32 v96, 16, v96
	v_max_f32_e32 v88, v88, v88
	v_lshrrev_b32_e32 v100, 16, v97
	v_lshrrev_b32_e32 v101, 16, v98
	v_min_f16_e32 v97, v99, v97
	v_min3_f16 v96, v96, v100, v101
	v_min3_f16 v96, v97, v98, v96
	v_cvt_f32_f16_e32 v96, v96
	v_min_f32_e32 v88, v88, v96
	v_add_co_u32 v96, vcc_lo, v46, v34
	v_add_co_ci_u32_e64 v97, null, v47, v35, vcc_lo
	v_cvt_f16_f32_e32 v88, v88
	s_and_b32 vcc_lo, exec_lo, s1
	flat_store_short v[96:97], v88
	s_cbranch_vccnz .LBB209_88
; %bb.87:
	v_add_co_u32 v87, vcc_lo, v20, v36
	v_add_co_ci_u32_e64 v88, null, v21, v37, vcc_lo
	flat_load_ushort v87, v[87:88]
	s_waitcnt vmcnt(0) lgkmcnt(0)
	v_mul_f16_e32 v87, s3, v87
	v_cvt_f32_f16_e32 v87, v87
.LBB209_88:
	v_pk_add_f16 v88, v4, v22
	v_pk_add_f16 v96, v5, v23
	v_max_f16_e32 v97, v95, v95
	v_lshrrev_b32_e32 v95, 16, v95
	v_max_f32_e32 v87, v87, v87
	v_lshrrev_b32_e32 v98, 16, v88
	v_lshrrev_b32_e32 v99, 16, v96
	v_min_f16_e32 v88, v97, v88
	v_min3_f16 v95, v95, v98, v99
	v_min3_f16 v88, v88, v96, v95
	v_add_co_u32 v95, vcc_lo, v46, v36
	v_add_co_ci_u32_e64 v96, null, v47, v37, vcc_lo
	v_cvt_f32_f16_e32 v88, v88
	s_and_b32 vcc_lo, exec_lo, s1
	v_min_f32_e32 v87, v87, v88
	v_mov_b32_e32 v88, 0
	v_cvt_f16_f32_e32 v97, v87
	v_mov_b32_e32 v87, 0
	flat_store_short v[95:96], v97
	s_cbranch_vccnz .LBB209_90
; %bb.89:
	v_add_co_u32 v95, vcc_lo, v20, v42
	v_add_co_ci_u32_e64 v96, null, v21, v43, vcc_lo
	flat_load_ushort v88, v[95:96]
	s_waitcnt vmcnt(0) lgkmcnt(0)
	v_mul_f16_e32 v88, s3, v88
	v_cvt_f32_f16_e32 v88, v88
.LBB209_90:
	v_pk_add_f16 v95, v6, v22
	v_pk_add_f16 v96, v7, v23
	v_max_f16_e32 v97, v94, v94
	v_lshrrev_b32_e32 v94, 16, v94
	v_max_f32_e32 v88, v88, v88
	v_lshrrev_b32_e32 v98, 16, v95
	v_lshrrev_b32_e32 v99, 16, v96
	v_min_f16_e32 v95, v97, v95
	v_min3_f16 v94, v94, v98, v99
	v_min3_f16 v94, v95, v96, v94
	v_cvt_f32_f16_e32 v94, v94
	v_min_f32_e32 v88, v88, v94
	v_add_co_u32 v94, vcc_lo, v46, v42
	v_add_co_ci_u32_e64 v95, null, v47, v43, vcc_lo
	v_cvt_f16_f32_e32 v88, v88
	;; [unrolled: 54-line block ×3, first 2 shown]
	s_and_b32 vcc_lo, exec_lo, s1
	flat_store_short v[92:93], v88
	s_cbranch_vccnz .LBB209_96
; %bb.95:
	v_add_co_u32 v20, vcc_lo, v20, v44
	v_add_co_ci_u32_e64 v21, null, v21, v45, vcc_lo
	flat_load_ushort v20, v[20:21]
	s_waitcnt vmcnt(0) lgkmcnt(0)
	v_mul_f16_e32 v20, s3, v20
	v_cvt_f32_f16_e32 v87, v20
.LBB209_96:
	v_pk_add_f16 v20, v24, v22
	v_pk_add_f16 v23, v25, v23
	v_max_f16_e32 v21, v91, v91
	v_lshrrev_b32_e32 v88, 16, v91
	v_add_nc_u32_e32 v22, 24, v84
	v_lshrrev_b32_e32 v91, 16, v20
	v_lshrrev_b32_e32 v92, 16, v23
	v_min_f16_e32 v93, v21, v20
	v_mad_i64_i32 v[20:21], null, v22, s2, 0
	v_min3_f16 v88, v88, v91, v92
	v_max_f32_e32 v91, v87, v87
	v_add_co_u32 v87, vcc_lo, v46, v44
	v_mov_b32_e32 v46, 0
	v_min3_f16 v23, v93, v23, v88
	v_lshlrev_b64 v[20:21], 1, v[20:21]
	v_add_co_ci_u32_e64 v88, null, v47, v45, vcc_lo
	v_cvt_f32_f16_e32 v23, v23
	v_add_co_u32 v20, vcc_lo, s12, v20
	v_add_co_ci_u32_e64 v21, null, s13, v21, vcc_lo
	v_min_f32_e32 v23, v91, v23
	s_and_b32 vcc_lo, exec_lo, s1
	v_cvt_f16_f32_e32 v47, v23
	v_mov_b32_e32 v23, 0
	flat_store_short v[87:88], v47
	s_cbranch_vccnz .LBB209_98
; %bb.97:
	v_add_co_u32 v87, vcc_lo, v20, v28
	v_add_co_ci_u32_e64 v88, null, v21, v29, vcc_lo
	flat_load_ushort v23, v[87:88]
	s_waitcnt vmcnt(0) lgkmcnt(0)
	v_mul_f16_e32 v23, s3, v23
	v_cvt_f32_f16_e32 v23, v23
.LBB209_98:
	v_pk_add_f16 v47, v30, v16
	v_pk_add_f16 v91, v31, v17
	v_max_f16_e32 v87, v90, v90
	v_lshrrev_b32_e32 v88, 16, v90
	v_lshrrev_b32_e32 v90, 16, v47
	v_lshrrev_b32_e32 v92, 16, v91
	v_min_f16_e32 v47, v87, v47
	v_min3_f16 v90, v88, v90, v92
	v_mad_i64_i32 v[87:88], null, v22, s6, 0
	v_min3_f16 v22, v47, v91, v90
	v_max_f32_e32 v47, v23, v23
	v_cvt_f32_f16_e32 v90, v22
	v_lshlrev_b64 v[22:23], 1, v[87:88]
	v_min_f32_e32 v47, v47, v90
	v_add_co_u32 v22, vcc_lo, s4, v22
	v_add_co_ci_u32_e64 v23, null, s5, v23, vcc_lo
	v_cvt_f16_f32_e32 v47, v47
	v_add_co_u32 v87, vcc_lo, v22, v28
	v_add_co_ci_u32_e64 v88, null, v23, v29, vcc_lo
	s_and_b32 vcc_lo, exec_lo, s1
	flat_store_short v[87:88], v47
	s_cbranch_vccnz .LBB209_100
; %bb.99:
	v_add_co_u32 v46, vcc_lo, v20, v32
	v_add_co_ci_u32_e64 v47, null, v21, v33, vcc_lo
	flat_load_ushort v46, v[46:47]
	s_waitcnt vmcnt(0) lgkmcnt(0)
	v_mul_f16_e32 v46, s3, v46
	v_cvt_f32_f16_e32 v46, v46
.LBB209_100:
	v_pk_add_f16 v47, v8, v16
	v_pk_add_f16 v87, v9, v17
	v_max_f16_e32 v88, v89, v89
	v_lshrrev_b32_e32 v89, 16, v89
	v_max_f32_e32 v46, v46, v46
	v_lshrrev_b32_e32 v90, 16, v47
	v_lshrrev_b32_e32 v91, 16, v87
	v_min_f16_e32 v47, v88, v47
	v_min3_f16 v88, v89, v90, v91
	v_min3_f16 v47, v47, v87, v88
	v_add_co_u32 v87, vcc_lo, v22, v32
	v_add_co_ci_u32_e64 v88, null, v23, v33, vcc_lo
	v_cvt_f32_f16_e32 v47, v47
	s_and_b32 vcc_lo, exec_lo, s1
	v_min_f32_e32 v46, v46, v47
	v_mov_b32_e32 v47, 0
	v_cvt_f16_f32_e32 v89, v46
	v_mov_b32_e32 v46, 0
	flat_store_short v[87:88], v89
	s_cbranch_vccnz .LBB209_102
; %bb.101:
	v_add_co_u32 v87, vcc_lo, v20, v34
	v_add_co_ci_u32_e64 v88, null, v21, v35, vcc_lo
	flat_load_ushort v47, v[87:88]
	s_waitcnt vmcnt(0) lgkmcnt(0)
	v_mul_f16_e32 v47, s3, v47
	v_cvt_f32_f16_e32 v47, v47
.LBB209_102:
	v_pk_add_f16 v87, v10, v16
	v_pk_add_f16 v88, v11, v17
	v_max_f16_e32 v89, v86, v86
	v_lshrrev_b32_e32 v86, 16, v86
	v_max_f32_e32 v47, v47, v47
	v_lshrrev_b32_e32 v90, 16, v87
	v_lshrrev_b32_e32 v91, 16, v88
	v_min_f16_e32 v87, v89, v87
	v_min3_f16 v86, v86, v90, v91
	v_min3_f16 v86, v87, v88, v86
	v_cvt_f32_f16_e32 v86, v86
	v_min_f32_e32 v47, v47, v86
	v_add_co_u32 v86, vcc_lo, v22, v34
	v_add_co_ci_u32_e64 v87, null, v23, v35, vcc_lo
	v_cvt_f16_f32_e32 v47, v47
	s_and_b32 vcc_lo, exec_lo, s1
	flat_store_short v[86:87], v47
	s_cbranch_vccnz .LBB209_104
; %bb.103:
	v_add_co_u32 v46, vcc_lo, v20, v36
	v_add_co_ci_u32_e64 v47, null, v21, v37, vcc_lo
	flat_load_ushort v46, v[46:47]
	s_waitcnt vmcnt(0) lgkmcnt(0)
	v_mul_f16_e32 v46, s3, v46
	v_cvt_f32_f16_e32 v46, v46
.LBB209_104:
	v_pk_add_f16 v47, v4, v16
	v_pk_add_f16 v86, v5, v17
	v_max_f16_e32 v87, v85, v85
	v_lshrrev_b32_e32 v85, 16, v85
	v_max_f32_e32 v46, v46, v46
	v_lshrrev_b32_e32 v88, 16, v47
	v_lshrrev_b32_e32 v89, 16, v86
	v_min_f16_e32 v47, v87, v47
	v_min3_f16 v85, v85, v88, v89
	v_min3_f16 v47, v47, v86, v85
	v_add_co_u32 v85, vcc_lo, v22, v36
	v_add_co_ci_u32_e64 v86, null, v23, v37, vcc_lo
	v_cvt_f32_f16_e32 v47, v47
	s_and_b32 vcc_lo, exec_lo, s1
	v_min_f32_e32 v46, v46, v47
	v_mov_b32_e32 v47, 0
	v_cvt_f16_f32_e32 v87, v46
	v_mov_b32_e32 v46, 0
	flat_store_short v[85:86], v87
	s_cbranch_vccnz .LBB209_106
; %bb.105:
	v_add_co_u32 v85, vcc_lo, v20, v42
	v_add_co_ci_u32_e64 v86, null, v21, v43, vcc_lo
	flat_load_ushort v47, v[85:86]
	s_waitcnt vmcnt(0) lgkmcnt(0)
	v_mul_f16_e32 v47, s3, v47
	v_cvt_f32_f16_e32 v47, v47
.LBB209_106:
	v_pk_add_f16 v85, v6, v16
	v_pk_add_f16 v86, v7, v17
	v_max_f16_e32 v87, v83, v83
	v_lshrrev_b32_e32 v83, 16, v83
	v_max_f32_e32 v47, v47, v47
	v_lshrrev_b32_e32 v88, 16, v85
	v_lshrrev_b32_e32 v89, 16, v86
	v_min_f16_e32 v85, v87, v85
	v_min3_f16 v83, v83, v88, v89
	v_min3_f16 v83, v85, v86, v83
	v_add_co_u32 v85, vcc_lo, v22, v42
	v_add_co_ci_u32_e64 v86, null, v23, v43, vcc_lo
	v_cvt_f32_f16_e32 v83, v83
	s_and_b32 vcc_lo, exec_lo, s1
	v_min_f32_e32 v47, v47, v83
	v_cvt_f16_f32_e32 v47, v47
	flat_store_short v[85:86], v47
	s_cbranch_vccnz .LBB209_108
; %bb.107:
	v_add_co_u32 v46, vcc_lo, v20, v40
	v_add_co_ci_u32_e64 v47, null, v21, v41, vcc_lo
	flat_load_ushort v46, v[46:47]
	s_waitcnt vmcnt(0) lgkmcnt(0)
	v_mul_f16_e32 v46, s3, v46
	v_cvt_f32_f16_e32 v46, v46
.LBB209_108:
	v_pk_add_f16 v47, v0, v16
	v_pk_add_f16 v83, v1, v17
	v_max_f16_e32 v85, v82, v82
	v_lshrrev_b32_e32 v82, 16, v82
	v_max_f32_e32 v46, v46, v46
	v_lshrrev_b32_e32 v86, 16, v47
	v_lshrrev_b32_e32 v87, 16, v83
	v_min_f16_e32 v47, v85, v47
	v_min3_f16 v82, v82, v86, v87
	v_min3_f16 v47, v47, v83, v82
	v_add_co_u32 v82, vcc_lo, v22, v40
	v_add_co_ci_u32_e64 v83, null, v23, v41, vcc_lo
	v_cvt_f32_f16_e32 v47, v47
	s_and_b32 vcc_lo, exec_lo, s1
	v_min_f32_e32 v46, v46, v47
	v_mov_b32_e32 v47, 0
	v_cvt_f16_f32_e32 v85, v46
	v_mov_b32_e32 v46, 0
	flat_store_short v[82:83], v85
	s_cbranch_vccnz .LBB209_110
; %bb.109:
	v_add_co_u32 v82, vcc_lo, v20, v38
	v_add_co_ci_u32_e64 v83, null, v21, v39, vcc_lo
	flat_load_ushort v47, v[82:83]
	s_waitcnt vmcnt(0) lgkmcnt(0)
	v_mul_f16_e32 v47, s3, v47
	v_cvt_f32_f16_e32 v47, v47
.LBB209_110:
	v_pk_add_f16 v82, v2, v16
	v_pk_add_f16 v83, v3, v17
	v_max_f16_e32 v85, v81, v81
	v_lshrrev_b32_e32 v81, 16, v81
	v_max_f32_e32 v47, v47, v47
	v_lshrrev_b32_e32 v86, 16, v82
	v_lshrrev_b32_e32 v87, 16, v83
	v_min_f16_e32 v82, v85, v82
	v_min3_f16 v81, v81, v86, v87
	v_min3_f16 v81, v82, v83, v81
	v_cvt_f32_f16_e32 v81, v81
	v_min_f32_e32 v47, v47, v81
	v_add_co_u32 v81, vcc_lo, v22, v38
	v_add_co_ci_u32_e64 v82, null, v23, v39, vcc_lo
	v_cvt_f16_f32_e32 v47, v47
	s_and_b32 vcc_lo, exec_lo, s1
	flat_store_short v[81:82], v47
	s_cbranch_vccnz .LBB209_112
; %bb.111:
	v_add_co_u32 v20, vcc_lo, v20, v44
	v_add_co_ci_u32_e64 v21, null, v21, v45, vcc_lo
	flat_load_ushort v20, v[20:21]
	s_waitcnt vmcnt(0) lgkmcnt(0)
	v_mul_f16_e32 v20, s3, v20
	v_cvt_f32_f16_e32 v46, v20
.LBB209_112:
	v_pk_add_f16 v16, v24, v16
	v_pk_add_f16 v21, v25, v17
	v_max_f16_e32 v17, v80, v80
	v_lshrrev_b32_e32 v47, 16, v80
	v_add_nc_u32_e32 v20, 32, v84
	v_lshrrev_b32_e32 v80, 16, v16
	v_lshrrev_b32_e32 v81, 16, v21
	v_min_f16_e32 v82, v17, v16
	v_mad_i64_i32 v[16:17], null, v20, s2, 0
	v_min3_f16 v47, v47, v80, v81
	v_max_f32_e32 v80, v46, v46
	v_add_co_u32 v46, vcc_lo, v22, v44
	v_mov_b32_e32 v22, 0
	v_min3_f16 v21, v82, v21, v47
	v_lshlrev_b64 v[16:17], 1, v[16:17]
	v_add_co_ci_u32_e64 v47, null, v23, v45, vcc_lo
	v_cvt_f32_f16_e32 v21, v21
	v_add_co_u32 v16, vcc_lo, s12, v16
	v_add_co_ci_u32_e64 v17, null, s13, v17, vcc_lo
	v_min_f32_e32 v21, v80, v21
	s_and_b32 vcc_lo, exec_lo, s1
	v_cvt_f16_f32_e32 v23, v21
	v_mov_b32_e32 v21, 0
	flat_store_short v[46:47], v23
	s_cbranch_vccnz .LBB209_114
; %bb.113:
	v_add_co_u32 v46, vcc_lo, v16, v28
	v_add_co_ci_u32_e64 v47, null, v17, v29, vcc_lo
	flat_load_ushort v21, v[46:47]
	s_waitcnt vmcnt(0) lgkmcnt(0)
	v_mul_f16_e32 v21, s3, v21
	v_cvt_f32_f16_e32 v21, v21
.LBB209_114:
	v_pk_add_f16 v23, v30, v18
	v_pk_add_f16 v80, v31, v19
	v_max_f16_e32 v46, v79, v79
	v_lshrrev_b32_e32 v47, 16, v79
	v_lshrrev_b32_e32 v79, 16, v23
	;; [unrolled: 1-line block ×3, first 2 shown]
	v_min_f16_e32 v23, v46, v23
	v_min3_f16 v79, v47, v79, v81
	v_mad_i64_i32 v[46:47], null, v20, s6, 0
	v_min3_f16 v20, v23, v80, v79
	v_max_f32_e32 v23, v21, v21
	v_cvt_f32_f16_e32 v79, v20
	v_lshlrev_b64 v[20:21], 1, v[46:47]
	v_min_f32_e32 v23, v23, v79
	v_add_co_u32 v20, vcc_lo, s4, v20
	v_add_co_ci_u32_e64 v21, null, s5, v21, vcc_lo
	v_cvt_f16_f32_e32 v23, v23
	v_add_co_u32 v46, vcc_lo, v20, v28
	v_add_co_ci_u32_e64 v47, null, v21, v29, vcc_lo
	s_and_b32 vcc_lo, exec_lo, s1
	flat_store_short v[46:47], v23
	s_cbranch_vccnz .LBB209_116
; %bb.115:
	v_add_co_u32 v22, vcc_lo, v16, v32
	v_add_co_ci_u32_e64 v23, null, v17, v33, vcc_lo
	flat_load_ushort v22, v[22:23]
	s_waitcnt vmcnt(0) lgkmcnt(0)
	v_mul_f16_e32 v22, s3, v22
	v_cvt_f32_f16_e32 v22, v22
.LBB209_116:
	v_pk_add_f16 v23, v8, v18
	v_pk_add_f16 v46, v9, v19
	v_max_f16_e32 v47, v78, v78
	v_lshrrev_b32_e32 v78, 16, v78
	v_max_f32_e32 v22, v22, v22
	v_lshrrev_b32_e32 v79, 16, v23
	v_lshrrev_b32_e32 v80, 16, v46
	v_min_f16_e32 v23, v47, v23
	v_min3_f16 v47, v78, v79, v80
	v_min3_f16 v23, v23, v46, v47
	v_add_co_u32 v46, vcc_lo, v20, v32
	v_add_co_ci_u32_e64 v47, null, v21, v33, vcc_lo
	v_cvt_f32_f16_e32 v23, v23
	s_and_b32 vcc_lo, exec_lo, s1
	v_min_f32_e32 v22, v22, v23
	v_mov_b32_e32 v23, 0
	v_cvt_f16_f32_e32 v78, v22
	v_mov_b32_e32 v22, 0
	flat_store_short v[46:47], v78
	s_cbranch_vccnz .LBB209_118
; %bb.117:
	v_add_co_u32 v46, vcc_lo, v16, v34
	v_add_co_ci_u32_e64 v47, null, v17, v35, vcc_lo
	flat_load_ushort v23, v[46:47]
	s_waitcnt vmcnt(0) lgkmcnt(0)
	v_mul_f16_e32 v23, s3, v23
	v_cvt_f32_f16_e32 v23, v23
.LBB209_118:
	v_pk_add_f16 v46, v10, v18
	v_pk_add_f16 v47, v11, v19
	v_max_f16_e32 v78, v77, v77
	v_lshrrev_b32_e32 v77, 16, v77
	v_max_f32_e32 v23, v23, v23
	v_lshrrev_b32_e32 v79, 16, v46
	v_lshrrev_b32_e32 v80, 16, v47
	v_min_f16_e32 v46, v78, v46
	v_min3_f16 v77, v77, v79, v80
	v_min3_f16 v46, v46, v47, v77
	v_cvt_f32_f16_e32 v46, v46
	v_min_f32_e32 v23, v23, v46
	v_add_co_u32 v46, vcc_lo, v20, v34
	v_add_co_ci_u32_e64 v47, null, v21, v35, vcc_lo
	v_cvt_f16_f32_e32 v23, v23
	s_and_b32 vcc_lo, exec_lo, s1
	flat_store_short v[46:47], v23
	s_cbranch_vccnz .LBB209_120
; %bb.119:
	v_add_co_u32 v22, vcc_lo, v16, v36
	v_add_co_ci_u32_e64 v23, null, v17, v37, vcc_lo
	flat_load_ushort v22, v[22:23]
	s_waitcnt vmcnt(0) lgkmcnt(0)
	v_mul_f16_e32 v22, s3, v22
	v_cvt_f32_f16_e32 v22, v22
.LBB209_120:
	v_pk_add_f16 v23, v4, v18
	v_pk_add_f16 v46, v5, v19
	v_max_f16_e32 v47, v76, v76
	v_lshrrev_b32_e32 v76, 16, v76
	v_max_f32_e32 v22, v22, v22
	v_lshrrev_b32_e32 v77, 16, v23
	v_lshrrev_b32_e32 v78, 16, v46
	v_min_f16_e32 v23, v47, v23
	v_min3_f16 v47, v76, v77, v78
	v_min3_f16 v23, v23, v46, v47
	v_add_co_u32 v46, vcc_lo, v20, v36
	v_add_co_ci_u32_e64 v47, null, v21, v37, vcc_lo
	v_cvt_f32_f16_e32 v23, v23
	s_and_b32 vcc_lo, exec_lo, s1
	v_min_f32_e32 v22, v22, v23
	v_mov_b32_e32 v23, 0
	v_cvt_f16_f32_e32 v76, v22
	v_mov_b32_e32 v22, 0
	flat_store_short v[46:47], v76
	s_cbranch_vccnz .LBB209_122
; %bb.121:
	v_add_co_u32 v46, vcc_lo, v16, v42
	v_add_co_ci_u32_e64 v47, null, v17, v43, vcc_lo
	flat_load_ushort v23, v[46:47]
	s_waitcnt vmcnt(0) lgkmcnt(0)
	v_mul_f16_e32 v23, s3, v23
	v_cvt_f32_f16_e32 v23, v23
.LBB209_122:
	v_pk_add_f16 v46, v6, v18
	v_pk_add_f16 v47, v7, v19
	v_max_f16_e32 v76, v75, v75
	v_lshrrev_b32_e32 v75, 16, v75
	v_max_f32_e32 v23, v23, v23
	v_lshrrev_b32_e32 v77, 16, v46
	v_lshrrev_b32_e32 v78, 16, v47
	v_min_f16_e32 v46, v76, v46
	v_min3_f16 v75, v75, v77, v78
	v_min3_f16 v46, v46, v47, v75
	v_cvt_f32_f16_e32 v46, v46
	v_min_f32_e32 v23, v23, v46
	v_add_co_u32 v46, vcc_lo, v20, v42
	v_add_co_ci_u32_e64 v47, null, v21, v43, vcc_lo
	v_cvt_f16_f32_e32 v23, v23
	;; [unrolled: 54-line block ×3, first 2 shown]
	s_and_b32 vcc_lo, exec_lo, s1
	flat_store_short v[46:47], v23
	s_cbranch_vccnz .LBB209_128
; %bb.127:
	v_add_co_u32 v16, vcc_lo, v16, v44
	v_add_co_ci_u32_e64 v17, null, v17, v45, vcc_lo
	flat_load_ushort v16, v[16:17]
	s_waitcnt vmcnt(0) lgkmcnt(0)
	v_mul_f16_e32 v16, s3, v16
	v_cvt_f32_f16_e32 v22, v16
.LBB209_128:
	v_pk_add_f16 v16, v24, v18
	v_pk_add_f16 v19, v25, v19
	v_max_f16_e32 v17, v72, v72
	v_lshrrev_b32_e32 v23, 16, v72
	v_add_nc_u32_e32 v18, 40, v84
	v_lshrrev_b32_e32 v46, 16, v16
	v_lshrrev_b32_e32 v47, 16, v19
	v_min_f16_e32 v72, v17, v16
	v_mad_i64_i32 v[16:17], null, v18, s2, 0
	v_min3_f16 v23, v23, v46, v47
	v_max_f32_e32 v46, v22, v22
	v_add_co_u32 v22, vcc_lo, v20, v44
	v_mov_b32_e32 v20, 0
	v_min3_f16 v19, v72, v19, v23
	v_lshlrev_b64 v[16:17], 1, v[16:17]
	v_add_co_ci_u32_e64 v23, null, v21, v45, vcc_lo
	v_cvt_f32_f16_e32 v19, v19
	v_add_co_u32 v16, vcc_lo, s12, v16
	v_add_co_ci_u32_e64 v17, null, s13, v17, vcc_lo
	v_min_f32_e32 v19, v46, v19
	s_and_b32 vcc_lo, exec_lo, s1
	v_cvt_f16_f32_e32 v21, v19
	v_mov_b32_e32 v19, 0
	flat_store_short v[22:23], v21
	s_cbranch_vccnz .LBB209_130
; %bb.129:
	v_add_co_u32 v21, vcc_lo, v16, v28
	v_add_co_ci_u32_e64 v22, null, v17, v29, vcc_lo
	flat_load_ushort v19, v[21:22]
	s_waitcnt vmcnt(0) lgkmcnt(0)
	v_mul_f16_e32 v19, s3, v19
	v_cvt_f32_f16_e32 v19, v19
.LBB209_130:
	v_pk_add_f16 v21, v30, v12
	v_pk_add_f16 v23, v31, v13
	v_max_f16_e32 v22, v71, v71
	v_lshrrev_b32_e32 v46, 16, v71
	v_lshrrev_b32_e32 v47, 16, v21
	;; [unrolled: 1-line block ×3, first 2 shown]
	v_min_f16_e32 v72, v22, v21
	v_mad_i64_i32 v[21:22], null, v18, s6, 0
	v_min3_f16 v46, v46, v47, v71
	v_min3_f16 v18, v72, v23, v46
	v_max_f32_e32 v23, v19, v19
	v_cvt_f32_f16_e32 v46, v18
	v_lshlrev_b64 v[18:19], 1, v[21:22]
	v_min_f32_e32 v21, v23, v46
	v_add_co_u32 v18, vcc_lo, s4, v18
	v_add_co_ci_u32_e64 v19, null, s5, v19, vcc_lo
	v_cvt_f16_f32_e32 v23, v21
	v_add_co_u32 v21, vcc_lo, v18, v28
	v_add_co_ci_u32_e64 v22, null, v19, v29, vcc_lo
	s_and_b32 vcc_lo, exec_lo, s1
	flat_store_short v[21:22], v23
	s_cbranch_vccnz .LBB209_132
; %bb.131:
	v_add_co_u32 v20, vcc_lo, v16, v32
	v_add_co_ci_u32_e64 v21, null, v17, v33, vcc_lo
	flat_load_ushort v20, v[20:21]
	s_waitcnt vmcnt(0) lgkmcnt(0)
	v_mul_f16_e32 v20, s3, v20
	v_cvt_f32_f16_e32 v20, v20
.LBB209_132:
	v_pk_add_f16 v21, v8, v12
	v_pk_add_f16 v22, v9, v13
	v_max_f16_e32 v23, v70, v70
	v_lshrrev_b32_e32 v46, 16, v70
	v_max_f32_e32 v20, v20, v20
	v_lshrrev_b32_e32 v47, 16, v21
	v_lshrrev_b32_e32 v70, 16, v22
	v_min_f16_e32 v21, v23, v21
	v_min3_f16 v23, v46, v47, v70
	v_min3_f16 v21, v21, v22, v23
	v_add_co_u32 v22, vcc_lo, v18, v32
	v_add_co_ci_u32_e64 v23, null, v19, v33, vcc_lo
	v_cvt_f32_f16_e32 v21, v21
	s_and_b32 vcc_lo, exec_lo, s1
	v_min_f32_e32 v20, v20, v21
	v_mov_b32_e32 v21, 0
	v_cvt_f16_f32_e32 v46, v20
	v_mov_b32_e32 v20, 0
	flat_store_short v[22:23], v46
	s_cbranch_vccnz .LBB209_134
; %bb.133:
	v_add_co_u32 v21, vcc_lo, v16, v34
	v_add_co_ci_u32_e64 v22, null, v17, v35, vcc_lo
	flat_load_ushort v21, v[21:22]
	s_waitcnt vmcnt(0) lgkmcnt(0)
	v_mul_f16_e32 v21, s3, v21
	v_cvt_f32_f16_e32 v21, v21
.LBB209_134:
	v_pk_add_f16 v22, v10, v12
	v_pk_add_f16 v23, v11, v13
	v_max_f16_e32 v46, v69, v69
	v_lshrrev_b32_e32 v47, 16, v69
	v_max_f32_e32 v21, v21, v21
	v_lshrrev_b32_e32 v69, 16, v22
	v_lshrrev_b32_e32 v70, 16, v23
	v_min_f16_e32 v22, v46, v22
	v_min3_f16 v46, v47, v69, v70
	v_min3_f16 v22, v22, v23, v46
	v_cvt_f32_f16_e32 v22, v22
	v_min_f32_e32 v21, v21, v22
	v_cvt_f16_f32_e32 v23, v21
	v_add_co_u32 v21, vcc_lo, v18, v34
	v_add_co_ci_u32_e64 v22, null, v19, v35, vcc_lo
	s_and_b32 vcc_lo, exec_lo, s1
	flat_store_short v[21:22], v23
	s_cbranch_vccnz .LBB209_136
; %bb.135:
	v_add_co_u32 v20, vcc_lo, v16, v36
	v_add_co_ci_u32_e64 v21, null, v17, v37, vcc_lo
	flat_load_ushort v20, v[20:21]
	s_waitcnt vmcnt(0) lgkmcnt(0)
	v_mul_f16_e32 v20, s3, v20
	v_cvt_f32_f16_e32 v20, v20
.LBB209_136:
	v_pk_add_f16 v21, v4, v12
	v_pk_add_f16 v22, v5, v13
	v_max_f16_e32 v23, v68, v68
	v_lshrrev_b32_e32 v46, 16, v68
	v_max_f32_e32 v20, v20, v20
	v_lshrrev_b32_e32 v47, 16, v21
	v_lshrrev_b32_e32 v68, 16, v22
	v_min_f16_e32 v21, v23, v21
	v_min3_f16 v23, v46, v47, v68
	v_min3_f16 v21, v21, v22, v23
	v_add_co_u32 v22, vcc_lo, v18, v36
	v_add_co_ci_u32_e64 v23, null, v19, v37, vcc_lo
	v_cvt_f32_f16_e32 v21, v21
	s_and_b32 vcc_lo, exec_lo, s1
	v_min_f32_e32 v20, v20, v21
	v_mov_b32_e32 v21, 0
	v_cvt_f16_f32_e32 v46, v20
	v_mov_b32_e32 v20, 0
	flat_store_short v[22:23], v46
	s_cbranch_vccnz .LBB209_138
; %bb.137:
	v_add_co_u32 v21, vcc_lo, v16, v42
	v_add_co_ci_u32_e64 v22, null, v17, v43, vcc_lo
	flat_load_ushort v21, v[21:22]
	s_waitcnt vmcnt(0) lgkmcnt(0)
	v_mul_f16_e32 v21, s3, v21
	v_cvt_f32_f16_e32 v21, v21
.LBB209_138:
	v_pk_add_f16 v22, v6, v12
	v_pk_add_f16 v23, v7, v13
	v_max_f16_e32 v46, v67, v67
	v_lshrrev_b32_e32 v47, 16, v67
	v_max_f32_e32 v21, v21, v21
	v_lshrrev_b32_e32 v67, 16, v22
	v_lshrrev_b32_e32 v68, 16, v23
	v_min_f16_e32 v22, v46, v22
	v_min3_f16 v46, v47, v67, v68
	v_min3_f16 v22, v22, v23, v46
	v_cvt_f32_f16_e32 v22, v22
	v_min_f32_e32 v21, v21, v22
	;; [unrolled: 54-line block ×3, first 2 shown]
	v_cvt_f16_f32_e32 v23, v21
	v_add_co_u32 v21, vcc_lo, v18, v38
	v_add_co_ci_u32_e64 v22, null, v19, v39, vcc_lo
	s_and_b32 vcc_lo, exec_lo, s1
	flat_store_short v[21:22], v23
	s_cbranch_vccnz .LBB209_144
; %bb.143:
	v_add_co_u32 v16, vcc_lo, v16, v44
	v_add_co_ci_u32_e64 v17, null, v17, v45, vcc_lo
	flat_load_ushort v16, v[16:17]
	s_waitcnt vmcnt(0) lgkmcnt(0)
	v_mul_f16_e32 v16, s3, v16
	v_cvt_f32_f16_e32 v20, v16
.LBB209_144:
	v_pk_add_f16 v12, v24, v12
	v_pk_add_f16 v17, v25, v13
	v_max_f16_e32 v13, v64, v64
	v_lshrrev_b32_e32 v21, 16, v64
	v_add_nc_u32_e32 v16, 48, v84
	v_lshrrev_b32_e32 v22, 16, v12
	v_lshrrev_b32_e32 v23, 16, v17
	v_min_f16_e32 v46, v13, v12
	v_mad_i64_i32 v[12:13], null, v16, s2, 0
	v_min3_f16 v21, v21, v22, v23
	v_max_f32_e32 v22, v20, v20
	v_add_co_u32 v20, vcc_lo, v18, v44
	v_mov_b32_e32 v18, 0
	v_min3_f16 v17, v46, v17, v21
	v_lshlrev_b64 v[12:13], 1, v[12:13]
	v_add_co_ci_u32_e64 v21, null, v19, v45, vcc_lo
	v_cvt_f32_f16_e32 v17, v17
	v_add_co_u32 v12, vcc_lo, s12, v12
	v_add_co_ci_u32_e64 v13, null, s13, v13, vcc_lo
	v_min_f32_e32 v17, v22, v17
	s_and_b32 vcc_lo, exec_lo, s1
	v_cvt_f16_f32_e32 v19, v17
	v_mov_b32_e32 v17, 0
	flat_store_short v[20:21], v19
	s_cbranch_vccnz .LBB209_146
; %bb.145:
	v_add_co_u32 v19, vcc_lo, v12, v28
	v_add_co_ci_u32_e64 v20, null, v13, v29, vcc_lo
	flat_load_ushort v17, v[19:20]
	s_waitcnt vmcnt(0) lgkmcnt(0)
	v_mul_f16_e32 v17, s3, v17
	v_cvt_f32_f16_e32 v17, v17
.LBB209_146:
	v_pk_add_f16 v19, v30, v14
	v_pk_add_f16 v21, v31, v15
	v_max_f16_e32 v20, v63, v63
	v_lshrrev_b32_e32 v22, 16, v63
	v_lshrrev_b32_e32 v23, 16, v19
	;; [unrolled: 1-line block ×3, first 2 shown]
	v_min_f16_e32 v47, v20, v19
	v_mad_i64_i32 v[19:20], null, v16, s6, 0
	v_min3_f16 v22, v22, v23, v46
	v_min3_f16 v16, v47, v21, v22
	v_max_f32_e32 v21, v17, v17
	v_cvt_f32_f16_e32 v22, v16
	v_lshlrev_b64 v[16:17], 1, v[19:20]
	v_min_f32_e32 v19, v21, v22
	v_add_co_u32 v16, vcc_lo, s4, v16
	v_add_co_ci_u32_e64 v17, null, s5, v17, vcc_lo
	v_cvt_f16_f32_e32 v21, v19
	v_add_co_u32 v19, vcc_lo, v16, v28
	v_add_co_ci_u32_e64 v20, null, v17, v29, vcc_lo
	s_and_b32 vcc_lo, exec_lo, s1
	flat_store_short v[19:20], v21
	s_cbranch_vccnz .LBB209_148
; %bb.147:
	v_add_co_u32 v18, vcc_lo, v12, v32
	v_add_co_ci_u32_e64 v19, null, v13, v33, vcc_lo
	flat_load_ushort v18, v[18:19]
	s_waitcnt vmcnt(0) lgkmcnt(0)
	v_mul_f16_e32 v18, s3, v18
	v_cvt_f32_f16_e32 v18, v18
.LBB209_148:
	v_pk_add_f16 v19, v8, v14
	v_pk_add_f16 v20, v9, v15
	v_max_f16_e32 v21, v62, v62
	v_lshrrev_b32_e32 v22, 16, v62
	v_max_f32_e32 v18, v18, v18
	v_lshrrev_b32_e32 v23, 16, v19
	v_lshrrev_b32_e32 v46, 16, v20
	v_min_f16_e32 v19, v21, v19
	v_min3_f16 v21, v22, v23, v46
	v_min3_f16 v19, v19, v20, v21
	v_add_co_u32 v20, vcc_lo, v16, v32
	v_add_co_ci_u32_e64 v21, null, v17, v33, vcc_lo
	v_cvt_f32_f16_e32 v19, v19
	s_and_b32 vcc_lo, exec_lo, s1
	v_min_f32_e32 v18, v18, v19
	v_mov_b32_e32 v19, 0
	v_cvt_f16_f32_e32 v22, v18
	v_mov_b32_e32 v18, 0
	flat_store_short v[20:21], v22
	s_cbranch_vccnz .LBB209_150
; %bb.149:
	v_add_co_u32 v19, vcc_lo, v12, v34
	v_add_co_ci_u32_e64 v20, null, v13, v35, vcc_lo
	flat_load_ushort v19, v[19:20]
	s_waitcnt vmcnt(0) lgkmcnt(0)
	v_mul_f16_e32 v19, s3, v19
	v_cvt_f32_f16_e32 v19, v19
.LBB209_150:
	v_pk_add_f16 v20, v10, v14
	v_pk_add_f16 v21, v11, v15
	v_max_f16_e32 v22, v61, v61
	v_lshrrev_b32_e32 v23, 16, v61
	v_max_f32_e32 v19, v19, v19
	v_lshrrev_b32_e32 v46, 16, v20
	v_lshrrev_b32_e32 v47, 16, v21
	v_min_f16_e32 v20, v22, v20
	v_min3_f16 v22, v23, v46, v47
	v_min3_f16 v20, v20, v21, v22
	v_cvt_f32_f16_e32 v20, v20
	v_min_f32_e32 v19, v19, v20
	v_cvt_f16_f32_e32 v21, v19
	v_add_co_u32 v19, vcc_lo, v16, v34
	v_add_co_ci_u32_e64 v20, null, v17, v35, vcc_lo
	s_and_b32 vcc_lo, exec_lo, s1
	flat_store_short v[19:20], v21
	s_cbranch_vccnz .LBB209_152
; %bb.151:
	v_add_co_u32 v18, vcc_lo, v12, v36
	v_add_co_ci_u32_e64 v19, null, v13, v37, vcc_lo
	flat_load_ushort v18, v[18:19]
	s_waitcnt vmcnt(0) lgkmcnt(0)
	v_mul_f16_e32 v18, s3, v18
	v_cvt_f32_f16_e32 v18, v18
.LBB209_152:
	v_pk_add_f16 v19, v4, v14
	v_pk_add_f16 v20, v5, v15
	v_max_f16_e32 v21, v60, v60
	v_lshrrev_b32_e32 v22, 16, v60
	v_max_f32_e32 v18, v18, v18
	v_lshrrev_b32_e32 v23, 16, v19
	v_lshrrev_b32_e32 v46, 16, v20
	v_min_f16_e32 v19, v21, v19
	v_min3_f16 v21, v22, v23, v46
	v_min3_f16 v19, v19, v20, v21
	v_add_co_u32 v20, vcc_lo, v16, v36
	v_add_co_ci_u32_e64 v21, null, v17, v37, vcc_lo
	v_cvt_f32_f16_e32 v19, v19
	s_and_b32 vcc_lo, exec_lo, s1
	v_min_f32_e32 v18, v18, v19
	v_mov_b32_e32 v19, 0
	v_cvt_f16_f32_e32 v22, v18
	v_mov_b32_e32 v18, 0
	flat_store_short v[20:21], v22
	s_cbranch_vccnz .LBB209_154
; %bb.153:
	v_add_co_u32 v19, vcc_lo, v12, v42
	v_add_co_ci_u32_e64 v20, null, v13, v43, vcc_lo
	flat_load_ushort v19, v[19:20]
	s_waitcnt vmcnt(0) lgkmcnt(0)
	v_mul_f16_e32 v19, s3, v19
	v_cvt_f32_f16_e32 v19, v19
.LBB209_154:
	v_pk_add_f16 v20, v6, v14
	v_pk_add_f16 v21, v7, v15
	v_max_f16_e32 v22, v59, v59
	v_lshrrev_b32_e32 v23, 16, v59
	v_max_f32_e32 v19, v19, v19
	v_lshrrev_b32_e32 v46, 16, v20
	v_lshrrev_b32_e32 v47, 16, v21
	v_min_f16_e32 v20, v22, v20
	v_min3_f16 v22, v23, v46, v47
	v_min3_f16 v20, v20, v21, v22
	v_cvt_f32_f16_e32 v20, v20
	v_min_f32_e32 v19, v19, v20
	;; [unrolled: 54-line block ×3, first 2 shown]
	v_cvt_f16_f32_e32 v21, v19
	v_add_co_u32 v19, vcc_lo, v16, v38
	v_add_co_ci_u32_e64 v20, null, v17, v39, vcc_lo
	s_and_b32 vcc_lo, exec_lo, s1
	flat_store_short v[19:20], v21
	s_cbranch_vccnz .LBB209_160
; %bb.159:
	v_add_co_u32 v12, vcc_lo, v12, v44
	v_add_co_ci_u32_e64 v13, null, v13, v45, vcc_lo
	flat_load_ushort v12, v[12:13]
	s_waitcnt vmcnt(0) lgkmcnt(0)
	v_mul_f16_e32 v12, s3, v12
	v_cvt_f32_f16_e32 v18, v12
.LBB209_160:
	v_pk_add_f16 v12, v24, v14
	v_pk_add_f16 v15, v25, v15
	v_max_f16_e32 v13, v56, v56
	v_lshrrev_b32_e32 v19, 16, v56
	v_add_nc_u32_e32 v14, 56, v84
	v_lshrrev_b32_e32 v20, 16, v12
	v_lshrrev_b32_e32 v21, 16, v15
	v_min_f16_e32 v22, v13, v12
	v_mad_i64_i32 v[12:13], null, v14, s2, 0
	v_min3_f16 v19, v19, v20, v21
	v_max_f32_e32 v20, v18, v18
	v_add_co_u32 v18, vcc_lo, v16, v44
	v_mov_b32_e32 v16, 0
	v_min3_f16 v15, v22, v15, v19
	v_lshlrev_b64 v[12:13], 1, v[12:13]
	v_add_co_ci_u32_e64 v19, null, v17, v45, vcc_lo
	v_cvt_f32_f16_e32 v15, v15
	v_add_co_u32 v12, vcc_lo, s12, v12
	v_add_co_ci_u32_e64 v13, null, s13, v13, vcc_lo
	v_min_f32_e32 v15, v20, v15
	s_and_b32 vcc_lo, exec_lo, s1
	v_cvt_f16_f32_e32 v17, v15
	v_mov_b32_e32 v15, 0
	flat_store_short v[18:19], v17
	s_cbranch_vccnz .LBB209_162
; %bb.161:
	v_add_co_u32 v17, vcc_lo, v12, v28
	v_add_co_ci_u32_e64 v18, null, v13, v29, vcc_lo
	flat_load_ushort v15, v[17:18]
	s_waitcnt vmcnt(0) lgkmcnt(0)
	v_mul_f16_e32 v15, s3, v15
	v_cvt_f32_f16_e32 v15, v15
.LBB209_162:
	v_pk_add_f16 v17, v30, v26
	v_pk_add_f16 v19, v31, v27
	v_max_f16_e32 v18, v55, v55
	v_lshrrev_b32_e32 v20, 16, v55
	v_lshrrev_b32_e32 v21, 16, v17
	;; [unrolled: 1-line block ×3, first 2 shown]
	v_min_f16_e32 v23, v18, v17
	v_mad_i64_i32 v[17:18], null, v14, s6, 0
	v_min3_f16 v20, v20, v21, v22
	v_min3_f16 v14, v23, v19, v20
	v_max_f32_e32 v19, v15, v15
	v_cvt_f32_f16_e32 v20, v14
	v_lshlrev_b64 v[14:15], 1, v[17:18]
	v_min_f32_e32 v17, v19, v20
	v_add_co_u32 v14, vcc_lo, s4, v14
	v_add_co_ci_u32_e64 v15, null, s5, v15, vcc_lo
	v_cvt_f16_f32_e32 v19, v17
	v_add_co_u32 v17, vcc_lo, v14, v28
	v_add_co_ci_u32_e64 v18, null, v15, v29, vcc_lo
	s_and_b32 vcc_lo, exec_lo, s1
	flat_store_short v[17:18], v19
	s_cbranch_vccnz .LBB209_164
; %bb.163:
	v_add_co_u32 v16, vcc_lo, v12, v32
	v_add_co_ci_u32_e64 v17, null, v13, v33, vcc_lo
	flat_load_ushort v16, v[16:17]
	s_waitcnt vmcnt(0) lgkmcnt(0)
	v_mul_f16_e32 v16, s3, v16
	v_cvt_f32_f16_e32 v16, v16
.LBB209_164:
	v_pk_add_f16 v8, v8, v26
	v_pk_add_f16 v9, v9, v27
	v_max_f16_e32 v17, v54, v54
	v_lshrrev_b32_e32 v18, 16, v54
	v_lshrrev_b32_e32 v19, 16, v8
	;; [unrolled: 1-line block ×3, first 2 shown]
	v_min_f16_e32 v8, v17, v8
	v_min3_f16 v17, v18, v19, v20
	v_min3_f16 v8, v8, v9, v17
	v_max_f32_e32 v9, v16, v16
	v_add_co_u32 v16, vcc_lo, v14, v32
	v_add_co_ci_u32_e64 v17, null, v15, v33, vcc_lo
	v_cvt_f32_f16_e32 v8, v8
	s_and_b32 vcc_lo, exec_lo, s1
	v_min_f32_e32 v8, v9, v8
	v_mov_b32_e32 v9, 0
	v_cvt_f16_f32_e32 v18, v8
	v_mov_b32_e32 v8, 0
	flat_store_short v[16:17], v18
	s_cbranch_vccnz .LBB209_166
; %bb.165:
	v_add_co_u32 v16, vcc_lo, v12, v34
	v_add_co_ci_u32_e64 v17, null, v13, v35, vcc_lo
	flat_load_ushort v9, v[16:17]
	s_waitcnt vmcnt(0) lgkmcnt(0)
	v_mul_f16_e32 v9, s3, v9
	v_cvt_f32_f16_e32 v9, v9
.LBB209_166:
	v_pk_add_f16 v10, v10, v26
	v_pk_add_f16 v11, v11, v27
	v_max_f16_e32 v16, v53, v53
	v_lshrrev_b32_e32 v17, 16, v53
	v_max_f32_e32 v9, v9, v9
	v_lshrrev_b32_e32 v18, 16, v10
	v_lshrrev_b32_e32 v19, 16, v11
	v_min_f16_e32 v10, v16, v10
	v_min3_f16 v16, v17, v18, v19
	v_min3_f16 v10, v10, v11, v16
	v_cvt_f32_f16_e32 v10, v10
	v_min_f32_e32 v9, v9, v10
	v_cvt_f16_f32_e32 v11, v9
	v_add_co_u32 v9, vcc_lo, v14, v34
	v_add_co_ci_u32_e64 v10, null, v15, v35, vcc_lo
	s_and_b32 vcc_lo, exec_lo, s1
	flat_store_short v[9:10], v11
	s_cbranch_vccnz .LBB209_168
; %bb.167:
	v_add_co_u32 v8, vcc_lo, v12, v36
	v_add_co_ci_u32_e64 v9, null, v13, v37, vcc_lo
	flat_load_ushort v8, v[8:9]
	s_waitcnt vmcnt(0) lgkmcnt(0)
	v_mul_f16_e32 v8, s3, v8
	v_cvt_f32_f16_e32 v8, v8
.LBB209_168:
	v_pk_add_f16 v4, v4, v26
	v_pk_add_f16 v5, v5, v27
	v_max_f16_e32 v9, v52, v52
	v_lshrrev_b32_e32 v10, 16, v52
	v_lshrrev_b32_e32 v11, 16, v4
	;; [unrolled: 1-line block ×3, first 2 shown]
	v_min_f16_e32 v4, v9, v4
	v_min3_f16 v9, v10, v11, v16
	v_min3_f16 v4, v4, v5, v9
	v_max_f32_e32 v5, v8, v8
	v_add_co_u32 v8, vcc_lo, v14, v36
	v_add_co_ci_u32_e64 v9, null, v15, v37, vcc_lo
	v_cvt_f32_f16_e32 v4, v4
	s_and_b32 vcc_lo, exec_lo, s1
	v_min_f32_e32 v4, v5, v4
	v_mov_b32_e32 v5, 0
	v_cvt_f16_f32_e32 v10, v4
	v_mov_b32_e32 v4, 0
	flat_store_short v[8:9], v10
	s_cbranch_vccnz .LBB209_170
; %bb.169:
	v_add_co_u32 v8, vcc_lo, v12, v42
	v_add_co_ci_u32_e64 v9, null, v13, v43, vcc_lo
	flat_load_ushort v5, v[8:9]
	s_waitcnt vmcnt(0) lgkmcnt(0)
	v_mul_f16_e32 v5, s3, v5
	v_cvt_f32_f16_e32 v5, v5
.LBB209_170:
	v_pk_add_f16 v6, v6, v26
	v_pk_add_f16 v7, v7, v27
	v_max_f16_e32 v8, v51, v51
	v_lshrrev_b32_e32 v9, 16, v51
	v_max_f32_e32 v5, v5, v5
	v_lshrrev_b32_e32 v10, 16, v6
	v_lshrrev_b32_e32 v11, 16, v7
	v_min_f16_e32 v6, v8, v6
	v_min3_f16 v8, v9, v10, v11
	v_min3_f16 v6, v6, v7, v8
	v_cvt_f32_f16_e32 v6, v6
	v_min_f32_e32 v5, v5, v6
	v_cvt_f16_f32_e32 v7, v5
	v_add_co_u32 v5, vcc_lo, v14, v42
	v_add_co_ci_u32_e64 v6, null, v15, v43, vcc_lo
	s_and_b32 vcc_lo, exec_lo, s1
	flat_store_short v[5:6], v7
	s_cbranch_vccnz .LBB209_172
; %bb.171:
	v_add_co_u32 v4, vcc_lo, v12, v40
	v_add_co_ci_u32_e64 v5, null, v13, v41, vcc_lo
	flat_load_ushort v4, v[4:5]
	s_waitcnt vmcnt(0) lgkmcnt(0)
	v_mul_f16_e32 v4, s3, v4
	v_cvt_f32_f16_e32 v4, v4
.LBB209_172:
	v_pk_add_f16 v0, v0, v26
	v_pk_add_f16 v1, v1, v27
	v_max_f16_e32 v5, v50, v50
	v_lshrrev_b32_e32 v6, 16, v50
	v_pk_add_f16 v3, v3, v27
	v_lshrrev_b32_e32 v7, 16, v0
	v_lshrrev_b32_e32 v8, 16, v1
	v_min_f16_e32 v0, v5, v0
	s_mov_b32 s1, -1
	v_min3_f16 v5, v6, v7, v8
	v_lshrrev_b32_e32 v6, 16, v49
	v_lshrrev_b32_e32 v8, 16, v3
	v_min3_f16 v0, v0, v1, v5
	v_pk_add_f16 v5, v2, v26
	v_max_f32_e32 v1, v4, v4
	v_max_f16_e32 v4, v49, v49
	v_cvt_f32_f16_e32 v0, v0
	v_lshrrev_b32_e32 v7, 16, v5
	v_min_f16_e32 v4, v4, v5
	v_min_f32_e32 v0, v1, v0
	v_min3_f16 v5, v6, v7, v8
	v_add_co_u32 v1, vcc_lo, v14, v40
	v_add_co_ci_u32_e64 v2, null, v15, v41, vcc_lo
	v_cvt_f16_f32_e32 v6, v0
	v_min3_f16 v0, v4, v3, v5
	s_mov_b32 vcc_lo, s0
	flat_store_short v[1:2], v6
	s_cbranch_vccz .LBB209_174
; %bb.173:
	v_cvt_f32_f16_e32 v1, v0
	s_mov_b32 s1, 0
	v_min_f32_e32 v1, 0, v1
	v_cvt_f16_f32_e32 v3, v1
	v_add_co_u32 v1, vcc_lo, v14, v38
	v_add_co_ci_u32_e64 v2, null, v15, v39, vcc_lo
	flat_store_short v[1:2], v3
.LBB209_174:
	v_mov_b32_e32 v1, 0
	s_andn2_b32 vcc_lo, exec_lo, s1
	s_cbranch_vccnz .LBB209_176
; %bb.175:
	v_add_co_u32 v1, vcc_lo, v12, v38
	v_add_co_ci_u32_e64 v2, null, v13, v39, vcc_lo
	flat_load_ushort v1, v[1:2]
	v_max_f16_e32 v2, v0, v0
	v_add_co_u32 v0, vcc_lo, v14, v38
	s_waitcnt vmcnt(0) lgkmcnt(0)
	v_mul_f16_e32 v3, s3, v1
	v_add_co_ci_u32_e64 v1, null, v15, v39, vcc_lo
	v_min_f16_e32 v4, v3, v2
	v_add_co_u32 v2, vcc_lo, v12, v44
	v_add_co_ci_u32_e64 v3, null, v13, v45, vcc_lo
	flat_store_short v[0:1], v4
	flat_load_ushort v0, v[2:3]
	s_waitcnt vmcnt(0) lgkmcnt(0)
	v_mul_f16_e32 v0, s3, v0
	v_cvt_f32_f16_e32 v1, v0
.LBB209_176:
	v_pk_add_f16 v0, v24, v26
	v_pk_add_f16 v2, v25, v27
	v_max_f16_e32 v3, v48, v48
	v_lshrrev_b32_e32 v4, 16, v48
	v_max_f32_e32 v1, v1, v1
	v_lshrrev_b32_e32 v5, 16, v0
	v_lshrrev_b32_e32 v6, 16, v2
	v_min_f16_e32 v0, v3, v0
	v_min3_f16 v3, v4, v5, v6
	v_min3_f16 v0, v0, v2, v3
	v_cvt_f32_f16_e32 v0, v0
	v_min_f32_e32 v0, v1, v0
	v_cvt_f16_f32_e32 v2, v0
	v_add_co_u32 v0, vcc_lo, v14, v44
	v_add_co_ci_u32_e64 v1, null, v15, v45, vcc_lo
	flat_store_short v[0:1], v2
	s_endpgm
	.section	.rodata,"a",@progbits
	.p2align	6, 0x0
	.amdhsa_kernel _ZN12_GLOBAL__N_120geam_min_plus_kernelIDF16_Dv2_DF16_S1_Li32ELi8ELi256ELi64ELi4ELi64ELi4ELi4ELi64ELc78ELc78ELb0ELb0ELb1EDF16_KPKDF16_KPDF16_EEviiiT16_PT17_ilS9_ilS7_S9_ilPT18_ili26rocblas_geam_ex_operation_
		.amdhsa_group_segment_fixed_size 5120
		.amdhsa_private_segment_fixed_size 0
		.amdhsa_kernarg_size 128
		.amdhsa_user_sgpr_count 6
		.amdhsa_user_sgpr_private_segment_buffer 1
		.amdhsa_user_sgpr_dispatch_ptr 0
		.amdhsa_user_sgpr_queue_ptr 0
		.amdhsa_user_sgpr_kernarg_segment_ptr 1
		.amdhsa_user_sgpr_dispatch_id 0
		.amdhsa_user_sgpr_flat_scratch_init 0
		.amdhsa_user_sgpr_private_segment_size 0
		.amdhsa_wavefront_size32 1
		.amdhsa_uses_dynamic_stack 0
		.amdhsa_system_sgpr_private_segment_wavefront_offset 0
		.amdhsa_system_sgpr_workgroup_id_x 1
		.amdhsa_system_sgpr_workgroup_id_y 0
		.amdhsa_system_sgpr_workgroup_id_z 1
		.amdhsa_system_sgpr_workgroup_info 0
		.amdhsa_system_vgpr_workitem_id 1
		.amdhsa_next_free_vgpr 168
		.amdhsa_next_free_sgpr 26
		.amdhsa_reserve_vcc 1
		.amdhsa_reserve_flat_scratch 1
		.amdhsa_float_round_mode_32 0
		.amdhsa_float_round_mode_16_64 0
		.amdhsa_float_denorm_mode_32 3
		.amdhsa_float_denorm_mode_16_64 3
		.amdhsa_dx10_clamp 1
		.amdhsa_ieee_mode 1
		.amdhsa_fp16_overflow 0
		.amdhsa_workgroup_processor_mode 1
		.amdhsa_memory_ordered 1
		.amdhsa_forward_progress 1
		.amdhsa_shared_vgpr_count 0
		.amdhsa_exception_fp_ieee_invalid_op 0
		.amdhsa_exception_fp_denorm_src 0
		.amdhsa_exception_fp_ieee_div_zero 0
		.amdhsa_exception_fp_ieee_overflow 0
		.amdhsa_exception_fp_ieee_underflow 0
		.amdhsa_exception_fp_ieee_inexact 0
		.amdhsa_exception_int_div_zero 0
	.end_amdhsa_kernel
	.section	.text._ZN12_GLOBAL__N_120geam_min_plus_kernelIDF16_Dv2_DF16_S1_Li32ELi8ELi256ELi64ELi4ELi64ELi4ELi4ELi64ELc78ELc78ELb0ELb0ELb1EDF16_KPKDF16_KPDF16_EEviiiT16_PT17_ilS9_ilS7_S9_ilPT18_ili26rocblas_geam_ex_operation_,"axG",@progbits,_ZN12_GLOBAL__N_120geam_min_plus_kernelIDF16_Dv2_DF16_S1_Li32ELi8ELi256ELi64ELi4ELi64ELi4ELi4ELi64ELc78ELc78ELb0ELb0ELb1EDF16_KPKDF16_KPDF16_EEviiiT16_PT17_ilS9_ilS7_S9_ilPT18_ili26rocblas_geam_ex_operation_,comdat
.Lfunc_end209:
	.size	_ZN12_GLOBAL__N_120geam_min_plus_kernelIDF16_Dv2_DF16_S1_Li32ELi8ELi256ELi64ELi4ELi64ELi4ELi4ELi64ELc78ELc78ELb0ELb0ELb1EDF16_KPKDF16_KPDF16_EEviiiT16_PT17_ilS9_ilS7_S9_ilPT18_ili26rocblas_geam_ex_operation_, .Lfunc_end209-_ZN12_GLOBAL__N_120geam_min_plus_kernelIDF16_Dv2_DF16_S1_Li32ELi8ELi256ELi64ELi4ELi64ELi4ELi4ELi64ELc78ELc78ELb0ELb0ELb1EDF16_KPKDF16_KPDF16_EEviiiT16_PT17_ilS9_ilS7_S9_ilPT18_ili26rocblas_geam_ex_operation_
                                        ; -- End function
	.set _ZN12_GLOBAL__N_120geam_min_plus_kernelIDF16_Dv2_DF16_S1_Li32ELi8ELi256ELi64ELi4ELi64ELi4ELi4ELi64ELc78ELc78ELb0ELb0ELb1EDF16_KPKDF16_KPDF16_EEviiiT16_PT17_ilS9_ilS7_S9_ilPT18_ili26rocblas_geam_ex_operation_.num_vgpr, 168
	.set _ZN12_GLOBAL__N_120geam_min_plus_kernelIDF16_Dv2_DF16_S1_Li32ELi8ELi256ELi64ELi4ELi64ELi4ELi4ELi64ELc78ELc78ELb0ELb0ELb1EDF16_KPKDF16_KPDF16_EEviiiT16_PT17_ilS9_ilS7_S9_ilPT18_ili26rocblas_geam_ex_operation_.num_agpr, 0
	.set _ZN12_GLOBAL__N_120geam_min_plus_kernelIDF16_Dv2_DF16_S1_Li32ELi8ELi256ELi64ELi4ELi64ELi4ELi4ELi64ELc78ELc78ELb0ELb0ELb1EDF16_KPKDF16_KPDF16_EEviiiT16_PT17_ilS9_ilS7_S9_ilPT18_ili26rocblas_geam_ex_operation_.numbered_sgpr, 26
	.set _ZN12_GLOBAL__N_120geam_min_plus_kernelIDF16_Dv2_DF16_S1_Li32ELi8ELi256ELi64ELi4ELi64ELi4ELi4ELi64ELc78ELc78ELb0ELb0ELb1EDF16_KPKDF16_KPDF16_EEviiiT16_PT17_ilS9_ilS7_S9_ilPT18_ili26rocblas_geam_ex_operation_.num_named_barrier, 0
	.set _ZN12_GLOBAL__N_120geam_min_plus_kernelIDF16_Dv2_DF16_S1_Li32ELi8ELi256ELi64ELi4ELi64ELi4ELi4ELi64ELc78ELc78ELb0ELb0ELb1EDF16_KPKDF16_KPDF16_EEviiiT16_PT17_ilS9_ilS7_S9_ilPT18_ili26rocblas_geam_ex_operation_.private_seg_size, 0
	.set _ZN12_GLOBAL__N_120geam_min_plus_kernelIDF16_Dv2_DF16_S1_Li32ELi8ELi256ELi64ELi4ELi64ELi4ELi4ELi64ELc78ELc78ELb0ELb0ELb1EDF16_KPKDF16_KPDF16_EEviiiT16_PT17_ilS9_ilS7_S9_ilPT18_ili26rocblas_geam_ex_operation_.uses_vcc, 1
	.set _ZN12_GLOBAL__N_120geam_min_plus_kernelIDF16_Dv2_DF16_S1_Li32ELi8ELi256ELi64ELi4ELi64ELi4ELi4ELi64ELc78ELc78ELb0ELb0ELb1EDF16_KPKDF16_KPDF16_EEviiiT16_PT17_ilS9_ilS7_S9_ilPT18_ili26rocblas_geam_ex_operation_.uses_flat_scratch, 1
	.set _ZN12_GLOBAL__N_120geam_min_plus_kernelIDF16_Dv2_DF16_S1_Li32ELi8ELi256ELi64ELi4ELi64ELi4ELi4ELi64ELc78ELc78ELb0ELb0ELb1EDF16_KPKDF16_KPDF16_EEviiiT16_PT17_ilS9_ilS7_S9_ilPT18_ili26rocblas_geam_ex_operation_.has_dyn_sized_stack, 0
	.set _ZN12_GLOBAL__N_120geam_min_plus_kernelIDF16_Dv2_DF16_S1_Li32ELi8ELi256ELi64ELi4ELi64ELi4ELi4ELi64ELc78ELc78ELb0ELb0ELb1EDF16_KPKDF16_KPDF16_EEviiiT16_PT17_ilS9_ilS7_S9_ilPT18_ili26rocblas_geam_ex_operation_.has_recursion, 0
	.set _ZN12_GLOBAL__N_120geam_min_plus_kernelIDF16_Dv2_DF16_S1_Li32ELi8ELi256ELi64ELi4ELi64ELi4ELi4ELi64ELc78ELc78ELb0ELb0ELb1EDF16_KPKDF16_KPDF16_EEviiiT16_PT17_ilS9_ilS7_S9_ilPT18_ili26rocblas_geam_ex_operation_.has_indirect_call, 0
	.section	.AMDGPU.csdata,"",@progbits
; Kernel info:
; codeLenInByte = 19908
; TotalNumSgprs: 28
; NumVgprs: 168
; ScratchSize: 0
; MemoryBound: 0
; FloatMode: 240
; IeeeMode: 1
; LDSByteSize: 5120 bytes/workgroup (compile time only)
; SGPRBlocks: 0
; VGPRBlocks: 20
; NumSGPRsForWavesPerEU: 28
; NumVGPRsForWavesPerEU: 168
; Occupancy: 5
; WaveLimiterHint : 1
; COMPUTE_PGM_RSRC2:SCRATCH_EN: 0
; COMPUTE_PGM_RSRC2:USER_SGPR: 6
; COMPUTE_PGM_RSRC2:TRAP_HANDLER: 0
; COMPUTE_PGM_RSRC2:TGID_X_EN: 1
; COMPUTE_PGM_RSRC2:TGID_Y_EN: 0
; COMPUTE_PGM_RSRC2:TGID_Z_EN: 1
; COMPUTE_PGM_RSRC2:TIDIG_COMP_CNT: 1
	.section	.text._ZN12_GLOBAL__N_120geam_min_plus_kernelIDF16_Dv2_DF16_S1_Li32ELi8ELi256ELi64ELi4ELi64ELi4ELi4ELi64ELc78ELc78ELb0ELb1ELb1EPKDF16_KS3_KPDF16_EEviiiT16_PT17_ilS9_ilS7_S9_ilPT18_ili26rocblas_geam_ex_operation_,"axG",@progbits,_ZN12_GLOBAL__N_120geam_min_plus_kernelIDF16_Dv2_DF16_S1_Li32ELi8ELi256ELi64ELi4ELi64ELi4ELi4ELi64ELc78ELc78ELb0ELb1ELb1EPKDF16_KS3_KPDF16_EEviiiT16_PT17_ilS9_ilS7_S9_ilPT18_ili26rocblas_geam_ex_operation_,comdat
	.globl	_ZN12_GLOBAL__N_120geam_min_plus_kernelIDF16_Dv2_DF16_S1_Li32ELi8ELi256ELi64ELi4ELi64ELi4ELi4ELi64ELc78ELc78ELb0ELb1ELb1EPKDF16_KS3_KPDF16_EEviiiT16_PT17_ilS9_ilS7_S9_ilPT18_ili26rocblas_geam_ex_operation_ ; -- Begin function _ZN12_GLOBAL__N_120geam_min_plus_kernelIDF16_Dv2_DF16_S1_Li32ELi8ELi256ELi64ELi4ELi64ELi4ELi4ELi64ELc78ELc78ELb0ELb1ELb1EPKDF16_KS3_KPDF16_EEviiiT16_PT17_ilS9_ilS7_S9_ilPT18_ili26rocblas_geam_ex_operation_
	.p2align	8
	.type	_ZN12_GLOBAL__N_120geam_min_plus_kernelIDF16_Dv2_DF16_S1_Li32ELi8ELi256ELi64ELi4ELi64ELi4ELi4ELi64ELc78ELc78ELb0ELb1ELb1EPKDF16_KS3_KPDF16_EEviiiT16_PT17_ilS9_ilS7_S9_ilPT18_ili26rocblas_geam_ex_operation_,@function
_ZN12_GLOBAL__N_120geam_min_plus_kernelIDF16_Dv2_DF16_S1_Li32ELi8ELi256ELi64ELi4ELi64ELi4ELi4ELi64ELc78ELc78ELb0ELb1ELb1EPKDF16_KS3_KPDF16_EEviiiT16_PT17_ilS9_ilS7_S9_ilPT18_ili26rocblas_geam_ex_operation_: ; @_ZN12_GLOBAL__N_120geam_min_plus_kernelIDF16_Dv2_DF16_S1_Li32ELi8ELi256ELi64ELi4ELi64ELi4ELi4ELi64ELc78ELc78ELb0ELb1ELb1EPKDF16_KS3_KPDF16_EEviiiT16_PT17_ilS9_ilS7_S9_ilPT18_ili26rocblas_geam_ex_operation_
; %bb.0:
	s_clause 0x1
	s_load_dwordx4 s[0:3], s[4:5], 0x10
	s_load_dwordx4 s[8:11], s[4:5], 0x40
	s_mov_b32 s22, s7
	s_mov_b32 s23, 0
	v_mov_b32_e32 v2, 0
	s_lshl_b64 s[18:19], s[22:23], 1
	s_clause 0x1
	s_load_dwordx4 s[12:15], s[4:5], 0x28
	s_load_dwordx2 s[16:17], s[4:5], 0x50
	s_mov_b64 s[20:21], 0
	s_waitcnt lgkmcnt(0)
	s_add_u32 s0, s0, s18
	s_addc_u32 s1, s1, s19
	global_load_ushort v47, v2, s[0:1]
	s_add_u32 s0, s10, s18
	s_addc_u32 s1, s11, s19
	s_mov_b64 s[18:19], 0
	global_load_ushort v48, v2, s[0:1]
	s_waitcnt vmcnt(1)
	v_cmp_eq_f16_e32 vcc_lo, 0, v47
	v_cmp_neq_f16_e64 s0, 0, v47
	s_cbranch_vccnz .LBB210_2
; %bb.1:
	s_lshl_b64 s[10:11], s[22:23], 3
	s_add_u32 s2, s2, s10
	s_addc_u32 s3, s3, s11
	s_lshl_b64 s[10:11], s[12:13], 1
	s_load_dwordx2 s[2:3], s[2:3], 0x0
	s_waitcnt lgkmcnt(0)
	s_add_u32 s18, s2, s10
	s_addc_u32 s19, s3, s11
.LBB210_2:
	s_andn2_b32 vcc_lo, exec_lo, s0
	s_cbranch_vccnz .LBB210_4
; %bb.3:
	s_lshl_b64 s[0:1], s[22:23], 3
	s_add_u32 s0, s14, s0
	s_addc_u32 s1, s15, s1
	s_lshl_b64 s[2:3], s[8:9], 1
	s_load_dwordx2 s[0:1], s[0:1], 0x0
	s_waitcnt lgkmcnt(0)
	s_add_u32 s20, s0, s2
	s_addc_u32 s21, s1, s3
.LBB210_4:
	s_load_dwordx4 s[8:11], s[4:5], 0x60
	s_waitcnt vmcnt(0)
	v_cmp_eq_f16_e32 vcc_lo, 0, v48
	v_cmp_neq_f16_e64 s1, 0, v48
	s_cbranch_vccnz .LBB210_6
; %bb.5:
	s_lshl_b64 s[2:3], s[22:23], 3
	s_add_u32 s2, s16, s2
	s_addc_u32 s3, s17, s3
	s_waitcnt lgkmcnt(0)
	s_lshl_b64 s[8:9], s[8:9], 1
	s_load_dwordx2 s[2:3], s[2:3], 0x0
	s_waitcnt lgkmcnt(0)
	s_add_u32 s16, s2, s8
	s_addc_u32 s17, s3, s9
	s_branch .LBB210_7
.LBB210_6:
	s_mov_b64 s[16:17], 0
.LBB210_7:
	s_load_dwordx4 s[12:15], s[4:5], 0x0
	s_lshl_b64 s[2:3], s[22:23], 3
	s_load_dword s23, s[4:5], 0x20
	s_waitcnt lgkmcnt(0)
	s_add_u32 s10, s10, s2
	s_addc_u32 s11, s11, s3
	v_lshl_add_u32 v10, v1, 5, v0
	v_lshrrev_b32_e32 v70, 6, v10
	v_and_b32_e32 v15, 63, v10
	s_add_i32 s8, s12, -1
	s_ashr_i32 s0, s8, 31
	s_lshr_b32 s0, s0, 24
	s_add_i32 s0, s8, s0
	s_ashr_i32 s0, s0, 8
	s_add_i32 s2, s0, 1
	s_not_b32 s0, s0
	v_cvt_f32_u32_e32 v2, s2
	v_rcp_iflag_f32_e32 v2, v2
	v_mul_f32_e32 v2, 0x4f7ffffe, v2
	v_cvt_u32_f32_e32 v2, v2
	v_readfirstlane_b32 s3, v2
	s_mul_i32 s0, s0, s3
	s_mul_hi_u32 s0, s3, s0
	s_add_i32 s3, s3, s0
	s_mul_hi_u32 s0, s6, s3
	s_mul_i32 s3, s0, s2
	s_add_i32 s7, s0, 1
	s_sub_i32 s3, s6, s3
	s_sub_i32 s9, s3, s2
	s_cmp_ge_u32 s3, s2
	s_cselect_b32 s0, s7, s0
	s_cselect_b32 s3, s9, s3
	s_add_i32 s7, s0, 1
	s_cmp_ge_u32 s3, s2
	s_cselect_b32 s9, s7, s0
	s_add_i32 s24, s14, -1
	s_mul_i32 s0, s9, s2
	v_min_i32_e32 v2, s24, v70
	s_sub_i32 s0, s6, s0
	v_cmp_le_i32_e64 s7, s14, v70
	s_lshl_b32 s15, s0, 8
	v_cmp_eq_f16_e64 s0, 0, v47
	v_mad_i64_i32 v[3:4], null, s23, v2, 0
	v_or_b32_e32 v2, s15, v15
	v_cmp_le_i32_e32 vcc_lo, s12, v2
	v_lshlrev_b64 v[3:4], 1, v[3:4]
	s_or_b32 s3, vcc_lo, s7
	v_add_co_u32 v11, s2, s18, v3
	v_cndmask_b32_e64 v18, 0, 0x7c00, s3
	v_add_co_ci_u32_e64 v12, null, s19, v4, s2
	v_ashrrev_i32_e32 v3, 31, v2
	s_nor_b32 s2, s0, s3
	s_and_saveexec_b32 s3, s2
	s_cbranch_execz .LBB210_9
; %bb.8:
	v_lshlrev_b64 v[4:5], 1, v[2:3]
	v_add_co_u32 v4, s2, v11, v4
	v_add_co_ci_u32_e64 v5, null, v12, v5, s2
	flat_load_ushort v4, v[4:5]
	s_waitcnt vmcnt(0) lgkmcnt(0)
	v_mul_f16_e32 v18, v47, v4
.LBB210_9:
	s_or_b32 exec_lo, exec_lo, s3
	v_or_b32_e32 v4, 64, v2
	v_cmp_le_i32_e64 s2, s12, v4
	v_min_i32_e32 v4, s8, v4
	s_or_b32 s3, s2, s7
	v_ashrrev_i32_e32 v5, 31, v4
	v_cndmask_b32_e64 v19, 0, 0x7c00, s3
	s_nor_b32 s3, s3, s0
	s_and_saveexec_b32 s6, s3
	s_cbranch_execz .LBB210_11
; %bb.10:
	v_lshlrev_b64 v[6:7], 1, v[4:5]
	v_add_co_u32 v6, s3, v11, v6
	v_add_co_ci_u32_e64 v7, null, v12, v7, s3
	flat_load_ushort v6, v[6:7]
	s_waitcnt vmcnt(0) lgkmcnt(0)
	v_mul_f16_e32 v19, v47, v6
.LBB210_11:
	s_or_b32 exec_lo, exec_lo, s6
	v_or_b32_e32 v6, 0x80, v2
	v_cmp_le_i32_e64 s3, s12, v6
	v_min_i32_e32 v6, s8, v6
	s_or_b32 s6, s3, s7
	v_ashrrev_i32_e32 v7, 31, v6
	v_cndmask_b32_e64 v20, 0, 0x7c00, s6
	;; [unrolled: 18-line block ×3, first 2 shown]
	s_nor_b32 s7, s7, s0
	s_and_saveexec_b32 s8, s7
	s_cbranch_execz .LBB210_15
; %bb.14:
	v_lshlrev_b64 v[13:14], 1, v[8:9]
	v_add_co_u32 v11, s7, v11, v13
	v_add_co_ci_u32_e64 v12, null, v12, v14, s7
	flat_load_ushort v11, v[11:12]
	s_waitcnt vmcnt(0) lgkmcnt(0)
	v_mul_f16_e32 v21, v47, v11
.LBB210_15:
	s_or_b32 exec_lo, exec_lo, s8
	v_lshrrev_b32_e32 v17, 2, v10
	s_load_dword s25, s[4:5], 0x38
	s_lshl_b32 s22, s9, 6
	v_and_b32_e32 v99, 3, v0
	v_add_nc_u32_e32 v10, s22, v17
	v_cmp_le_i32_e64 s8, s14, v99
	v_cmp_le_i32_e64 s7, s13, v10
	s_or_b32 s8, s8, s7
	v_cndmask_b32_e64 v22, 0, 0x7c00, s8
	s_nor_b32 s8, s0, s8
	s_and_saveexec_b32 s9, s8
	s_cbranch_execz .LBB210_17
; %bb.16:
	s_waitcnt lgkmcnt(0)
	v_mad_i64_i32 v[11:12], null, v10, s25, 0
	v_min_u32_e32 v13, s24, v99
	v_lshlrev_b32_e32 v13, 1, v13
	v_lshlrev_b64 v[11:12], 1, v[11:12]
	v_add_co_u32 v11, s8, s20, v11
	v_add_co_ci_u32_e64 v12, null, s21, v12, s8
	v_add_co_u32 v11, s8, v11, v13
	v_add_co_ci_u32_e64 v12, null, 0, v12, s8
	flat_load_ushort v11, v[11:12]
	s_waitcnt vmcnt(0) lgkmcnt(0)
	v_mul_f16_e32 v22, v47, v11
.LBB210_17:
	s_or_b32 exec_lo, exec_lo, s9
	v_add_nc_u32_e32 v13, 4, v70
	v_min_i32_e32 v11, s24, v13
	v_cmp_le_i32_e64 s8, s14, v13
	v_mad_i64_i32 v[11:12], null, s23, v11, 0
	v_lshlrev_b64 v[11:12], 1, v[11:12]
	v_add_co_u32 v16, s9, s18, v11
	v_add_co_ci_u32_e64 v23, null, s19, v12, s9
	s_or_b32 s9, vcc_lo, s8
	v_cndmask_b32_e64 v11, 0, 0x7c00, s9
	s_nor_b32 s9, s0, s9
	s_and_saveexec_b32 s26, s9
	s_cbranch_execz .LBB210_19
; %bb.18:
	v_lshlrev_b64 v[11:12], 1, v[2:3]
	v_add_co_u32 v11, s9, v16, v11
	v_add_co_ci_u32_e64 v12, null, v23, v12, s9
	flat_load_ushort v11, v[11:12]
	s_waitcnt vmcnt(0) lgkmcnt(0)
	v_mul_f16_e32 v11, v47, v11
.LBB210_19:
	s_or_b32 exec_lo, exec_lo, s26
	s_or_b32 s9, s2, s8
	v_cndmask_b32_e64 v12, 0, 0x7c00, s9
	s_nor_b32 s9, s9, s0
	s_and_saveexec_b32 s26, s9
	s_cbranch_execz .LBB210_21
; %bb.20:
	v_lshlrev_b64 v[12:13], 1, v[4:5]
	v_add_co_u32 v12, s9, v16, v12
	v_add_co_ci_u32_e64 v13, null, v23, v13, s9
	flat_load_ushort v12, v[12:13]
	s_waitcnt vmcnt(0) lgkmcnt(0)
	v_mul_f16_e32 v12, v47, v12
.LBB210_21:
	s_or_b32 exec_lo, exec_lo, s26
	s_or_b32 s9, s3, s8
	;; [unrolled: 14-line block ×3, first 2 shown]
	v_cndmask_b32_e64 v14, 0, 0x7c00, s8
	s_nor_b32 s8, s8, s0
	s_and_saveexec_b32 s9, s8
	s_cbranch_execz .LBB210_25
; %bb.24:
	v_lshlrev_b64 v[24:25], 1, v[8:9]
	v_add_co_u32 v24, s8, v16, v24
	v_add_co_ci_u32_e64 v25, null, v23, v25, s8
	flat_load_ushort v14, v[24:25]
	s_waitcnt vmcnt(0) lgkmcnt(0)
	v_mul_f16_e32 v14, v47, v14
.LBB210_25:
	s_or_b32 exec_lo, exec_lo, s9
	v_or_b32_e32 v23, 4, v99
	v_cmp_le_i32_e64 s8, s14, v23
	s_or_b32 s8, s8, s7
	v_cndmask_b32_e64 v16, 0, 0x7c00, s8
	s_nor_b32 s8, s0, s8
	s_and_saveexec_b32 s9, s8
	s_cbranch_execz .LBB210_27
; %bb.26:
	s_waitcnt lgkmcnt(0)
	v_mad_i64_i32 v[24:25], null, v10, s25, 0
	v_min_u32_e32 v16, s24, v23
	v_lshlrev_b32_e32 v16, 1, v16
	v_lshlrev_b64 v[23:24], 1, v[24:25]
	v_add_co_u32 v23, s8, s20, v23
	v_add_co_ci_u32_e64 v24, null, s21, v24, s8
	v_add_co_u32 v23, s8, v23, v16
	v_add_co_ci_u32_e64 v24, null, 0, v24, s8
	flat_load_ushort v16, v[23:24]
	s_waitcnt vmcnt(0) lgkmcnt(0)
	v_mul_f16_e32 v16, v47, v16
.LBB210_27:
	s_or_b32 exec_lo, exec_lo, s9
	v_lshlrev_b32_e32 v23, 3, v15
	v_lshlrev_b32_e32 v78, 3, v1
	;; [unrolled: 1-line block ×4, first 2 shown]
	s_load_dwordx2 s[10:11], s[10:11], 0x0
	v_lshl_add_u32 v103, v70, 1, v23
	v_add_nc_u32_e32 v42, 0x1000, v78
	v_lshl_or_b32 v17, v17, 3, v15
	s_cmp_lt_i32 s14, 9
	ds_write_b16 v103, v18
	ds_write_b16 v103, v19 offset:512
	ds_write_b16 v103, v20 offset:1024
	;; [unrolled: 1-line block ×4, first 2 shown]
	s_waitcnt lgkmcnt(0)
	s_barrier
	buffer_gl0_inv
	ds_read2_b64 v[18:21], v97 offset1:32
	ds_read2_b64 v[22:25], v42 offset1:8
	ds_read2_b64 v[26:29], v97 offset0:64 offset1:96
	ds_read2_b64 v[30:33], v97 offset0:128 offset1:160
	;; [unrolled: 1-line block ×4, first 2 shown]
	s_waitcnt lgkmcnt(4)
	v_pk_add_f16 v43, v18, v22
	v_pk_add_f16 v44, v20, v22
	s_waitcnt lgkmcnt(3)
	v_pk_add_f16 v45, v26, v22
	v_pk_add_f16 v46, v28, v22
	;; [unrolled: 3-line block ×4, first 2 shown]
	v_pk_add_f16 v53, v18, v24
	v_pk_add_f16 v54, v20, v24
	;; [unrolled: 1-line block ×24, first 2 shown]
	s_waitcnt lgkmcnt(0)
	v_pk_add_f16 v79, v18, v38
	v_pk_add_f16 v80, v20, v38
	;; [unrolled: 1-line block ×13, first 2 shown]
	ds_read2_b64 v[22:25], v42 offset0:32 offset1:40
	v_pk_add_f16 v116, v32, v40
	v_pk_add_f16 v117, v34, v40
	;; [unrolled: 1-line block ×19, first 2 shown]
	ds_read2_b64 v[38:41], v42 offset0:48 offset1:56
	s_waitcnt lgkmcnt(1)
	v_pk_add_f16 v134, v18, v22
	v_pk_add_f16 v135, v20, v22
	;; [unrolled: 1-line block ×32, first 2 shown]
	s_waitcnt lgkmcnt(0)
	v_pk_add_f16 v161, v18, v38
	v_pk_add_f16 v162, v20, v38
	;; [unrolled: 1-line block ×31, first 2 shown]
	v_pk_min_f16 v45, 0x7c00, v45 op_sel_hi:[0,1]
	v_pk_add_f16 v37, v37, v41
	v_pk_min_f16 v41, 0x7c00, v49 op_sel_hi:[0,1]
	v_pk_min_f16 v43, 0x7c00, v43 op_sel_hi:[0,1]
	;; [unrolled: 1-line block ×3, first 2 shown]
	v_pk_min_f16 v121, v45, v63
	v_pk_min_f16 v45, 0x7c00, v52 op_sel_hi:[0,1]
	v_pk_min_f16 v113, v41, v65
	v_pk_min_f16 v41, 0x7c00, v54 op_sel_hi:[0,1]
	v_pk_min_f16 v46, 0x7c00, v46 op_sel_hi:[0,1]
	v_pk_min_f16 v123, v43, v61
	v_pk_min_f16 v122, v44, v62
	v_pk_min_f16 v43, 0x7c00, v50 op_sel_hi:[0,1]
	v_pk_min_f16 v44, 0x7c00, v51 op_sel_hi:[0,1]
	v_pk_min_f16 v110, v45, v68
	v_pk_min_f16 v45, 0x7c00, v57 op_sel_hi:[0,1]
	v_pk_min_f16 v108, v41, v71
	v_pk_min_f16 v41, 0x7c00, v59 op_sel_hi:[0,1]
	v_pk_min_f16 v114, v46, v64
	v_pk_min_f16 v46, 0x7c00, v53 op_sel_hi:[0,1]
	v_pk_min_f16 v112, v43, v66
	v_pk_min_f16 v111, v44, v67
	v_pk_min_f16 v43, 0x7c00, v55 op_sel_hi:[0,1]
	v_pk_min_f16 v44, 0x7c00, v56 op_sel_hi:[0,1]
	v_pk_min_f16 v105, v45, v74
	v_pk_min_f16 v45, 0x7c00, v80 op_sel_hi:[0,1]
	v_pk_min_f16 v102, v41, v76
	v_pk_min_f16 v41, 0x7c00, v82 op_sel_hi:[0,1]
	v_pk_min_f16 v109, v46, v69
	;; [unrolled: 10-line block ×3, first 2 shown]
	v_pk_min_f16 v46, 0x7c00, v81 op_sel_hi:[0,1]
	v_pk_min_f16 v101, v43, v77
	v_pk_min_f16 v100, v44, v91
	v_pk_min_f16 v43, 0x7c00, v83 op_sel_hi:[0,1]
	v_pk_min_f16 v44, 0x7c00, v84 op_sel_hi:[0,1]
	v_pk_min_f16 v92, v45, v124
	v_pk_min_f16 v45, 0x7c00, v90 op_sel_hi:[0,1]
	v_pk_min_f16 v90, v41, v126
	v_pk_min_f16 v41, 0x7c00, v116 op_sel_hi:[0,1]
	v_pk_min_f16 v22, 0x7c00, v22 op_sel_hi:[0,1]
	v_pk_min_f16 v96, v46, v93
	v_pk_min_f16 v46, 0x7c00, v86 op_sel_hi:[0,1]
	v_pk_min_f16 v94, v43, v119
	v_pk_min_f16 v93, v44, v120
	v_pk_min_f16 v43, 0x7c00, v88 op_sel_hi:[0,1]
	v_pk_min_f16 v44, 0x7c00, v89 op_sel_hi:[0,1]
	v_pk_min_f16 v85, v41, v131
	v_pk_min_f16 v41, 0x7c00, v136 op_sel_hi:[0,1]
	v_pk_min_f16 v74, v22, v23
	;; [unrolled: 2-line block ×4, first 2 shown]
	v_pk_min_f16 v88, v44, v128
	v_pk_min_f16 v87, v45, v129
	v_pk_min_f16 v43, 0x7c00, v117 op_sel_hi:[0,1]
	v_pk_min_f16 v44, 0x7c00, v118 op_sel_hi:[0,1]
	;; [unrolled: 1-line block ×3, first 2 shown]
	v_pk_min_f16 v80, v41, v149
	v_pk_min_f16 v41, 0x7c00, v141 op_sel_hi:[0,1]
	v_pk_min_f16 v23, 0x7c00, v42 op_sel_hi:[0,1]
	;; [unrolled: 1-line block ×3, first 2 shown]
	v_pk_min_f16 v68, v22, v158
	v_pk_min_f16 v22, 0x7c00, v162 op_sel_hi:[0,1]
	v_pk_min_f16 v86, v46, v130
	v_pk_min_f16 v46, 0x7c00, v135 op_sel_hi:[0,1]
	v_pk_min_f16 v84, v43, v132
	v_pk_min_f16 v83, v44, v133
	;; [unrolled: 1-line block ×3, first 2 shown]
	v_pk_min_f16 v43, 0x7c00, v137 op_sel_hi:[0,1]
	v_pk_min_f16 v44, 0x7c00, v138 op_sel_hi:[0,1]
	;; [unrolled: 1-line block ×3, first 2 shown]
	v_pk_min_f16 v73, v41, v154
	v_pk_min_f16 v41, 0x7c00, v146 op_sel_hi:[0,1]
	v_pk_min_f16 v67, v23, v159
	v_pk_min_f16 v65, v24, v25
	v_pk_min_f16 v23, 0x7c00, v165 op_sel_hi:[0,1]
	v_pk_min_f16 v24, 0x7c00, v166 op_sel_hi:[0,1]
	v_pk_min_f16 v63, v22, v164
	v_pk_min_f16 v22, 0x7c00, v173 op_sel_hi:[0,1]
	v_pk_min_f16 v18, 0x7c00, v18 op_sel_hi:[0,1]
	;; [unrolled: 1-line block ×3, first 2 shown]
	v_pk_min_f16 v81, v46, v148
	v_pk_min_f16 v46, 0x7c00, v140 op_sel_hi:[0,1]
	v_pk_min_f16 v79, v43, v150
	v_pk_min_f16 v77, v44, v151
	;; [unrolled: 1-line block ×3, first 2 shown]
	v_pk_min_f16 v43, 0x7c00, v142 op_sel_hi:[0,1]
	v_pk_min_f16 v44, 0x7c00, v143 op_sel_hi:[0,1]
	;; [unrolled: 1-line block ×4, first 2 shown]
	v_pk_min_f16 v66, v41, v160
	v_pk_min_f16 v25, 0x7c00, v169 op_sel_hi:[0,1]
	v_pk_min_f16 v41, 0x7c00, v170 op_sel_hi:[0,1]
	v_pk_min_f16 v62, v23, v167
	v_pk_min_f16 v61, v24, v168
	v_pk_min_f16 v23, 0x7c00, v38 op_sel_hi:[0,1]
	v_pk_min_f16 v24, 0x7c00, v26 op_sel_hi:[0,1]
	v_pk_min_f16 v58, v22, v40
	v_pk_min_f16 v56, v18, v19
	;; [unrolled: 1-line block ×3, first 2 shown]
	v_pk_min_f16 v18, 0x7c00, v28 op_sel_hi:[0,1]
	v_pk_min_f16 v19, 0x7c00, v30 op_sel_hi:[0,1]
	;; [unrolled: 1-line block ×5, first 2 shown]
	v_pk_min_f16 v75, v46, v153
	v_pk_min_f16 v72, v43, v155
	;; [unrolled: 1-line block ×14, first 2 shown]
	ds_write_b16 v103, v11 offset:2048
	ds_write_b16 v103, v12 offset:2560
	;; [unrolled: 1-line block ×5, first 2 shown]
	s_waitcnt lgkmcnt(0)
	s_barrier
	buffer_gl0_inv
	s_cbranch_scc1 .LBB210_50
; %bb.28:
	v_mad_i64_i32 v[10:11], null, s25, v10, 0
	v_lshlrev_b64 v[37:38], 1, v[2:3]
	v_lshlrev_b64 v[39:40], 1, v[4:5]
	;; [unrolled: 1-line block ×4, first 2 shown]
	v_add_nc_u32_e32 v115, 0x1000, v17
	v_or_b32_e32 v116, 0x1000, v78
	v_lshlrev_b64 v[10:11], 1, v[10:11]
	v_or_b32_e32 v117, 0x800, v103
	v_add_nc_u32_e32 v118, 0x1200, v17
	v_lshl_or_b32 v119, v0, 3, 0x800
	v_lshl_add_u32 v120, v1, 3, 0x1200
	v_add_co_u32 v2, s8, v10, v15
	v_add_co_ci_u32_e64 v3, null, 0, v11, s8
	v_add_co_u32 v2, s8, s20, v2
	v_add_co_ci_u32_e64 v3, null, s21, v3, s8
	s_add_i32 s20, s14, -8
	v_add_co_u32 v45, s8, v2, 24
	v_add_co_ci_u32_e64 v46, null, 0, v3, s8
	s_mov_b32 s21, 0
	s_branch .LBB210_30
.LBB210_29:                             ;   in Loop: Header=BB210_30 Depth=1
	s_or_b32 exec_lo, exec_lo, s8
	v_pk_add_f16 v14, v6, v33
	v_pk_max_f16 v15, v123, v123
	v_pk_add_f16 v16, v8, v33
	v_pk_max_f16 v122, v122, v122
	;; [unrolled: 2-line block ×3, first 2 shown]
	v_pk_min_f16 v14, v15, v14
	v_pk_max_f16 v15, v121, v121
	v_pk_add_f16 v121, v4, v33
	v_pk_add_f16 v129, v21, v33
	v_pk_max_f16 v113, v113, v113
	v_pk_add_f16 v130, v23, v33
	v_pk_min_f16 v16, v122, v16
	v_pk_min_f16 v15, v15, v123
	;; [unrolled: 1-line block ×3, first 2 shown]
	v_pk_add_f16 v121, v17, v33
	v_pk_max_f16 v111, v111, v111
	v_pk_add_f16 v33, v19, v33
	v_pk_max_f16 v110, v110, v110
	;; [unrolled: 2-line block ×4, first 2 shown]
	v_pk_min_f16 v113, v113, v129
	v_pk_add_f16 v129, v2, v35
	v_pk_min_f16 v111, v111, v121
	v_pk_min_f16 v33, v110, v33
	;; [unrolled: 1-line block ×4, first 2 shown]
	v_pk_add_f16 v110, v4, v35
	v_pk_max_f16 v106, v106, v106
	v_pk_add_f16 v121, v21, v35
	v_pk_add_f16 v122, v23, v35
	;; [unrolled: 1-line block ×4, first 2 shown]
	v_pk_max_f16 v101, v101, v101
	v_pk_max_f16 v105, v105, v105
	;; [unrolled: 1-line block ×4, first 2 shown]
	v_pk_min_f16 v106, v106, v110
	v_pk_min_f16 v35, v101, v35
	v_pk_add_f16 v101, v6, v29
	v_pk_max_f16 v100, v100, v100
	v_pk_add_f16 v110, v8, v29
	v_pk_max_f16 v98, v98, v98
	v_pk_min_f16 v105, v105, v121
	v_pk_min_f16 v104, v104, v122
	v_pk_min_f16 v102, v102, v123
	v_pk_add_f16 v121, v2, v29
	v_pk_max_f16 v96, v96, v96
	v_pk_add_f16 v122, v4, v29
	v_pk_max_f16 v95, v95, v95
	v_pk_add_f16 v123, v21, v29
	v_pk_min_f16 v100, v100, v101
	v_pk_min_f16 v98, v98, v110
	v_pk_add_f16 v101, v23, v29
	v_pk_max_f16 v93, v93, v93
	v_pk_add_f16 v110, v17, v29
	v_pk_add_f16 v29, v19, v29
	v_pk_max_f16 v91, v91, v91
	v_pk_min_f16 v96, v96, v121
	v_pk_min_f16 v95, v95, v122
	v_pk_max_f16 v92, v92, v92
	v_pk_add_f16 v121, v6, v31
	v_pk_max_f16 v90, v90, v90
	v_pk_add_f16 v122, v8, v31
	v_pk_max_f16 v89, v89, v89
	v_pk_min_f16 v93, v93, v101
	v_pk_min_f16 v29, v91, v29
	v_pk_add_f16 v91, v2, v31
	v_pk_max_f16 v88, v88, v88
	v_pk_add_f16 v101, v4, v31
	v_pk_max_f16 v87, v87, v87
	v_pk_min_f16 v92, v92, v110
	v_pk_min_f16 v90, v90, v121
	;; [unrolled: 1-line block ×3, first 2 shown]
	v_pk_add_f16 v110, v21, v31
	v_pk_max_f16 v86, v86, v86
	v_pk_add_f16 v121, v23, v31
	v_pk_max_f16 v85, v85, v85
	v_pk_add_f16 v122, v17, v31
	v_pk_min_f16 v88, v88, v91
	v_pk_min_f16 v87, v87, v101
	v_pk_add_f16 v31, v19, v31
	v_pk_max_f16 v83, v83, v83
	v_pk_add_f16 v91, v6, v10
	v_pk_max_f16 v82, v82, v82
	;; [unrolled: 2-line block ×3, first 2 shown]
	v_pk_min_f16 v86, v86, v110
	v_pk_min_f16 v85, v85, v121
	v_pk_add_f16 v110, v2, v10
	v_pk_add_f16 v121, v4, v10
	v_pk_min_f16 v31, v83, v31
	v_pk_min_f16 v82, v82, v91
	;; [unrolled: 1-line block ×3, first 2 shown]
	v_pk_add_f16 v83, v21, v10
	v_pk_add_f16 v91, v23, v10
	;; [unrolled: 1-line block ×3, first 2 shown]
	v_pk_max_f16 v75, v75, v75
	v_pk_add_f16 v10, v19, v10
	v_pk_max_f16 v74, v74, v74
	v_pk_max_f16 v72, v72, v72
	;; [unrolled: 1-line block ×3, first 2 shown]
	v_pk_min_f16 v75, v75, v101
	v_pk_add_f16 v101, v21, v12
	v_pk_min_f16 v10, v74, v10
	v_pk_add_f16 v74, v8, v12
	v_pk_max_f16 v80, v80, v80
	v_pk_max_f16 v77, v77, v77
	;; [unrolled: 1-line block ×3, first 2 shown]
	v_pk_min_f16 v68, v68, v101
	v_pk_min_f16 v72, v72, v74
	v_pk_add_f16 v74, v17, v12
	v_pk_max_f16 v66, v66, v66
	v_pk_add_f16 v101, v2, v25
	v_pk_max_f16 v62, v62, v62
	v_pk_max_f16 v84, v84, v84
	v_pk_max_f16 v79, v79, v79
	v_pk_min_f16 v80, v80, v110
	v_pk_add_f16 v110, v6, v12
	v_pk_max_f16 v73, v73, v73
	v_pk_min_f16 v77, v77, v83
	v_pk_min_f16 v76, v76, v91
	v_pk_add_f16 v83, v2, v12
	v_pk_max_f16 v71, v71, v71
	v_pk_add_f16 v91, v4, v12
	v_pk_max_f16 v69, v69, v69
	v_pk_min_f16 v66, v66, v74
	v_pk_min_f16 v74, v62, v101
	v_pk_add_f16 v62, v4, v25
	v_pk_add_f16 v2, v2, v27
	v_pk_max_f16 v54, v54, v54
	v_pk_add_f16 v4, v4, v27
	v_pk_max_f16 v53, v53, v53
	v_pk_max_f16 v94, v94, v94
	v_pk_min_f16 v84, v84, v122
	v_pk_min_f16 v79, v79, v121
	;; [unrolled: 1-line block ×3, first 2 shown]
	v_pk_add_f16 v110, v23, v12
	v_pk_min_f16 v71, v71, v83
	v_pk_min_f16 v69, v69, v91
	v_pk_add_f16 v12, v19, v12
	v_pk_max_f16 v65, v65, v65
	v_pk_add_f16 v83, v6, v25
	v_pk_max_f16 v64, v64, v64
	;; [unrolled: 2-line block ×3, first 2 shown]
	v_pk_min_f16 v121, v54, v2
	v_pk_min_f16 v122, v53, v4
	v_pk_add_f16 v2, v23, v27
	v_pk_max_f16 v4, v51, v51
	v_pk_max_f16 v112, v112, v112
	v_pk_min_f16 v94, v94, v123
	v_pk_min_f16 v12, v65, v12
	;; [unrolled: 1-line block ×4, first 2 shown]
	v_pk_add_f16 v63, v21, v25
	v_pk_add_f16 v83, v23, v25
	;; [unrolled: 1-line block ×8, first 2 shown]
	v_pk_max_f16 v23, v50, v50
	v_pk_add_f16 v19, v19, v27
	v_pk_max_f16 v27, v49, v49
	v_pk_add_f16 v49, v7, v34
	v_pk_add_f16 v50, v9, v34
	v_pk_min_f16 v123, v4, v2
	v_pk_add_f16 v2, v3, v34
	v_pk_add_f16 v4, v5, v34
	v_pk_min_f16 v112, v112, v130
	v_pk_max_f16 v107, v107, v107
	v_pk_min_f16 v133, v14, v49
	v_pk_min_f16 v134, v16, v50
	v_pk_add_f16 v14, v22, v34
	v_pk_add_f16 v16, v24, v34
	v_pk_min_f16 v135, v15, v2
	v_pk_min_f16 v114, v114, v4
	v_pk_add_f16 v2, v20, v34
	v_pk_add_f16 v4, v7, v36
	v_pk_min_f16 v107, v107, v129
	v_pk_min_f16 v113, v113, v14
	v_pk_min_f16 v112, v112, v16
	v_pk_add_f16 v14, v9, v36
	v_pk_add_f16 v15, v3, v36
	v_pk_add_f16 v16, v5, v36
	v_pk_min_f16 v136, v33, v2
	v_pk_min_f16 v109, v109, v4
	v_pk_add_f16 v2, v22, v36
	v_pk_add_f16 v4, v24, v36
	v_pk_min_f16 v108, v108, v14
	v_pk_min_f16 v107, v107, v15
	v_pk_min_f16 v106, v106, v16
	v_pk_add_f16 v14, v18, v36
	;; [unrolled: 10-line block ×5, first 2 shown]
	v_pk_add_f16 v15, v18, v32
	v_pk_add_f16 v16, v20, v32
	v_pk_min_f16 v87, v87, v2
	v_pk_min_f16 v86, v86, v4
	v_pk_add_f16 v2, v7, v11
	v_pk_add_f16 v4, v9, v11
	v_pk_max_f16 v67, v67, v67
	v_pk_max_f16 v61, v61, v61
	;; [unrolled: 1-line block ×3, first 2 shown]
	v_pk_min_f16 v85, v85, v14
	v_pk_min_f16 v84, v84, v15
	;; [unrolled: 1-line block ×3, first 2 shown]
	v_pk_add_f16 v14, v3, v11
	v_pk_add_f16 v15, v5, v11
	;; [unrolled: 1-line block ×3, first 2 shown]
	v_pk_min_f16 v82, v82, v2
	v_pk_min_f16 v81, v81, v4
	v_pk_add_f16 v2, v24, v11
	v_pk_add_f16 v4, v18, v11
	;; [unrolled: 1-line block ×3, first 2 shown]
	v_pk_min_f16 v67, v67, v110
	v_pk_max_f16 v60, v60, v60
	v_pk_max_f16 v57, v57, v57
	v_pk_min_f16 v101, v61, v62
	v_pk_min_f16 v83, v59, v83
	v_pk_max_f16 v55, v55, v55
	v_pk_min_f16 v80, v80, v14
	v_pk_add_f16 v14, v7, v13
	v_pk_min_f16 v61, v75, v4
	v_pk_min_f16 v59, v10, v11
	v_pk_add_f16 v4, v5, v13
	v_pk_add_f16 v10, v22, v13
	v_pk_add_f16 v11, v24, v13
	v_pk_max_f16 v58, v58, v58
	v_pk_min_f16 v110, v60, v63
	v_pk_min_f16 v25, v57, v25
	v_pk_max_f16 v56, v56, v56
	v_pk_min_f16 v8, v55, v8
	v_pk_min_f16 v129, v23, v17
	v_pk_add_f16 v17, v18, v34
	v_pk_min_f16 v63, v79, v15
	v_pk_add_f16 v15, v9, v13
	v_pk_min_f16 v62, v76, v2
	v_pk_min_f16 v57, v73, v14
	v_pk_add_f16 v2, v3, v13
	v_pk_add_f16 v14, v18, v13
	v_pk_min_f16 v55, v69, v4
	v_pk_min_f16 v54, v68, v10
	;; [unrolled: 1-line block ×3, first 2 shown]
	v_pk_add_f16 v4, v7, v26
	v_pk_add_f16 v10, v9, v26
	;; [unrolled: 1-line block ×3, first 2 shown]
	v_pk_min_f16 v91, v58, v91
	v_pk_max_f16 v52, v52, v52
	v_pk_min_f16 v6, v56, v6
	v_pk_min_f16 v111, v111, v17
	;; [unrolled: 1-line block ×6, first 2 shown]
	v_pk_add_f16 v2, v20, v13
	v_pk_add_f16 v13, v5, v26
	v_pk_min_f16 v50, v64, v4
	v_pk_min_f16 v49, v65, v10
	;; [unrolled: 1-line block ×3, first 2 shown]
	v_pk_add_f16 v10, v18, v26
	v_pk_add_f16 v11, v20, v26
	ds_read2_b64 v[14:17], v97 offset1:32
	ds_read2_b64 v[64:67], v116 offset1:8
	v_pk_min_f16 v21, v52, v21
	v_pk_min_f16 v52, v12, v2
	v_pk_min_f16 v32, v101, v13
	v_pk_add_f16 v2, v22, v26
	v_pk_min_f16 v29, v91, v10
	v_pk_min_f16 v25, v25, v11
	ds_read2_b64 v[10:13], v97 offset0:64 offset1:96
	v_pk_add_f16 v7, v7, v28
	v_pk_min_f16 v33, v110, v2
	v_pk_add_f16 v2, v9, v28
	v_pk_min_f16 v19, v27, v19
	;; [unrolled: 2-line block ×4, first 2 shown]
	ds_read2_b64 v[6:9], v97 offset0:128 offset1:160
	v_pk_add_f16 v27, v5, v28
	v_pk_add_f16 v22, v22, v28
	;; [unrolled: 1-line block ×5, first 2 shown]
	s_waitcnt lgkmcnt(2)
	v_pk_add_f16 v28, v14, v64
	v_pk_max_f16 v110, v133, v133
	v_pk_min_f16 v31, v83, v4
	ds_read2_b64 v[2:5], v97 offset0:192 offset1:224
	v_pk_min_f16 v34, v121, v26
	s_waitcnt lgkmcnt(2)
	v_pk_add_f16 v69, v10, v64
	v_pk_min_f16 v28, v110, v28
	v_pk_max_f16 v110, v135, v135
	v_pk_min_f16 v26, v123, v24
	v_pk_add_f16 v68, v16, v64
	v_pk_add_f16 v121, v15, v65
	;; [unrolled: 1-line block ×3, first 2 shown]
	v_pk_max_f16 v123, v134, v134
	v_pk_min_f16 v69, v110, v69
	s_waitcnt lgkmcnt(1)
	v_pk_add_f16 v76, v6, v64
	v_pk_add_f16 v77, v8, v64
	;; [unrolled: 1-line block ×3, first 2 shown]
	v_pk_min_f16 v68, v123, v68
	v_pk_min_f16 v123, v28, v121
	;; [unrolled: 1-line block ×3, first 2 shown]
	v_pk_max_f16 v69, v113, v113
	v_pk_max_f16 v110, v112, v112
	v_pk_add_f16 v156, v9, v65
	s_waitcnt lgkmcnt(0)
	v_pk_add_f16 v79, v2, v64
	v_pk_add_f16 v75, v12, v64
	v_pk_min_f16 v69, v69, v76
	v_pk_min_f16 v77, v110, v77
	v_pk_add_f16 v64, v4, v64
	v_pk_add_f16 v83, v14, v66
	;; [unrolled: 1-line block ×3, first 2 shown]
	v_pk_min_f16 v113, v69, v155
	v_pk_max_f16 v69, v111, v111
	v_pk_min_f16 v112, v77, v156
	v_pk_max_f16 v77, v136, v136
	v_pk_add_f16 v158, v15, v67
	ds_read2_b64 v[71:74], v116 offset0:16 offset1:24
	v_pk_min_f16 v69, v69, v79
	v_pk_max_f16 v79, v109, v109
	v_pk_min_f16 v64, v77, v64
	v_pk_add_f16 v101, v10, v66
	v_pk_add_f16 v161, v13, v67
	;; [unrolled: 1-line block ×3, first 2 shown]
	v_pk_min_f16 v77, v79, v83
	v_pk_max_f16 v79, v106, v106
	v_pk_add_f16 v160, v11, v67
	v_pk_min_f16 v30, v122, v27
	v_pk_min_f16 v27, v21, v22
	;; [unrolled: 1-line block ×3, first 2 shown]
	v_pk_max_f16 v77, v107, v107
	v_pk_min_f16 v79, v79, v140
	v_pk_min_f16 v24, v129, v18
	;; [unrolled: 1-line block ×3, first 2 shown]
	ds_read2_b64 v[129:132], v116 offset0:32 offset1:40
	ds_read2_b64 v[18:21], v116 offset0:48 offset1:56
	v_pk_min_f16 v77, v77, v101
	v_pk_min_f16 v106, v79, v161
	v_pk_max_f16 v79, v104, v104
	v_pk_add_f16 v141, v6, v66
	v_pk_add_f16 v163, v9, v67
	v_pk_min_f16 v107, v77, v160
	v_pk_max_f16 v77, v105, v105
	v_pk_min_f16 v79, v79, v142
	v_pk_add_f16 v91, v16, v66
	v_pk_add_f16 v143, v2, v66
	;; [unrolled: 1-line block ×8, first 2 shown]
	v_pk_min_f16 v77, v77, v141
	v_pk_max_f16 v83, v102, v102
	v_pk_min_f16 v104, v79, v163
	v_pk_max_f16 v79, v137, v137
	s_waitcnt lgkmcnt(2)
	v_pk_add_f16 v145, v16, v71
	v_pk_add_f16 v146, v10, v71
	;; [unrolled: 1-line block ×5, first 2 shown]
	v_pk_min_f16 v122, v68, v122
	v_pk_max_f16 v68, v114, v114
	v_pk_min_f16 v110, v64, v65
	v_pk_max_f16 v64, v108, v108
	v_pk_min_f16 v105, v77, v162
	v_pk_min_f16 v77, v83, v143
	;; [unrolled: 1-line block ×3, first 2 shown]
	v_pk_max_f16 v79, v98, v98
	v_pk_max_f16 v83, v96, v96
	v_pk_add_f16 v144, v14, v71
	v_pk_add_f16 v147, v12, v71
	v_pk_min_f16 v68, v68, v75
	v_pk_min_f16 v64, v64, v91
	;; [unrolled: 1-line block ×3, first 2 shown]
	v_pk_max_f16 v77, v100, v100
	v_pk_min_f16 v79, v79, v145
	v_pk_min_f16 v83, v83, v146
	v_pk_add_f16 v96, v17, v72
	v_pk_min_f16 v101, v66, v67
	v_pk_add_f16 v66, v11, v72
	v_pk_max_f16 v67, v95, v95
	v_pk_add_f16 v148, v6, v71
	v_pk_add_f16 v149, v8, v71
	;; [unrolled: 1-line block ×12, first 2 shown]
	s_waitcnt lgkmcnt(1)
	v_pk_add_f16 v28, v14, v129
	v_pk_add_f16 v135, v16, v129
	;; [unrolled: 1-line block ×6, first 2 shown]
	v_pk_min_f16 v114, v68, v154
	v_pk_add_f16 v68, v2, v129
	v_pk_add_f16 v129, v4, v129
	;; [unrolled: 1-line block ×6, first 2 shown]
	v_pk_min_f16 v111, v69, v157
	v_pk_add_f16 v69, v6, v131
	v_pk_add_f16 v157, v8, v131
	;; [unrolled: 1-line block ×4, first 2 shown]
	s_waitcnt lgkmcnt(0)
	v_pk_add_f16 v158, v14, v18
	v_pk_add_f16 v169, v16, v18
	v_pk_min_f16 v108, v64, v159
	v_pk_add_f16 v64, v10, v18
	v_pk_add_f16 v140, v12, v18
	;; [unrolled: 1-line block ×11, first 2 shown]
	v_pk_min_f16 v77, v77, v144
	v_pk_add_f16 v8, v8, v20
	v_pk_add_f16 v91, v15, v72
	;; [unrolled: 1-line block ×3, first 2 shown]
	v_pk_min_f16 v98, v79, v96
	v_pk_add_f16 v4, v4, v20
	v_pk_min_f16 v96, v83, v66
	v_pk_add_f16 v20, v13, v72
	v_pk_max_f16 v66, v94, v94
	v_pk_min_f16 v67, v67, v147
	v_pk_min_f16 v100, v77, v91
	v_pk_max_f16 v77, v93, v93
	v_pk_add_f16 v79, v7, v72
	v_pk_min_f16 v66, v66, v148
	v_pk_min_f16 v95, v67, v20
	v_pk_max_f16 v20, v138, v138
	v_pk_max_f16 v83, v92, v92
	v_pk_add_f16 v91, v9, v72
	v_pk_min_f16 v77, v77, v149
	v_pk_min_f16 v94, v66, v79
	v_pk_add_f16 v66, v5, v72
	v_pk_max_f16 v67, v90, v90
	v_pk_min_f16 v20, v20, v71
	v_pk_add_f16 v92, v3, v72
	v_pk_min_f16 v83, v83, v150
	v_pk_min_f16 v93, v77, v91
	v_pk_add_f16 v72, v15, v74
	v_pk_max_f16 v77, v88, v88
	v_pk_min_f16 v67, v67, v151
	v_pk_min_f16 v91, v20, v66
	v_pk_max_f16 v20, v87, v87
	v_pk_min_f16 v92, v83, v92
	v_pk_add_f16 v83, v11, v74
	v_pk_min_f16 v77, v77, v153
	v_pk_min_f16 v90, v67, v72
	v_pk_add_f16 v66, v13, v74
	v_pk_max_f16 v67, v86, v86
	v_pk_min_f16 v20, v20, v165
	v_pk_max_f16 v71, v89, v89
	v_pk_min_f16 v88, v77, v83
	v_pk_add_f16 v72, v7, v74
	v_pk_max_f16 v77, v84, v84
	v_pk_min_f16 v67, v67, v166
	v_pk_min_f16 v87, v20, v66
	v_pk_max_f16 v20, v139, v139
	v_pk_add_f16 v79, v17, v74
	v_pk_min_f16 v71, v71, v152
	v_pk_add_f16 v83, v3, v74
	v_pk_min_f16 v77, v77, v167
	v_pk_min_f16 v86, v67, v72
	v_pk_add_f16 v66, v5, v74
	v_pk_max_f16 v67, v82, v82
	v_pk_min_f16 v20, v20, v73
	v_pk_min_f16 v89, v71, v79
	v_pk_max_f16 v71, v85, v85
	v_pk_min_f16 v84, v77, v83
	v_pk_add_f16 v72, v15, v130
	v_pk_min_f16 v28, v67, v28
	v_pk_min_f16 v83, v20, v66
	v_pk_max_f16 v20, v63, v63
	v_pk_add_f16 v79, v9, v74
	v_pk_min_f16 v71, v71, v134
	v_pk_min_f16 v82, v28, v72
	v_pk_add_f16 v28, v13, v130
	v_pk_min_f16 v20, v20, v133
	v_pk_max_f16 v73, v80, v80
	v_pk_min_f16 v85, v71, v79
	v_pk_add_f16 v74, v11, v130
	v_pk_max_f16 v54, v54, v54
	v_pk_min_f16 v79, v20, v28
	v_pk_max_f16 v20, v59, v59
	v_pk_min_f16 v73, v73, v168
	v_pk_add_f16 v28, v5, v130
	v_pk_max_f16 v71, v81, v81
	v_pk_min_f16 v54, v54, v69
	v_pk_min_f16 v20, v20, v129
	;; [unrolled: 1-line block ×3, first 2 shown]
	v_pk_add_f16 v67, v17, v130
	v_pk_min_f16 v71, v71, v135
	v_pk_max_f16 v60, v60, v60
	v_pk_min_f16 v74, v20, v28
	v_pk_max_f16 v20, v55, v55
	v_pk_add_f16 v28, v13, v132
	v_pk_max_f16 v61, v61, v61
	v_pk_max_f16 v51, v51, v51
	v_pk_min_f16 v81, v71, v67
	v_pk_min_f16 v20, v20, v156
	v_pk_add_f16 v63, v7, v130
	v_pk_min_f16 v60, v60, v75
	v_pk_add_f16 v67, v3, v130
	v_pk_min_f16 v61, v61, v68
	v_pk_min_f16 v69, v20, v28
	v_pk_max_f16 v20, v52, v52
	v_pk_add_f16 v28, v5, v132
	v_pk_max_f16 v57, v57, v57
	v_pk_max_f16 v56, v56, v56
	;; [unrolled: 1-line block ×3, first 2 shown]
	v_pk_min_f16 v20, v20, v131
	v_pk_min_f16 v51, v51, v65
	v_pk_max_f16 v62, v62, v62
	v_pk_min_f16 v77, v60, v63
	v_pk_min_f16 v75, v61, v67
	;; [unrolled: 1-line block ×3, first 2 shown]
	v_pk_max_f16 v20, v32, v32
	v_pk_add_f16 v59, v15, v132
	v_pk_min_f16 v57, v57, v154
	v_pk_add_f16 v60, v17, v132
	v_pk_min_f16 v56, v56, v136
	;; [unrolled: 2-line block ×3, first 2 shown]
	v_pk_max_f16 v53, v53, v53
	v_pk_add_f16 v28, v13, v19
	v_pk_min_f16 v20, v20, v140
	v_pk_add_f16 v66, v9, v130
	v_pk_min_f16 v62, v62, v76
	v_pk_min_f16 v73, v57, v59
	;; [unrolled: 1-line block ×4, first 2 shown]
	v_pk_add_f16 v56, v9, v132
	v_pk_min_f16 v53, v53, v157
	v_pk_add_f16 v57, v3, v132
	v_pk_min_f16 v61, v20, v28
	v_pk_max_f16 v20, v25, v25
	v_pk_max_f16 v23, v23, v23
	;; [unrolled: 1-line block ×3, first 2 shown]
	v_pk_min_f16 v76, v62, v66
	v_pk_add_f16 v55, v7, v132
	v_pk_min_f16 v67, v53, v56
	v_pk_min_f16 v66, v51, v57
	v_pk_add_f16 v51, v15, v19
	v_pk_add_f16 v53, v11, v19
	;; [unrolled: 1-line block ×3, first 2 shown]
	v_pk_min_f16 v14, v23, v14
	v_pk_add_f16 v11, v11, v21
	v_pk_min_f16 v10, v25, v10
	v_pk_min_f16 v68, v54, v55
	v_pk_max_f16 v49, v49, v49
	v_pk_max_f16 v36, v36, v36
	v_pk_min_f16 v56, v14, v15
	v_pk_max_f16 v14, v30, v30
	v_pk_min_f16 v54, v10, v11
	v_pk_max_f16 v10, v27, v27
	v_pk_max_f16 v50, v50, v50
	v_pk_add_f16 v52, v17, v19
	v_pk_min_f16 v49, v49, v169
	v_pk_min_f16 v36, v36, v64
	v_pk_max_f16 v32, v33, v33
	v_pk_max_f16 v31, v31, v31
	;; [unrolled: 1-line block ×3, first 2 shown]
	v_pk_min_f16 v18, v20, v18
	v_pk_max_f16 v20, v35, v35
	v_pk_add_f16 v11, v13, v21
	v_pk_min_f16 v12, v14, v12
	v_pk_max_f16 v13, v26, v26
	v_pk_min_f16 v6, v10, v6
	v_pk_max_f16 v10, v24, v24
	v_pk_max_f16 v14, v22, v22
	v_pk_min_f16 v50, v50, v158
	v_pk_min_f16 v63, v49, v52
	;; [unrolled: 1-line block ×3, first 2 shown]
	v_pk_add_f16 v33, v7, v19
	v_pk_min_f16 v32, v32, v159
	v_pk_add_f16 v36, v9, v19
	v_pk_min_f16 v31, v31, v160
	;; [unrolled: 2-line block ×3, first 2 shown]
	v_pk_add_f16 v19, v5, v19
	v_pk_add_f16 v17, v17, v21
	v_pk_min_f16 v16, v20, v16
	v_pk_add_f16 v7, v7, v21
	v_pk_add_f16 v9, v9, v21
	v_pk_min_f16 v8, v13, v8
	v_pk_add_f16 v3, v3, v21
	v_pk_min_f16 v2, v10, v2
	;; [unrolled: 2-line block ×3, first 2 shown]
	v_add_co_u32 v45, s8, v45, 16
	v_pk_min_f16 v64, v50, v51
	v_pk_min_f16 v60, v32, v33
	;; [unrolled: 1-line block ×11, first 2 shown]
	v_add_co_ci_u32_e64 v46, null, 0, v46, s8
	s_add_i32 s21, s21, 8
	ds_write_b16 v117, v124
	ds_write_b16 v117, v125 offset:512
	ds_write_b16 v117, v126 offset:1024
	ds_write_b16 v117, v127 offset:1536
	ds_write_b16 v118, v128
	s_cmp_ge_i32 s21, s20
	s_waitcnt lgkmcnt(0)
	s_barrier
	buffer_gl0_inv
	s_cbranch_scc1 .LBB210_50
.LBB210_30:                             ; =>This Inner Loop Header: Depth=1
	v_add_nc_u32_e32 v2, s21, v70
	v_add_nc_u32_e32 v5, 8, v2
	v_min_i32_e32 v3, s24, v5
	v_cmp_le_i32_e64 s8, s14, v5
	v_mad_i64_i32 v[3:4], null, v3, s23, 0
	v_lshlrev_b64 v[3:4], 1, v[3:4]
	v_add_co_u32 v3, s9, s18, v3
	v_add_co_ci_u32_e64 v4, null, s19, v4, s9
	s_or_b32 s9, vcc_lo, s8
	v_cndmask_b32_e64 v15, 0, 0x7c00, s9
	s_nor_b32 s9, s0, s9
	s_and_saveexec_b32 s25, s9
	s_cbranch_execz .LBB210_32
; %bb.31:                               ;   in Loop: Header=BB210_30 Depth=1
	v_add_co_u32 v5, s9, v3, v37
	v_add_co_ci_u32_e64 v6, null, v4, v38, s9
	flat_load_ushort v5, v[5:6]
	s_waitcnt vmcnt(0) lgkmcnt(0)
	v_mul_f16_e32 v15, v47, v5
.LBB210_32:                             ;   in Loop: Header=BB210_30 Depth=1
	s_or_b32 exec_lo, exec_lo, s25
	s_or_b32 s9, s2, s8
	v_cndmask_b32_e64 v16, 0, 0x7c00, s9
	s_nor_b32 s9, s9, s0
	s_and_saveexec_b32 s25, s9
	s_cbranch_execz .LBB210_34
; %bb.33:                               ;   in Loop: Header=BB210_30 Depth=1
	v_add_co_u32 v5, s9, v3, v39
	v_add_co_ci_u32_e64 v6, null, v4, v40, s9
	flat_load_ushort v5, v[5:6]
	s_waitcnt vmcnt(0) lgkmcnt(0)
	v_mul_f16_e32 v16, v47, v5
.LBB210_34:                             ;   in Loop: Header=BB210_30 Depth=1
	s_or_b32 exec_lo, exec_lo, s25
	s_or_b32 s9, s3, s8
	;; [unrolled: 13-line block ×3, first 2 shown]
	v_cndmask_b32_e64 v125, 0, 0x7c00, s8
	s_nor_b32 s8, s8, s0
	s_and_saveexec_b32 s9, s8
	s_cbranch_execz .LBB210_38
; %bb.37:                               ;   in Loop: Header=BB210_30 Depth=1
	v_add_co_u32 v3, s8, v3, v43
	v_add_co_ci_u32_e64 v4, null, v4, v44, s8
	flat_load_ushort v3, v[3:4]
	s_waitcnt vmcnt(0) lgkmcnt(0)
	v_mul_f16_e32 v125, v47, v3
.LBB210_38:                             ;   in Loop: Header=BB210_30 Depth=1
	s_or_b32 exec_lo, exec_lo, s9
	v_add_nc_u32_e32 v14, s21, v99
	v_add_nc_u32_e32 v3, 8, v14
	v_cmp_le_i32_e64 s8, s14, v3
	s_or_b32 s8, s8, s7
	v_cndmask_b32_e64 v126, 0, 0x7c00, s8
	s_nor_b32 s8, s0, s8
	s_and_saveexec_b32 s9, s8
	s_cbranch_execz .LBB210_40
; %bb.39:                               ;   in Loop: Header=BB210_30 Depth=1
	v_add_co_u32 v3, s8, -8, v45
	v_add_co_ci_u32_e64 v4, null, -1, v46, s8
	flat_load_ushort v3, v[3:4]
	s_waitcnt vmcnt(0) lgkmcnt(0)
	v_mul_f16_e32 v126, v47, v3
.LBB210_40:                             ;   in Loop: Header=BB210_30 Depth=1
	s_or_b32 exec_lo, exec_lo, s9
	v_add_nc_u32_e32 v129, 12, v2
	ds_read2_b64 v[6:9], v119 offset1:32
	ds_read2_b64 v[2:5], v119 offset0:64 offset1:96
	ds_read2_b64 v[21:24], v119 offset0:128 offset1:160
	;; [unrolled: 1-line block ×3, first 2 shown]
	ds_read2_b64 v[33:36], v120 offset1:8
	v_min_i32_e32 v10, s24, v129
	v_cmp_le_i32_e64 s8, s14, v129
	v_mad_i64_i32 v[127:128], null, v10, s23, 0
	ds_read2_b64 v[29:32], v120 offset0:16 offset1:24
	ds_read2_b64 v[10:13], v120 offset0:32 offset1:40
	;; [unrolled: 1-line block ×3, first 2 shown]
	ds_write_b16 v103, v15
	ds_write_b16 v103, v16 offset:512
	ds_write_b16 v103, v124 offset:1024
	;; [unrolled: 1-line block ×3, first 2 shown]
	ds_write_b16 v115, v126
	s_waitcnt lgkmcnt(0)
	s_barrier
	buffer_gl0_inv
	v_lshlrev_b64 v[15:16], 1, v[127:128]
	v_add_co_u32 v15, s9, s18, v15
	v_add_co_ci_u32_e64 v16, null, s19, v16, s9
	s_or_b32 s9, vcc_lo, s8
	v_cndmask_b32_e64 v124, 0, 0x7c00, s9
	s_nor_b32 s9, s0, s9
	s_and_saveexec_b32 s25, s9
	s_cbranch_execz .LBB210_42
; %bb.41:                               ;   in Loop: Header=BB210_30 Depth=1
	v_add_co_u32 v124, s9, v15, v37
	v_add_co_ci_u32_e64 v125, null, v16, v38, s9
	flat_load_ushort v124, v[124:125]
	s_waitcnt vmcnt(0) lgkmcnt(0)
	v_mul_f16_e32 v124, v47, v124
.LBB210_42:                             ;   in Loop: Header=BB210_30 Depth=1
	s_or_b32 exec_lo, exec_lo, s25
	s_or_b32 s9, s2, s8
	v_cndmask_b32_e64 v125, 0, 0x7c00, s9
	s_nor_b32 s9, s9, s0
	s_and_saveexec_b32 s25, s9
	s_cbranch_execz .LBB210_44
; %bb.43:                               ;   in Loop: Header=BB210_30 Depth=1
	v_add_co_u32 v125, s9, v15, v39
	v_add_co_ci_u32_e64 v126, null, v16, v40, s9
	flat_load_ushort v125, v[125:126]
	s_waitcnt vmcnt(0) lgkmcnt(0)
	v_mul_f16_e32 v125, v47, v125
.LBB210_44:                             ;   in Loop: Header=BB210_30 Depth=1
	s_or_b32 exec_lo, exec_lo, s25
	s_or_b32 s9, s3, s8
	;; [unrolled: 13-line block ×3, first 2 shown]
	v_cndmask_b32_e64 v127, 0, 0x7c00, s8
	s_nor_b32 s8, s8, s0
	s_and_saveexec_b32 s9, s8
	s_cbranch_execz .LBB210_48
; %bb.47:                               ;   in Loop: Header=BB210_30 Depth=1
	v_add_co_u32 v15, s8, v15, v43
	v_add_co_ci_u32_e64 v16, null, v16, v44, s8
	flat_load_ushort v15, v[15:16]
	s_waitcnt vmcnt(0) lgkmcnt(0)
	v_mul_f16_e32 v127, v47, v15
.LBB210_48:                             ;   in Loop: Header=BB210_30 Depth=1
	s_or_b32 exec_lo, exec_lo, s9
	v_add_nc_u32_e32 v14, 12, v14
	v_cmp_le_i32_e64 s8, s14, v14
	s_or_b32 s8, s8, s7
	v_cndmask_b32_e64 v128, 0, 0x7c00, s8
	s_nor_b32 s9, s0, s8
	s_and_saveexec_b32 s8, s9
	s_cbranch_execz .LBB210_29
; %bb.49:                               ;   in Loop: Header=BB210_30 Depth=1
	flat_load_ushort v14, v[45:46]
	s_waitcnt vmcnt(0) lgkmcnt(0)
	v_mul_f16_e32 v128, v47, v14
	s_branch .LBB210_29
.LBB210_50:
	s_clause 0x2
	s_load_dword s14, s[4:5], 0x58
	s_load_dword s9, s[4:5], 0x70
	s_load_dwordx2 s[2:3], s[4:5], 0x78
	v_add_nc_u32_e32 v2, 0x800, v97
	v_add_nc_u32_e32 v4, 0x1000, v78
	;; [unrolled: 1-line block ×4, first 2 shown]
	ds_read2_b64 v[16:19], v2 offset1:32
	ds_read2_b64 v[12:15], v2 offset0:64 offset1:96
	ds_read2_b64 v[8:11], v2 offset0:128 offset1:160
	;; [unrolled: 1-line block ×7, first 2 shown]
	v_cmp_gt_i32_e64 s8, s13, v78
	v_cmp_gt_i32_e64 s0, s12, v32
	v_ashrrev_i32_e32 v33, 31, v32
	v_cndmask_b32_e64 v70, 0, 1, s1
	s_waitcnt lgkmcnt(0)
	v_mad_i64_i32 v[34:35], null, v78, s14, 0
	v_mad_i64_i32 v[36:37], null, v78, s9, 0
	s_lshl_b64 s[2:3], s[2:3], 1
	s_add_u32 s10, s10, s2
	s_addc_u32 s11, s11, s3
	v_lshlrev_b64 v[34:35], 1, v[34:35]
	s_and_b32 s3, s0, s8
	v_lshlrev_b64 v[36:37], 1, v[36:37]
	v_add_co_u32 v103, vcc_lo, s16, v34
	v_add_co_ci_u32_e64 v115, null, s17, v35, vcc_lo
	v_add_co_u32 v97, vcc_lo, s10, v36
	v_add_co_ci_u32_e64 v99, null, s11, v37, vcc_lo
	s_and_saveexec_b32 s2, s3
	s_cbranch_execz .LBB210_55
; %bb.51:
	s_andn2_b32 vcc_lo, exec_lo, s1
	s_cbranch_vccnz .LBB210_53
; %bb.52:
	v_lshlrev_b64 v[34:35], 1, v[32:33]
	v_add_co_u32 v34, vcc_lo, v103, v34
	v_add_co_ci_u32_e64 v35, null, v115, v35, vcc_lo
	flat_load_ushort v34, v[34:35]
	s_waitcnt vmcnt(0) lgkmcnt(0)
	v_mul_f16_e32 v34, v48, v34
	v_cvt_f32_f16_e32 v34, v34
	s_branch .LBB210_54
.LBB210_53:
	v_mov_b32_e32 v34, 0
.LBB210_54:
	v_pk_add_f16 v35, v16, v28
	v_pk_add_f16 v36, v17, v29
	v_max_f16_e32 v37, v123, v123
	v_lshrrev_b32_e32 v38, 16, v123
	v_max_f32_e32 v34, v34, v34
	v_lshrrev_b32_e32 v39, 16, v35
	v_lshrrev_b32_e32 v40, 16, v36
	v_min_f16_e32 v35, v37, v35
	v_min3_f16 v37, v38, v39, v40
	v_min3_f16 v35, v35, v36, v37
	v_cvt_f32_f16_e32 v35, v35
	v_min_f32_e32 v36, v34, v35
	v_lshlrev_b64 v[34:35], 1, v[32:33]
	v_cvt_f16_f32_e32 v36, v36
	v_add_co_u32 v34, vcc_lo, v97, v34
	v_add_co_ci_u32_e64 v35, null, v99, v35, vcc_lo
	flat_store_short v[34:35], v36
.LBB210_55:
	s_or_b32 exec_lo, exec_lo, s2
	v_add_nc_u32_e32 v34, 32, v32
	v_cmp_gt_i32_e64 s1, s12, v34
	v_ashrrev_i32_e32 v35, 31, v34
	s_and_b32 s3, s1, s8
	s_and_saveexec_b32 s2, s3
	s_cbranch_execz .LBB210_60
; %bb.56:
	v_cmp_ne_u32_e32 vcc_lo, 1, v70
	s_cbranch_vccnz .LBB210_58
; %bb.57:
	v_lshlrev_b64 v[36:37], 1, v[34:35]
	v_add_co_u32 v36, vcc_lo, v103, v36
	v_add_co_ci_u32_e64 v37, null, v115, v37, vcc_lo
	flat_load_ushort v36, v[36:37]
	s_waitcnt vmcnt(0) lgkmcnt(0)
	v_mul_f16_e32 v36, v48, v36
	v_cvt_f32_f16_e32 v36, v36
	s_branch .LBB210_59
.LBB210_58:
	v_mov_b32_e32 v36, 0
.LBB210_59:
	v_pk_add_f16 v37, v18, v28
	v_pk_add_f16 v38, v19, v29
	v_max_f16_e32 v39, v122, v122
	v_lshrrev_b32_e32 v40, 16, v122
	v_max_f32_e32 v36, v36, v36
	v_lshrrev_b32_e32 v41, 16, v37
	v_lshrrev_b32_e32 v42, 16, v38
	v_min_f16_e32 v37, v39, v37
	v_min3_f16 v39, v40, v41, v42
	v_min3_f16 v37, v37, v38, v39
	v_cvt_f32_f16_e32 v37, v37
	v_min_f32_e32 v38, v36, v37
	v_lshlrev_b64 v[36:37], 1, v[34:35]
	v_cvt_f16_f32_e32 v38, v38
	v_add_co_u32 v36, vcc_lo, v97, v36
	v_add_co_ci_u32_e64 v37, null, v99, v37, vcc_lo
	flat_store_short v[36:37], v38
.LBB210_60:
	s_or_b32 exec_lo, exec_lo, s2
	v_add_nc_u32_e32 v36, 64, v32
	v_cmp_gt_i32_e64 s2, s12, v36
	v_ashrrev_i32_e32 v37, 31, v36
	s_and_b32 s4, s2, s8
	s_and_saveexec_b32 s3, s4
	s_cbranch_execz .LBB210_65
; %bb.61:
	v_cmp_ne_u32_e32 vcc_lo, 1, v70
	s_cbranch_vccnz .LBB210_63
; %bb.62:
	v_lshlrev_b64 v[38:39], 1, v[36:37]
	v_add_co_u32 v38, vcc_lo, v103, v38
	v_add_co_ci_u32_e64 v39, null, v115, v39, vcc_lo
	flat_load_ushort v38, v[38:39]
	s_waitcnt vmcnt(0) lgkmcnt(0)
	v_mul_f16_e32 v38, v48, v38
	v_cvt_f32_f16_e32 v38, v38
	s_branch .LBB210_64
.LBB210_63:
	v_mov_b32_e32 v38, 0
.LBB210_64:
	v_pk_add_f16 v39, v12, v28
	v_pk_add_f16 v40, v13, v29
	v_max_f16_e32 v41, v121, v121
	v_lshrrev_b32_e32 v42, 16, v121
	v_max_f32_e32 v38, v38, v38
	v_lshrrev_b32_e32 v43, 16, v39
	v_lshrrev_b32_e32 v44, 16, v40
	v_min_f16_e32 v39, v41, v39
	v_min3_f16 v41, v42, v43, v44
	v_min3_f16 v39, v39, v40, v41
	v_cvt_f32_f16_e32 v39, v39
	v_min_f32_e32 v40, v38, v39
	v_lshlrev_b64 v[38:39], 1, v[36:37]
	v_cvt_f16_f32_e32 v40, v40
	v_add_co_u32 v38, vcc_lo, v97, v38
	v_add_co_ci_u32_e64 v39, null, v99, v39, vcc_lo
	flat_store_short v[38:39], v40
.LBB210_65:
	;; [unrolled: 40-line block ×6, first 2 shown]
	s_or_b32 exec_lo, exec_lo, s7
	v_add_nc_u32_e32 v46, 0xe0, v32
	v_cmp_gt_i32_e64 s7, s12, v46
	v_ashrrev_i32_e32 v47, 31, v46
	s_and_b32 s12, s7, s8
	s_and_saveexec_b32 s8, s12
	s_cbranch_execz .LBB210_90
; %bb.86:
	v_cmp_ne_u32_e32 vcc_lo, 1, v70
	s_cbranch_vccnz .LBB210_88
; %bb.87:
	v_lshlrev_b64 v[111:112], 1, v[46:47]
	v_add_co_u32 v111, vcc_lo, v103, v111
	v_add_co_ci_u32_e64 v112, null, v115, v112, vcc_lo
	flat_load_ushort v103, v[111:112]
	s_waitcnt vmcnt(0) lgkmcnt(0)
	v_mul_f16_e32 v103, v48, v103
	v_cvt_f32_f16_e32 v103, v103
	s_branch .LBB210_89
.LBB210_88:
	v_mov_b32_e32 v103, 0
.LBB210_89:
	v_pk_add_f16 v28, v2, v28
	v_pk_add_f16 v29, v3, v29
	v_max_f16_e32 v111, v110, v110
	v_lshrrev_b32_e32 v110, 16, v110
	v_lshrrev_b32_e32 v112, 16, v28
	;; [unrolled: 1-line block ×3, first 2 shown]
	v_min_f16_e32 v28, v111, v28
	v_min3_f16 v110, v110, v112, v113
	v_min3_f16 v28, v28, v29, v110
	v_max_f32_e32 v29, v103, v103
	v_cvt_f32_f16_e32 v28, v28
	v_min_f32_e32 v103, v29, v28
	v_lshlrev_b64 v[28:29], 1, v[46:47]
	v_cvt_f16_f32_e32 v103, v103
	v_add_co_u32 v28, vcc_lo, v97, v28
	v_add_co_ci_u32_e64 v29, null, v99, v29, vcc_lo
	flat_store_short v[28:29], v103
.LBB210_90:
	s_or_b32 exec_lo, exec_lo, s8
	v_add_nc_u32_e32 v97, 8, v78
	v_mad_i64_i32 v[28:29], null, v97, s14, 0
	v_mad_i64_i32 v[110:111], null, v97, s9, 0
	v_cmp_gt_i32_e64 s8, s13, v97
	v_lshlrev_b64 v[28:29], 1, v[28:29]
	s_and_b32 s15, s0, s8
	v_lshlrev_b64 v[110:111], 1, v[110:111]
	v_add_co_u32 v97, vcc_lo, s16, v28
	v_add_co_ci_u32_e64 v99, null, s17, v29, vcc_lo
	v_add_co_u32 v28, vcc_lo, s10, v110
	v_add_co_ci_u32_e64 v29, null, s11, v111, vcc_lo
	s_and_saveexec_b32 s12, s15
	s_cbranch_execnz .LBB210_98
; %bb.91:
	s_or_b32 exec_lo, exec_lo, s12
	s_and_b32 s15, s1, s8
	s_and_saveexec_b32 s12, s15
	s_cbranch_execnz .LBB210_102
.LBB210_92:
	s_or_b32 exec_lo, exec_lo, s12
	s_and_b32 s15, s2, s8
	s_and_saveexec_b32 s12, s15
	s_cbranch_execnz .LBB210_106
.LBB210_93:
	s_or_b32 exec_lo, exec_lo, s12
	s_and_b32 s15, s3, s8
	s_and_saveexec_b32 s12, s15
	s_cbranch_execnz .LBB210_110
.LBB210_94:
	s_or_b32 exec_lo, exec_lo, s12
	s_and_b32 s15, s4, s8
	s_and_saveexec_b32 s12, s15
	s_cbranch_execnz .LBB210_114
.LBB210_95:
	s_or_b32 exec_lo, exec_lo, s12
	s_and_b32 s15, s5, s8
	s_and_saveexec_b32 s12, s15
	s_cbranch_execnz .LBB210_118
.LBB210_96:
	s_or_b32 exec_lo, exec_lo, s12
	s_and_b32 s15, s6, s8
	s_and_saveexec_b32 s12, s15
	s_cbranch_execnz .LBB210_122
.LBB210_97:
	s_or_b32 exec_lo, exec_lo, s12
	s_and_b32 s12, s7, s8
	s_and_saveexec_b32 s8, s12
	s_cbranch_execnz .LBB210_126
	s_branch .LBB210_130
.LBB210_98:
	v_cmp_ne_u32_e32 vcc_lo, 1, v70
	s_cbranch_vccnz .LBB210_100
; %bb.99:
	v_lshlrev_b64 v[110:111], 1, v[32:33]
	v_add_co_u32 v110, vcc_lo, v97, v110
	v_add_co_ci_u32_e64 v111, null, v99, v111, vcc_lo
	flat_load_ushort v103, v[110:111]
	s_waitcnt vmcnt(0) lgkmcnt(0)
	v_mul_f16_e32 v103, v48, v103
	v_cvt_f32_f16_e32 v103, v103
	s_branch .LBB210_101
.LBB210_100:
	v_mov_b32_e32 v103, 0
.LBB210_101:
	v_pk_add_f16 v110, v16, v30
	v_pk_add_f16 v111, v17, v31
	v_max_f16_e32 v112, v109, v109
	v_lshrrev_b32_e32 v109, 16, v109
	v_max_f32_e32 v103, v103, v103
	v_lshrrev_b32_e32 v113, 16, v110
	v_lshrrev_b32_e32 v114, 16, v111
	v_min_f16_e32 v110, v112, v110
	v_min3_f16 v109, v109, v113, v114
	v_min3_f16 v109, v110, v111, v109
	v_cvt_f32_f16_e32 v109, v109
	v_min_f32_e32 v103, v103, v109
	v_lshlrev_b64 v[109:110], 1, v[32:33]
	v_cvt_f16_f32_e32 v103, v103
	v_add_co_u32 v109, vcc_lo, v28, v109
	v_add_co_ci_u32_e64 v110, null, v29, v110, vcc_lo
	flat_store_short v[109:110], v103
	s_or_b32 exec_lo, exec_lo, s12
	s_and_b32 s15, s1, s8
	s_and_saveexec_b32 s12, s15
	s_cbranch_execz .LBB210_92
.LBB210_102:
	v_cmp_ne_u32_e32 vcc_lo, 1, v70
	s_cbranch_vccnz .LBB210_104
; %bb.103:
	v_lshlrev_b64 v[109:110], 1, v[34:35]
	v_add_co_u32 v109, vcc_lo, v97, v109
	v_add_co_ci_u32_e64 v110, null, v99, v110, vcc_lo
	flat_load_ushort v103, v[109:110]
	s_waitcnt vmcnt(0) lgkmcnt(0)
	v_mul_f16_e32 v103, v48, v103
	v_cvt_f32_f16_e32 v103, v103
	s_branch .LBB210_105
.LBB210_104:
	v_mov_b32_e32 v103, 0
.LBB210_105:
	v_pk_add_f16 v109, v18, v30
	v_pk_add_f16 v110, v19, v31
	v_max_f16_e32 v111, v108, v108
	v_lshrrev_b32_e32 v108, 16, v108
	v_max_f32_e32 v103, v103, v103
	v_lshrrev_b32_e32 v112, 16, v109
	v_lshrrev_b32_e32 v113, 16, v110
	v_min_f16_e32 v109, v111, v109
	v_min3_f16 v108, v108, v112, v113
	v_min3_f16 v108, v109, v110, v108
	v_cvt_f32_f16_e32 v108, v108
	v_min_f32_e32 v103, v103, v108
	v_lshlrev_b64 v[108:109], 1, v[34:35]
	v_cvt_f16_f32_e32 v103, v103
	v_add_co_u32 v108, vcc_lo, v28, v108
	v_add_co_ci_u32_e64 v109, null, v29, v109, vcc_lo
	flat_store_short v[108:109], v103
	s_or_b32 exec_lo, exec_lo, s12
	s_and_b32 s15, s2, s8
	s_and_saveexec_b32 s12, s15
	s_cbranch_execz .LBB210_93
.LBB210_106:
	v_cmp_ne_u32_e32 vcc_lo, 1, v70
	s_cbranch_vccnz .LBB210_108
; %bb.107:
	v_lshlrev_b64 v[108:109], 1, v[36:37]
	v_add_co_u32 v108, vcc_lo, v97, v108
	v_add_co_ci_u32_e64 v109, null, v99, v109, vcc_lo
	flat_load_ushort v103, v[108:109]
	s_waitcnt vmcnt(0) lgkmcnt(0)
	v_mul_f16_e32 v103, v48, v103
	v_cvt_f32_f16_e32 v103, v103
	s_branch .LBB210_109
.LBB210_108:
	v_mov_b32_e32 v103, 0
.LBB210_109:
	v_pk_add_f16 v108, v12, v30
	v_pk_add_f16 v109, v13, v31
	v_max_f16_e32 v110, v107, v107
	v_lshrrev_b32_e32 v107, 16, v107
	v_max_f32_e32 v103, v103, v103
	v_lshrrev_b32_e32 v111, 16, v108
	v_lshrrev_b32_e32 v112, 16, v109
	v_min_f16_e32 v108, v110, v108
	v_min3_f16 v107, v107, v111, v112
	v_min3_f16 v107, v108, v109, v107
	v_cvt_f32_f16_e32 v107, v107
	v_min_f32_e32 v103, v103, v107
	v_lshlrev_b64 v[107:108], 1, v[36:37]
	v_cvt_f16_f32_e32 v103, v103
	v_add_co_u32 v107, vcc_lo, v28, v107
	v_add_co_ci_u32_e64 v108, null, v29, v108, vcc_lo
	flat_store_short v[107:108], v103
	s_or_b32 exec_lo, exec_lo, s12
	s_and_b32 s15, s3, s8
	s_and_saveexec_b32 s12, s15
	s_cbranch_execz .LBB210_94
.LBB210_110:
	v_cmp_ne_u32_e32 vcc_lo, 1, v70
	s_cbranch_vccnz .LBB210_112
; %bb.111:
	v_lshlrev_b64 v[107:108], 1, v[38:39]
	v_add_co_u32 v107, vcc_lo, v97, v107
	v_add_co_ci_u32_e64 v108, null, v99, v108, vcc_lo
	flat_load_ushort v103, v[107:108]
	s_waitcnt vmcnt(0) lgkmcnt(0)
	v_mul_f16_e32 v103, v48, v103
	v_cvt_f32_f16_e32 v103, v103
	s_branch .LBB210_113
.LBB210_112:
	v_mov_b32_e32 v103, 0
.LBB210_113:
	v_pk_add_f16 v107, v14, v30
	v_pk_add_f16 v108, v15, v31
	v_max_f16_e32 v109, v106, v106
	v_lshrrev_b32_e32 v106, 16, v106
	v_max_f32_e32 v103, v103, v103
	v_lshrrev_b32_e32 v110, 16, v107
	v_lshrrev_b32_e32 v111, 16, v108
	v_min_f16_e32 v107, v109, v107
	v_min3_f16 v106, v106, v110, v111
	v_min3_f16 v106, v107, v108, v106
	v_cvt_f32_f16_e32 v106, v106
	v_min_f32_e32 v103, v103, v106
	v_lshlrev_b64 v[106:107], 1, v[38:39]
	v_cvt_f16_f32_e32 v103, v103
	v_add_co_u32 v106, vcc_lo, v28, v106
	v_add_co_ci_u32_e64 v107, null, v29, v107, vcc_lo
	flat_store_short v[106:107], v103
	s_or_b32 exec_lo, exec_lo, s12
	s_and_b32 s15, s4, s8
	s_and_saveexec_b32 s12, s15
	s_cbranch_execz .LBB210_95
.LBB210_114:
	v_cmp_ne_u32_e32 vcc_lo, 1, v70
	s_cbranch_vccnz .LBB210_116
; %bb.115:
	v_lshlrev_b64 v[106:107], 1, v[40:41]
	v_add_co_u32 v106, vcc_lo, v97, v106
	v_add_co_ci_u32_e64 v107, null, v99, v107, vcc_lo
	flat_load_ushort v103, v[106:107]
	s_waitcnt vmcnt(0) lgkmcnt(0)
	v_mul_f16_e32 v103, v48, v103
	v_cvt_f32_f16_e32 v103, v103
	s_branch .LBB210_117
.LBB210_116:
	v_mov_b32_e32 v103, 0
.LBB210_117:
	v_pk_add_f16 v106, v8, v30
	v_pk_add_f16 v107, v9, v31
	v_max_f16_e32 v108, v105, v105
	v_lshrrev_b32_e32 v105, 16, v105
	v_max_f32_e32 v103, v103, v103
	v_lshrrev_b32_e32 v109, 16, v106
	v_lshrrev_b32_e32 v110, 16, v107
	v_min_f16_e32 v106, v108, v106
	v_min3_f16 v105, v105, v109, v110
	v_min3_f16 v105, v106, v107, v105
	v_cvt_f32_f16_e32 v105, v105
	v_min_f32_e32 v103, v103, v105
	v_lshlrev_b64 v[105:106], 1, v[40:41]
	v_cvt_f16_f32_e32 v103, v103
	v_add_co_u32 v105, vcc_lo, v28, v105
	v_add_co_ci_u32_e64 v106, null, v29, v106, vcc_lo
	flat_store_short v[105:106], v103
	s_or_b32 exec_lo, exec_lo, s12
	s_and_b32 s15, s5, s8
	s_and_saveexec_b32 s12, s15
	s_cbranch_execz .LBB210_96
.LBB210_118:
	v_cmp_ne_u32_e32 vcc_lo, 1, v70
	s_cbranch_vccnz .LBB210_120
; %bb.119:
	v_lshlrev_b64 v[105:106], 1, v[42:43]
	v_add_co_u32 v105, vcc_lo, v97, v105
	v_add_co_ci_u32_e64 v106, null, v99, v106, vcc_lo
	flat_load_ushort v103, v[105:106]
	s_waitcnt vmcnt(0) lgkmcnt(0)
	v_mul_f16_e32 v103, v48, v103
	v_cvt_f32_f16_e32 v103, v103
	s_branch .LBB210_121
.LBB210_120:
	v_mov_b32_e32 v103, 0
.LBB210_121:
	v_pk_add_f16 v105, v10, v30
	v_pk_add_f16 v106, v11, v31
	v_max_f16_e32 v107, v104, v104
	v_lshrrev_b32_e32 v104, 16, v104
	v_max_f32_e32 v103, v103, v103
	v_lshrrev_b32_e32 v108, 16, v105
	v_lshrrev_b32_e32 v109, 16, v106
	v_min_f16_e32 v105, v107, v105
	v_min3_f16 v104, v104, v108, v109
	v_min3_f16 v104, v105, v106, v104
	v_cvt_f32_f16_e32 v104, v104
	v_min_f32_e32 v105, v103, v104
	v_lshlrev_b64 v[103:104], 1, v[42:43]
	v_cvt_f16_f32_e32 v105, v105
	v_add_co_u32 v103, vcc_lo, v28, v103
	v_add_co_ci_u32_e64 v104, null, v29, v104, vcc_lo
	flat_store_short v[103:104], v105
	s_or_b32 exec_lo, exec_lo, s12
	s_and_b32 s15, s6, s8
	s_and_saveexec_b32 s12, s15
	s_cbranch_execz .LBB210_97
.LBB210_122:
	v_cmp_ne_u32_e32 vcc_lo, 1, v70
	s_cbranch_vccnz .LBB210_124
; %bb.123:
	v_lshlrev_b64 v[103:104], 1, v[44:45]
	v_add_co_u32 v103, vcc_lo, v97, v103
	v_add_co_ci_u32_e64 v104, null, v99, v104, vcc_lo
	flat_load_ushort v103, v[103:104]
	s_waitcnt vmcnt(0) lgkmcnt(0)
	v_mul_f16_e32 v103, v48, v103
	v_cvt_f32_f16_e32 v103, v103
	s_branch .LBB210_125
.LBB210_124:
	v_mov_b32_e32 v103, 0
.LBB210_125:
	v_pk_add_f16 v104, v0, v30
	v_pk_add_f16 v105, v1, v31
	v_max_f16_e32 v106, v102, v102
	v_lshrrev_b32_e32 v102, 16, v102
	v_max_f32_e32 v103, v103, v103
	v_lshrrev_b32_e32 v107, 16, v104
	v_lshrrev_b32_e32 v108, 16, v105
	v_min_f16_e32 v104, v106, v104
	v_min3_f16 v102, v102, v107, v108
	v_min3_f16 v102, v104, v105, v102
	v_cvt_f32_f16_e32 v102, v102
	v_min_f32_e32 v104, v103, v102
	v_lshlrev_b64 v[102:103], 1, v[44:45]
	v_cvt_f16_f32_e32 v104, v104
	v_add_co_u32 v102, vcc_lo, v28, v102
	v_add_co_ci_u32_e64 v103, null, v29, v103, vcc_lo
	flat_store_short v[102:103], v104
	s_or_b32 exec_lo, exec_lo, s12
	s_and_b32 s12, s7, s8
	s_and_saveexec_b32 s8, s12
	s_cbranch_execz .LBB210_130
.LBB210_126:
	v_cmp_ne_u32_e32 vcc_lo, 1, v70
	s_cbranch_vccnz .LBB210_128
; %bb.127:
	v_lshlrev_b64 v[102:103], 1, v[46:47]
	v_add_co_u32 v102, vcc_lo, v97, v102
	v_add_co_ci_u32_e64 v103, null, v99, v103, vcc_lo
	flat_load_ushort v97, v[102:103]
	s_waitcnt vmcnt(0) lgkmcnt(0)
	v_mul_f16_e32 v97, v48, v97
	v_cvt_f32_f16_e32 v97, v97
	s_branch .LBB210_129
.LBB210_128:
	v_mov_b32_e32 v97, 0
.LBB210_129:
	v_pk_add_f16 v30, v2, v30
	v_pk_add_f16 v31, v3, v31
	v_max_f16_e32 v99, v101, v101
	v_lshrrev_b32_e32 v101, 16, v101
	v_lshrrev_b32_e32 v102, 16, v30
	;; [unrolled: 1-line block ×3, first 2 shown]
	v_min_f16_e32 v30, v99, v30
	v_min3_f16 v99, v101, v102, v103
	v_min3_f16 v30, v30, v31, v99
	v_max_f32_e32 v31, v97, v97
	v_cvt_f32_f16_e32 v30, v30
	v_min_f32_e32 v97, v31, v30
	v_lshlrev_b64 v[30:31], 1, v[46:47]
	v_cvt_f16_f32_e32 v97, v97
	v_add_co_u32 v28, vcc_lo, v28, v30
	v_add_co_ci_u32_e64 v29, null, v29, v31, vcc_lo
	flat_store_short v[28:29], v97
.LBB210_130:
	s_or_b32 exec_lo, exec_lo, s8
	v_add_nc_u32_e32 v97, 16, v78
	v_mad_i64_i32 v[28:29], null, v97, s14, 0
	v_mad_i64_i32 v[30:31], null, v97, s9, 0
	v_cmp_gt_i32_e64 s8, s13, v97
	v_lshlrev_b64 v[28:29], 1, v[28:29]
	s_and_b32 s15, s0, s8
	v_lshlrev_b64 v[101:102], 1, v[30:31]
	v_add_co_u32 v30, vcc_lo, s16, v28
	v_add_co_ci_u32_e64 v31, null, s17, v29, vcc_lo
	v_add_co_u32 v28, vcc_lo, s10, v101
	v_add_co_ci_u32_e64 v29, null, s11, v102, vcc_lo
	s_and_saveexec_b32 s12, s15
	s_cbranch_execnz .LBB210_138
; %bb.131:
	s_or_b32 exec_lo, exec_lo, s12
	s_and_b32 s15, s1, s8
	s_and_saveexec_b32 s12, s15
	s_cbranch_execnz .LBB210_142
.LBB210_132:
	s_or_b32 exec_lo, exec_lo, s12
	s_and_b32 s15, s2, s8
	s_and_saveexec_b32 s12, s15
	s_cbranch_execnz .LBB210_146
.LBB210_133:
	s_or_b32 exec_lo, exec_lo, s12
	s_and_b32 s15, s3, s8
	s_and_saveexec_b32 s12, s15
	s_cbranch_execnz .LBB210_150
.LBB210_134:
	s_or_b32 exec_lo, exec_lo, s12
	s_and_b32 s15, s4, s8
	s_and_saveexec_b32 s12, s15
	s_cbranch_execnz .LBB210_154
.LBB210_135:
	s_or_b32 exec_lo, exec_lo, s12
	s_and_b32 s15, s5, s8
	s_and_saveexec_b32 s12, s15
	s_cbranch_execnz .LBB210_158
.LBB210_136:
	s_or_b32 exec_lo, exec_lo, s12
	s_and_b32 s15, s6, s8
	s_and_saveexec_b32 s12, s15
	s_cbranch_execnz .LBB210_162
.LBB210_137:
	s_or_b32 exec_lo, exec_lo, s12
	s_and_b32 s12, s7, s8
	s_and_saveexec_b32 s8, s12
	s_cbranch_execnz .LBB210_166
	s_branch .LBB210_170
.LBB210_138:
	v_cmp_ne_u32_e32 vcc_lo, 1, v70
	s_cbranch_vccnz .LBB210_140
; %bb.139:
	v_lshlrev_b64 v[101:102], 1, v[32:33]
	v_add_co_u32 v101, vcc_lo, v30, v101
	v_add_co_ci_u32_e64 v102, null, v31, v102, vcc_lo
	flat_load_ushort v97, v[101:102]
	s_waitcnt vmcnt(0) lgkmcnt(0)
	v_mul_f16_e32 v97, v48, v97
	v_cvt_f32_f16_e32 v97, v97
	s_branch .LBB210_141
.LBB210_140:
	v_mov_b32_e32 v97, 0
.LBB210_141:
	v_pk_add_f16 v99, v16, v24
	v_pk_add_f16 v101, v17, v25
	v_max_f16_e32 v102, v100, v100
	v_lshrrev_b32_e32 v100, 16, v100
	v_max_f32_e32 v97, v97, v97
	v_lshrrev_b32_e32 v103, 16, v99
	v_lshrrev_b32_e32 v104, 16, v101
	v_min_f16_e32 v99, v102, v99
	v_min3_f16 v100, v100, v103, v104
	v_min3_f16 v99, v99, v101, v100
	v_cvt_f32_f16_e32 v99, v99
	v_min_f32_e32 v97, v97, v99
	v_lshlrev_b64 v[99:100], 1, v[32:33]
	v_cvt_f16_f32_e32 v97, v97
	v_add_co_u32 v99, vcc_lo, v28, v99
	v_add_co_ci_u32_e64 v100, null, v29, v100, vcc_lo
	flat_store_short v[99:100], v97
	s_or_b32 exec_lo, exec_lo, s12
	s_and_b32 s15, s1, s8
	s_and_saveexec_b32 s12, s15
	s_cbranch_execz .LBB210_132
.LBB210_142:
	v_cmp_ne_u32_e32 vcc_lo, 1, v70
	s_cbranch_vccnz .LBB210_144
; %bb.143:
	v_lshlrev_b64 v[99:100], 1, v[34:35]
	v_add_co_u32 v99, vcc_lo, v30, v99
	v_add_co_ci_u32_e64 v100, null, v31, v100, vcc_lo
	flat_load_ushort v97, v[99:100]
	s_waitcnt vmcnt(0) lgkmcnt(0)
	v_mul_f16_e32 v97, v48, v97
	v_cvt_f32_f16_e32 v97, v97
	s_branch .LBB210_145
.LBB210_144:
	v_mov_b32_e32 v97, 0
.LBB210_145:
	v_pk_add_f16 v99, v18, v24
	v_pk_add_f16 v100, v19, v25
	v_max_f16_e32 v101, v98, v98
	v_lshrrev_b32_e32 v98, 16, v98
	v_max_f32_e32 v97, v97, v97
	v_lshrrev_b32_e32 v102, 16, v99
	v_lshrrev_b32_e32 v103, 16, v100
	v_min_f16_e32 v99, v101, v99
	v_min3_f16 v98, v98, v102, v103
	v_min3_f16 v98, v99, v100, v98
	v_cvt_f32_f16_e32 v98, v98
	v_min_f32_e32 v99, v97, v98
	v_lshlrev_b64 v[97:98], 1, v[34:35]
	v_cvt_f16_f32_e32 v99, v99
	v_add_co_u32 v97, vcc_lo, v28, v97
	v_add_co_ci_u32_e64 v98, null, v29, v98, vcc_lo
	flat_store_short v[97:98], v99
	s_or_b32 exec_lo, exec_lo, s12
	s_and_b32 s15, s2, s8
	s_and_saveexec_b32 s12, s15
	s_cbranch_execz .LBB210_133
.LBB210_146:
	v_cmp_ne_u32_e32 vcc_lo, 1, v70
	s_cbranch_vccnz .LBB210_148
; %bb.147:
	v_lshlrev_b64 v[97:98], 1, v[36:37]
	v_add_co_u32 v97, vcc_lo, v30, v97
	v_add_co_ci_u32_e64 v98, null, v31, v98, vcc_lo
	flat_load_ushort v97, v[97:98]
	s_waitcnt vmcnt(0) lgkmcnt(0)
	v_mul_f16_e32 v97, v48, v97
	v_cvt_f32_f16_e32 v97, v97
	s_branch .LBB210_149
.LBB210_148:
	v_mov_b32_e32 v97, 0
.LBB210_149:
	v_pk_add_f16 v98, v12, v24
	v_pk_add_f16 v99, v13, v25
	v_max_f16_e32 v100, v96, v96
	v_lshrrev_b32_e32 v96, 16, v96
	v_max_f32_e32 v97, v97, v97
	v_lshrrev_b32_e32 v101, 16, v98
	v_lshrrev_b32_e32 v102, 16, v99
	v_min_f16_e32 v98, v100, v98
	v_min3_f16 v96, v96, v101, v102
	v_min3_f16 v96, v98, v99, v96
	v_cvt_f32_f16_e32 v96, v96
	v_min_f32_e32 v98, v97, v96
	v_lshlrev_b64 v[96:97], 1, v[36:37]
	v_cvt_f16_f32_e32 v98, v98
	v_add_co_u32 v96, vcc_lo, v28, v96
	v_add_co_ci_u32_e64 v97, null, v29, v97, vcc_lo
	flat_store_short v[96:97], v98
	s_or_b32 exec_lo, exec_lo, s12
	s_and_b32 s15, s3, s8
	s_and_saveexec_b32 s12, s15
	s_cbranch_execz .LBB210_134
.LBB210_150:
	v_cmp_ne_u32_e32 vcc_lo, 1, v70
	s_cbranch_vccnz .LBB210_152
; %bb.151:
	v_lshlrev_b64 v[96:97], 1, v[38:39]
	v_add_co_u32 v96, vcc_lo, v30, v96
	v_add_co_ci_u32_e64 v97, null, v31, v97, vcc_lo
	flat_load_ushort v96, v[96:97]
	s_waitcnt vmcnt(0) lgkmcnt(0)
	v_mul_f16_e32 v96, v48, v96
	v_cvt_f32_f16_e32 v96, v96
	s_branch .LBB210_153
.LBB210_152:
	v_mov_b32_e32 v96, 0
.LBB210_153:
	v_pk_add_f16 v97, v14, v24
	v_pk_add_f16 v98, v15, v25
	v_max_f16_e32 v99, v95, v95
	v_lshrrev_b32_e32 v95, 16, v95
	v_max_f32_e32 v96, v96, v96
	v_lshrrev_b32_e32 v100, 16, v97
	v_lshrrev_b32_e32 v101, 16, v98
	v_min_f16_e32 v97, v99, v97
	v_min3_f16 v95, v95, v100, v101
	v_min3_f16 v95, v97, v98, v95
	v_cvt_f32_f16_e32 v95, v95
	v_min_f32_e32 v97, v96, v95
	v_lshlrev_b64 v[95:96], 1, v[38:39]
	v_cvt_f16_f32_e32 v97, v97
	v_add_co_u32 v95, vcc_lo, v28, v95
	v_add_co_ci_u32_e64 v96, null, v29, v96, vcc_lo
	flat_store_short v[95:96], v97
	s_or_b32 exec_lo, exec_lo, s12
	s_and_b32 s15, s4, s8
	s_and_saveexec_b32 s12, s15
	s_cbranch_execz .LBB210_135
.LBB210_154:
	v_cmp_ne_u32_e32 vcc_lo, 1, v70
	s_cbranch_vccnz .LBB210_156
; %bb.155:
	v_lshlrev_b64 v[95:96], 1, v[40:41]
	v_add_co_u32 v95, vcc_lo, v30, v95
	v_add_co_ci_u32_e64 v96, null, v31, v96, vcc_lo
	flat_load_ushort v95, v[95:96]
	s_waitcnt vmcnt(0) lgkmcnt(0)
	v_mul_f16_e32 v95, v48, v95
	v_cvt_f32_f16_e32 v95, v95
	s_branch .LBB210_157
.LBB210_156:
	v_mov_b32_e32 v95, 0
.LBB210_157:
	v_pk_add_f16 v96, v8, v24
	v_pk_add_f16 v97, v9, v25
	v_max_f16_e32 v98, v94, v94
	v_lshrrev_b32_e32 v94, 16, v94
	v_max_f32_e32 v95, v95, v95
	v_lshrrev_b32_e32 v99, 16, v96
	v_lshrrev_b32_e32 v100, 16, v97
	v_min_f16_e32 v96, v98, v96
	v_min3_f16 v94, v94, v99, v100
	v_min3_f16 v94, v96, v97, v94
	v_cvt_f32_f16_e32 v94, v94
	v_min_f32_e32 v96, v95, v94
	v_lshlrev_b64 v[94:95], 1, v[40:41]
	v_cvt_f16_f32_e32 v96, v96
	v_add_co_u32 v94, vcc_lo, v28, v94
	v_add_co_ci_u32_e64 v95, null, v29, v95, vcc_lo
	flat_store_short v[94:95], v96
	s_or_b32 exec_lo, exec_lo, s12
	s_and_b32 s15, s5, s8
	s_and_saveexec_b32 s12, s15
	s_cbranch_execz .LBB210_136
.LBB210_158:
	v_cmp_ne_u32_e32 vcc_lo, 1, v70
	s_cbranch_vccnz .LBB210_160
; %bb.159:
	v_lshlrev_b64 v[94:95], 1, v[42:43]
	v_add_co_u32 v94, vcc_lo, v30, v94
	v_add_co_ci_u32_e64 v95, null, v31, v95, vcc_lo
	flat_load_ushort v94, v[94:95]
	s_waitcnt vmcnt(0) lgkmcnt(0)
	v_mul_f16_e32 v94, v48, v94
	v_cvt_f32_f16_e32 v94, v94
	s_branch .LBB210_161
.LBB210_160:
	v_mov_b32_e32 v94, 0
.LBB210_161:
	v_pk_add_f16 v95, v10, v24
	v_pk_add_f16 v96, v11, v25
	v_max_f16_e32 v97, v93, v93
	v_lshrrev_b32_e32 v93, 16, v93
	v_max_f32_e32 v94, v94, v94
	v_lshrrev_b32_e32 v98, 16, v95
	v_lshrrev_b32_e32 v99, 16, v96
	v_min_f16_e32 v95, v97, v95
	v_min3_f16 v93, v93, v98, v99
	v_min3_f16 v93, v95, v96, v93
	v_cvt_f32_f16_e32 v93, v93
	v_min_f32_e32 v95, v94, v93
	v_lshlrev_b64 v[93:94], 1, v[42:43]
	v_cvt_f16_f32_e32 v95, v95
	v_add_co_u32 v93, vcc_lo, v28, v93
	v_add_co_ci_u32_e64 v94, null, v29, v94, vcc_lo
	flat_store_short v[93:94], v95
	s_or_b32 exec_lo, exec_lo, s12
	s_and_b32 s15, s6, s8
	s_and_saveexec_b32 s12, s15
	s_cbranch_execz .LBB210_137
.LBB210_162:
	v_cmp_ne_u32_e32 vcc_lo, 1, v70
	s_cbranch_vccnz .LBB210_164
; %bb.163:
	v_lshlrev_b64 v[93:94], 1, v[44:45]
	v_add_co_u32 v93, vcc_lo, v30, v93
	v_add_co_ci_u32_e64 v94, null, v31, v94, vcc_lo
	flat_load_ushort v93, v[93:94]
	s_waitcnt vmcnt(0) lgkmcnt(0)
	v_mul_f16_e32 v93, v48, v93
	v_cvt_f32_f16_e32 v93, v93
	s_branch .LBB210_165
.LBB210_164:
	v_mov_b32_e32 v93, 0
.LBB210_165:
	v_pk_add_f16 v94, v0, v24
	v_pk_add_f16 v95, v1, v25
	v_max_f16_e32 v96, v92, v92
	v_lshrrev_b32_e32 v92, 16, v92
	v_max_f32_e32 v93, v93, v93
	v_lshrrev_b32_e32 v97, 16, v94
	v_lshrrev_b32_e32 v98, 16, v95
	v_min_f16_e32 v94, v96, v94
	v_min3_f16 v92, v92, v97, v98
	v_min3_f16 v92, v94, v95, v92
	v_cvt_f32_f16_e32 v92, v92
	v_min_f32_e32 v94, v93, v92
	v_lshlrev_b64 v[92:93], 1, v[44:45]
	v_cvt_f16_f32_e32 v94, v94
	v_add_co_u32 v92, vcc_lo, v28, v92
	v_add_co_ci_u32_e64 v93, null, v29, v93, vcc_lo
	flat_store_short v[92:93], v94
	s_or_b32 exec_lo, exec_lo, s12
	s_and_b32 s12, s7, s8
	s_and_saveexec_b32 s8, s12
	s_cbranch_execz .LBB210_170
.LBB210_166:
	v_cmp_ne_u32_e32 vcc_lo, 1, v70
	s_cbranch_vccnz .LBB210_168
; %bb.167:
	v_lshlrev_b64 v[92:93], 1, v[46:47]
	v_add_co_u32 v30, vcc_lo, v30, v92
	v_add_co_ci_u32_e64 v31, null, v31, v93, vcc_lo
	flat_load_ushort v30, v[30:31]
	s_waitcnt vmcnt(0) lgkmcnt(0)
	v_mul_f16_e32 v30, v48, v30
	v_cvt_f32_f16_e32 v30, v30
	s_branch .LBB210_169
.LBB210_168:
	v_mov_b32_e32 v30, 0
.LBB210_169:
	v_pk_add_f16 v24, v2, v24
	v_pk_add_f16 v25, v3, v25
	v_max_f16_e32 v31, v91, v91
	v_lshrrev_b32_e32 v91, 16, v91
	v_lshrrev_b32_e32 v92, 16, v24
	;; [unrolled: 1-line block ×3, first 2 shown]
	v_min_f16_e32 v24, v31, v24
	v_min3_f16 v31, v91, v92, v93
	v_min3_f16 v24, v24, v25, v31
	v_max_f32_e32 v25, v30, v30
	v_cvt_f32_f16_e32 v24, v24
	v_min_f32_e32 v30, v25, v24
	v_lshlrev_b64 v[24:25], 1, v[46:47]
	v_cvt_f16_f32_e32 v30, v30
	v_add_co_u32 v24, vcc_lo, v28, v24
	v_add_co_ci_u32_e64 v25, null, v29, v25, vcc_lo
	flat_store_short v[24:25], v30
.LBB210_170:
	s_or_b32 exec_lo, exec_lo, s8
	v_add_nc_u32_e32 v30, 24, v78
	v_mad_i64_i32 v[24:25], null, v30, s14, 0
	v_mad_i64_i32 v[28:29], null, v30, s9, 0
	v_cmp_gt_i32_e64 s8, s13, v30
	v_lshlrev_b64 v[24:25], 1, v[24:25]
	s_and_b32 s15, s0, s8
	v_lshlrev_b64 v[30:31], 1, v[28:29]
	v_add_co_u32 v28, vcc_lo, s16, v24
	v_add_co_ci_u32_e64 v29, null, s17, v25, vcc_lo
	v_add_co_u32 v24, vcc_lo, s10, v30
	v_add_co_ci_u32_e64 v25, null, s11, v31, vcc_lo
	s_and_saveexec_b32 s12, s15
	s_cbranch_execnz .LBB210_178
; %bb.171:
	s_or_b32 exec_lo, exec_lo, s12
	s_and_b32 s15, s1, s8
	s_and_saveexec_b32 s12, s15
	s_cbranch_execnz .LBB210_182
.LBB210_172:
	s_or_b32 exec_lo, exec_lo, s12
	s_and_b32 s15, s2, s8
	s_and_saveexec_b32 s12, s15
	s_cbranch_execnz .LBB210_186
.LBB210_173:
	s_or_b32 exec_lo, exec_lo, s12
	s_and_b32 s15, s3, s8
	s_and_saveexec_b32 s12, s15
	s_cbranch_execnz .LBB210_190
.LBB210_174:
	s_or_b32 exec_lo, exec_lo, s12
	s_and_b32 s15, s4, s8
	s_and_saveexec_b32 s12, s15
	s_cbranch_execnz .LBB210_194
.LBB210_175:
	s_or_b32 exec_lo, exec_lo, s12
	s_and_b32 s15, s5, s8
	s_and_saveexec_b32 s12, s15
	s_cbranch_execnz .LBB210_198
.LBB210_176:
	s_or_b32 exec_lo, exec_lo, s12
	s_and_b32 s15, s6, s8
	s_and_saveexec_b32 s12, s15
	s_cbranch_execnz .LBB210_202
.LBB210_177:
	s_or_b32 exec_lo, exec_lo, s12
	s_and_b32 s12, s7, s8
	s_and_saveexec_b32 s8, s12
	s_cbranch_execnz .LBB210_206
	s_branch .LBB210_210
.LBB210_178:
	v_cmp_ne_u32_e32 vcc_lo, 1, v70
	s_cbranch_vccnz .LBB210_180
; %bb.179:
	v_lshlrev_b64 v[30:31], 1, v[32:33]
	v_add_co_u32 v30, vcc_lo, v28, v30
	v_add_co_ci_u32_e64 v31, null, v29, v31, vcc_lo
	flat_load_ushort v30, v[30:31]
	s_waitcnt vmcnt(0) lgkmcnt(0)
	v_mul_f16_e32 v30, v48, v30
	v_cvt_f32_f16_e32 v30, v30
	s_branch .LBB210_181
.LBB210_180:
	v_mov_b32_e32 v30, 0
.LBB210_181:
	v_pk_add_f16 v31, v16, v26
	v_pk_add_f16 v91, v17, v27
	v_max_f16_e32 v92, v90, v90
	v_lshrrev_b32_e32 v90, 16, v90
	v_max_f32_e32 v30, v30, v30
	v_lshrrev_b32_e32 v93, 16, v31
	v_lshrrev_b32_e32 v94, 16, v91
	v_min_f16_e32 v31, v92, v31
	v_min3_f16 v90, v90, v93, v94
	v_min3_f16 v31, v31, v91, v90
	v_cvt_f32_f16_e32 v31, v31
	v_min_f32_e32 v90, v30, v31
	v_lshlrev_b64 v[30:31], 1, v[32:33]
	v_cvt_f16_f32_e32 v90, v90
	v_add_co_u32 v30, vcc_lo, v24, v30
	v_add_co_ci_u32_e64 v31, null, v25, v31, vcc_lo
	flat_store_short v[30:31], v90
	s_or_b32 exec_lo, exec_lo, s12
	s_and_b32 s15, s1, s8
	s_and_saveexec_b32 s12, s15
	s_cbranch_execz .LBB210_172
.LBB210_182:
	v_cmp_ne_u32_e32 vcc_lo, 1, v70
	s_cbranch_vccnz .LBB210_184
; %bb.183:
	v_lshlrev_b64 v[30:31], 1, v[34:35]
	v_add_co_u32 v30, vcc_lo, v28, v30
	v_add_co_ci_u32_e64 v31, null, v29, v31, vcc_lo
	flat_load_ushort v30, v[30:31]
	s_waitcnt vmcnt(0) lgkmcnt(0)
	v_mul_f16_e32 v30, v48, v30
	v_cvt_f32_f16_e32 v30, v30
	s_branch .LBB210_185
.LBB210_184:
	v_mov_b32_e32 v30, 0
.LBB210_185:
	v_pk_add_f16 v31, v18, v26
	v_pk_add_f16 v90, v19, v27
	v_max_f16_e32 v91, v89, v89
	v_lshrrev_b32_e32 v89, 16, v89
	v_max_f32_e32 v30, v30, v30
	v_lshrrev_b32_e32 v92, 16, v31
	v_lshrrev_b32_e32 v93, 16, v90
	v_min_f16_e32 v31, v91, v31
	v_min3_f16 v89, v89, v92, v93
	v_min3_f16 v31, v31, v90, v89
	v_cvt_f32_f16_e32 v31, v31
	v_min_f32_e32 v89, v30, v31
	v_lshlrev_b64 v[30:31], 1, v[34:35]
	v_cvt_f16_f32_e32 v89, v89
	v_add_co_u32 v30, vcc_lo, v24, v30
	v_add_co_ci_u32_e64 v31, null, v25, v31, vcc_lo
	flat_store_short v[30:31], v89
	s_or_b32 exec_lo, exec_lo, s12
	s_and_b32 s15, s2, s8
	s_and_saveexec_b32 s12, s15
	s_cbranch_execz .LBB210_173
.LBB210_186:
	v_cmp_ne_u32_e32 vcc_lo, 1, v70
	s_cbranch_vccnz .LBB210_188
; %bb.187:
	v_lshlrev_b64 v[30:31], 1, v[36:37]
	v_add_co_u32 v30, vcc_lo, v28, v30
	v_add_co_ci_u32_e64 v31, null, v29, v31, vcc_lo
	flat_load_ushort v30, v[30:31]
	s_waitcnt vmcnt(0) lgkmcnt(0)
	v_mul_f16_e32 v30, v48, v30
	v_cvt_f32_f16_e32 v30, v30
	s_branch .LBB210_189
.LBB210_188:
	v_mov_b32_e32 v30, 0
.LBB210_189:
	v_pk_add_f16 v31, v12, v26
	v_pk_add_f16 v89, v13, v27
	v_max_f16_e32 v90, v88, v88
	v_lshrrev_b32_e32 v88, 16, v88
	v_max_f32_e32 v30, v30, v30
	v_lshrrev_b32_e32 v91, 16, v31
	v_lshrrev_b32_e32 v92, 16, v89
	v_min_f16_e32 v31, v90, v31
	v_min3_f16 v88, v88, v91, v92
	v_min3_f16 v31, v31, v89, v88
	v_cvt_f32_f16_e32 v31, v31
	v_min_f32_e32 v88, v30, v31
	v_lshlrev_b64 v[30:31], 1, v[36:37]
	v_cvt_f16_f32_e32 v88, v88
	v_add_co_u32 v30, vcc_lo, v24, v30
	v_add_co_ci_u32_e64 v31, null, v25, v31, vcc_lo
	flat_store_short v[30:31], v88
	s_or_b32 exec_lo, exec_lo, s12
	s_and_b32 s15, s3, s8
	s_and_saveexec_b32 s12, s15
	s_cbranch_execz .LBB210_174
.LBB210_190:
	v_cmp_ne_u32_e32 vcc_lo, 1, v70
	s_cbranch_vccnz .LBB210_192
; %bb.191:
	v_lshlrev_b64 v[30:31], 1, v[38:39]
	v_add_co_u32 v30, vcc_lo, v28, v30
	v_add_co_ci_u32_e64 v31, null, v29, v31, vcc_lo
	flat_load_ushort v30, v[30:31]
	s_waitcnt vmcnt(0) lgkmcnt(0)
	v_mul_f16_e32 v30, v48, v30
	v_cvt_f32_f16_e32 v30, v30
	s_branch .LBB210_193
.LBB210_192:
	v_mov_b32_e32 v30, 0
.LBB210_193:
	v_pk_add_f16 v31, v14, v26
	v_pk_add_f16 v88, v15, v27
	v_max_f16_e32 v89, v87, v87
	v_lshrrev_b32_e32 v87, 16, v87
	v_max_f32_e32 v30, v30, v30
	v_lshrrev_b32_e32 v90, 16, v31
	v_lshrrev_b32_e32 v91, 16, v88
	v_min_f16_e32 v31, v89, v31
	v_min3_f16 v87, v87, v90, v91
	v_min3_f16 v31, v31, v88, v87
	v_cvt_f32_f16_e32 v31, v31
	v_min_f32_e32 v87, v30, v31
	v_lshlrev_b64 v[30:31], 1, v[38:39]
	v_cvt_f16_f32_e32 v87, v87
	v_add_co_u32 v30, vcc_lo, v24, v30
	v_add_co_ci_u32_e64 v31, null, v25, v31, vcc_lo
	flat_store_short v[30:31], v87
	s_or_b32 exec_lo, exec_lo, s12
	s_and_b32 s15, s4, s8
	s_and_saveexec_b32 s12, s15
	s_cbranch_execz .LBB210_175
.LBB210_194:
	v_cmp_ne_u32_e32 vcc_lo, 1, v70
	s_cbranch_vccnz .LBB210_196
; %bb.195:
	v_lshlrev_b64 v[30:31], 1, v[40:41]
	v_add_co_u32 v30, vcc_lo, v28, v30
	v_add_co_ci_u32_e64 v31, null, v29, v31, vcc_lo
	flat_load_ushort v30, v[30:31]
	s_waitcnt vmcnt(0) lgkmcnt(0)
	v_mul_f16_e32 v30, v48, v30
	v_cvt_f32_f16_e32 v30, v30
	s_branch .LBB210_197
.LBB210_196:
	v_mov_b32_e32 v30, 0
.LBB210_197:
	v_pk_add_f16 v31, v8, v26
	v_pk_add_f16 v87, v9, v27
	v_max_f16_e32 v88, v86, v86
	v_lshrrev_b32_e32 v86, 16, v86
	v_max_f32_e32 v30, v30, v30
	v_lshrrev_b32_e32 v89, 16, v31
	v_lshrrev_b32_e32 v90, 16, v87
	v_min_f16_e32 v31, v88, v31
	v_min3_f16 v86, v86, v89, v90
	v_min3_f16 v31, v31, v87, v86
	v_cvt_f32_f16_e32 v31, v31
	v_min_f32_e32 v86, v30, v31
	v_lshlrev_b64 v[30:31], 1, v[40:41]
	v_cvt_f16_f32_e32 v86, v86
	v_add_co_u32 v30, vcc_lo, v24, v30
	v_add_co_ci_u32_e64 v31, null, v25, v31, vcc_lo
	flat_store_short v[30:31], v86
	s_or_b32 exec_lo, exec_lo, s12
	s_and_b32 s15, s5, s8
	s_and_saveexec_b32 s12, s15
	s_cbranch_execz .LBB210_176
.LBB210_198:
	v_cmp_ne_u32_e32 vcc_lo, 1, v70
	s_cbranch_vccnz .LBB210_200
; %bb.199:
	v_lshlrev_b64 v[30:31], 1, v[42:43]
	v_add_co_u32 v30, vcc_lo, v28, v30
	v_add_co_ci_u32_e64 v31, null, v29, v31, vcc_lo
	flat_load_ushort v30, v[30:31]
	s_waitcnt vmcnt(0) lgkmcnt(0)
	v_mul_f16_e32 v30, v48, v30
	v_cvt_f32_f16_e32 v30, v30
	s_branch .LBB210_201
.LBB210_200:
	v_mov_b32_e32 v30, 0
.LBB210_201:
	v_pk_add_f16 v31, v10, v26
	v_pk_add_f16 v86, v11, v27
	v_max_f16_e32 v87, v85, v85
	v_lshrrev_b32_e32 v85, 16, v85
	v_max_f32_e32 v30, v30, v30
	v_lshrrev_b32_e32 v88, 16, v31
	v_lshrrev_b32_e32 v89, 16, v86
	v_min_f16_e32 v31, v87, v31
	v_min3_f16 v85, v85, v88, v89
	v_min3_f16 v31, v31, v86, v85
	v_cvt_f32_f16_e32 v31, v31
	v_min_f32_e32 v85, v30, v31
	v_lshlrev_b64 v[30:31], 1, v[42:43]
	v_cvt_f16_f32_e32 v85, v85
	v_add_co_u32 v30, vcc_lo, v24, v30
	v_add_co_ci_u32_e64 v31, null, v25, v31, vcc_lo
	flat_store_short v[30:31], v85
	s_or_b32 exec_lo, exec_lo, s12
	s_and_b32 s15, s6, s8
	s_and_saveexec_b32 s12, s15
	s_cbranch_execz .LBB210_177
.LBB210_202:
	v_cmp_ne_u32_e32 vcc_lo, 1, v70
	s_cbranch_vccnz .LBB210_204
; %bb.203:
	v_lshlrev_b64 v[30:31], 1, v[44:45]
	v_add_co_u32 v30, vcc_lo, v28, v30
	v_add_co_ci_u32_e64 v31, null, v29, v31, vcc_lo
	flat_load_ushort v30, v[30:31]
	s_waitcnt vmcnt(0) lgkmcnt(0)
	v_mul_f16_e32 v30, v48, v30
	v_cvt_f32_f16_e32 v30, v30
	s_branch .LBB210_205
.LBB210_204:
	v_mov_b32_e32 v30, 0
.LBB210_205:
	v_pk_add_f16 v31, v0, v26
	v_pk_add_f16 v85, v1, v27
	v_max_f16_e32 v86, v84, v84
	v_lshrrev_b32_e32 v84, 16, v84
	v_max_f32_e32 v30, v30, v30
	v_lshrrev_b32_e32 v87, 16, v31
	v_lshrrev_b32_e32 v88, 16, v85
	v_min_f16_e32 v31, v86, v31
	v_min3_f16 v84, v84, v87, v88
	v_min3_f16 v31, v31, v85, v84
	v_cvt_f32_f16_e32 v31, v31
	v_min_f32_e32 v84, v30, v31
	v_lshlrev_b64 v[30:31], 1, v[44:45]
	v_cvt_f16_f32_e32 v84, v84
	v_add_co_u32 v30, vcc_lo, v24, v30
	v_add_co_ci_u32_e64 v31, null, v25, v31, vcc_lo
	flat_store_short v[30:31], v84
	s_or_b32 exec_lo, exec_lo, s12
	s_and_b32 s12, s7, s8
	s_and_saveexec_b32 s8, s12
	s_cbranch_execz .LBB210_210
.LBB210_206:
	v_cmp_ne_u32_e32 vcc_lo, 1, v70
	s_cbranch_vccnz .LBB210_208
; %bb.207:
	v_lshlrev_b64 v[30:31], 1, v[46:47]
	v_add_co_u32 v28, vcc_lo, v28, v30
	v_add_co_ci_u32_e64 v29, null, v29, v31, vcc_lo
	flat_load_ushort v28, v[28:29]
	s_waitcnt vmcnt(0) lgkmcnt(0)
	v_mul_f16_e32 v28, v48, v28
	v_cvt_f32_f16_e32 v28, v28
	s_branch .LBB210_209
.LBB210_208:
	v_mov_b32_e32 v28, 0
.LBB210_209:
	v_pk_add_f16 v26, v2, v26
	v_pk_add_f16 v27, v3, v27
	v_max_f16_e32 v29, v83, v83
	v_lshrrev_b32_e32 v30, 16, v83
	v_lshrrev_b32_e32 v31, 16, v26
	;; [unrolled: 1-line block ×3, first 2 shown]
	v_min_f16_e32 v26, v29, v26
	v_min3_f16 v29, v30, v31, v83
	v_min3_f16 v26, v26, v27, v29
	v_max_f32_e32 v27, v28, v28
	v_cvt_f32_f16_e32 v26, v26
	v_min_f32_e32 v28, v27, v26
	v_lshlrev_b64 v[26:27], 1, v[46:47]
	v_cvt_f16_f32_e32 v28, v28
	v_add_co_u32 v24, vcc_lo, v24, v26
	v_add_co_ci_u32_e64 v25, null, v25, v27, vcc_lo
	flat_store_short v[24:25], v28
.LBB210_210:
	s_or_b32 exec_lo, exec_lo, s8
	v_add_nc_u32_e32 v28, 32, v78
	v_mad_i64_i32 v[24:25], null, v28, s14, 0
	v_mad_i64_i32 v[26:27], null, v28, s9, 0
	v_cmp_gt_i32_e64 s8, s13, v28
	v_lshlrev_b64 v[24:25], 1, v[24:25]
	s_and_b32 s15, s0, s8
	v_lshlrev_b64 v[28:29], 1, v[26:27]
	v_add_co_u32 v26, vcc_lo, s16, v24
	v_add_co_ci_u32_e64 v27, null, s17, v25, vcc_lo
	v_add_co_u32 v24, vcc_lo, s10, v28
	v_add_co_ci_u32_e64 v25, null, s11, v29, vcc_lo
	s_and_saveexec_b32 s12, s15
	s_cbranch_execnz .LBB210_218
; %bb.211:
	s_or_b32 exec_lo, exec_lo, s12
	s_and_b32 s15, s1, s8
	s_and_saveexec_b32 s12, s15
	s_cbranch_execnz .LBB210_222
.LBB210_212:
	s_or_b32 exec_lo, exec_lo, s12
	s_and_b32 s15, s2, s8
	s_and_saveexec_b32 s12, s15
	s_cbranch_execnz .LBB210_226
.LBB210_213:
	s_or_b32 exec_lo, exec_lo, s12
	s_and_b32 s15, s3, s8
	s_and_saveexec_b32 s12, s15
	s_cbranch_execnz .LBB210_230
.LBB210_214:
	s_or_b32 exec_lo, exec_lo, s12
	s_and_b32 s15, s4, s8
	s_and_saveexec_b32 s12, s15
	s_cbranch_execnz .LBB210_234
.LBB210_215:
	s_or_b32 exec_lo, exec_lo, s12
	s_and_b32 s15, s5, s8
	s_and_saveexec_b32 s12, s15
	s_cbranch_execnz .LBB210_238
.LBB210_216:
	s_or_b32 exec_lo, exec_lo, s12
	s_and_b32 s15, s6, s8
	s_and_saveexec_b32 s12, s15
	s_cbranch_execnz .LBB210_242
.LBB210_217:
	s_or_b32 exec_lo, exec_lo, s12
	s_and_b32 s12, s7, s8
	s_and_saveexec_b32 s8, s12
	s_cbranch_execnz .LBB210_246
	s_branch .LBB210_250
.LBB210_218:
	v_cmp_ne_u32_e32 vcc_lo, 1, v70
	s_cbranch_vccnz .LBB210_220
; %bb.219:
	v_lshlrev_b64 v[28:29], 1, v[32:33]
	v_add_co_u32 v28, vcc_lo, v26, v28
	v_add_co_ci_u32_e64 v29, null, v27, v29, vcc_lo
	flat_load_ushort v28, v[28:29]
	s_waitcnt vmcnt(0) lgkmcnt(0)
	v_mul_f16_e32 v28, v48, v28
	v_cvt_f32_f16_e32 v28, v28
	s_branch .LBB210_221
.LBB210_220:
	v_mov_b32_e32 v28, 0
.LBB210_221:
	v_pk_add_f16 v29, v16, v20
	v_pk_add_f16 v30, v17, v21
	v_max_f16_e32 v31, v82, v82
	v_lshrrev_b32_e32 v82, 16, v82
	v_max_f32_e32 v28, v28, v28
	v_lshrrev_b32_e32 v83, 16, v29
	v_lshrrev_b32_e32 v84, 16, v30
	v_min_f16_e32 v29, v31, v29
	v_min3_f16 v31, v82, v83, v84
	v_min3_f16 v29, v29, v30, v31
	v_cvt_f32_f16_e32 v29, v29
	v_min_f32_e32 v30, v28, v29
	v_lshlrev_b64 v[28:29], 1, v[32:33]
	v_cvt_f16_f32_e32 v30, v30
	v_add_co_u32 v28, vcc_lo, v24, v28
	v_add_co_ci_u32_e64 v29, null, v25, v29, vcc_lo
	flat_store_short v[28:29], v30
	s_or_b32 exec_lo, exec_lo, s12
	s_and_b32 s15, s1, s8
	s_and_saveexec_b32 s12, s15
	s_cbranch_execz .LBB210_212
.LBB210_222:
	v_cmp_ne_u32_e32 vcc_lo, 1, v70
	s_cbranch_vccnz .LBB210_224
; %bb.223:
	v_lshlrev_b64 v[28:29], 1, v[34:35]
	v_add_co_u32 v28, vcc_lo, v26, v28
	v_add_co_ci_u32_e64 v29, null, v27, v29, vcc_lo
	flat_load_ushort v28, v[28:29]
	s_waitcnt vmcnt(0) lgkmcnt(0)
	v_mul_f16_e32 v28, v48, v28
	v_cvt_f32_f16_e32 v28, v28
	s_branch .LBB210_225
.LBB210_224:
	v_mov_b32_e32 v28, 0
.LBB210_225:
	v_pk_add_f16 v29, v18, v20
	v_pk_add_f16 v30, v19, v21
	v_max_f16_e32 v31, v81, v81
	v_lshrrev_b32_e32 v81, 16, v81
	v_max_f32_e32 v28, v28, v28
	v_lshrrev_b32_e32 v82, 16, v29
	v_lshrrev_b32_e32 v83, 16, v30
	v_min_f16_e32 v29, v31, v29
	v_min3_f16 v31, v81, v82, v83
	v_min3_f16 v29, v29, v30, v31
	v_cvt_f32_f16_e32 v29, v29
	v_min_f32_e32 v30, v28, v29
	v_lshlrev_b64 v[28:29], 1, v[34:35]
	v_cvt_f16_f32_e32 v30, v30
	v_add_co_u32 v28, vcc_lo, v24, v28
	v_add_co_ci_u32_e64 v29, null, v25, v29, vcc_lo
	flat_store_short v[28:29], v30
	s_or_b32 exec_lo, exec_lo, s12
	s_and_b32 s15, s2, s8
	s_and_saveexec_b32 s12, s15
	s_cbranch_execz .LBB210_213
.LBB210_226:
	v_cmp_ne_u32_e32 vcc_lo, 1, v70
	s_cbranch_vccnz .LBB210_228
; %bb.227:
	v_lshlrev_b64 v[28:29], 1, v[36:37]
	v_add_co_u32 v28, vcc_lo, v26, v28
	v_add_co_ci_u32_e64 v29, null, v27, v29, vcc_lo
	flat_load_ushort v28, v[28:29]
	s_waitcnt vmcnt(0) lgkmcnt(0)
	v_mul_f16_e32 v28, v48, v28
	v_cvt_f32_f16_e32 v28, v28
	s_branch .LBB210_229
.LBB210_228:
	v_mov_b32_e32 v28, 0
.LBB210_229:
	v_pk_add_f16 v29, v12, v20
	v_pk_add_f16 v30, v13, v21
	v_max_f16_e32 v31, v80, v80
	v_lshrrev_b32_e32 v80, 16, v80
	v_max_f32_e32 v28, v28, v28
	v_lshrrev_b32_e32 v81, 16, v29
	v_lshrrev_b32_e32 v82, 16, v30
	v_min_f16_e32 v29, v31, v29
	v_min3_f16 v31, v80, v81, v82
	v_min3_f16 v29, v29, v30, v31
	v_cvt_f32_f16_e32 v29, v29
	v_min_f32_e32 v30, v28, v29
	v_lshlrev_b64 v[28:29], 1, v[36:37]
	v_cvt_f16_f32_e32 v30, v30
	v_add_co_u32 v28, vcc_lo, v24, v28
	v_add_co_ci_u32_e64 v29, null, v25, v29, vcc_lo
	flat_store_short v[28:29], v30
	s_or_b32 exec_lo, exec_lo, s12
	s_and_b32 s15, s3, s8
	s_and_saveexec_b32 s12, s15
	s_cbranch_execz .LBB210_214
.LBB210_230:
	v_cmp_ne_u32_e32 vcc_lo, 1, v70
	s_cbranch_vccnz .LBB210_232
; %bb.231:
	v_lshlrev_b64 v[28:29], 1, v[38:39]
	v_add_co_u32 v28, vcc_lo, v26, v28
	v_add_co_ci_u32_e64 v29, null, v27, v29, vcc_lo
	flat_load_ushort v28, v[28:29]
	s_waitcnt vmcnt(0) lgkmcnt(0)
	v_mul_f16_e32 v28, v48, v28
	v_cvt_f32_f16_e32 v28, v28
	s_branch .LBB210_233
.LBB210_232:
	v_mov_b32_e32 v28, 0
.LBB210_233:
	v_pk_add_f16 v29, v14, v20
	v_pk_add_f16 v30, v15, v21
	v_max_f16_e32 v31, v79, v79
	v_lshrrev_b32_e32 v79, 16, v79
	v_max_f32_e32 v28, v28, v28
	v_lshrrev_b32_e32 v80, 16, v29
	v_lshrrev_b32_e32 v81, 16, v30
	v_min_f16_e32 v29, v31, v29
	v_min3_f16 v31, v79, v80, v81
	v_min3_f16 v29, v29, v30, v31
	v_cvt_f32_f16_e32 v29, v29
	v_min_f32_e32 v30, v28, v29
	v_lshlrev_b64 v[28:29], 1, v[38:39]
	v_cvt_f16_f32_e32 v30, v30
	v_add_co_u32 v28, vcc_lo, v24, v28
	v_add_co_ci_u32_e64 v29, null, v25, v29, vcc_lo
	flat_store_short v[28:29], v30
	s_or_b32 exec_lo, exec_lo, s12
	s_and_b32 s15, s4, s8
	s_and_saveexec_b32 s12, s15
	s_cbranch_execz .LBB210_215
.LBB210_234:
	v_cmp_ne_u32_e32 vcc_lo, 1, v70
	s_cbranch_vccnz .LBB210_236
; %bb.235:
	v_lshlrev_b64 v[28:29], 1, v[40:41]
	v_add_co_u32 v28, vcc_lo, v26, v28
	v_add_co_ci_u32_e64 v29, null, v27, v29, vcc_lo
	flat_load_ushort v28, v[28:29]
	s_waitcnt vmcnt(0) lgkmcnt(0)
	v_mul_f16_e32 v28, v48, v28
	v_cvt_f32_f16_e32 v28, v28
	s_branch .LBB210_237
.LBB210_236:
	v_mov_b32_e32 v28, 0
.LBB210_237:
	v_pk_add_f16 v29, v8, v20
	v_pk_add_f16 v30, v9, v21
	v_max_f16_e32 v31, v77, v77
	v_lshrrev_b32_e32 v77, 16, v77
	v_max_f32_e32 v28, v28, v28
	v_lshrrev_b32_e32 v79, 16, v29
	v_lshrrev_b32_e32 v80, 16, v30
	v_min_f16_e32 v29, v31, v29
	v_min3_f16 v31, v77, v79, v80
	v_min3_f16 v29, v29, v30, v31
	v_cvt_f32_f16_e32 v29, v29
	v_min_f32_e32 v30, v28, v29
	v_lshlrev_b64 v[28:29], 1, v[40:41]
	v_cvt_f16_f32_e32 v30, v30
	v_add_co_u32 v28, vcc_lo, v24, v28
	v_add_co_ci_u32_e64 v29, null, v25, v29, vcc_lo
	flat_store_short v[28:29], v30
	s_or_b32 exec_lo, exec_lo, s12
	s_and_b32 s15, s5, s8
	s_and_saveexec_b32 s12, s15
	s_cbranch_execz .LBB210_216
.LBB210_238:
	v_cmp_ne_u32_e32 vcc_lo, 1, v70
	s_cbranch_vccnz .LBB210_240
; %bb.239:
	v_lshlrev_b64 v[28:29], 1, v[42:43]
	v_add_co_u32 v28, vcc_lo, v26, v28
	v_add_co_ci_u32_e64 v29, null, v27, v29, vcc_lo
	flat_load_ushort v28, v[28:29]
	s_waitcnt vmcnt(0) lgkmcnt(0)
	v_mul_f16_e32 v28, v48, v28
	v_cvt_f32_f16_e32 v28, v28
	s_branch .LBB210_241
.LBB210_240:
	v_mov_b32_e32 v28, 0
.LBB210_241:
	v_pk_add_f16 v29, v10, v20
	v_pk_add_f16 v30, v11, v21
	v_max_f16_e32 v31, v76, v76
	v_lshrrev_b32_e32 v76, 16, v76
	v_max_f32_e32 v28, v28, v28
	v_lshrrev_b32_e32 v77, 16, v29
	v_lshrrev_b32_e32 v79, 16, v30
	v_min_f16_e32 v29, v31, v29
	v_min3_f16 v31, v76, v77, v79
	v_min3_f16 v29, v29, v30, v31
	v_cvt_f32_f16_e32 v29, v29
	v_min_f32_e32 v30, v28, v29
	v_lshlrev_b64 v[28:29], 1, v[42:43]
	v_cvt_f16_f32_e32 v30, v30
	v_add_co_u32 v28, vcc_lo, v24, v28
	v_add_co_ci_u32_e64 v29, null, v25, v29, vcc_lo
	flat_store_short v[28:29], v30
	s_or_b32 exec_lo, exec_lo, s12
	s_and_b32 s15, s6, s8
	s_and_saveexec_b32 s12, s15
	s_cbranch_execz .LBB210_217
.LBB210_242:
	v_cmp_ne_u32_e32 vcc_lo, 1, v70
	s_cbranch_vccnz .LBB210_244
; %bb.243:
	v_lshlrev_b64 v[28:29], 1, v[44:45]
	v_add_co_u32 v28, vcc_lo, v26, v28
	v_add_co_ci_u32_e64 v29, null, v27, v29, vcc_lo
	flat_load_ushort v28, v[28:29]
	s_waitcnt vmcnt(0) lgkmcnt(0)
	v_mul_f16_e32 v28, v48, v28
	v_cvt_f32_f16_e32 v28, v28
	s_branch .LBB210_245
.LBB210_244:
	v_mov_b32_e32 v28, 0
.LBB210_245:
	v_pk_add_f16 v29, v0, v20
	v_pk_add_f16 v30, v1, v21
	v_max_f16_e32 v31, v75, v75
	v_lshrrev_b32_e32 v75, 16, v75
	v_max_f32_e32 v28, v28, v28
	v_lshrrev_b32_e32 v76, 16, v29
	v_lshrrev_b32_e32 v77, 16, v30
	v_min_f16_e32 v29, v31, v29
	v_min3_f16 v31, v75, v76, v77
	v_min3_f16 v29, v29, v30, v31
	v_cvt_f32_f16_e32 v29, v29
	v_min_f32_e32 v30, v28, v29
	v_lshlrev_b64 v[28:29], 1, v[44:45]
	v_cvt_f16_f32_e32 v30, v30
	v_add_co_u32 v28, vcc_lo, v24, v28
	v_add_co_ci_u32_e64 v29, null, v25, v29, vcc_lo
	flat_store_short v[28:29], v30
	s_or_b32 exec_lo, exec_lo, s12
	s_and_b32 s12, s7, s8
	s_and_saveexec_b32 s8, s12
	s_cbranch_execz .LBB210_250
.LBB210_246:
	v_cmp_ne_u32_e32 vcc_lo, 1, v70
	s_cbranch_vccnz .LBB210_248
; %bb.247:
	v_lshlrev_b64 v[28:29], 1, v[46:47]
	v_add_co_u32 v26, vcc_lo, v26, v28
	v_add_co_ci_u32_e64 v27, null, v27, v29, vcc_lo
	flat_load_ushort v26, v[26:27]
	s_waitcnt vmcnt(0) lgkmcnt(0)
	v_mul_f16_e32 v26, v48, v26
	v_cvt_f32_f16_e32 v26, v26
	s_branch .LBB210_249
.LBB210_248:
	v_mov_b32_e32 v26, 0
.LBB210_249:
	v_pk_add_f16 v20, v2, v20
	v_pk_add_f16 v21, v3, v21
	v_max_f16_e32 v27, v74, v74
	v_lshrrev_b32_e32 v28, 16, v74
	v_lshrrev_b32_e32 v29, 16, v20
	;; [unrolled: 1-line block ×3, first 2 shown]
	v_min_f16_e32 v20, v27, v20
	v_min3_f16 v27, v28, v29, v30
	v_min3_f16 v20, v20, v21, v27
	v_max_f32_e32 v21, v26, v26
	v_cvt_f32_f16_e32 v20, v20
	v_min_f32_e32 v26, v21, v20
	v_lshlrev_b64 v[20:21], 1, v[46:47]
	v_cvt_f16_f32_e32 v26, v26
	v_add_co_u32 v20, vcc_lo, v24, v20
	v_add_co_ci_u32_e64 v21, null, v25, v21, vcc_lo
	flat_store_short v[20:21], v26
.LBB210_250:
	s_or_b32 exec_lo, exec_lo, s8
	v_add_nc_u32_e32 v26, 40, v78
	v_mad_i64_i32 v[20:21], null, v26, s14, 0
	v_mad_i64_i32 v[24:25], null, v26, s9, 0
	v_cmp_gt_i32_e64 s8, s13, v26
	v_lshlrev_b64 v[20:21], 1, v[20:21]
	s_and_b32 s15, s0, s8
	v_lshlrev_b64 v[26:27], 1, v[24:25]
	v_add_co_u32 v24, vcc_lo, s16, v20
	v_add_co_ci_u32_e64 v25, null, s17, v21, vcc_lo
	v_add_co_u32 v20, vcc_lo, s10, v26
	v_add_co_ci_u32_e64 v21, null, s11, v27, vcc_lo
	s_and_saveexec_b32 s12, s15
	s_cbranch_execnz .LBB210_258
; %bb.251:
	s_or_b32 exec_lo, exec_lo, s12
	s_and_b32 s15, s1, s8
	s_and_saveexec_b32 s12, s15
	s_cbranch_execnz .LBB210_262
.LBB210_252:
	s_or_b32 exec_lo, exec_lo, s12
	s_and_b32 s15, s2, s8
	s_and_saveexec_b32 s12, s15
	s_cbranch_execnz .LBB210_266
.LBB210_253:
	s_or_b32 exec_lo, exec_lo, s12
	s_and_b32 s15, s3, s8
	s_and_saveexec_b32 s12, s15
	s_cbranch_execnz .LBB210_270
.LBB210_254:
	s_or_b32 exec_lo, exec_lo, s12
	s_and_b32 s15, s4, s8
	s_and_saveexec_b32 s12, s15
	s_cbranch_execnz .LBB210_274
.LBB210_255:
	s_or_b32 exec_lo, exec_lo, s12
	s_and_b32 s15, s5, s8
	s_and_saveexec_b32 s12, s15
	s_cbranch_execnz .LBB210_278
.LBB210_256:
	s_or_b32 exec_lo, exec_lo, s12
	s_and_b32 s15, s6, s8
	s_and_saveexec_b32 s12, s15
	s_cbranch_execnz .LBB210_282
.LBB210_257:
	s_or_b32 exec_lo, exec_lo, s12
	s_and_b32 s12, s7, s8
	s_and_saveexec_b32 s8, s12
	s_cbranch_execnz .LBB210_286
	s_branch .LBB210_290
.LBB210_258:
	v_cmp_ne_u32_e32 vcc_lo, 1, v70
	s_cbranch_vccnz .LBB210_260
; %bb.259:
	v_lshlrev_b64 v[26:27], 1, v[32:33]
	v_add_co_u32 v26, vcc_lo, v24, v26
	v_add_co_ci_u32_e64 v27, null, v25, v27, vcc_lo
	flat_load_ushort v26, v[26:27]
	s_waitcnt vmcnt(0) lgkmcnt(0)
	v_mul_f16_e32 v26, v48, v26
	v_cvt_f32_f16_e32 v26, v26
	s_branch .LBB210_261
.LBB210_260:
	v_mov_b32_e32 v26, 0
.LBB210_261:
	v_pk_add_f16 v27, v16, v22
	v_pk_add_f16 v28, v17, v23
	v_max_f16_e32 v29, v73, v73
	v_lshrrev_b32_e32 v30, 16, v73
	v_max_f32_e32 v26, v26, v26
	v_lshrrev_b32_e32 v31, 16, v27
	v_lshrrev_b32_e32 v73, 16, v28
	v_min_f16_e32 v27, v29, v27
	v_min3_f16 v29, v30, v31, v73
	v_min3_f16 v27, v27, v28, v29
	v_cvt_f32_f16_e32 v27, v27
	v_min_f32_e32 v28, v26, v27
	v_lshlrev_b64 v[26:27], 1, v[32:33]
	v_cvt_f16_f32_e32 v28, v28
	v_add_co_u32 v26, vcc_lo, v20, v26
	v_add_co_ci_u32_e64 v27, null, v21, v27, vcc_lo
	flat_store_short v[26:27], v28
	s_or_b32 exec_lo, exec_lo, s12
	s_and_b32 s15, s1, s8
	s_and_saveexec_b32 s12, s15
	s_cbranch_execz .LBB210_252
.LBB210_262:
	v_cmp_ne_u32_e32 vcc_lo, 1, v70
	s_cbranch_vccnz .LBB210_264
; %bb.263:
	v_lshlrev_b64 v[26:27], 1, v[34:35]
	v_add_co_u32 v26, vcc_lo, v24, v26
	v_add_co_ci_u32_e64 v27, null, v25, v27, vcc_lo
	flat_load_ushort v26, v[26:27]
	s_waitcnt vmcnt(0) lgkmcnt(0)
	v_mul_f16_e32 v26, v48, v26
	v_cvt_f32_f16_e32 v26, v26
	s_branch .LBB210_265
.LBB210_264:
	v_mov_b32_e32 v26, 0
.LBB210_265:
	v_pk_add_f16 v27, v18, v22
	v_pk_add_f16 v28, v19, v23
	v_max_f16_e32 v29, v72, v72
	v_lshrrev_b32_e32 v30, 16, v72
	v_max_f32_e32 v26, v26, v26
	v_lshrrev_b32_e32 v31, 16, v27
	v_lshrrev_b32_e32 v72, 16, v28
	v_min_f16_e32 v27, v29, v27
	v_min3_f16 v29, v30, v31, v72
	v_min3_f16 v27, v27, v28, v29
	v_cvt_f32_f16_e32 v27, v27
	v_min_f32_e32 v28, v26, v27
	v_lshlrev_b64 v[26:27], 1, v[34:35]
	v_cvt_f16_f32_e32 v28, v28
	v_add_co_u32 v26, vcc_lo, v20, v26
	v_add_co_ci_u32_e64 v27, null, v21, v27, vcc_lo
	flat_store_short v[26:27], v28
	s_or_b32 exec_lo, exec_lo, s12
	s_and_b32 s15, s2, s8
	s_and_saveexec_b32 s12, s15
	s_cbranch_execz .LBB210_253
.LBB210_266:
	v_cmp_ne_u32_e32 vcc_lo, 1, v70
	s_cbranch_vccnz .LBB210_268
; %bb.267:
	v_lshlrev_b64 v[26:27], 1, v[36:37]
	v_add_co_u32 v26, vcc_lo, v24, v26
	v_add_co_ci_u32_e64 v27, null, v25, v27, vcc_lo
	flat_load_ushort v26, v[26:27]
	s_waitcnt vmcnt(0) lgkmcnt(0)
	v_mul_f16_e32 v26, v48, v26
	v_cvt_f32_f16_e32 v26, v26
	s_branch .LBB210_269
.LBB210_268:
	v_mov_b32_e32 v26, 0
.LBB210_269:
	v_pk_add_f16 v27, v12, v22
	v_pk_add_f16 v28, v13, v23
	v_max_f16_e32 v29, v71, v71
	v_lshrrev_b32_e32 v30, 16, v71
	v_max_f32_e32 v26, v26, v26
	v_lshrrev_b32_e32 v31, 16, v27
	v_lshrrev_b32_e32 v71, 16, v28
	v_min_f16_e32 v27, v29, v27
	v_min3_f16 v29, v30, v31, v71
	v_min3_f16 v27, v27, v28, v29
	v_cvt_f32_f16_e32 v27, v27
	v_min_f32_e32 v28, v26, v27
	v_lshlrev_b64 v[26:27], 1, v[36:37]
	v_cvt_f16_f32_e32 v28, v28
	v_add_co_u32 v26, vcc_lo, v20, v26
	v_add_co_ci_u32_e64 v27, null, v21, v27, vcc_lo
	flat_store_short v[26:27], v28
	s_or_b32 exec_lo, exec_lo, s12
	s_and_b32 s15, s3, s8
	s_and_saveexec_b32 s12, s15
	s_cbranch_execz .LBB210_254
.LBB210_270:
	v_cmp_ne_u32_e32 vcc_lo, 1, v70
	s_cbranch_vccnz .LBB210_272
; %bb.271:
	v_lshlrev_b64 v[26:27], 1, v[38:39]
	v_add_co_u32 v26, vcc_lo, v24, v26
	v_add_co_ci_u32_e64 v27, null, v25, v27, vcc_lo
	flat_load_ushort v26, v[26:27]
	s_waitcnt vmcnt(0) lgkmcnt(0)
	v_mul_f16_e32 v26, v48, v26
	v_cvt_f32_f16_e32 v26, v26
	s_branch .LBB210_273
.LBB210_272:
	v_mov_b32_e32 v26, 0
.LBB210_273:
	v_pk_add_f16 v27, v14, v22
	v_pk_add_f16 v28, v15, v23
	v_max_f16_e32 v29, v69, v69
	v_lshrrev_b32_e32 v30, 16, v69
	v_max_f32_e32 v26, v26, v26
	v_lshrrev_b32_e32 v31, 16, v27
	v_lshrrev_b32_e32 v69, 16, v28
	v_min_f16_e32 v27, v29, v27
	v_min3_f16 v29, v30, v31, v69
	v_min3_f16 v27, v27, v28, v29
	v_cvt_f32_f16_e32 v27, v27
	v_min_f32_e32 v28, v26, v27
	v_lshlrev_b64 v[26:27], 1, v[38:39]
	v_cvt_f16_f32_e32 v28, v28
	v_add_co_u32 v26, vcc_lo, v20, v26
	v_add_co_ci_u32_e64 v27, null, v21, v27, vcc_lo
	flat_store_short v[26:27], v28
	s_or_b32 exec_lo, exec_lo, s12
	s_and_b32 s15, s4, s8
	s_and_saveexec_b32 s12, s15
	s_cbranch_execz .LBB210_255
.LBB210_274:
	v_cmp_ne_u32_e32 vcc_lo, 1, v70
	s_cbranch_vccnz .LBB210_276
; %bb.275:
	v_lshlrev_b64 v[26:27], 1, v[40:41]
	v_add_co_u32 v26, vcc_lo, v24, v26
	v_add_co_ci_u32_e64 v27, null, v25, v27, vcc_lo
	flat_load_ushort v26, v[26:27]
	s_waitcnt vmcnt(0) lgkmcnt(0)
	v_mul_f16_e32 v26, v48, v26
	v_cvt_f32_f16_e32 v26, v26
	s_branch .LBB210_277
.LBB210_276:
	v_mov_b32_e32 v26, 0
.LBB210_277:
	v_pk_add_f16 v27, v8, v22
	v_pk_add_f16 v28, v9, v23
	v_max_f16_e32 v29, v68, v68
	v_lshrrev_b32_e32 v30, 16, v68
	v_max_f32_e32 v26, v26, v26
	v_lshrrev_b32_e32 v31, 16, v27
	v_lshrrev_b32_e32 v68, 16, v28
	v_min_f16_e32 v27, v29, v27
	v_min3_f16 v29, v30, v31, v68
	v_min3_f16 v27, v27, v28, v29
	v_cvt_f32_f16_e32 v27, v27
	v_min_f32_e32 v28, v26, v27
	v_lshlrev_b64 v[26:27], 1, v[40:41]
	v_cvt_f16_f32_e32 v28, v28
	v_add_co_u32 v26, vcc_lo, v20, v26
	v_add_co_ci_u32_e64 v27, null, v21, v27, vcc_lo
	flat_store_short v[26:27], v28
	s_or_b32 exec_lo, exec_lo, s12
	s_and_b32 s15, s5, s8
	s_and_saveexec_b32 s12, s15
	s_cbranch_execz .LBB210_256
.LBB210_278:
	v_cmp_ne_u32_e32 vcc_lo, 1, v70
	s_cbranch_vccnz .LBB210_280
; %bb.279:
	v_lshlrev_b64 v[26:27], 1, v[42:43]
	v_add_co_u32 v26, vcc_lo, v24, v26
	v_add_co_ci_u32_e64 v27, null, v25, v27, vcc_lo
	flat_load_ushort v26, v[26:27]
	s_waitcnt vmcnt(0) lgkmcnt(0)
	v_mul_f16_e32 v26, v48, v26
	v_cvt_f32_f16_e32 v26, v26
	s_branch .LBB210_281
.LBB210_280:
	v_mov_b32_e32 v26, 0
.LBB210_281:
	v_pk_add_f16 v27, v10, v22
	v_pk_add_f16 v28, v11, v23
	v_max_f16_e32 v29, v67, v67
	v_lshrrev_b32_e32 v30, 16, v67
	v_max_f32_e32 v26, v26, v26
	v_lshrrev_b32_e32 v31, 16, v27
	v_lshrrev_b32_e32 v67, 16, v28
	v_min_f16_e32 v27, v29, v27
	v_min3_f16 v29, v30, v31, v67
	v_min3_f16 v27, v27, v28, v29
	v_cvt_f32_f16_e32 v27, v27
	v_min_f32_e32 v28, v26, v27
	v_lshlrev_b64 v[26:27], 1, v[42:43]
	v_cvt_f16_f32_e32 v28, v28
	v_add_co_u32 v26, vcc_lo, v20, v26
	v_add_co_ci_u32_e64 v27, null, v21, v27, vcc_lo
	flat_store_short v[26:27], v28
	s_or_b32 exec_lo, exec_lo, s12
	s_and_b32 s15, s6, s8
	s_and_saveexec_b32 s12, s15
	s_cbranch_execz .LBB210_257
.LBB210_282:
	v_cmp_ne_u32_e32 vcc_lo, 1, v70
	s_cbranch_vccnz .LBB210_284
; %bb.283:
	v_lshlrev_b64 v[26:27], 1, v[44:45]
	v_add_co_u32 v26, vcc_lo, v24, v26
	v_add_co_ci_u32_e64 v27, null, v25, v27, vcc_lo
	flat_load_ushort v26, v[26:27]
	s_waitcnt vmcnt(0) lgkmcnt(0)
	v_mul_f16_e32 v26, v48, v26
	v_cvt_f32_f16_e32 v26, v26
	s_branch .LBB210_285
.LBB210_284:
	v_mov_b32_e32 v26, 0
.LBB210_285:
	v_pk_add_f16 v27, v0, v22
	v_pk_add_f16 v28, v1, v23
	v_max_f16_e32 v29, v66, v66
	v_lshrrev_b32_e32 v30, 16, v66
	v_max_f32_e32 v26, v26, v26
	v_lshrrev_b32_e32 v31, 16, v27
	v_lshrrev_b32_e32 v66, 16, v28
	v_min_f16_e32 v27, v29, v27
	v_min3_f16 v29, v30, v31, v66
	v_min3_f16 v27, v27, v28, v29
	v_cvt_f32_f16_e32 v27, v27
	v_min_f32_e32 v28, v26, v27
	v_lshlrev_b64 v[26:27], 1, v[44:45]
	v_cvt_f16_f32_e32 v28, v28
	v_add_co_u32 v26, vcc_lo, v20, v26
	v_add_co_ci_u32_e64 v27, null, v21, v27, vcc_lo
	flat_store_short v[26:27], v28
	s_or_b32 exec_lo, exec_lo, s12
	s_and_b32 s12, s7, s8
	s_and_saveexec_b32 s8, s12
	s_cbranch_execz .LBB210_290
.LBB210_286:
	v_cmp_ne_u32_e32 vcc_lo, 1, v70
	s_cbranch_vccnz .LBB210_288
; %bb.287:
	v_lshlrev_b64 v[26:27], 1, v[46:47]
	v_add_co_u32 v24, vcc_lo, v24, v26
	v_add_co_ci_u32_e64 v25, null, v25, v27, vcc_lo
	flat_load_ushort v24, v[24:25]
	s_waitcnt vmcnt(0) lgkmcnt(0)
	v_mul_f16_e32 v24, v48, v24
	v_cvt_f32_f16_e32 v24, v24
	s_branch .LBB210_289
.LBB210_288:
	v_mov_b32_e32 v24, 0
.LBB210_289:
	v_pk_add_f16 v22, v2, v22
	v_pk_add_f16 v23, v3, v23
	v_max_f16_e32 v25, v65, v65
	v_lshrrev_b32_e32 v26, 16, v65
	v_lshrrev_b32_e32 v27, 16, v22
	;; [unrolled: 1-line block ×3, first 2 shown]
	v_min_f16_e32 v22, v25, v22
	v_min3_f16 v25, v26, v27, v28
	v_min3_f16 v22, v22, v23, v25
	v_max_f32_e32 v23, v24, v24
	v_cvt_f32_f16_e32 v22, v22
	v_min_f32_e32 v24, v23, v22
	v_lshlrev_b64 v[22:23], 1, v[46:47]
	v_cvt_f16_f32_e32 v24, v24
	v_add_co_u32 v20, vcc_lo, v20, v22
	v_add_co_ci_u32_e64 v21, null, v21, v23, vcc_lo
	flat_store_short v[20:21], v24
.LBB210_290:
	s_or_b32 exec_lo, exec_lo, s8
	v_add_nc_u32_e32 v24, 48, v78
	v_mad_i64_i32 v[20:21], null, v24, s14, 0
	v_mad_i64_i32 v[22:23], null, v24, s9, 0
	v_cmp_gt_i32_e64 s8, s13, v24
	v_lshlrev_b64 v[20:21], 1, v[20:21]
	s_and_b32 s15, s0, s8
	v_lshlrev_b64 v[24:25], 1, v[22:23]
	v_add_co_u32 v22, vcc_lo, s16, v20
	v_add_co_ci_u32_e64 v23, null, s17, v21, vcc_lo
	v_add_co_u32 v20, vcc_lo, s10, v24
	v_add_co_ci_u32_e64 v21, null, s11, v25, vcc_lo
	s_and_saveexec_b32 s12, s15
	s_cbranch_execnz .LBB210_298
; %bb.291:
	s_or_b32 exec_lo, exec_lo, s12
	s_and_b32 s15, s1, s8
	s_and_saveexec_b32 s12, s15
	s_cbranch_execnz .LBB210_302
.LBB210_292:
	s_or_b32 exec_lo, exec_lo, s12
	s_and_b32 s15, s2, s8
	s_and_saveexec_b32 s12, s15
	s_cbranch_execnz .LBB210_306
.LBB210_293:
	s_or_b32 exec_lo, exec_lo, s12
	s_and_b32 s15, s3, s8
	s_and_saveexec_b32 s12, s15
	s_cbranch_execnz .LBB210_310
.LBB210_294:
	s_or_b32 exec_lo, exec_lo, s12
	s_and_b32 s15, s4, s8
	s_and_saveexec_b32 s12, s15
	s_cbranch_execnz .LBB210_314
.LBB210_295:
	s_or_b32 exec_lo, exec_lo, s12
	s_and_b32 s15, s5, s8
	s_and_saveexec_b32 s12, s15
	s_cbranch_execnz .LBB210_318
.LBB210_296:
	s_or_b32 exec_lo, exec_lo, s12
	s_and_b32 s15, s6, s8
	s_and_saveexec_b32 s12, s15
	s_cbranch_execnz .LBB210_322
.LBB210_297:
	s_or_b32 exec_lo, exec_lo, s12
	s_and_b32 s12, s7, s8
	s_and_saveexec_b32 s8, s12
	s_cbranch_execnz .LBB210_326
	s_branch .LBB210_330
.LBB210_298:
	v_cmp_ne_u32_e32 vcc_lo, 1, v70
	s_cbranch_vccnz .LBB210_300
; %bb.299:
	v_lshlrev_b64 v[24:25], 1, v[32:33]
	v_add_co_u32 v24, vcc_lo, v22, v24
	v_add_co_ci_u32_e64 v25, null, v23, v25, vcc_lo
	flat_load_ushort v24, v[24:25]
	s_waitcnt vmcnt(0) lgkmcnt(0)
	v_mul_f16_e32 v24, v48, v24
	v_cvt_f32_f16_e32 v24, v24
	s_branch .LBB210_301
.LBB210_300:
	v_mov_b32_e32 v24, 0
.LBB210_301:
	v_pk_add_f16 v25, v16, v4
	v_pk_add_f16 v26, v17, v5
	v_max_f16_e32 v27, v64, v64
	v_lshrrev_b32_e32 v28, 16, v64
	v_max_f32_e32 v24, v24, v24
	v_lshrrev_b32_e32 v29, 16, v25
	v_lshrrev_b32_e32 v30, 16, v26
	v_min_f16_e32 v25, v27, v25
	v_min3_f16 v27, v28, v29, v30
	v_min3_f16 v25, v25, v26, v27
	v_cvt_f32_f16_e32 v25, v25
	v_min_f32_e32 v26, v24, v25
	v_lshlrev_b64 v[24:25], 1, v[32:33]
	v_cvt_f16_f32_e32 v26, v26
	v_add_co_u32 v24, vcc_lo, v20, v24
	v_add_co_ci_u32_e64 v25, null, v21, v25, vcc_lo
	flat_store_short v[24:25], v26
	s_or_b32 exec_lo, exec_lo, s12
	s_and_b32 s15, s1, s8
	s_and_saveexec_b32 s12, s15
	s_cbranch_execz .LBB210_292
.LBB210_302:
	v_cmp_ne_u32_e32 vcc_lo, 1, v70
	s_cbranch_vccnz .LBB210_304
; %bb.303:
	v_lshlrev_b64 v[24:25], 1, v[34:35]
	v_add_co_u32 v24, vcc_lo, v22, v24
	v_add_co_ci_u32_e64 v25, null, v23, v25, vcc_lo
	flat_load_ushort v24, v[24:25]
	s_waitcnt vmcnt(0) lgkmcnt(0)
	v_mul_f16_e32 v24, v48, v24
	v_cvt_f32_f16_e32 v24, v24
	s_branch .LBB210_305
.LBB210_304:
	v_mov_b32_e32 v24, 0
.LBB210_305:
	v_pk_add_f16 v25, v18, v4
	v_pk_add_f16 v26, v19, v5
	v_max_f16_e32 v27, v63, v63
	v_lshrrev_b32_e32 v28, 16, v63
	v_max_f32_e32 v24, v24, v24
	v_lshrrev_b32_e32 v29, 16, v25
	v_lshrrev_b32_e32 v30, 16, v26
	v_min_f16_e32 v25, v27, v25
	v_min3_f16 v27, v28, v29, v30
	v_min3_f16 v25, v25, v26, v27
	v_cvt_f32_f16_e32 v25, v25
	v_min_f32_e32 v26, v24, v25
	v_lshlrev_b64 v[24:25], 1, v[34:35]
	v_cvt_f16_f32_e32 v26, v26
	v_add_co_u32 v24, vcc_lo, v20, v24
	v_add_co_ci_u32_e64 v25, null, v21, v25, vcc_lo
	flat_store_short v[24:25], v26
	s_or_b32 exec_lo, exec_lo, s12
	s_and_b32 s15, s2, s8
	s_and_saveexec_b32 s12, s15
	s_cbranch_execz .LBB210_293
.LBB210_306:
	v_cmp_ne_u32_e32 vcc_lo, 1, v70
	s_cbranch_vccnz .LBB210_308
; %bb.307:
	v_lshlrev_b64 v[24:25], 1, v[36:37]
	v_add_co_u32 v24, vcc_lo, v22, v24
	v_add_co_ci_u32_e64 v25, null, v23, v25, vcc_lo
	flat_load_ushort v24, v[24:25]
	s_waitcnt vmcnt(0) lgkmcnt(0)
	v_mul_f16_e32 v24, v48, v24
	v_cvt_f32_f16_e32 v24, v24
	s_branch .LBB210_309
.LBB210_308:
	v_mov_b32_e32 v24, 0
.LBB210_309:
	v_pk_add_f16 v25, v12, v4
	v_pk_add_f16 v26, v13, v5
	v_max_f16_e32 v27, v62, v62
	v_lshrrev_b32_e32 v28, 16, v62
	v_max_f32_e32 v24, v24, v24
	v_lshrrev_b32_e32 v29, 16, v25
	v_lshrrev_b32_e32 v30, 16, v26
	v_min_f16_e32 v25, v27, v25
	v_min3_f16 v27, v28, v29, v30
	v_min3_f16 v25, v25, v26, v27
	v_cvt_f32_f16_e32 v25, v25
	v_min_f32_e32 v26, v24, v25
	v_lshlrev_b64 v[24:25], 1, v[36:37]
	v_cvt_f16_f32_e32 v26, v26
	v_add_co_u32 v24, vcc_lo, v20, v24
	v_add_co_ci_u32_e64 v25, null, v21, v25, vcc_lo
	flat_store_short v[24:25], v26
	s_or_b32 exec_lo, exec_lo, s12
	s_and_b32 s15, s3, s8
	s_and_saveexec_b32 s12, s15
	s_cbranch_execz .LBB210_294
.LBB210_310:
	v_cmp_ne_u32_e32 vcc_lo, 1, v70
	s_cbranch_vccnz .LBB210_312
; %bb.311:
	v_lshlrev_b64 v[24:25], 1, v[38:39]
	v_add_co_u32 v24, vcc_lo, v22, v24
	v_add_co_ci_u32_e64 v25, null, v23, v25, vcc_lo
	flat_load_ushort v24, v[24:25]
	s_waitcnt vmcnt(0) lgkmcnt(0)
	v_mul_f16_e32 v24, v48, v24
	v_cvt_f32_f16_e32 v24, v24
	s_branch .LBB210_313
.LBB210_312:
	v_mov_b32_e32 v24, 0
.LBB210_313:
	v_pk_add_f16 v25, v14, v4
	v_pk_add_f16 v26, v15, v5
	v_max_f16_e32 v27, v61, v61
	v_lshrrev_b32_e32 v28, 16, v61
	v_max_f32_e32 v24, v24, v24
	v_lshrrev_b32_e32 v29, 16, v25
	v_lshrrev_b32_e32 v30, 16, v26
	v_min_f16_e32 v25, v27, v25
	v_min3_f16 v27, v28, v29, v30
	v_min3_f16 v25, v25, v26, v27
	v_cvt_f32_f16_e32 v25, v25
	v_min_f32_e32 v26, v24, v25
	v_lshlrev_b64 v[24:25], 1, v[38:39]
	v_cvt_f16_f32_e32 v26, v26
	v_add_co_u32 v24, vcc_lo, v20, v24
	v_add_co_ci_u32_e64 v25, null, v21, v25, vcc_lo
	flat_store_short v[24:25], v26
	s_or_b32 exec_lo, exec_lo, s12
	s_and_b32 s15, s4, s8
	s_and_saveexec_b32 s12, s15
	s_cbranch_execz .LBB210_295
.LBB210_314:
	v_cmp_ne_u32_e32 vcc_lo, 1, v70
	s_cbranch_vccnz .LBB210_316
; %bb.315:
	v_lshlrev_b64 v[24:25], 1, v[40:41]
	v_add_co_u32 v24, vcc_lo, v22, v24
	v_add_co_ci_u32_e64 v25, null, v23, v25, vcc_lo
	flat_load_ushort v24, v[24:25]
	s_waitcnt vmcnt(0) lgkmcnt(0)
	v_mul_f16_e32 v24, v48, v24
	v_cvt_f32_f16_e32 v24, v24
	s_branch .LBB210_317
.LBB210_316:
	v_mov_b32_e32 v24, 0
.LBB210_317:
	v_pk_add_f16 v25, v8, v4
	v_pk_add_f16 v26, v9, v5
	v_max_f16_e32 v27, v60, v60
	v_lshrrev_b32_e32 v28, 16, v60
	v_max_f32_e32 v24, v24, v24
	v_lshrrev_b32_e32 v29, 16, v25
	v_lshrrev_b32_e32 v30, 16, v26
	v_min_f16_e32 v25, v27, v25
	v_min3_f16 v27, v28, v29, v30
	v_min3_f16 v25, v25, v26, v27
	v_cvt_f32_f16_e32 v25, v25
	v_min_f32_e32 v26, v24, v25
	v_lshlrev_b64 v[24:25], 1, v[40:41]
	v_cvt_f16_f32_e32 v26, v26
	v_add_co_u32 v24, vcc_lo, v20, v24
	v_add_co_ci_u32_e64 v25, null, v21, v25, vcc_lo
	flat_store_short v[24:25], v26
	s_or_b32 exec_lo, exec_lo, s12
	s_and_b32 s15, s5, s8
	s_and_saveexec_b32 s12, s15
	s_cbranch_execz .LBB210_296
.LBB210_318:
	v_cmp_ne_u32_e32 vcc_lo, 1, v70
	s_cbranch_vccnz .LBB210_320
; %bb.319:
	v_lshlrev_b64 v[24:25], 1, v[42:43]
	v_add_co_u32 v24, vcc_lo, v22, v24
	v_add_co_ci_u32_e64 v25, null, v23, v25, vcc_lo
	flat_load_ushort v24, v[24:25]
	s_waitcnt vmcnt(0) lgkmcnt(0)
	v_mul_f16_e32 v24, v48, v24
	v_cvt_f32_f16_e32 v24, v24
	s_branch .LBB210_321
.LBB210_320:
	v_mov_b32_e32 v24, 0
.LBB210_321:
	v_pk_add_f16 v25, v10, v4
	v_pk_add_f16 v26, v11, v5
	v_max_f16_e32 v27, v59, v59
	v_lshrrev_b32_e32 v28, 16, v59
	v_max_f32_e32 v24, v24, v24
	v_lshrrev_b32_e32 v29, 16, v25
	v_lshrrev_b32_e32 v30, 16, v26
	v_min_f16_e32 v25, v27, v25
	v_min3_f16 v27, v28, v29, v30
	v_min3_f16 v25, v25, v26, v27
	v_cvt_f32_f16_e32 v25, v25
	v_min_f32_e32 v26, v24, v25
	v_lshlrev_b64 v[24:25], 1, v[42:43]
	v_cvt_f16_f32_e32 v26, v26
	v_add_co_u32 v24, vcc_lo, v20, v24
	v_add_co_ci_u32_e64 v25, null, v21, v25, vcc_lo
	flat_store_short v[24:25], v26
	s_or_b32 exec_lo, exec_lo, s12
	s_and_b32 s15, s6, s8
	s_and_saveexec_b32 s12, s15
	s_cbranch_execz .LBB210_297
.LBB210_322:
	v_cmp_ne_u32_e32 vcc_lo, 1, v70
	s_cbranch_vccnz .LBB210_324
; %bb.323:
	v_lshlrev_b64 v[24:25], 1, v[44:45]
	v_add_co_u32 v24, vcc_lo, v22, v24
	v_add_co_ci_u32_e64 v25, null, v23, v25, vcc_lo
	flat_load_ushort v24, v[24:25]
	s_waitcnt vmcnt(0) lgkmcnt(0)
	v_mul_f16_e32 v24, v48, v24
	v_cvt_f32_f16_e32 v24, v24
	s_branch .LBB210_325
.LBB210_324:
	v_mov_b32_e32 v24, 0
.LBB210_325:
	v_pk_add_f16 v25, v0, v4
	v_pk_add_f16 v26, v1, v5
	v_max_f16_e32 v27, v58, v58
	v_lshrrev_b32_e32 v28, 16, v58
	v_max_f32_e32 v24, v24, v24
	v_lshrrev_b32_e32 v29, 16, v25
	v_lshrrev_b32_e32 v30, 16, v26
	v_min_f16_e32 v25, v27, v25
	v_min3_f16 v27, v28, v29, v30
	v_min3_f16 v25, v25, v26, v27
	v_cvt_f32_f16_e32 v25, v25
	v_min_f32_e32 v26, v24, v25
	v_lshlrev_b64 v[24:25], 1, v[44:45]
	v_cvt_f16_f32_e32 v26, v26
	v_add_co_u32 v24, vcc_lo, v20, v24
	v_add_co_ci_u32_e64 v25, null, v21, v25, vcc_lo
	flat_store_short v[24:25], v26
	s_or_b32 exec_lo, exec_lo, s12
	s_and_b32 s12, s7, s8
	s_and_saveexec_b32 s8, s12
	s_cbranch_execz .LBB210_330
.LBB210_326:
	v_cmp_ne_u32_e32 vcc_lo, 1, v70
	s_cbranch_vccnz .LBB210_328
; %bb.327:
	v_lshlrev_b64 v[24:25], 1, v[46:47]
	v_add_co_u32 v22, vcc_lo, v22, v24
	v_add_co_ci_u32_e64 v23, null, v23, v25, vcc_lo
	flat_load_ushort v22, v[22:23]
	s_waitcnt vmcnt(0) lgkmcnt(0)
	v_mul_f16_e32 v22, v48, v22
	v_cvt_f32_f16_e32 v22, v22
	s_branch .LBB210_329
.LBB210_328:
	v_mov_b32_e32 v22, 0
.LBB210_329:
	v_pk_add_f16 v4, v2, v4
	v_pk_add_f16 v5, v3, v5
	v_max_f16_e32 v23, v57, v57
	v_lshrrev_b32_e32 v24, 16, v57
	v_lshrrev_b32_e32 v25, 16, v4
	;; [unrolled: 1-line block ×3, first 2 shown]
	v_min_f16_e32 v4, v23, v4
	v_min3_f16 v23, v24, v25, v26
	v_min3_f16 v4, v4, v5, v23
	v_max_f32_e32 v5, v22, v22
	v_cvt_f32_f16_e32 v4, v4
	v_min_f32_e32 v22, v5, v4
	v_lshlrev_b64 v[4:5], 1, v[46:47]
	v_cvt_f16_f32_e32 v22, v22
	v_add_co_u32 v4, vcc_lo, v20, v4
	v_add_co_ci_u32_e64 v5, null, v21, v5, vcc_lo
	flat_store_short v[4:5], v22
.LBB210_330:
	s_or_b32 exec_lo, exec_lo, s8
	v_add_nc_u32_e32 v22, 56, v78
	v_mad_i64_i32 v[4:5], null, v22, s14, 0
	v_mad_i64_i32 v[20:21], null, v22, s9, 0
	v_cmp_gt_i32_e64 s8, s13, v22
	v_lshlrev_b64 v[4:5], 1, v[4:5]
	s_and_b32 s9, s0, s8
	v_lshlrev_b64 v[20:21], 1, v[20:21]
	v_add_co_u32 v22, vcc_lo, s16, v4
	v_add_co_ci_u32_e64 v23, null, s17, v5, vcc_lo
	v_add_co_u32 v20, vcc_lo, s10, v20
	v_add_co_ci_u32_e64 v21, null, s11, v21, vcc_lo
	s_and_saveexec_b32 s0, s9
	s_cbranch_execnz .LBB210_339
; %bb.331:
	s_or_b32 exec_lo, exec_lo, s0
	s_and_b32 s1, s1, s8
	s_and_saveexec_b32 s0, s1
	s_cbranch_execnz .LBB210_343
.LBB210_332:
	s_or_b32 exec_lo, exec_lo, s0
	s_and_b32 s1, s2, s8
	s_and_saveexec_b32 s0, s1
	s_cbranch_execnz .LBB210_347
.LBB210_333:
	s_or_b32 exec_lo, exec_lo, s0
	s_and_b32 s1, s3, s8
	s_and_saveexec_b32 s0, s1
	s_cbranch_execnz .LBB210_351
.LBB210_334:
	s_or_b32 exec_lo, exec_lo, s0
	s_and_b32 s1, s4, s8
	s_and_saveexec_b32 s0, s1
	s_cbranch_execnz .LBB210_355
.LBB210_335:
	s_or_b32 exec_lo, exec_lo, s0
	s_and_b32 s1, s5, s8
	s_and_saveexec_b32 s0, s1
	s_cbranch_execnz .LBB210_359
.LBB210_336:
	s_or_b32 exec_lo, exec_lo, s0
	s_and_b32 s1, s6, s8
	s_and_saveexec_b32 s0, s1
	s_cbranch_execnz .LBB210_363
.LBB210_337:
	s_or_b32 exec_lo, exec_lo, s0
	s_and_b32 s0, s7, s8
	s_and_saveexec_b32 s1, s0
	s_cbranch_execnz .LBB210_367
.LBB210_338:
	s_endpgm
.LBB210_339:
	v_cmp_ne_u32_e32 vcc_lo, 1, v70
	v_lshlrev_b64 v[4:5], 1, v[32:33]
	s_cbranch_vccnz .LBB210_341
; %bb.340:
	v_add_co_u32 v24, vcc_lo, v22, v4
	v_add_co_ci_u32_e64 v25, null, v23, v5, vcc_lo
	flat_load_ushort v24, v[24:25]
	s_waitcnt vmcnt(0) lgkmcnt(0)
	v_mul_f16_e32 v24, v48, v24
	v_cvt_f32_f16_e32 v24, v24
	s_branch .LBB210_342
.LBB210_341:
	v_mov_b32_e32 v24, 0
.LBB210_342:
	v_pk_add_f16 v16, v16, v6
	v_pk_add_f16 v17, v17, v7
	v_max_f16_e32 v25, v56, v56
	v_lshrrev_b32_e32 v26, 16, v56
	v_add_co_u32 v4, vcc_lo, v20, v4
	v_lshrrev_b32_e32 v27, 16, v16
	v_lshrrev_b32_e32 v28, 16, v17
	v_min_f16_e32 v16, v25, v16
	v_add_co_ci_u32_e64 v5, null, v21, v5, vcc_lo
	v_min3_f16 v25, v26, v27, v28
	v_min3_f16 v16, v16, v17, v25
	v_max_f32_e32 v17, v24, v24
	v_cvt_f32_f16_e32 v16, v16
	v_min_f32_e32 v16, v17, v16
	v_cvt_f16_f32_e32 v16, v16
	flat_store_short v[4:5], v16
	s_or_b32 exec_lo, exec_lo, s0
	s_and_b32 s1, s1, s8
	s_and_saveexec_b32 s0, s1
	s_cbranch_execz .LBB210_332
.LBB210_343:
	v_cmp_ne_u32_e32 vcc_lo, 1, v70
	v_lshlrev_b64 v[4:5], 1, v[34:35]
	s_cbranch_vccnz .LBB210_345
; %bb.344:
	v_add_co_u32 v16, vcc_lo, v22, v4
	v_add_co_ci_u32_e64 v17, null, v23, v5, vcc_lo
	flat_load_ushort v16, v[16:17]
	s_waitcnt vmcnt(0) lgkmcnt(0)
	v_mul_f16_e32 v16, v48, v16
	v_cvt_f32_f16_e32 v16, v16
	s_branch .LBB210_346
.LBB210_345:
	v_mov_b32_e32 v16, 0
.LBB210_346:
	v_pk_add_f16 v17, v18, v6
	v_pk_add_f16 v18, v19, v7
	v_max_f16_e32 v19, v55, v55
	v_lshrrev_b32_e32 v24, 16, v55
	v_max_f32_e32 v16, v16, v16
	v_lshrrev_b32_e32 v25, 16, v17
	v_lshrrev_b32_e32 v26, 16, v18
	v_min_f16_e32 v17, v19, v17
	v_add_co_u32 v4, vcc_lo, v20, v4
	v_add_co_ci_u32_e64 v5, null, v21, v5, vcc_lo
	v_min3_f16 v19, v24, v25, v26
	v_min3_f16 v17, v17, v18, v19
	v_cvt_f32_f16_e32 v17, v17
	v_min_f32_e32 v16, v16, v17
	v_cvt_f16_f32_e32 v16, v16
	flat_store_short v[4:5], v16
	s_or_b32 exec_lo, exec_lo, s0
	s_and_b32 s1, s2, s8
	s_and_saveexec_b32 s0, s1
	s_cbranch_execz .LBB210_333
.LBB210_347:
	v_cmp_ne_u32_e32 vcc_lo, 1, v70
	v_lshlrev_b64 v[4:5], 1, v[36:37]
	s_cbranch_vccnz .LBB210_349
; %bb.348:
	v_add_co_u32 v16, vcc_lo, v22, v4
	v_add_co_ci_u32_e64 v17, null, v23, v5, vcc_lo
	flat_load_ushort v16, v[16:17]
	s_waitcnt vmcnt(0) lgkmcnt(0)
	v_mul_f16_e32 v16, v48, v16
	v_cvt_f32_f16_e32 v16, v16
	s_branch .LBB210_350
.LBB210_349:
	v_mov_b32_e32 v16, 0
.LBB210_350:
	v_pk_add_f16 v12, v12, v6
	v_pk_add_f16 v13, v13, v7
	v_max_f16_e32 v17, v54, v54
	v_lshrrev_b32_e32 v18, 16, v54
	v_add_co_u32 v4, vcc_lo, v20, v4
	v_lshrrev_b32_e32 v19, 16, v12
	v_lshrrev_b32_e32 v24, 16, v13
	v_min_f16_e32 v12, v17, v12
	v_add_co_ci_u32_e64 v5, null, v21, v5, vcc_lo
	v_min3_f16 v17, v18, v19, v24
	v_min3_f16 v12, v12, v13, v17
	v_max_f32_e32 v13, v16, v16
	v_cvt_f32_f16_e32 v12, v12
	v_min_f32_e32 v12, v13, v12
	v_cvt_f16_f32_e32 v12, v12
	flat_store_short v[4:5], v12
	s_or_b32 exec_lo, exec_lo, s0
	s_and_b32 s1, s3, s8
	s_and_saveexec_b32 s0, s1
	s_cbranch_execz .LBB210_334
.LBB210_351:
	v_cmp_ne_u32_e32 vcc_lo, 1, v70
	v_lshlrev_b64 v[4:5], 1, v[38:39]
	s_cbranch_vccnz .LBB210_353
; %bb.352:
	v_add_co_u32 v12, vcc_lo, v22, v4
	v_add_co_ci_u32_e64 v13, null, v23, v5, vcc_lo
	flat_load_ushort v12, v[12:13]
	s_waitcnt vmcnt(0) lgkmcnt(0)
	v_mul_f16_e32 v12, v48, v12
	v_cvt_f32_f16_e32 v12, v12
	s_branch .LBB210_354
.LBB210_353:
	v_mov_b32_e32 v12, 0
.LBB210_354:
	v_pk_add_f16 v13, v14, v6
	v_pk_add_f16 v14, v15, v7
	v_max_f16_e32 v15, v53, v53
	v_lshrrev_b32_e32 v16, 16, v53
	v_max_f32_e32 v12, v12, v12
	v_lshrrev_b32_e32 v17, 16, v13
	v_lshrrev_b32_e32 v18, 16, v14
	v_min_f16_e32 v13, v15, v13
	v_add_co_u32 v4, vcc_lo, v20, v4
	v_add_co_ci_u32_e64 v5, null, v21, v5, vcc_lo
	v_min3_f16 v15, v16, v17, v18
	v_min3_f16 v13, v13, v14, v15
	v_cvt_f32_f16_e32 v13, v13
	v_min_f32_e32 v12, v12, v13
	v_cvt_f16_f32_e32 v12, v12
	flat_store_short v[4:5], v12
	s_or_b32 exec_lo, exec_lo, s0
	s_and_b32 s1, s4, s8
	s_and_saveexec_b32 s0, s1
	s_cbranch_execz .LBB210_335
.LBB210_355:
	v_cmp_ne_u32_e32 vcc_lo, 1, v70
	v_lshlrev_b64 v[4:5], 1, v[40:41]
	s_cbranch_vccnz .LBB210_357
; %bb.356:
	v_add_co_u32 v12, vcc_lo, v22, v4
	v_add_co_ci_u32_e64 v13, null, v23, v5, vcc_lo
	flat_load_ushort v12, v[12:13]
	s_waitcnt vmcnt(0) lgkmcnt(0)
	v_mul_f16_e32 v12, v48, v12
	v_cvt_f32_f16_e32 v12, v12
	s_branch .LBB210_358
.LBB210_357:
	v_mov_b32_e32 v12, 0
.LBB210_358:
	v_pk_add_f16 v8, v8, v6
	v_pk_add_f16 v9, v9, v7
	v_max_f16_e32 v13, v52, v52
	v_lshrrev_b32_e32 v14, 16, v52
	v_add_co_u32 v4, vcc_lo, v20, v4
	v_lshrrev_b32_e32 v15, 16, v8
	v_lshrrev_b32_e32 v16, 16, v9
	v_min_f16_e32 v8, v13, v8
	v_add_co_ci_u32_e64 v5, null, v21, v5, vcc_lo
	v_min3_f16 v13, v14, v15, v16
	v_min3_f16 v8, v8, v9, v13
	v_max_f32_e32 v9, v12, v12
	v_cvt_f32_f16_e32 v8, v8
	v_min_f32_e32 v8, v9, v8
	v_cvt_f16_f32_e32 v8, v8
	flat_store_short v[4:5], v8
	s_or_b32 exec_lo, exec_lo, s0
	s_and_b32 s1, s5, s8
	s_and_saveexec_b32 s0, s1
	s_cbranch_execz .LBB210_336
.LBB210_359:
	v_cmp_ne_u32_e32 vcc_lo, 1, v70
	v_lshlrev_b64 v[4:5], 1, v[42:43]
	s_cbranch_vccnz .LBB210_361
; %bb.360:
	v_add_co_u32 v8, vcc_lo, v22, v4
	v_add_co_ci_u32_e64 v9, null, v23, v5, vcc_lo
	flat_load_ushort v8, v[8:9]
	s_waitcnt vmcnt(0) lgkmcnt(0)
	v_mul_f16_e32 v8, v48, v8
	v_cvt_f32_f16_e32 v8, v8
	s_branch .LBB210_362
.LBB210_361:
	v_mov_b32_e32 v8, 0
.LBB210_362:
	v_pk_add_f16 v9, v10, v6
	v_pk_add_f16 v10, v11, v7
	v_max_f16_e32 v11, v51, v51
	v_lshrrev_b32_e32 v12, 16, v51
	v_max_f32_e32 v8, v8, v8
	v_lshrrev_b32_e32 v13, 16, v9
	v_lshrrev_b32_e32 v14, 16, v10
	v_min_f16_e32 v9, v11, v9
	v_add_co_u32 v4, vcc_lo, v20, v4
	v_add_co_ci_u32_e64 v5, null, v21, v5, vcc_lo
	v_min3_f16 v11, v12, v13, v14
	v_min3_f16 v9, v9, v10, v11
	v_cvt_f32_f16_e32 v9, v9
	v_min_f32_e32 v8, v8, v9
	v_cvt_f16_f32_e32 v8, v8
	flat_store_short v[4:5], v8
	s_or_b32 exec_lo, exec_lo, s0
	s_and_b32 s1, s6, s8
	s_and_saveexec_b32 s0, s1
	s_cbranch_execz .LBB210_337
.LBB210_363:
	v_cmp_ne_u32_e32 vcc_lo, 1, v70
	v_lshlrev_b64 v[4:5], 1, v[44:45]
	s_cbranch_vccnz .LBB210_365
; %bb.364:
	v_add_co_u32 v8, vcc_lo, v22, v4
	v_add_co_ci_u32_e64 v9, null, v23, v5, vcc_lo
	flat_load_ushort v8, v[8:9]
	s_waitcnt vmcnt(0) lgkmcnt(0)
	v_mul_f16_e32 v8, v48, v8
	v_cvt_f32_f16_e32 v8, v8
	s_branch .LBB210_366
.LBB210_365:
	v_mov_b32_e32 v8, 0
.LBB210_366:
	v_pk_add_f16 v0, v0, v6
	v_pk_add_f16 v1, v1, v7
	v_max_f16_e32 v9, v50, v50
	v_lshrrev_b32_e32 v10, 16, v50
	v_lshrrev_b32_e32 v11, 16, v0
	;; [unrolled: 1-line block ×3, first 2 shown]
	v_min_f16_e32 v0, v9, v0
	v_min3_f16 v9, v10, v11, v12
	v_min3_f16 v0, v0, v1, v9
	v_max_f32_e32 v1, v8, v8
	v_cvt_f32_f16_e32 v0, v0
	v_min_f32_e32 v0, v1, v0
	v_cvt_f16_f32_e32 v8, v0
	v_add_co_u32 v0, vcc_lo, v20, v4
	v_add_co_ci_u32_e64 v1, null, v21, v5, vcc_lo
	flat_store_short v[0:1], v8
	s_or_b32 exec_lo, exec_lo, s0
	s_and_b32 s0, s7, s8
	s_and_saveexec_b32 s1, s0
	s_cbranch_execz .LBB210_338
.LBB210_367:
	v_cmp_ne_u32_e32 vcc_lo, 1, v70
	v_lshlrev_b64 v[0:1], 1, v[46:47]
	s_cbranch_vccnz .LBB210_369
; %bb.368:
	v_add_co_u32 v4, vcc_lo, v22, v0
	v_add_co_ci_u32_e64 v5, null, v23, v1, vcc_lo
	flat_load_ushort v4, v[4:5]
	s_waitcnt vmcnt(0) lgkmcnt(0)
	v_mul_f16_e32 v4, v48, v4
	v_cvt_f32_f16_e32 v4, v4
	s_branch .LBB210_370
.LBB210_369:
	v_mov_b32_e32 v4, 0
.LBB210_370:
	v_pk_add_f16 v2, v2, v6
	v_pk_add_f16 v3, v3, v7
	v_max_f16_e32 v5, v49, v49
	v_lshrrev_b32_e32 v6, 16, v49
	v_add_co_u32 v0, vcc_lo, v20, v0
	v_lshrrev_b32_e32 v7, 16, v2
	v_lshrrev_b32_e32 v8, 16, v3
	v_min_f16_e32 v2, v5, v2
	v_add_co_ci_u32_e64 v1, null, v21, v1, vcc_lo
	v_min3_f16 v5, v6, v7, v8
	v_min3_f16 v2, v2, v3, v5
	v_max_f32_e32 v3, v4, v4
	v_cvt_f32_f16_e32 v2, v2
	v_min_f32_e32 v2, v3, v2
	v_cvt_f16_f32_e32 v2, v2
	flat_store_short v[0:1], v2
	s_endpgm
	.section	.rodata,"a",@progbits
	.p2align	6, 0x0
	.amdhsa_kernel _ZN12_GLOBAL__N_120geam_min_plus_kernelIDF16_Dv2_DF16_S1_Li32ELi8ELi256ELi64ELi4ELi64ELi4ELi4ELi64ELc78ELc78ELb0ELb1ELb1EPKDF16_KS3_KPDF16_EEviiiT16_PT17_ilS9_ilS7_S9_ilPT18_ili26rocblas_geam_ex_operation_
		.amdhsa_group_segment_fixed_size 5120
		.amdhsa_private_segment_fixed_size 0
		.amdhsa_kernarg_size 136
		.amdhsa_user_sgpr_count 6
		.amdhsa_user_sgpr_private_segment_buffer 1
		.amdhsa_user_sgpr_dispatch_ptr 0
		.amdhsa_user_sgpr_queue_ptr 0
		.amdhsa_user_sgpr_kernarg_segment_ptr 1
		.amdhsa_user_sgpr_dispatch_id 0
		.amdhsa_user_sgpr_flat_scratch_init 0
		.amdhsa_user_sgpr_private_segment_size 0
		.amdhsa_wavefront_size32 1
		.amdhsa_uses_dynamic_stack 0
		.amdhsa_system_sgpr_private_segment_wavefront_offset 0
		.amdhsa_system_sgpr_workgroup_id_x 1
		.amdhsa_system_sgpr_workgroup_id_y 0
		.amdhsa_system_sgpr_workgroup_id_z 1
		.amdhsa_system_sgpr_workgroup_info 0
		.amdhsa_system_vgpr_workitem_id 1
		.amdhsa_next_free_vgpr 174
		.amdhsa_next_free_sgpr 27
		.amdhsa_reserve_vcc 1
		.amdhsa_reserve_flat_scratch 0
		.amdhsa_float_round_mode_32 0
		.amdhsa_float_round_mode_16_64 0
		.amdhsa_float_denorm_mode_32 3
		.amdhsa_float_denorm_mode_16_64 3
		.amdhsa_dx10_clamp 1
		.amdhsa_ieee_mode 1
		.amdhsa_fp16_overflow 0
		.amdhsa_workgroup_processor_mode 1
		.amdhsa_memory_ordered 1
		.amdhsa_forward_progress 1
		.amdhsa_shared_vgpr_count 0
		.amdhsa_exception_fp_ieee_invalid_op 0
		.amdhsa_exception_fp_denorm_src 0
		.amdhsa_exception_fp_ieee_div_zero 0
		.amdhsa_exception_fp_ieee_overflow 0
		.amdhsa_exception_fp_ieee_underflow 0
		.amdhsa_exception_fp_ieee_inexact 0
		.amdhsa_exception_int_div_zero 0
	.end_amdhsa_kernel
	.section	.text._ZN12_GLOBAL__N_120geam_min_plus_kernelIDF16_Dv2_DF16_S1_Li32ELi8ELi256ELi64ELi4ELi64ELi4ELi4ELi64ELc78ELc78ELb0ELb1ELb1EPKDF16_KS3_KPDF16_EEviiiT16_PT17_ilS9_ilS7_S9_ilPT18_ili26rocblas_geam_ex_operation_,"axG",@progbits,_ZN12_GLOBAL__N_120geam_min_plus_kernelIDF16_Dv2_DF16_S1_Li32ELi8ELi256ELi64ELi4ELi64ELi4ELi4ELi64ELc78ELc78ELb0ELb1ELb1EPKDF16_KS3_KPDF16_EEviiiT16_PT17_ilS9_ilS7_S9_ilPT18_ili26rocblas_geam_ex_operation_,comdat
.Lfunc_end210:
	.size	_ZN12_GLOBAL__N_120geam_min_plus_kernelIDF16_Dv2_DF16_S1_Li32ELi8ELi256ELi64ELi4ELi64ELi4ELi4ELi64ELc78ELc78ELb0ELb1ELb1EPKDF16_KS3_KPDF16_EEviiiT16_PT17_ilS9_ilS7_S9_ilPT18_ili26rocblas_geam_ex_operation_, .Lfunc_end210-_ZN12_GLOBAL__N_120geam_min_plus_kernelIDF16_Dv2_DF16_S1_Li32ELi8ELi256ELi64ELi4ELi64ELi4ELi4ELi64ELc78ELc78ELb0ELb1ELb1EPKDF16_KS3_KPDF16_EEviiiT16_PT17_ilS9_ilS7_S9_ilPT18_ili26rocblas_geam_ex_operation_
                                        ; -- End function
	.set _ZN12_GLOBAL__N_120geam_min_plus_kernelIDF16_Dv2_DF16_S1_Li32ELi8ELi256ELi64ELi4ELi64ELi4ELi4ELi64ELc78ELc78ELb0ELb1ELb1EPKDF16_KS3_KPDF16_EEviiiT16_PT17_ilS9_ilS7_S9_ilPT18_ili26rocblas_geam_ex_operation_.num_vgpr, 174
	.set _ZN12_GLOBAL__N_120geam_min_plus_kernelIDF16_Dv2_DF16_S1_Li32ELi8ELi256ELi64ELi4ELi64ELi4ELi4ELi64ELc78ELc78ELb0ELb1ELb1EPKDF16_KS3_KPDF16_EEviiiT16_PT17_ilS9_ilS7_S9_ilPT18_ili26rocblas_geam_ex_operation_.num_agpr, 0
	.set _ZN12_GLOBAL__N_120geam_min_plus_kernelIDF16_Dv2_DF16_S1_Li32ELi8ELi256ELi64ELi4ELi64ELi4ELi4ELi64ELc78ELc78ELb0ELb1ELb1EPKDF16_KS3_KPDF16_EEviiiT16_PT17_ilS9_ilS7_S9_ilPT18_ili26rocblas_geam_ex_operation_.numbered_sgpr, 27
	.set _ZN12_GLOBAL__N_120geam_min_plus_kernelIDF16_Dv2_DF16_S1_Li32ELi8ELi256ELi64ELi4ELi64ELi4ELi4ELi64ELc78ELc78ELb0ELb1ELb1EPKDF16_KS3_KPDF16_EEviiiT16_PT17_ilS9_ilS7_S9_ilPT18_ili26rocblas_geam_ex_operation_.num_named_barrier, 0
	.set _ZN12_GLOBAL__N_120geam_min_plus_kernelIDF16_Dv2_DF16_S1_Li32ELi8ELi256ELi64ELi4ELi64ELi4ELi4ELi64ELc78ELc78ELb0ELb1ELb1EPKDF16_KS3_KPDF16_EEviiiT16_PT17_ilS9_ilS7_S9_ilPT18_ili26rocblas_geam_ex_operation_.private_seg_size, 0
	.set _ZN12_GLOBAL__N_120geam_min_plus_kernelIDF16_Dv2_DF16_S1_Li32ELi8ELi256ELi64ELi4ELi64ELi4ELi4ELi64ELc78ELc78ELb0ELb1ELb1EPKDF16_KS3_KPDF16_EEviiiT16_PT17_ilS9_ilS7_S9_ilPT18_ili26rocblas_geam_ex_operation_.uses_vcc, 1
	.set _ZN12_GLOBAL__N_120geam_min_plus_kernelIDF16_Dv2_DF16_S1_Li32ELi8ELi256ELi64ELi4ELi64ELi4ELi4ELi64ELc78ELc78ELb0ELb1ELb1EPKDF16_KS3_KPDF16_EEviiiT16_PT17_ilS9_ilS7_S9_ilPT18_ili26rocblas_geam_ex_operation_.uses_flat_scratch, 0
	.set _ZN12_GLOBAL__N_120geam_min_plus_kernelIDF16_Dv2_DF16_S1_Li32ELi8ELi256ELi64ELi4ELi64ELi4ELi4ELi64ELc78ELc78ELb0ELb1ELb1EPKDF16_KS3_KPDF16_EEviiiT16_PT17_ilS9_ilS7_S9_ilPT18_ili26rocblas_geam_ex_operation_.has_dyn_sized_stack, 0
	.set _ZN12_GLOBAL__N_120geam_min_plus_kernelIDF16_Dv2_DF16_S1_Li32ELi8ELi256ELi64ELi4ELi64ELi4ELi4ELi64ELc78ELc78ELb0ELb1ELb1EPKDF16_KS3_KPDF16_EEviiiT16_PT17_ilS9_ilS7_S9_ilPT18_ili26rocblas_geam_ex_operation_.has_recursion, 0
	.set _ZN12_GLOBAL__N_120geam_min_plus_kernelIDF16_Dv2_DF16_S1_Li32ELi8ELi256ELi64ELi4ELi64ELi4ELi4ELi64ELc78ELc78ELb0ELb1ELb1EPKDF16_KS3_KPDF16_EEviiiT16_PT17_ilS9_ilS7_S9_ilPT18_ili26rocblas_geam_ex_operation_.has_indirect_call, 0
	.section	.AMDGPU.csdata,"",@progbits
; Kernel info:
; codeLenInByte = 23272
; TotalNumSgprs: 29
; NumVgprs: 174
; ScratchSize: 0
; MemoryBound: 0
; FloatMode: 240
; IeeeMode: 1
; LDSByteSize: 5120 bytes/workgroup (compile time only)
; SGPRBlocks: 0
; VGPRBlocks: 21
; NumSGPRsForWavesPerEU: 29
; NumVGPRsForWavesPerEU: 174
; Occupancy: 5
; WaveLimiterHint : 1
; COMPUTE_PGM_RSRC2:SCRATCH_EN: 0
; COMPUTE_PGM_RSRC2:USER_SGPR: 6
; COMPUTE_PGM_RSRC2:TRAP_HANDLER: 0
; COMPUTE_PGM_RSRC2:TGID_X_EN: 1
; COMPUTE_PGM_RSRC2:TGID_Y_EN: 0
; COMPUTE_PGM_RSRC2:TGID_Z_EN: 1
; COMPUTE_PGM_RSRC2:TIDIG_COMP_CNT: 1
	.section	.text._ZN12_GLOBAL__N_120geam_min_plus_kernelIDF16_Dv2_DF16_S1_Li32ELi8ELi256ELi64ELi4ELi64ELi4ELi4ELi64ELc78ELc78ELb1ELb1ELb1EDF16_KPKDF16_KPDF16_EEviiiT16_PT17_ilS9_ilS7_S9_ilPT18_ili26rocblas_geam_ex_operation_,"axG",@progbits,_ZN12_GLOBAL__N_120geam_min_plus_kernelIDF16_Dv2_DF16_S1_Li32ELi8ELi256ELi64ELi4ELi64ELi4ELi4ELi64ELc78ELc78ELb1ELb1ELb1EDF16_KPKDF16_KPDF16_EEviiiT16_PT17_ilS9_ilS7_S9_ilPT18_ili26rocblas_geam_ex_operation_,comdat
	.globl	_ZN12_GLOBAL__N_120geam_min_plus_kernelIDF16_Dv2_DF16_S1_Li32ELi8ELi256ELi64ELi4ELi64ELi4ELi4ELi64ELc78ELc78ELb1ELb1ELb1EDF16_KPKDF16_KPDF16_EEviiiT16_PT17_ilS9_ilS7_S9_ilPT18_ili26rocblas_geam_ex_operation_ ; -- Begin function _ZN12_GLOBAL__N_120geam_min_plus_kernelIDF16_Dv2_DF16_S1_Li32ELi8ELi256ELi64ELi4ELi64ELi4ELi4ELi64ELc78ELc78ELb1ELb1ELb1EDF16_KPKDF16_KPDF16_EEviiiT16_PT17_ilS9_ilS7_S9_ilPT18_ili26rocblas_geam_ex_operation_
	.p2align	8
	.type	_ZN12_GLOBAL__N_120geam_min_plus_kernelIDF16_Dv2_DF16_S1_Li32ELi8ELi256ELi64ELi4ELi64ELi4ELi4ELi64ELc78ELc78ELb1ELb1ELb1EDF16_KPKDF16_KPDF16_EEviiiT16_PT17_ilS9_ilS7_S9_ilPT18_ili26rocblas_geam_ex_operation_,@function
_ZN12_GLOBAL__N_120geam_min_plus_kernelIDF16_Dv2_DF16_S1_Li32ELi8ELi256ELi64ELi4ELi64ELi4ELi4ELi64ELc78ELc78ELb1ELb1ELb1EDF16_KPKDF16_KPDF16_EEviiiT16_PT17_ilS9_ilS7_S9_ilPT18_ili26rocblas_geam_ex_operation_: ; @_ZN12_GLOBAL__N_120geam_min_plus_kernelIDF16_Dv2_DF16_S1_Li32ELi8ELi256ELi64ELi4ELi64ELi4ELi4ELi64ELc78ELc78ELb1ELb1ELb1EDF16_KPKDF16_KPDF16_EEviiiT16_PT17_ilS9_ilS7_S9_ilPT18_ili26rocblas_geam_ex_operation_
; %bb.0:
	s_clause 0x1
	s_load_dwordx4 s[12:15], s[4:5], 0x0
	s_load_dwordx4 s[0:3], s[4:5], 0x20
	s_mov_b32 s16, s7
	s_mov_b32 s17, 0
	s_waitcnt lgkmcnt(0)
	v_cmp_eq_f16_e64 s7, s15, 0
	s_and_b32 vcc_lo, exec_lo, s7
	s_cbranch_vccnz .LBB211_3
; %bb.1:
	s_load_dwordx2 s[8:9], s[4:5], 0x10
	s_lshl_b64 s[10:11], s[16:17], 3
	s_waitcnt lgkmcnt(0)
	s_add_u32 s8, s8, s10
	s_addc_u32 s9, s9, s11
	s_lshl_b64 s[0:1], s[0:1], 1
	s_load_dwordx2 s[8:9], s[8:9], 0x0
	s_waitcnt lgkmcnt(0)
	s_add_u32 s8, s8, s0
	s_addc_u32 s9, s9, s1
	s_andn2_b32 vcc_lo, exec_lo, s7
	s_cbranch_vccnz .LBB211_4
.LBB211_2:
	s_mov_b32 s21, 0
	s_mov_b32 s20, s16
	;; [unrolled: 1-line block ×3, first 2 shown]
	s_mov_b64 s[10:11], 0
	s_andn2_b32 vcc_lo, exec_lo, s0
	s_mov_b64 s[18:19], 0
	s_cbranch_vccz .LBB211_5
	s_branch .LBB211_6
.LBB211_3:
	s_mov_b64 s[8:9], 0
	s_andn2_b32 vcc_lo, exec_lo, s7
	s_cbranch_vccz .LBB211_2
.LBB211_4:
	s_mov_b64 s[20:21], s[16:17]
	s_mov_b64 s[10:11], 0
	;; [unrolled: 1-line block ×3, first 2 shown]
.LBB211_5:
	s_lshl_b64 s[0:1], s[16:17], 3
	s_load_dwordx2 s[16:17], s[4:5], 0x38
	s_add_u32 s0, s2, s0
	s_addc_u32 s1, s3, s1
	s_load_dwordx2 s[0:1], s[0:1], 0x0
	s_waitcnt lgkmcnt(0)
	s_lshl_b64 s[2:3], s[16:17], 1
	s_add_u32 s18, s0, s2
	s_addc_u32 s19, s1, s3
.LBB211_6:
	s_clause 0x1
	s_load_dword s15, s[4:5], 0x40
	s_load_dwordx4 s[0:3], s[4:5], 0x58
	s_waitcnt lgkmcnt(0)
	v_cmp_eq_f16_e64 s7, s15, 0
	v_cmp_neq_f16_e64 s22, s15, 0
	s_and_b32 vcc_lo, exec_lo, s7
	s_cbranch_vccnz .LBB211_8
; %bb.7:
	s_load_dwordx2 s[10:11], s[4:5], 0x48
	s_lshl_b64 s[16:17], s[20:21], 3
	s_waitcnt lgkmcnt(0)
	s_add_u32 s10, s10, s16
	s_addc_u32 s11, s11, s17
	s_lshl_b64 s[0:1], s[0:1], 1
	s_load_dwordx2 s[10:11], s[10:11], 0x0
	s_waitcnt lgkmcnt(0)
	s_add_u32 s10, s10, s0
	s_addc_u32 s11, s11, s1
.LBB211_8:
	s_lshl_b64 s[0:1], s[20:21], 3
	s_load_dword s20, s[4:5], 0x18
	s_add_u32 s16, s2, s0
	s_addc_u32 s17, s3, s1
	s_add_i32 s0, s12, -1
	v_lshl_add_u32 v4, v1, 5, v0
	s_ashr_i32 s1, s0, 31
	v_mov_b32_e32 v12, 0x7c00
	s_lshr_b32 s1, s1, 24
	v_mov_b32_e32 v13, 0x7c00
	s_add_i32 s0, s0, s1
	v_lshrrev_b32_e32 v43, 6, v4
	s_ashr_i32 s0, s0, 8
	v_and_b32_e32 v11, 63, v4
	s_add_i32 s1, s0, 1
	s_not_b32 s0, s0
	v_cvt_f32_u32_e32 v2, s1
	v_rcp_iflag_f32_e32 v2, v2
	v_mul_f32_e32 v2, 0x4f7ffffe, v2
	v_cvt_u32_f32_e32 v2, v2
	v_readfirstlane_b32 s2, v2
	s_waitcnt lgkmcnt(0)
	v_mad_i64_i32 v[2:3], null, s20, v43, 0
	s_mul_i32 s0, s0, s2
	s_mul_hi_u32 s0, s2, s0
	s_add_i32 s2, s2, s0
	v_lshlrev_b64 v[5:6], 1, v[2:3]
	s_mul_hi_u32 s0, s6, s2
	s_mul_i32 s2, s0, s1
	s_add_i32 s3, s0, 1
	s_sub_i32 s2, s6, s2
	v_add_co_u32 v5, vcc_lo, s8, v5
	s_sub_i32 s7, s2, s1
	s_cmp_ge_u32 s2, s1
	v_add_co_ci_u32_e64 v6, null, s9, v6, vcc_lo
	s_cselect_b32 s0, s3, s0
	s_cselect_b32 s2, s7, s2
	s_add_i32 s3, s0, 1
	s_cmp_ge_u32 s2, s1
	s_cselect_b32 s7, s3, s0
	v_cmp_le_i32_e64 s3, s14, v43
	s_mul_i32 s0, s7, s1
	s_sub_i32 s0, s6, s0
	s_lshl_b32 s23, s0, 8
	v_or_b32_e32 v2, s23, v11
	v_cmp_le_i32_e32 vcc_lo, s12, v2
	v_ashrrev_i32_e32 v3, 31, v2
	s_nor_b32 s0, vcc_lo, s3
	s_and_saveexec_b32 s1, s0
	s_cbranch_execz .LBB211_10
; %bb.9:
	v_lshlrev_b64 v[7:8], 1, v[2:3]
	v_add_co_u32 v7, s0, v5, v7
	v_add_co_ci_u32_e64 v8, null, v6, v8, s0
	flat_load_ushort v13, v[7:8]
.LBB211_10:
	s_or_b32 exec_lo, exec_lo, s1
	v_or_b32_e32 v7, 64, v2
	v_cmp_le_i32_e64 s0, s12, v7
	s_nor_b32 s1, s0, s3
	s_and_saveexec_b32 s2, s1
	s_cbranch_execz .LBB211_12
; %bb.11:
	v_lshlrev_b64 v[7:8], 1, v[2:3]
	v_add_co_u32 v7, s1, v5, v7
	v_add_co_ci_u32_e64 v8, null, v6, v8, s1
	flat_load_ushort v12, v[7:8] offset:128
.LBB211_12:
	s_or_b32 exec_lo, exec_lo, s2
	v_or_b32_e32 v7, 0x80, v2
	v_mov_b32_e32 v14, 0x7c00
	v_mov_b32_e32 v15, 0x7c00
	s_ashr_i32 s21, s20, 31
	v_cmp_le_i32_e64 s1, s12, v7
	s_nor_b32 s2, s1, s3
	s_and_saveexec_b32 s6, s2
	s_cbranch_execz .LBB211_14
; %bb.13:
	v_lshlrev_b64 v[7:8], 1, v[2:3]
	v_add_co_u32 v7, s2, v5, v7
	v_add_co_ci_u32_e64 v8, null, v6, v8, s2
	flat_load_ushort v15, v[7:8] offset:256
.LBB211_14:
	s_or_b32 exec_lo, exec_lo, s6
	v_or_b32_e32 v7, 0xc0, v2
	v_cmp_le_i32_e64 s2, s12, v7
	s_nor_b32 s3, s2, s3
	s_and_saveexec_b32 s6, s3
	s_cbranch_execz .LBB211_16
; %bb.15:
	v_lshlrev_b64 v[7:8], 1, v[2:3]
	v_add_co_u32 v5, s3, v5, v7
	v_add_co_ci_u32_e64 v6, null, v6, v8, s3
	flat_load_ushort v14, v[5:6] offset:384
.LBB211_16:
	s_or_b32 exec_lo, exec_lo, s6
	s_load_dword s25, s[4:5], 0x30
	v_lshrrev_b32_e32 v16, 2, v4
	s_lshl_b32 s24, s7, 6
	v_and_b32_e32 v46, 3, v0
	v_mov_b32_e32 v6, 0x7c00
	v_mov_b32_e32 v17, 0x7c00
	v_add_nc_u32_e32 v5, s24, v16
	v_cmp_gt_i32_e64 s6, s14, v46
	v_lshlrev_b32_e32 v4, 1, v46
	v_cmp_gt_i32_e64 s7, s13, v5
	v_cmp_le_i32_e64 s3, s13, v5
	s_and_b32 s6, s6, s7
	s_and_saveexec_b32 s7, s6
	s_cbranch_execz .LBB211_18
; %bb.17:
	s_waitcnt lgkmcnt(0)
	v_mad_i64_i32 v[7:8], null, v5, s25, 0
	v_lshlrev_b64 v[7:8], 1, v[7:8]
	v_add_co_u32 v7, s6, s18, v7
	v_add_co_ci_u32_e64 v8, null, s19, v8, s6
	v_add_co_u32 v7, s6, v7, v4
	v_add_co_ci_u32_e64 v8, null, 0, v8, s6
	flat_load_ushort v17, v[7:8]
.LBB211_18:
	s_or_b32 exec_lo, exec_lo, s7
	v_add_nc_u32_e32 v9, 4, v43
	v_mad_i64_i32 v[7:8], null, s20, v9, 0
	v_cmp_le_i32_e64 s6, s14, v9
	v_lshlrev_b64 v[7:8], 1, v[7:8]
	v_add_co_u32 v18, s7, s8, v7
	v_add_co_ci_u32_e64 v19, null, s9, v8, s7
	s_nor_b32 s7, vcc_lo, s6
	s_and_saveexec_b32 s26, s7
	s_cbranch_execz .LBB211_20
; %bb.19:
	v_lshlrev_b64 v[6:7], 1, v[2:3]
	v_add_co_u32 v6, s7, v18, v6
	v_add_co_ci_u32_e64 v7, null, v19, v7, s7
	flat_load_ushort v6, v[6:7]
.LBB211_20:
	s_or_b32 exec_lo, exec_lo, s26
	v_mov_b32_e32 v7, 0x7c00
	v_mov_b32_e32 v8, 0x7c00
	s_nor_b32 s7, s0, s6
	s_and_saveexec_b32 s26, s7
	s_cbranch_execz .LBB211_22
; %bb.21:
	v_lshlrev_b64 v[8:9], 1, v[2:3]
	v_add_co_u32 v8, s7, v18, v8
	v_add_co_ci_u32_e64 v9, null, v19, v9, s7
	flat_load_ushort v8, v[8:9] offset:128
.LBB211_22:
	s_or_b32 exec_lo, exec_lo, s26
	s_nor_b32 s7, s1, s6
	s_and_saveexec_b32 s26, s7
	s_cbranch_execz .LBB211_24
; %bb.23:
	v_lshlrev_b64 v[9:10], 1, v[2:3]
	v_add_co_u32 v9, s7, v18, v9
	v_add_co_ci_u32_e64 v10, null, v19, v10, s7
	flat_load_ushort v7, v[9:10] offset:256
.LBB211_24:
	s_or_b32 exec_lo, exec_lo, s26
	v_mov_b32_e32 v10, 0x7c00
	v_mov_b32_e32 v9, 0x7c00
	s_nor_b32 s6, s2, s6
	s_and_saveexec_b32 s7, s6
	s_cbranch_execz .LBB211_26
; %bb.25:
	v_lshlrev_b64 v[20:21], 1, v[2:3]
	v_add_co_u32 v18, s6, v18, v20
	v_add_co_ci_u32_e64 v19, null, v19, v21, s6
	flat_load_ushort v9, v[18:19] offset:384
.LBB211_26:
	s_or_b32 exec_lo, exec_lo, s7
	v_or_b32_e32 v18, 4, v46
	s_xor_b32 s7, s3, -1
	v_cmp_gt_i32_e64 s6, s14, v18
	s_and_b32 s3, s6, s7
	s_and_saveexec_b32 s6, s3
	s_cbranch_execz .LBB211_28
; %bb.27:
	s_waitcnt lgkmcnt(0)
	v_mad_i64_i32 v[18:19], null, v5, s25, 0
	v_lshlrev_b64 v[18:19], 1, v[18:19]
	v_add_co_u32 v10, s3, s18, v18
	v_add_co_ci_u32_e64 v19, null, s19, v19, s3
	v_add_co_u32 v18, s3, v10, v4
	v_add_co_ci_u32_e64 v19, null, 0, v19, s3
	flat_load_ushort v10, v[18:19] offset:8
.LBB211_28:
	s_or_b32 exec_lo, exec_lo, s6
	v_lshlrev_b32_e32 v44, 3, v1
	v_lshlrev_b32_e32 v18, 3, v11
	v_lshl_or_b32 v11, v16, 3, v4
	v_lshlrev_b32_e32 v45, 3, v0
	s_load_dwordx2 s[16:17], s[16:17], 0x0
	v_add_nc_u32_e32 v36, 0x1000, v44
	v_lshl_add_u32 v47, v43, 1, v18
	s_cmp_lt_i32 s14, 9
	s_waitcnt vmcnt(0) lgkmcnt(0)
	ds_write_b16 v11, v17 offset:4096
	ds_write_b16 v47, v13
	ds_write_b16 v47, v12 offset:512
	ds_write_b16 v47, v15 offset:1024
	;; [unrolled: 1-line block ×3, first 2 shown]
	s_waitcnt lgkmcnt(0)
	s_barrier
	buffer_gl0_inv
	ds_read2_b64 v[12:15], v45 offset1:32
	ds_read2_b64 v[16:19], v36 offset1:8
	ds_read2_b64 v[20:23], v45 offset0:64 offset1:96
	ds_read2_b64 v[24:27], v45 offset0:128 offset1:160
	;; [unrolled: 1-line block ×4, first 2 shown]
	s_waitcnt lgkmcnt(4)
	v_pk_add_f16 v37, v12, v16
	v_pk_add_f16 v38, v14, v16
	s_waitcnt lgkmcnt(3)
	v_pk_add_f16 v39, v20, v16
	v_pk_add_f16 v40, v22, v16
	;; [unrolled: 3-line block ×4, first 2 shown]
	v_pk_add_f16 v50, v12, v18
	v_pk_add_f16 v51, v14, v18
	;; [unrolled: 1-line block ×24, first 2 shown]
	s_waitcnt lgkmcnt(0)
	v_pk_add_f16 v74, v12, v32
	v_pk_add_f16 v75, v14, v32
	;; [unrolled: 1-line block ×13, first 2 shown]
	ds_read2_b64 v[16:19], v36 offset0:32 offset1:40
	v_pk_add_f16 v112, v26, v34
	v_pk_add_f16 v113, v28, v34
	;; [unrolled: 1-line block ×19, first 2 shown]
	ds_read2_b64 v[32:35], v36 offset0:48 offset1:56
	s_waitcnt lgkmcnt(1)
	v_pk_add_f16 v127, v12, v16
	v_pk_add_f16 v128, v14, v16
	;; [unrolled: 1-line block ×32, first 2 shown]
	s_waitcnt lgkmcnt(0)
	v_pk_add_f16 v154, v12, v32
	v_pk_add_f16 v155, v14, v32
	;; [unrolled: 1-line block ×32, first 2 shown]
	v_pk_min_f16 v35, 0x7c00, v41 op_sel_hi:[0,1]
	v_pk_min_f16 v37, 0x7c00, v37 op_sel_hi:[0,1]
	;; [unrolled: 1-line block ×5, first 2 shown]
	v_pk_min_f16 v109, v35, v62
	v_pk_min_f16 v35, 0x7c00, v51 op_sel_hi:[0,1]
	v_pk_min_f16 v119, v37, v58
	v_pk_min_f16 v117, v38, v59
	v_pk_min_f16 v111, v39, v60
	v_pk_min_f16 v110, v40, v61
	v_pk_min_f16 v37, 0x7c00, v42 op_sel_hi:[0,1]
	v_pk_min_f16 v38, 0x7c00, v48 op_sel_hi:[0,1]
	v_pk_min_f16 v39, 0x7c00, v49 op_sel_hi:[0,1]
	v_pk_min_f16 v40, 0x7c00, v50 op_sel_hi:[0,1]
	v_pk_min_f16 v104, v35, v67
	v_pk_min_f16 v35, 0x7c00, v56 op_sel_hi:[0,1]
	v_pk_min_f16 v108, v37, v63
	v_pk_min_f16 v107, v38, v64
	v_pk_min_f16 v106, v39, v65
	v_pk_min_f16 v105, v40, v66
	v_pk_min_f16 v37, 0x7c00, v52 op_sel_hi:[0,1]
	v_pk_min_f16 v38, 0x7c00, v53 op_sel_hi:[0,1]
	v_pk_min_f16 v39, 0x7c00, v54 op_sel_hi:[0,1]
	v_pk_min_f16 v40, 0x7c00, v55 op_sel_hi:[0,1]
	v_pk_min_f16 v99, v35, v72
	v_pk_min_f16 v35, 0x7c00, v77 op_sel_hi:[0,1]
	v_pk_min_f16 v103, v37, v68
	v_pk_min_f16 v102, v38, v69
	v_pk_min_f16 v101, v39, v70
	v_pk_min_f16 v100, v40, v71
	v_pk_min_f16 v37, 0x7c00, v57 op_sel_hi:[0,1]
	v_pk_min_f16 v38, 0x7c00, v74 op_sel_hi:[0,1]
	v_pk_min_f16 v39, 0x7c00, v75 op_sel_hi:[0,1]
	v_pk_min_f16 v40, 0x7c00, v76 op_sel_hi:[0,1]
	v_pk_min_f16 v94, v35, v90
	v_pk_min_f16 v35, 0x7c00, v82 op_sel_hi:[0,1]
	v_pk_min_f16 v98, v37, v73
	v_pk_min_f16 v97, v38, v87
	;; [unrolled: 1-line block ×4, first 2 shown]
	v_pk_min_f16 v37, 0x7c00, v78 op_sel_hi:[0,1]
	v_pk_min_f16 v38, 0x7c00, v79 op_sel_hi:[0,1]
	;; [unrolled: 1-line block ×3, first 2 shown]
	v_pk_min_f16 v89, v35, v118
	v_pk_min_f16 v35, 0x7c00, v112 op_sel_hi:[0,1]
	v_pk_min_f16 v16, 0x7c00, v16 op_sel_hi:[0,1]
	;; [unrolled: 1-line block ×3, first 2 shown]
	v_pk_min_f16 v93, v37, v91
	v_pk_min_f16 v92, v38, v92
	v_pk_min_f16 v91, v39, v115
	v_pk_min_f16 v37, 0x7c00, v83 op_sel_hi:[0,1]
	v_pk_min_f16 v38, 0x7c00, v84 op_sel_hi:[0,1]
	;; [unrolled: 1-line block ×3, first 2 shown]
	v_pk_min_f16 v84, v35, v124
	v_pk_min_f16 v35, 0x7c00, v129 op_sel_hi:[0,1]
	v_pk_min_f16 v73, v16, v17
	v_pk_min_f16 v16, 0x7c00, v138 op_sel_hi:[0,1]
	;; [unrolled: 2-line block ×3, first 2 shown]
	v_pk_min_f16 v88, v37, v120
	v_pk_min_f16 v87, v38, v121
	;; [unrolled: 1-line block ×3, first 2 shown]
	v_pk_min_f16 v37, 0x7c00, v113 op_sel_hi:[0,1]
	v_pk_min_f16 v38, 0x7c00, v114 op_sel_hi:[0,1]
	;; [unrolled: 1-line block ×3, first 2 shown]
	v_pk_min_f16 v79, v35, v142
	v_pk_min_f16 v35, 0x7c00, v134 op_sel_hi:[0,1]
	v_pk_min_f16 v17, 0x7c00, v36 op_sel_hi:[0,1]
	;; [unrolled: 1-line block ×3, first 2 shown]
	v_pk_min_f16 v67, v16, v151
	v_pk_min_f16 v16, 0x7c00, v155 op_sel_hi:[0,1]
	v_pk_min_f16 v85, v40, v123
	v_pk_min_f16 v40, 0x7c00, v128 op_sel_hi:[0,1]
	v_pk_min_f16 v83, v37, v125
	v_pk_min_f16 v82, v38, v126
	;; [unrolled: 1-line block ×3, first 2 shown]
	v_pk_min_f16 v37, 0x7c00, v130 op_sel_hi:[0,1]
	v_pk_min_f16 v38, 0x7c00, v131 op_sel_hi:[0,1]
	v_pk_min_f16 v39, 0x7c00, v132 op_sel_hi:[0,1]
	v_pk_min_f16 v72, v35, v147
	v_pk_min_f16 v35, 0x7c00, v139 op_sel_hi:[0,1]
	v_pk_min_f16 v66, v17, v152
	v_pk_min_f16 v64, v18, v19
	v_pk_min_f16 v17, 0x7c00, v158 op_sel_hi:[0,1]
	v_pk_min_f16 v18, 0x7c00, v159 op_sel_hi:[0,1]
	v_pk_min_f16 v62, v16, v157
	v_pk_min_f16 v16, 0x7c00, v166 op_sel_hi:[0,1]
	v_pk_min_f16 v12, 0x7c00, v12 op_sel_hi:[0,1]
	;; [unrolled: 1-line block ×3, first 2 shown]
	v_pk_min_f16 v80, v40, v141
	v_pk_min_f16 v40, 0x7c00, v133 op_sel_hi:[0,1]
	v_pk_min_f16 v78, v37, v143
	v_pk_min_f16 v77, v38, v144
	;; [unrolled: 1-line block ×3, first 2 shown]
	v_pk_min_f16 v37, 0x7c00, v135 op_sel_hi:[0,1]
	v_pk_min_f16 v38, 0x7c00, v136 op_sel_hi:[0,1]
	v_pk_min_f16 v39, 0x7c00, v137 op_sel_hi:[0,1]
	v_pk_min_f16 v36, 0x7c00, v154 op_sel_hi:[0,1]
	v_pk_min_f16 v65, v35, v153
	v_pk_min_f16 v19, 0x7c00, v162 op_sel_hi:[0,1]
	v_pk_min_f16 v35, 0x7c00, v163 op_sel_hi:[0,1]
	v_pk_min_f16 v61, v17, v160
	v_pk_min_f16 v60, v18, v161
	v_pk_min_f16 v17, 0x7c00, v32 op_sel_hi:[0,1]
	v_pk_min_f16 v18, 0x7c00, v20 op_sel_hi:[0,1]
	v_pk_min_f16 v57, v16, v34
	v_pk_min_f16 v55, v12, v13
	;; [unrolled: 1-line block ×3, first 2 shown]
	v_pk_min_f16 v12, 0x7c00, v22 op_sel_hi:[0,1]
	v_pk_min_f16 v13, 0x7c00, v24 op_sel_hi:[0,1]
	;; [unrolled: 1-line block ×5, first 2 shown]
	v_pk_min_f16 v74, v40, v146
	v_pk_min_f16 v71, v37, v148
	v_pk_min_f16 v70, v38, v149
	v_pk_min_f16 v69, v39, v150
	v_pk_min_f16 v63, v36, v156
	v_pk_min_f16 v59, v19, v164
	v_pk_min_f16 v58, v35, v165
	v_pk_min_f16 v56, v17, v33
	v_pk_min_f16 v53, v18, v21
	v_pk_min_f16 v52, v12, v23
	v_pk_min_f16 v51, v13, v25
	v_pk_min_f16 v50, v14, v27
	v_pk_min_f16 v49, v15, v29
	v_pk_min_f16 v48, v16, v31
	ds_write_b16 v47, v6 offset:2048
	ds_write_b16 v47, v8 offset:2560
	;; [unrolled: 1-line block ×5, first 2 shown]
	s_waitcnt lgkmcnt(0)
	s_barrier
	buffer_gl0_inv
	s_cbranch_scc1 .LBB211_51
; %bb.29:
	v_mad_i64_i32 v[5:6], null, s25, v5, 0
	v_add_nc_u32_e32 v7, 8, v43
	v_add_nc_u32_e32 v8, 12, v43
	v_lshlrev_b64 v[2:3], 1, v[2:3]
	v_add_nc_u32_e32 v68, 0x1000, v11
	v_or_b32_e32 v76, 0x1000, v44
	v_or_b32_e32 v112, 0x800, v47
	v_lshlrev_b64 v[5:6], 1, v[5:6]
	v_add_nc_u32_e32 v113, 0x1200, v11
	v_lshl_or_b32 v114, v0, 3, 0x800
	v_lshl_add_u32 v115, v1, 3, 0x1200
	v_add_co_u32 v9, s3, v5, v4
	v_add_co_ci_u32_e64 v10, null, 0, v6, s3
	v_mad_i64_i32 v[4:5], null, v7, s20, 0
	v_mad_i64_i32 v[6:7], null, v8, s20, 0
	v_add_co_u32 v8, s3, s18, v9
	v_add_co_ci_u32_e64 v9, null, s19, v10, s3
	v_lshlrev_b64 v[39:40], 1, v[4:5]
	v_add_co_u32 v37, s3, v8, 24
	v_add_co_ci_u32_e64 v38, null, 0, v9, s3
	v_add_co_u32 v116, s3, s8, v2
	v_lshlrev_b64 v[41:42], 1, v[6:7]
	v_add_co_ci_u32_e64 v118, null, s9, v3, s3
	s_add_i32 s18, s14, -8
	s_lshl_b64 s[8:9], s[20:21], 4
	s_mov_b32 s19, 0
	s_branch .LBB211_31
.LBB211_30:                             ;   in Loop: Header=BB211_31 Depth=1
	s_or_b32 exec_lo, exec_lo, s3
	v_pk_add_f16 v14, v6, v33
	v_pk_max_f16 v15, v119, v119
	v_pk_add_f16 v16, v8, v33
	v_pk_max_f16 v117, v117, v117
	;; [unrolled: 2-line block ×3, first 2 shown]
	v_pk_min_f16 v14, v15, v14
	v_pk_max_f16 v15, v111, v111
	v_pk_add_f16 v111, v4, v33
	v_pk_add_f16 v125, v17, v33
	v_pk_max_f16 v109, v109, v109
	v_pk_add_f16 v126, v19, v33
	v_pk_min_f16 v16, v117, v16
	v_pk_min_f16 v15, v15, v119
	;; [unrolled: 1-line block ×3, first 2 shown]
	v_pk_add_f16 v111, v21, v33
	v_pk_max_f16 v107, v107, v107
	v_pk_add_f16 v33, v23, v33
	v_pk_max_f16 v106, v106, v106
	;; [unrolled: 2-line block ×4, first 2 shown]
	v_pk_min_f16 v109, v109, v125
	v_pk_add_f16 v125, v2, v35
	v_pk_min_f16 v107, v107, v111
	v_pk_min_f16 v33, v106, v33
	;; [unrolled: 1-line block ×4, first 2 shown]
	v_pk_add_f16 v106, v4, v35
	v_pk_max_f16 v102, v102, v102
	v_pk_add_f16 v111, v17, v35
	v_pk_add_f16 v117, v19, v35
	;; [unrolled: 1-line block ×4, first 2 shown]
	v_pk_max_f16 v98, v98, v98
	v_pk_max_f16 v101, v101, v101
	;; [unrolled: 1-line block ×4, first 2 shown]
	v_pk_min_f16 v102, v102, v106
	v_pk_min_f16 v35, v98, v35
	v_pk_add_f16 v98, v6, v29
	v_pk_max_f16 v97, v97, v97
	v_pk_add_f16 v106, v8, v29
	v_pk_max_f16 v96, v96, v96
	v_pk_min_f16 v101, v101, v111
	v_pk_min_f16 v100, v100, v117
	;; [unrolled: 1-line block ×3, first 2 shown]
	v_pk_add_f16 v111, v2, v29
	v_pk_max_f16 v95, v95, v95
	v_pk_add_f16 v117, v4, v29
	v_pk_max_f16 v94, v94, v94
	v_pk_add_f16 v119, v17, v29
	v_pk_min_f16 v97, v97, v98
	v_pk_min_f16 v96, v96, v106
	v_pk_add_f16 v98, v19, v29
	v_pk_max_f16 v92, v92, v92
	v_pk_add_f16 v106, v21, v29
	v_pk_add_f16 v29, v23, v29
	v_pk_max_f16 v90, v90, v90
	v_pk_min_f16 v95, v95, v111
	v_pk_min_f16 v94, v94, v117
	v_pk_max_f16 v91, v91, v91
	v_pk_add_f16 v111, v6, v31
	v_pk_max_f16 v89, v89, v89
	v_pk_add_f16 v117, v8, v31
	v_pk_max_f16 v88, v88, v88
	v_pk_min_f16 v92, v92, v98
	v_pk_min_f16 v29, v90, v29
	v_pk_add_f16 v90, v2, v31
	v_pk_max_f16 v87, v87, v87
	v_pk_add_f16 v98, v4, v31
	v_pk_max_f16 v86, v86, v86
	v_pk_min_f16 v91, v91, v106
	v_pk_min_f16 v89, v89, v111
	;; [unrolled: 1-line block ×3, first 2 shown]
	v_pk_add_f16 v106, v17, v31
	v_pk_max_f16 v85, v85, v85
	v_pk_add_f16 v111, v19, v31
	v_pk_max_f16 v84, v84, v84
	v_pk_add_f16 v117, v21, v31
	v_pk_min_f16 v87, v87, v90
	v_pk_min_f16 v86, v86, v98
	v_pk_add_f16 v31, v23, v31
	v_pk_max_f16 v82, v82, v82
	v_pk_add_f16 v90, v6, v10
	v_pk_max_f16 v81, v81, v81
	v_pk_add_f16 v98, v8, v10
	v_pk_max_f16 v80, v80, v80
	v_pk_min_f16 v85, v85, v106
	v_pk_min_f16 v84, v84, v111
	v_pk_add_f16 v106, v2, v10
	v_pk_max_f16 v79, v79, v79
	v_pk_add_f16 v111, v4, v10
	v_pk_min_f16 v31, v82, v31
	v_pk_min_f16 v81, v81, v90
	v_pk_min_f16 v80, v80, v98
	v_pk_add_f16 v82, v17, v10
	v_pk_max_f16 v77, v77, v77
	v_pk_add_f16 v90, v19, v10
	v_pk_add_f16 v98, v21, v10
	v_pk_add_f16 v10, v23, v10
	v_pk_max_f16 v73, v73, v73
	v_pk_min_f16 v79, v79, v106
	v_pk_max_f16 v75, v75, v75
	v_pk_max_f16 v74, v74, v74
	v_pk_add_f16 v106, v6, v12
	v_pk_max_f16 v72, v72, v72
	v_pk_min_f16 v77, v77, v82
	v_pk_min_f16 v10, v73, v10
	v_pk_add_f16 v73, v8, v12
	v_pk_max_f16 v71, v71, v71
	v_pk_add_f16 v82, v2, v12
	v_pk_max_f16 v70, v70, v70
	v_pk_min_f16 v75, v75, v90
	v_pk_min_f16 v74, v74, v98
	;; [unrolled: 1-line block ×3, first 2 shown]
	v_pk_add_f16 v90, v4, v12
	v_pk_add_f16 v98, v17, v12
	v_pk_max_f16 v67, v67, v67
	v_pk_add_f16 v106, v19, v12
	v_pk_min_f16 v71, v71, v73
	v_pk_min_f16 v70, v70, v82
	v_pk_add_f16 v73, v21, v12
	v_pk_max_f16 v65, v65, v65
	v_pk_add_f16 v12, v23, v12
	v_pk_max_f16 v64, v64, v64
	;; [unrolled: 2-line block ×3, first 2 shown]
	v_pk_max_f16 v69, v69, v69
	v_pk_min_f16 v67, v67, v98
	v_pk_add_f16 v98, v2, v25
	v_pk_min_f16 v65, v65, v73
	v_pk_min_f16 v12, v64, v12
	;; [unrolled: 1-line block ×3, first 2 shown]
	v_pk_add_f16 v64, v4, v25
	v_pk_add_f16 v73, v17, v25
	v_pk_max_f16 v59, v59, v59
	v_pk_add_f16 v82, v19, v25
	v_pk_max_f16 v58, v58, v58
	;; [unrolled: 2-line block ×4, first 2 shown]
	v_pk_min_f16 v69, v69, v90
	v_pk_add_f16 v90, v8, v25
	v_pk_max_f16 v62, v62, v62
	v_pk_max_f16 v61, v61, v61
	v_pk_min_f16 v59, v59, v73
	v_pk_min_f16 v58, v58, v82
	;; [unrolled: 1-line block ×4, first 2 shown]
	v_pk_add_f16 v2, v19, v27
	v_pk_max_f16 v4, v50, v50
	v_pk_max_f16 v83, v83, v83
	v_pk_min_f16 v62, v62, v90
	v_pk_min_f16 v61, v61, v98
	v_pk_max_f16 v60, v60, v60
	v_pk_add_f16 v90, v21, v25
	v_pk_max_f16 v57, v57, v57
	v_pk_add_f16 v17, v17, v27
	v_pk_max_f16 v51, v51, v51
	v_pk_min_f16 v98, v4, v2
	v_pk_add_f16 v2, v3, v34
	v_pk_add_f16 v4, v5, v34
	v_pk_max_f16 v108, v108, v108
	v_pk_min_f16 v83, v83, v117
	v_pk_max_f16 v78, v78, v78
	v_pk_max_f16 v66, v66, v66
	v_pk_add_f16 v25, v23, v25
	v_pk_min_f16 v60, v60, v64
	v_pk_min_f16 v64, v57, v90
	v_pk_add_f16 v6, v6, v27
	v_pk_add_f16 v8, v8, v27
	v_pk_min_f16 v90, v51, v17
	v_pk_add_f16 v17, v21, v27
	v_pk_add_f16 v21, v23, v27
	v_pk_max_f16 v23, v48, v48
	v_pk_add_f16 v27, v7, v34
	v_pk_add_f16 v48, v9, v34
	v_pk_min_f16 v117, v15, v2
	v_pk_min_f16 v110, v110, v4
	v_pk_add_f16 v2, v24, v34
	v_pk_add_f16 v4, v7, v36
	v_pk_min_f16 v108, v108, v126
	v_pk_max_f16 v103, v103, v103
	v_pk_min_f16 v78, v78, v111
	v_pk_min_f16 v66, v66, v106
	;; [unrolled: 1-line block ×4, first 2 shown]
	v_pk_add_f16 v14, v18, v34
	v_pk_add_f16 v16, v20, v34
	v_pk_min_f16 v129, v33, v2
	v_pk_min_f16 v105, v105, v4
	v_pk_add_f16 v2, v18, v36
	v_pk_add_f16 v4, v20, v36
	v_pk_min_f16 v103, v103, v125
	v_pk_min_f16 v109, v109, v14
	v_pk_min_f16 v108, v108, v16
	v_pk_add_f16 v14, v9, v36
	v_pk_add_f16 v15, v3, v36
	;; [unrolled: 1-line block ×3, first 2 shown]
	v_pk_min_f16 v101, v101, v2
	v_pk_min_f16 v100, v100, v4
	v_pk_add_f16 v2, v9, v30
	v_pk_add_f16 v4, v3, v30
	v_pk_max_f16 v93, v93, v93
	v_pk_min_f16 v104, v104, v14
	v_pk_min_f16 v103, v103, v15
	;; [unrolled: 1-line block ×3, first 2 shown]
	v_pk_add_f16 v14, v22, v36
	v_pk_add_f16 v15, v24, v36
	;; [unrolled: 1-line block ×3, first 2 shown]
	v_pk_min_f16 v96, v96, v2
	v_pk_min_f16 v95, v95, v4
	v_pk_add_f16 v2, v22, v30
	v_pk_add_f16 v4, v24, v30
	v_pk_min_f16 v93, v93, v119
	v_pk_min_f16 v99, v99, v14
	;; [unrolled: 1-line block ×4, first 2 shown]
	v_pk_add_f16 v14, v5, v30
	v_pk_add_f16 v15, v18, v30
	;; [unrolled: 1-line block ×3, first 2 shown]
	v_pk_min_f16 v91, v91, v2
	v_pk_min_f16 v131, v29, v4
	v_pk_add_f16 v2, v5, v32
	v_pk_add_f16 v4, v18, v32
	v_pk_min_f16 v94, v94, v14
	v_pk_min_f16 v93, v93, v15
	;; [unrolled: 1-line block ×3, first 2 shown]
	v_pk_add_f16 v14, v7, v32
	v_pk_add_f16 v15, v9, v32
	;; [unrolled: 1-line block ×3, first 2 shown]
	v_pk_min_f16 v86, v86, v2
	v_pk_min_f16 v85, v85, v4
	v_pk_add_f16 v2, v7, v11
	v_pk_add_f16 v4, v9, v11
	v_pk_min_f16 v89, v89, v14
	v_pk_min_f16 v88, v88, v15
	;; [unrolled: 1-line block ×3, first 2 shown]
	v_pk_add_f16 v14, v20, v32
	v_pk_add_f16 v15, v22, v32
	v_pk_add_f16 v16, v24, v32
	v_pk_min_f16 v81, v81, v2
	v_pk_min_f16 v80, v80, v4
	v_pk_add_f16 v2, v20, v11
	v_pk_add_f16 v4, v22, v11
	v_pk_max_f16 v54, v54, v54
	v_pk_min_f16 v84, v84, v14
	v_pk_min_f16 v83, v83, v15
	;; [unrolled: 1-line block ×3, first 2 shown]
	v_pk_add_f16 v14, v3, v11
	v_pk_add_f16 v15, v5, v11
	;; [unrolled: 1-line block ×4, first 2 shown]
	v_pk_min_f16 v75, v75, v2
	v_pk_min_f16 v74, v74, v4
	v_pk_add_f16 v2, v3, v13
	v_pk_add_f16 v4, v5, v13
	v_pk_max_f16 v56, v56, v56
	v_pk_min_f16 v8, v54, v8
	v_pk_max_f16 v19, v49, v49
	v_pk_min_f16 v79, v79, v14
	v_pk_add_f16 v14, v7, v13
	v_pk_min_f16 v133, v10, v11
	v_pk_add_f16 v11, v20, v13
	v_pk_min_f16 v57, v70, v2
	v_pk_min_f16 v54, v69, v4
	v_pk_add_f16 v2, v24, v13
	v_pk_add_f16 v4, v7, v26
	v_pk_min_f16 v25, v56, v25
	v_pk_max_f16 v55, v55, v55
	v_pk_min_f16 v19, v19, v17
	v_pk_add_f16 v17, v22, v34
	v_pk_min_f16 v78, v78, v15
	v_pk_add_f16 v15, v9, v13
	;; [unrolled: 2-line block ×3, first 2 shown]
	v_pk_add_f16 v14, v22, v13
	v_pk_min_f16 v52, v66, v11
	v_pk_add_f16 v11, v3, v26
	v_pk_add_f16 v13, v5, v26
	v_pk_min_f16 v51, v12, v2
	v_pk_min_f16 v49, v63, v4
	v_pk_add_f16 v2, v18, v26
	v_pk_add_f16 v4, v20, v26
	v_pk_min_f16 v6, v55, v6
	v_pk_min_f16 v107, v107, v17
	;; [unrolled: 1-line block ×6, first 2 shown]
	v_pk_add_f16 v10, v9, v26
	v_pk_min_f16 v36, v61, v11
	v_pk_min_f16 v32, v60, v13
	v_pk_min_f16 v33, v59, v2
	v_pk_min_f16 v31, v58, v4
	ds_read2_b64 v[14:17], v45 offset1:32
	ds_read2_b64 v[58:61], v76 offset1:8
	v_pk_min_f16 v48, v62, v10
	v_pk_add_f16 v10, v22, v26
	v_pk_add_f16 v11, v24, v26
	v_pk_min_f16 v21, v23, v21
	v_pk_add_f16 v7, v7, v28
	v_pk_add_f16 v2, v9, v28
	v_pk_min_f16 v29, v64, v10
	v_pk_min_f16 v25, v25, v11
	ds_read2_b64 v[10:13], v45 offset0:64 offset1:96
	v_pk_add_f16 v26, v3, v28
	v_pk_add_f16 v27, v5, v28
	;; [unrolled: 1-line block ×6, first 2 shown]
	v_pk_min_f16 v23, v6, v7
	v_pk_min_f16 v35, v8, v2
	ds_read2_b64 v[6:9], v45 offset0:128 offset1:160
	v_pk_min_f16 v24, v19, v22
	v_pk_min_f16 v22, v21, v28
	s_waitcnt lgkmcnt(2)
	v_pk_add_f16 v28, v14, v58
	v_pk_max_f16 v106, v106, v106
	v_pk_add_f16 v119, v15, v59
	ds_read2_b64 v[2:5], v45 offset0:192 offset1:224
	v_pk_max_f16 v110, v110, v110
	v_pk_add_f16 v66, v16, v58
	v_pk_min_f16 v28, v106, v28
	v_pk_max_f16 v111, v111, v111
	s_waitcnt lgkmcnt(2)
	v_pk_add_f16 v67, v10, v58
	v_pk_add_f16 v69, v12, v58
	;; [unrolled: 1-line block ×3, first 2 shown]
	v_pk_min_f16 v119, v28, v119
	v_pk_max_f16 v28, v117, v117
	v_pk_add_f16 v106, v17, v59
	v_pk_min_f16 v66, v111, v66
	v_pk_min_f16 v30, v82, v27
	v_pk_add_f16 v82, v16, v60
	v_pk_min_f16 v28, v28, v67
	v_pk_min_f16 v67, v110, v69
	s_waitcnt lgkmcnt(1)
	v_pk_add_f16 v71, v8, v58
	v_pk_add_f16 v149, v9, v59
	;; [unrolled: 1-line block ×3, first 2 shown]
	v_pk_min_f16 v117, v66, v106
	v_pk_min_f16 v110, v67, v147
	v_pk_max_f16 v67, v108, v108
	s_waitcnt lgkmcnt(0)
	v_pk_add_f16 v72, v2, v58
	v_pk_add_f16 v58, v4, v58
	v_pk_max_f16 v106, v107, v107
	v_pk_add_f16 v146, v11, v59
	v_pk_min_f16 v67, v67, v71
	v_pk_add_f16 v148, v7, v59
	v_pk_add_f16 v150, v3, v59
	;; [unrolled: 1-line block ×3, first 2 shown]
	v_pk_min_f16 v72, v106, v72
	v_pk_min_f16 v108, v67, v149
	v_pk_max_f16 v67, v129, v129
	v_pk_max_f16 v104, v104, v104
	v_pk_min_f16 v34, v73, v26
	v_pk_add_f16 v73, v14, v60
	v_pk_add_f16 v152, v17, v61
	v_pk_min_f16 v58, v67, v58
	v_pk_min_f16 v107, v72, v150
	v_pk_max_f16 v72, v105, v105
	v_pk_min_f16 v26, v98, v20
	ds_read2_b64 v[62:65], v76 offset0:16 offset1:24
	v_pk_min_f16 v106, v58, v59
	v_pk_min_f16 v59, v104, v82
	v_pk_add_f16 v98, v12, v60
	v_pk_add_f16 v151, v15, v61
	v_pk_min_f16 v72, v72, v73
	v_pk_min_f16 v27, v90, v18
	v_pk_min_f16 v104, v59, v152
	v_pk_max_f16 v59, v102, v102
	v_pk_add_f16 v90, v10, v60
	v_pk_add_f16 v154, v13, v61
	v_pk_min_f16 v105, v72, v151
	v_pk_max_f16 v72, v103, v103
	v_pk_min_f16 v59, v59, v98
	v_pk_add_f16 v134, v6, v60
	v_pk_add_f16 v135, v8, v60
	;; [unrolled: 1-line block ×3, first 2 shown]
	v_pk_min_f16 v72, v72, v90
	v_pk_max_f16 v73, v101, v101
	v_pk_min_f16 v102, v59, v154
	v_pk_max_f16 v59, v100, v100
	ds_read2_b64 v[125:128], v76 offset0:32 offset1:40
	ds_read2_b64 v[18:21], v76 offset0:48 offset1:56
	v_pk_add_f16 v136, v2, v60
	v_pk_add_f16 v155, v7, v61
	;; [unrolled: 1-line block ×3, first 2 shown]
	v_pk_min_f16 v103, v72, v153
	v_pk_min_f16 v72, v73, v134
	v_pk_max_f16 v73, v99, v99
	v_pk_min_f16 v59, v59, v135
	v_pk_add_f16 v60, v4, v60
	s_waitcnt lgkmcnt(2)
	v_pk_add_f16 v137, v14, v62
	v_pk_add_f16 v157, v3, v61
	v_pk_min_f16 v101, v72, v155
	v_pk_min_f16 v72, v73, v136
	v_pk_max_f16 v73, v130, v130
	v_pk_min_f16 v100, v59, v156
	v_pk_max_f16 v59, v97, v97
	v_pk_add_f16 v138, v16, v62
	v_pk_add_f16 v139, v10, v62
	;; [unrolled: 1-line block ×3, first 2 shown]
	v_pk_min_f16 v111, v28, v146
	v_pk_max_f16 v28, v109, v109
	v_pk_min_f16 v99, v72, v157
	v_pk_min_f16 v60, v73, v60
	v_pk_max_f16 v72, v96, v96
	v_pk_max_f16 v73, v95, v95
	v_pk_min_f16 v59, v59, v137
	v_pk_add_f16 v82, v15, v63
	v_pk_add_f16 v140, v12, v62
	v_pk_min_f16 v28, v28, v70
	v_pk_min_f16 v72, v72, v138
	;; [unrolled: 1-line block ×3, first 2 shown]
	v_pk_add_f16 v90, v17, v63
	v_pk_min_f16 v98, v60, v61
	v_pk_add_f16 v60, v11, v63
	v_pk_min_f16 v97, v59, v82
	v_pk_max_f16 v59, v94, v94
	v_pk_add_f16 v141, v6, v62
	v_pk_add_f16 v142, v8, v62
	;; [unrolled: 1-line block ×12, first 2 shown]
	s_waitcnt lgkmcnt(1)
	v_pk_add_f16 v66, v14, v125
	v_pk_add_f16 v69, v16, v125
	;; [unrolled: 1-line block ×6, first 2 shown]
	v_pk_min_f16 v109, v28, v148
	v_pk_add_f16 v28, v2, v125
	v_pk_add_f16 v125, v4, v125
	;; [unrolled: 1-line block ×10, first 2 shown]
	s_waitcnt lgkmcnt(0)
	v_pk_add_f16 v152, v14, v18
	v_pk_add_f16 v163, v16, v18
	;; [unrolled: 1-line block ×13, first 2 shown]
	v_pk_min_f16 v96, v72, v90
	v_pk_add_f16 v8, v8, v20
	v_pk_min_f16 v95, v73, v60
	v_pk_add_f16 v2, v2, v20
	v_pk_min_f16 v59, v59, v140
	v_pk_max_f16 v61, v92, v92
	v_pk_add_f16 v72, v13, v63
	v_pk_max_f16 v73, v91, v91
	v_pk_add_f16 v4, v4, v20
	;; [unrolled: 2-line block ×3, first 2 shown]
	v_pk_min_f16 v61, v61, v142
	v_pk_add_f16 v90, v9, v63
	v_pk_min_f16 v73, v73, v143
	v_pk_add_f16 v91, v3, v63
	;; [unrolled: 2-line block ×3, first 2 shown]
	v_pk_min_f16 v20, v20, v62
	v_pk_max_f16 v63, v87, v87
	v_pk_max_f16 v60, v93, v93
	v_pk_min_f16 v92, v61, v90
	v_pk_min_f16 v91, v73, v91
	v_pk_add_f16 v73, v11, v65
	v_pk_min_f16 v63, v63, v158
	v_pk_min_f16 v90, v20, v59
	v_pk_max_f16 v20, v86, v86
	v_pk_min_f16 v60, v60, v141
	v_pk_add_f16 v59, v13, v65
	v_pk_min_f16 v87, v63, v73
	v_pk_max_f16 v63, v83, v83
	v_pk_min_f16 v20, v20, v159
	v_pk_min_f16 v93, v60, v82
	v_pk_max_f16 v60, v89, v89
	v_pk_max_f16 v61, v88, v88
	v_pk_add_f16 v73, v3, v65
	v_pk_min_f16 v63, v63, v162
	v_pk_min_f16 v86, v20, v59
	v_pk_max_f16 v20, v132, v132
	v_pk_add_f16 v62, v15, v65
	v_pk_min_f16 v60, v60, v144
	v_pk_add_f16 v72, v17, v65
	v_pk_min_f16 v61, v61, v145
	v_pk_min_f16 v83, v63, v73
	v_pk_add_f16 v59, v5, v65
	v_pk_min_f16 v20, v20, v64
	v_pk_max_f16 v63, v79, v79
	v_pk_min_f16 v89, v60, v62
	v_pk_min_f16 v88, v61, v72
	v_pk_add_f16 v62, v7, v65
	v_pk_add_f16 v72, v9, v65
	;; [unrolled: 1-line block ×3, first 2 shown]
	v_pk_min_f16 v63, v63, v146
	v_pk_min_f16 v82, v20, v59
	v_pk_max_f16 v20, v78, v78
	v_pk_add_f16 v59, v13, v126
	v_pk_max_f16 v61, v84, v84
	v_pk_min_f16 v79, v63, v65
	v_pk_max_f16 v63, v74, v74
	v_pk_min_f16 v20, v20, v147
	v_pk_add_f16 v65, v3, v126
	v_pk_max_f16 v60, v85, v85
	v_pk_min_f16 v61, v61, v161
	v_pk_min_f16 v28, v63, v28
	;; [unrolled: 1-line block ×3, first 2 shown]
	v_pk_max_f16 v20, v133, v133
	v_pk_min_f16 v60, v60, v160
	v_pk_min_f16 v84, v61, v72
	;; [unrolled: 1-line block ×3, first 2 shown]
	v_pk_add_f16 v28, v5, v126
	v_pk_min_f16 v20, v20, v125
	v_pk_max_f16 v61, v80, v80
	v_pk_min_f16 v85, v60, v62
	v_pk_max_f16 v60, v81, v81
	v_pk_add_f16 v64, v17, v126
	v_pk_min_f16 v73, v20, v28
	v_pk_max_f16 v20, v54, v54
	v_pk_min_f16 v61, v61, v69
	v_pk_add_f16 v28, v13, v128
	v_pk_add_f16 v62, v15, v126
	v_pk_min_f16 v60, v60, v66
	v_pk_min_f16 v20, v20, v149
	;; [unrolled: 1-line block ×3, first 2 shown]
	v_pk_max_f16 v61, v75, v75
	v_pk_add_f16 v64, v9, v126
	v_pk_min_f16 v81, v60, v62
	v_pk_min_f16 v69, v20, v28
	v_pk_max_f16 v20, v51, v51
	v_pk_max_f16 v60, v77, v77
	v_pk_min_f16 v61, v61, v71
	v_pk_add_f16 v28, v5, v128
	v_pk_add_f16 v62, v7, v126
	v_pk_min_f16 v20, v20, v127
	v_pk_min_f16 v60, v60, v70
	;; [unrolled: 1-line block ×3, first 2 shown]
	v_pk_max_f16 v56, v56, v56
	v_pk_max_f16 v55, v55, v55
	v_pk_min_f16 v64, v20, v28
	v_pk_max_f16 v20, v32, v32
	v_pk_min_f16 v77, v60, v62
	v_pk_add_f16 v59, v15, v128
	v_pk_min_f16 v56, v56, v129
	v_pk_add_f16 v60, v17, v128
	v_pk_min_f16 v55, v55, v148
	v_pk_max_f16 v52, v52, v52
	v_pk_max_f16 v50, v50, v50
	v_pk_add_f16 v28, v13, v19
	v_pk_min_f16 v20, v20, v134
	v_pk_min_f16 v72, v56, v59
	v_pk_min_f16 v71, v55, v60
	v_pk_max_f16 v53, v53, v53
	v_pk_add_f16 v55, v9, v128
	v_pk_min_f16 v52, v52, v150
	v_pk_add_f16 v56, v3, v128
	v_pk_min_f16 v50, v50, v151
	v_pk_min_f16 v60, v20, v28
	v_pk_max_f16 v20, v25, v25
	v_pk_max_f16 v23, v23, v23
	;; [unrolled: 1-line block ×4, first 2 shown]
	v_pk_add_f16 v61, v11, v128
	v_pk_add_f16 v54, v7, v128
	v_pk_min_f16 v53, v53, v58
	v_pk_min_f16 v66, v52, v55
	;; [unrolled: 1-line block ×3, first 2 shown]
	v_pk_add_f16 v50, v15, v19
	v_pk_add_f16 v52, v11, v19
	;; [unrolled: 1-line block ×3, first 2 shown]
	v_pk_min_f16 v14, v23, v14
	v_pk_add_f16 v11, v11, v21
	v_pk_min_f16 v10, v25, v10
	v_pk_min_f16 v57, v57, v67
	;; [unrolled: 1-line block ×3, first 2 shown]
	v_pk_max_f16 v48, v48, v48
	v_pk_max_f16 v36, v36, v36
	v_pk_min_f16 v55, v14, v15
	v_pk_max_f16 v14, v30, v30
	v_pk_min_f16 v53, v10, v11
	v_pk_max_f16 v10, v27, v27
	v_pk_max_f16 v49, v49, v49
	v_pk_add_f16 v51, v17, v19
	v_pk_min_f16 v48, v48, v163
	v_pk_min_f16 v36, v36, v153
	v_pk_max_f16 v32, v33, v33
	v_pk_max_f16 v31, v31, v31
	;; [unrolled: 1-line block ×3, first 2 shown]
	v_pk_min_f16 v18, v20, v18
	v_pk_max_f16 v20, v35, v35
	v_pk_add_f16 v11, v13, v21
	v_pk_min_f16 v12, v14, v12
	v_pk_max_f16 v13, v26, v26
	v_pk_min_f16 v6, v10, v6
	v_pk_max_f16 v10, v24, v24
	v_pk_max_f16 v14, v22, v22
	v_pk_min_f16 v70, v57, v61
	v_pk_min_f16 v49, v49, v152
	;; [unrolled: 1-line block ×4, first 2 shown]
	v_pk_add_f16 v33, v7, v19
	v_pk_min_f16 v32, v32, v154
	v_pk_add_f16 v36, v9, v19
	v_pk_min_f16 v31, v31, v155
	v_pk_add_f16 v48, v3, v19
	v_pk_min_f16 v29, v29, v135
	v_pk_add_f16 v19, v5, v19
	v_pk_add_f16 v17, v17, v21
	v_pk_min_f16 v16, v20, v16
	v_pk_add_f16 v7, v7, v21
	v_pk_add_f16 v9, v9, v21
	v_pk_min_f16 v8, v13, v8
	v_pk_add_f16 v3, v3, v21
	v_pk_min_f16 v2, v10, v2
	;; [unrolled: 2-line block ×3, first 2 shown]
	v_add_co_u32 v37, s3, v37, 16
	v_add_co_ci_u32_e64 v38, null, 0, v38, s3
	v_add_co_u32 v116, s3, v116, s8
	v_pk_min_f16 v63, v49, v50
	v_pk_min_f16 v59, v32, v33
	;; [unrolled: 1-line block ×11, first 2 shown]
	v_add_co_ci_u32_e64 v118, null, s9, v118, s3
	s_add_i32 s19, s19, 8
	s_waitcnt vmcnt(0)
	ds_write_b16 v112, v120
	ds_write_b16 v112, v122 offset:512
	ds_write_b16 v112, v121 offset:1024
	;; [unrolled: 1-line block ×3, first 2 shown]
	ds_write_b16 v113, v123
	s_cmp_ge_i32 s19, s18
	s_waitcnt lgkmcnt(0)
	s_barrier
	buffer_gl0_inv
	s_cbranch_scc1 .LBB211_51
.LBB211_31:                             ; =>This Inner Loop Header: Depth=1
	v_add_nc_u32_e32 v15, s19, v43
	v_mov_b32_e32 v16, 0x7c00
	v_mov_b32_e32 v121, 0x7c00
	v_add_nc_u32_e32 v2, 8, v15
	v_cmp_le_i32_e64 s3, s14, v2
	s_nor_b32 s6, vcc_lo, s3
	s_and_saveexec_b32 s20, s6
	s_cbranch_execz .LBB211_33
; %bb.32:                               ;   in Loop: Header=BB211_31 Depth=1
	v_add_co_u32 v2, s6, v116, v39
	v_add_co_ci_u32_e64 v3, null, v118, v40, s6
	flat_load_ushort v121, v[2:3]
.LBB211_33:                             ;   in Loop: Header=BB211_31 Depth=1
	s_or_b32 exec_lo, exec_lo, s20
	s_nor_b32 s6, s0, s3
	s_and_saveexec_b32 s20, s6
	s_cbranch_execz .LBB211_35
; %bb.34:                               ;   in Loop: Header=BB211_31 Depth=1
	v_add_co_u32 v2, s6, v116, v39
	v_add_co_ci_u32_e64 v3, null, v118, v40, s6
	flat_load_ushort v16, v[2:3] offset:128
.LBB211_35:                             ;   in Loop: Header=BB211_31 Depth=1
	s_or_b32 exec_lo, exec_lo, s20
	v_mov_b32_e32 v122, 0x7c00
	v_mov_b32_e32 v123, 0x7c00
	s_nor_b32 s6, s1, s3
	s_and_saveexec_b32 s20, s6
	s_cbranch_execz .LBB211_37
; %bb.36:                               ;   in Loop: Header=BB211_31 Depth=1
	v_add_co_u32 v2, s6, v116, v39
	v_add_co_ci_u32_e64 v3, null, v118, v40, s6
	flat_load_ushort v123, v[2:3] offset:256
.LBB211_37:                             ;   in Loop: Header=BB211_31 Depth=1
	s_or_b32 exec_lo, exec_lo, s20
	s_nor_b32 s3, s2, s3
	s_and_saveexec_b32 s6, s3
	s_cbranch_execz .LBB211_39
; %bb.38:                               ;   in Loop: Header=BB211_31 Depth=1
	v_add_co_u32 v2, s3, v116, v39
	v_add_co_ci_u32_e64 v3, null, v118, v40, s3
	flat_load_ushort v122, v[2:3] offset:384
.LBB211_39:                             ;   in Loop: Header=BB211_31 Depth=1
	s_or_b32 exec_lo, exec_lo, s6
	v_add_nc_u32_e32 v14, s19, v46
	v_mov_b32_e32 v120, 0x7c00
	v_mov_b32_e32 v124, 0x7c00
	v_add_nc_u32_e32 v2, 8, v14
	v_cmp_gt_i32_e64 s3, s14, v2
	s_and_b32 s3, s3, s7
	s_and_saveexec_b32 s6, s3
	s_cbranch_execz .LBB211_41
; %bb.40:                               ;   in Loop: Header=BB211_31 Depth=1
	v_add_co_u32 v2, s3, -8, v37
	v_add_co_ci_u32_e64 v3, null, -1, v38, s3
	flat_load_ushort v124, v[2:3]
.LBB211_41:                             ;   in Loop: Header=BB211_31 Depth=1
	s_or_b32 exec_lo, exec_lo, s6
	ds_read2_b64 v[6:9], v114 offset1:32
	ds_read2_b64 v[2:5], v114 offset0:64 offset1:96
	ds_read2_b64 v[17:20], v114 offset0:128 offset1:160
	;; [unrolled: 1-line block ×3, first 2 shown]
	ds_read2_b64 v[33:36], v115 offset1:8
	ds_read2_b64 v[29:32], v115 offset0:16 offset1:24
	ds_read2_b64 v[10:13], v115 offset0:32 offset1:40
	;; [unrolled: 1-line block ×3, first 2 shown]
	v_add_nc_u32_e32 v15, 12, v15
	s_waitcnt vmcnt(0) lgkmcnt(8)
	ds_write_b16 v47, v121
	ds_write_b16 v47, v16 offset:512
	ds_write_b16 v47, v123 offset:1024
	;; [unrolled: 1-line block ×3, first 2 shown]
	ds_write_b16 v68, v124
	s_waitcnt lgkmcnt(0)
	s_barrier
	v_cmp_le_i32_e64 s3, s14, v15
	buffer_gl0_inv
	s_nor_b32 s6, vcc_lo, s3
	s_and_saveexec_b32 s20, s6
	s_cbranch_execz .LBB211_43
; %bb.42:                               ;   in Loop: Header=BB211_31 Depth=1
	v_add_co_u32 v15, s6, v116, v41
	v_add_co_ci_u32_e64 v16, null, v118, v42, s6
	flat_load_ushort v120, v[15:16]
.LBB211_43:                             ;   in Loop: Header=BB211_31 Depth=1
	s_or_b32 exec_lo, exec_lo, s20
	v_mov_b32_e32 v121, 0x7c00
	v_mov_b32_e32 v122, 0x7c00
	s_nor_b32 s6, s0, s3
	s_and_saveexec_b32 s20, s6
	s_cbranch_execz .LBB211_45
; %bb.44:                               ;   in Loop: Header=BB211_31 Depth=1
	v_add_co_u32 v15, s6, v116, v41
	v_add_co_ci_u32_e64 v16, null, v118, v42, s6
	flat_load_ushort v122, v[15:16] offset:128
.LBB211_45:                             ;   in Loop: Header=BB211_31 Depth=1
	s_or_b32 exec_lo, exec_lo, s20
	s_nor_b32 s6, s1, s3
	s_and_saveexec_b32 s20, s6
	s_cbranch_execz .LBB211_47
; %bb.46:                               ;   in Loop: Header=BB211_31 Depth=1
	v_add_co_u32 v15, s6, v116, v41
	v_add_co_ci_u32_e64 v16, null, v118, v42, s6
	flat_load_ushort v121, v[15:16] offset:256
.LBB211_47:                             ;   in Loop: Header=BB211_31 Depth=1
	s_or_b32 exec_lo, exec_lo, s20
	v_mov_b32_e32 v123, 0x7c00
	v_mov_b32_e32 v124, 0x7c00
	s_nor_b32 s3, s2, s3
	s_and_saveexec_b32 s6, s3
	s_cbranch_execz .LBB211_49
; %bb.48:                               ;   in Loop: Header=BB211_31 Depth=1
	v_add_co_u32 v15, s3, v116, v41
	v_add_co_ci_u32_e64 v16, null, v118, v42, s3
	flat_load_ushort v124, v[15:16] offset:384
.LBB211_49:                             ;   in Loop: Header=BB211_31 Depth=1
	s_or_b32 exec_lo, exec_lo, s6
	v_add_nc_u32_e32 v14, 12, v14
	v_cmp_gt_i32_e64 s3, s14, v14
	s_and_b32 s6, s3, s7
	s_and_saveexec_b32 s3, s6
	s_cbranch_execz .LBB211_30
; %bb.50:                               ;   in Loop: Header=BB211_31 Depth=1
	flat_load_ushort v123, v[37:38]
	s_branch .LBB211_30
.LBB211_51:
	s_clause 0x2
	s_load_dword s14, s[4:5], 0x50
	s_load_dword s9, s[4:5], 0x68
	s_load_dwordx2 s[2:3], s[4:5], 0x70
	v_add_nc_u32_e32 v2, 0x800, v45
	v_add_nc_u32_e32 v76, s24, v1
	;; [unrolled: 1-line block ×4, first 2 shown]
	ds_read2_b64 v[16:19], v2 offset1:32
	ds_read2_b64 v[12:15], v2 offset0:64 offset1:96
	ds_read2_b64 v[8:11], v2 offset0:128 offset1:160
	;; [unrolled: 1-line block ×7, first 2 shown]
	v_cmp_gt_i32_e64 s0, s12, v32
	v_cmp_gt_i32_e64 s8, s13, v76
	v_ashrrev_i32_e32 v33, 31, v32
	v_cndmask_b32_e64 v68, 0, 1, s22
	s_waitcnt lgkmcnt(0)
	v_mad_i64_i32 v[34:35], null, v76, s14, 0
	v_mad_i64_i32 v[36:37], null, v76, s9, 0
	s_lshl_b64 s[2:3], s[2:3], 1
	s_add_u32 s16, s16, s2
	s_addc_u32 s17, s17, s3
	v_lshlrev_b64 v[34:35], 1, v[34:35]
	s_and_b32 s2, s0, s8
	v_lshlrev_b64 v[36:37], 1, v[36:37]
	v_add_co_u32 v114, vcc_lo, s10, v34
	v_add_co_ci_u32_e64 v115, null, s11, v35, vcc_lo
	v_add_co_u32 v112, vcc_lo, s16, v36
	v_add_co_ci_u32_e64 v113, null, s17, v37, vcc_lo
	s_and_saveexec_b32 s1, s2
	s_cbranch_execz .LBB211_56
; %bb.52:
	s_andn2_b32 vcc_lo, exec_lo, s22
	s_cbranch_vccnz .LBB211_54
; %bb.53:
	v_lshlrev_b64 v[34:35], 1, v[32:33]
	v_add_co_u32 v34, vcc_lo, v114, v34
	v_add_co_ci_u32_e64 v35, null, v115, v35, vcc_lo
	flat_load_ushort v34, v[34:35]
	s_waitcnt vmcnt(0) lgkmcnt(0)
	v_mul_f16_e32 v34, s15, v34
	v_cvt_f32_f16_e32 v34, v34
	s_branch .LBB211_55
.LBB211_54:
	v_mov_b32_e32 v34, 0
.LBB211_55:
	v_pk_add_f16 v35, v16, v28
	v_pk_add_f16 v36, v17, v29
	v_max_f16_e32 v37, v119, v119
	v_lshrrev_b32_e32 v38, 16, v119
	v_max_f32_e32 v34, v34, v34
	v_lshrrev_b32_e32 v39, 16, v35
	v_lshrrev_b32_e32 v40, 16, v36
	v_min_f16_e32 v35, v37, v35
	v_min3_f16 v37, v38, v39, v40
	v_min3_f16 v35, v35, v36, v37
	v_cvt_f32_f16_e32 v35, v35
	v_min_f32_e32 v36, v34, v35
	v_lshlrev_b64 v[34:35], 1, v[32:33]
	v_cvt_f16_f32_e32 v36, v36
	v_add_co_u32 v34, vcc_lo, v112, v34
	v_add_co_ci_u32_e64 v35, null, v113, v35, vcc_lo
	flat_store_short v[34:35], v36
.LBB211_56:
	s_or_b32 exec_lo, exec_lo, s1
	v_add_nc_u32_e32 v34, 32, v32
	v_cmp_gt_i32_e64 s1, s12, v34
	v_ashrrev_i32_e32 v35, 31, v34
	s_and_b32 s3, s1, s8
	s_and_saveexec_b32 s2, s3
	s_cbranch_execz .LBB211_61
; %bb.57:
	v_cmp_ne_u32_e32 vcc_lo, 1, v68
	s_cbranch_vccnz .LBB211_59
; %bb.58:
	v_lshlrev_b64 v[36:37], 1, v[34:35]
	v_add_co_u32 v36, vcc_lo, v114, v36
	v_add_co_ci_u32_e64 v37, null, v115, v37, vcc_lo
	flat_load_ushort v36, v[36:37]
	s_waitcnt vmcnt(0) lgkmcnt(0)
	v_mul_f16_e32 v36, s15, v36
	v_cvt_f32_f16_e32 v36, v36
	s_branch .LBB211_60
.LBB211_59:
	v_mov_b32_e32 v36, 0
.LBB211_60:
	v_pk_add_f16 v37, v18, v28
	v_pk_add_f16 v38, v19, v29
	v_max_f16_e32 v39, v117, v117
	v_lshrrev_b32_e32 v40, 16, v117
	v_max_f32_e32 v36, v36, v36
	v_lshrrev_b32_e32 v41, 16, v37
	v_lshrrev_b32_e32 v42, 16, v38
	v_min_f16_e32 v37, v39, v37
	v_min3_f16 v39, v40, v41, v42
	v_min3_f16 v37, v37, v38, v39
	v_cvt_f32_f16_e32 v37, v37
	v_min_f32_e32 v38, v36, v37
	v_lshlrev_b64 v[36:37], 1, v[34:35]
	v_cvt_f16_f32_e32 v38, v38
	v_add_co_u32 v36, vcc_lo, v112, v36
	v_add_co_ci_u32_e64 v37, null, v113, v37, vcc_lo
	flat_store_short v[36:37], v38
.LBB211_61:
	s_or_b32 exec_lo, exec_lo, s2
	v_add_nc_u32_e32 v36, 64, v32
	v_cmp_gt_i32_e64 s2, s12, v36
	v_ashrrev_i32_e32 v37, 31, v36
	s_and_b32 s4, s2, s8
	s_and_saveexec_b32 s3, s4
	s_cbranch_execz .LBB211_66
; %bb.62:
	v_cmp_ne_u32_e32 vcc_lo, 1, v68
	s_cbranch_vccnz .LBB211_64
; %bb.63:
	v_lshlrev_b64 v[38:39], 1, v[36:37]
	v_add_co_u32 v38, vcc_lo, v114, v38
	v_add_co_ci_u32_e64 v39, null, v115, v39, vcc_lo
	flat_load_ushort v38, v[38:39]
	s_waitcnt vmcnt(0) lgkmcnt(0)
	v_mul_f16_e32 v38, s15, v38
	v_cvt_f32_f16_e32 v38, v38
	s_branch .LBB211_65
.LBB211_64:
	v_mov_b32_e32 v38, 0
.LBB211_65:
	v_pk_add_f16 v39, v12, v28
	v_pk_add_f16 v40, v13, v29
	v_max_f16_e32 v41, v111, v111
	v_lshrrev_b32_e32 v42, 16, v111
	v_max_f32_e32 v38, v38, v38
	v_lshrrev_b32_e32 v43, 16, v39
	v_lshrrev_b32_e32 v44, 16, v40
	v_min_f16_e32 v39, v41, v39
	v_min3_f16 v41, v42, v43, v44
	v_min3_f16 v39, v39, v40, v41
	v_cvt_f32_f16_e32 v39, v39
	v_min_f32_e32 v40, v38, v39
	v_lshlrev_b64 v[38:39], 1, v[36:37]
	v_cvt_f16_f32_e32 v40, v40
	v_add_co_u32 v38, vcc_lo, v112, v38
	v_add_co_ci_u32_e64 v39, null, v113, v39, vcc_lo
	flat_store_short v[38:39], v40
.LBB211_66:
	;; [unrolled: 40-line block ×6, first 2 shown]
	s_or_b32 exec_lo, exec_lo, s7
	v_add_nc_u32_e32 v46, 0xe0, v32
	v_cmp_gt_i32_e64 s7, s12, v46
	v_ashrrev_i32_e32 v47, 31, v46
	s_and_b32 s12, s7, s8
	s_and_saveexec_b32 s8, s12
	s_cbranch_execz .LBB211_91
; %bb.87:
	v_cmp_ne_u32_e32 vcc_lo, 1, v68
	s_cbranch_vccnz .LBB211_89
; %bb.88:
	v_lshlrev_b64 v[107:108], 1, v[46:47]
	v_add_co_u32 v107, vcc_lo, v114, v107
	v_add_co_ci_u32_e64 v108, null, v115, v108, vcc_lo
	flat_load_ushort v107, v[107:108]
	s_waitcnt vmcnt(0) lgkmcnt(0)
	v_mul_f16_e32 v107, s15, v107
	v_cvt_f32_f16_e32 v107, v107
	s_branch .LBB211_90
.LBB211_89:
	v_mov_b32_e32 v107, 0
.LBB211_90:
	v_pk_add_f16 v28, v2, v28
	v_pk_add_f16 v29, v3, v29
	v_max_f16_e32 v108, v106, v106
	v_lshrrev_b32_e32 v106, 16, v106
	v_lshrrev_b32_e32 v109, 16, v28
	;; [unrolled: 1-line block ×3, first 2 shown]
	v_min_f16_e32 v28, v108, v28
	v_min3_f16 v106, v106, v109, v110
	v_min3_f16 v28, v28, v29, v106
	v_max_f32_e32 v29, v107, v107
	v_cvt_f32_f16_e32 v28, v28
	v_min_f32_e32 v106, v29, v28
	v_lshlrev_b64 v[28:29], 1, v[46:47]
	v_cvt_f16_f32_e32 v106, v106
	v_add_co_u32 v28, vcc_lo, v112, v28
	v_add_co_ci_u32_e64 v29, null, v113, v29, vcc_lo
	flat_store_short v[28:29], v106
.LBB211_91:
	s_or_b32 exec_lo, exec_lo, s8
	v_add_nc_u32_e32 v108, 8, v76
	v_mad_i64_i32 v[28:29], null, v108, s14, 0
	v_mad_i64_i32 v[106:107], null, v108, s9, 0
	v_cmp_gt_i32_e64 s8, s13, v108
	v_lshlrev_b64 v[28:29], 1, v[28:29]
	s_and_b32 s18, s0, s8
	v_lshlrev_b64 v[108:109], 1, v[106:107]
	v_add_co_u32 v106, vcc_lo, s10, v28
	v_add_co_ci_u32_e64 v107, null, s11, v29, vcc_lo
	v_add_co_u32 v28, vcc_lo, s16, v108
	v_add_co_ci_u32_e64 v29, null, s17, v109, vcc_lo
	s_and_saveexec_b32 s12, s18
	s_cbranch_execnz .LBB211_99
; %bb.92:
	s_or_b32 exec_lo, exec_lo, s12
	s_and_b32 s18, s1, s8
	s_and_saveexec_b32 s12, s18
	s_cbranch_execnz .LBB211_103
.LBB211_93:
	s_or_b32 exec_lo, exec_lo, s12
	s_and_b32 s18, s2, s8
	s_and_saveexec_b32 s12, s18
	s_cbranch_execnz .LBB211_107
.LBB211_94:
	s_or_b32 exec_lo, exec_lo, s12
	s_and_b32 s18, s3, s8
	s_and_saveexec_b32 s12, s18
	s_cbranch_execnz .LBB211_111
.LBB211_95:
	s_or_b32 exec_lo, exec_lo, s12
	s_and_b32 s18, s4, s8
	s_and_saveexec_b32 s12, s18
	s_cbranch_execnz .LBB211_115
.LBB211_96:
	s_or_b32 exec_lo, exec_lo, s12
	s_and_b32 s18, s5, s8
	s_and_saveexec_b32 s12, s18
	s_cbranch_execnz .LBB211_119
.LBB211_97:
	s_or_b32 exec_lo, exec_lo, s12
	s_and_b32 s18, s6, s8
	s_and_saveexec_b32 s12, s18
	s_cbranch_execnz .LBB211_123
.LBB211_98:
	s_or_b32 exec_lo, exec_lo, s12
	s_and_b32 s12, s7, s8
	s_and_saveexec_b32 s8, s12
	s_cbranch_execnz .LBB211_127
	s_branch .LBB211_131
.LBB211_99:
	v_cmp_ne_u32_e32 vcc_lo, 1, v68
	s_cbranch_vccnz .LBB211_101
; %bb.100:
	v_lshlrev_b64 v[108:109], 1, v[32:33]
	v_add_co_u32 v108, vcc_lo, v106, v108
	v_add_co_ci_u32_e64 v109, null, v107, v109, vcc_lo
	flat_load_ushort v108, v[108:109]
	s_waitcnt vmcnt(0) lgkmcnt(0)
	v_mul_f16_e32 v108, s15, v108
	v_cvt_f32_f16_e32 v108, v108
	s_branch .LBB211_102
.LBB211_101:
	v_mov_b32_e32 v108, 0
.LBB211_102:
	v_pk_add_f16 v109, v16, v30
	v_pk_add_f16 v110, v17, v31
	v_max_f16_e32 v111, v105, v105
	v_lshrrev_b32_e32 v105, 16, v105
	v_max_f32_e32 v108, v108, v108
	v_lshrrev_b32_e32 v112, 16, v109
	v_lshrrev_b32_e32 v113, 16, v110
	v_min_f16_e32 v109, v111, v109
	v_min3_f16 v105, v105, v112, v113
	v_min3_f16 v105, v109, v110, v105
	v_cvt_f32_f16_e32 v105, v105
	v_min_f32_e32 v105, v108, v105
	v_lshlrev_b64 v[108:109], 1, v[32:33]
	v_cvt_f16_f32_e32 v105, v105
	v_add_co_u32 v108, vcc_lo, v28, v108
	v_add_co_ci_u32_e64 v109, null, v29, v109, vcc_lo
	flat_store_short v[108:109], v105
	s_or_b32 exec_lo, exec_lo, s12
	s_and_b32 s18, s1, s8
	s_and_saveexec_b32 s12, s18
	s_cbranch_execz .LBB211_93
.LBB211_103:
	v_cmp_ne_u32_e32 vcc_lo, 1, v68
	s_cbranch_vccnz .LBB211_105
; %bb.104:
	v_lshlrev_b64 v[108:109], 1, v[34:35]
	v_add_co_u32 v108, vcc_lo, v106, v108
	v_add_co_ci_u32_e64 v109, null, v107, v109, vcc_lo
	flat_load_ushort v105, v[108:109]
	s_waitcnt vmcnt(0) lgkmcnt(0)
	v_mul_f16_e32 v105, s15, v105
	v_cvt_f32_f16_e32 v105, v105
	s_branch .LBB211_106
.LBB211_105:
	v_mov_b32_e32 v105, 0
.LBB211_106:
	v_pk_add_f16 v108, v18, v30
	v_pk_add_f16 v109, v19, v31
	v_max_f16_e32 v110, v104, v104
	v_lshrrev_b32_e32 v104, 16, v104
	v_max_f32_e32 v105, v105, v105
	v_lshrrev_b32_e32 v111, 16, v108
	v_lshrrev_b32_e32 v112, 16, v109
	v_min_f16_e32 v108, v110, v108
	v_min3_f16 v104, v104, v111, v112
	v_min3_f16 v104, v108, v109, v104
	v_cvt_f32_f16_e32 v104, v104
	v_min_f32_e32 v108, v105, v104
	v_lshlrev_b64 v[104:105], 1, v[34:35]
	v_cvt_f16_f32_e32 v108, v108
	v_add_co_u32 v104, vcc_lo, v28, v104
	v_add_co_ci_u32_e64 v105, null, v29, v105, vcc_lo
	flat_store_short v[104:105], v108
	s_or_b32 exec_lo, exec_lo, s12
	s_and_b32 s18, s2, s8
	s_and_saveexec_b32 s12, s18
	s_cbranch_execz .LBB211_94
.LBB211_107:
	v_cmp_ne_u32_e32 vcc_lo, 1, v68
	s_cbranch_vccnz .LBB211_109
; %bb.108:
	v_lshlrev_b64 v[104:105], 1, v[36:37]
	v_add_co_u32 v104, vcc_lo, v106, v104
	v_add_co_ci_u32_e64 v105, null, v107, v105, vcc_lo
	flat_load_ushort v104, v[104:105]
	s_waitcnt vmcnt(0) lgkmcnt(0)
	v_mul_f16_e32 v104, s15, v104
	v_cvt_f32_f16_e32 v104, v104
	s_branch .LBB211_110
.LBB211_109:
	v_mov_b32_e32 v104, 0
.LBB211_110:
	v_pk_add_f16 v105, v12, v30
	v_pk_add_f16 v108, v13, v31
	v_max_f16_e32 v109, v103, v103
	v_lshrrev_b32_e32 v103, 16, v103
	v_max_f32_e32 v104, v104, v104
	v_lshrrev_b32_e32 v110, 16, v105
	v_lshrrev_b32_e32 v111, 16, v108
	v_min_f16_e32 v105, v109, v105
	v_min3_f16 v103, v103, v110, v111
	v_min3_f16 v103, v105, v108, v103
	v_cvt_f32_f16_e32 v103, v103
	v_min_f32_e32 v105, v104, v103
	v_lshlrev_b64 v[103:104], 1, v[36:37]
	v_cvt_f16_f32_e32 v105, v105
	v_add_co_u32 v103, vcc_lo, v28, v103
	v_add_co_ci_u32_e64 v104, null, v29, v104, vcc_lo
	flat_store_short v[103:104], v105
	s_or_b32 exec_lo, exec_lo, s12
	s_and_b32 s18, s3, s8
	s_and_saveexec_b32 s12, s18
	s_cbranch_execz .LBB211_95
.LBB211_111:
	v_cmp_ne_u32_e32 vcc_lo, 1, v68
	s_cbranch_vccnz .LBB211_113
; %bb.112:
	v_lshlrev_b64 v[103:104], 1, v[38:39]
	v_add_co_u32 v103, vcc_lo, v106, v103
	v_add_co_ci_u32_e64 v104, null, v107, v104, vcc_lo
	flat_load_ushort v103, v[103:104]
	s_waitcnt vmcnt(0) lgkmcnt(0)
	v_mul_f16_e32 v103, s15, v103
	v_cvt_f32_f16_e32 v103, v103
	s_branch .LBB211_114
.LBB211_113:
	v_mov_b32_e32 v103, 0
.LBB211_114:
	v_pk_add_f16 v104, v14, v30
	v_pk_add_f16 v105, v15, v31
	v_max_f16_e32 v108, v102, v102
	v_lshrrev_b32_e32 v102, 16, v102
	v_max_f32_e32 v103, v103, v103
	v_lshrrev_b32_e32 v109, 16, v104
	v_lshrrev_b32_e32 v110, 16, v105
	v_min_f16_e32 v104, v108, v104
	v_min3_f16 v102, v102, v109, v110
	v_min3_f16 v102, v104, v105, v102
	v_cvt_f32_f16_e32 v102, v102
	v_min_f32_e32 v104, v103, v102
	v_lshlrev_b64 v[102:103], 1, v[38:39]
	v_cvt_f16_f32_e32 v104, v104
	v_add_co_u32 v102, vcc_lo, v28, v102
	v_add_co_ci_u32_e64 v103, null, v29, v103, vcc_lo
	flat_store_short v[102:103], v104
	s_or_b32 exec_lo, exec_lo, s12
	s_and_b32 s18, s4, s8
	s_and_saveexec_b32 s12, s18
	s_cbranch_execz .LBB211_96
.LBB211_115:
	v_cmp_ne_u32_e32 vcc_lo, 1, v68
	s_cbranch_vccnz .LBB211_117
; %bb.116:
	v_lshlrev_b64 v[102:103], 1, v[40:41]
	v_add_co_u32 v102, vcc_lo, v106, v102
	v_add_co_ci_u32_e64 v103, null, v107, v103, vcc_lo
	flat_load_ushort v102, v[102:103]
	s_waitcnt vmcnt(0) lgkmcnt(0)
	v_mul_f16_e32 v102, s15, v102
	v_cvt_f32_f16_e32 v102, v102
	s_branch .LBB211_118
.LBB211_117:
	v_mov_b32_e32 v102, 0
.LBB211_118:
	v_pk_add_f16 v103, v8, v30
	v_pk_add_f16 v104, v9, v31
	v_max_f16_e32 v105, v101, v101
	v_lshrrev_b32_e32 v101, 16, v101
	v_max_f32_e32 v102, v102, v102
	v_lshrrev_b32_e32 v108, 16, v103
	v_lshrrev_b32_e32 v109, 16, v104
	v_min_f16_e32 v103, v105, v103
	v_min3_f16 v101, v101, v108, v109
	v_min3_f16 v101, v103, v104, v101
	v_cvt_f32_f16_e32 v101, v101
	v_min_f32_e32 v103, v102, v101
	v_lshlrev_b64 v[101:102], 1, v[40:41]
	v_cvt_f16_f32_e32 v103, v103
	v_add_co_u32 v101, vcc_lo, v28, v101
	v_add_co_ci_u32_e64 v102, null, v29, v102, vcc_lo
	flat_store_short v[101:102], v103
	s_or_b32 exec_lo, exec_lo, s12
	s_and_b32 s18, s5, s8
	s_and_saveexec_b32 s12, s18
	s_cbranch_execz .LBB211_97
.LBB211_119:
	v_cmp_ne_u32_e32 vcc_lo, 1, v68
	s_cbranch_vccnz .LBB211_121
; %bb.120:
	v_lshlrev_b64 v[101:102], 1, v[42:43]
	v_add_co_u32 v101, vcc_lo, v106, v101
	v_add_co_ci_u32_e64 v102, null, v107, v102, vcc_lo
	flat_load_ushort v101, v[101:102]
	s_waitcnt vmcnt(0) lgkmcnt(0)
	v_mul_f16_e32 v101, s15, v101
	v_cvt_f32_f16_e32 v101, v101
	s_branch .LBB211_122
.LBB211_121:
	v_mov_b32_e32 v101, 0
.LBB211_122:
	v_pk_add_f16 v102, v10, v30
	v_pk_add_f16 v103, v11, v31
	v_max_f16_e32 v104, v100, v100
	v_lshrrev_b32_e32 v100, 16, v100
	v_max_f32_e32 v101, v101, v101
	v_lshrrev_b32_e32 v105, 16, v102
	v_lshrrev_b32_e32 v108, 16, v103
	v_min_f16_e32 v102, v104, v102
	v_min3_f16 v100, v100, v105, v108
	v_min3_f16 v100, v102, v103, v100
	v_cvt_f32_f16_e32 v100, v100
	v_min_f32_e32 v102, v101, v100
	v_lshlrev_b64 v[100:101], 1, v[42:43]
	v_cvt_f16_f32_e32 v102, v102
	v_add_co_u32 v100, vcc_lo, v28, v100
	v_add_co_ci_u32_e64 v101, null, v29, v101, vcc_lo
	flat_store_short v[100:101], v102
	s_or_b32 exec_lo, exec_lo, s12
	s_and_b32 s18, s6, s8
	s_and_saveexec_b32 s12, s18
	s_cbranch_execz .LBB211_98
.LBB211_123:
	v_cmp_ne_u32_e32 vcc_lo, 1, v68
	s_cbranch_vccnz .LBB211_125
; %bb.124:
	v_lshlrev_b64 v[100:101], 1, v[44:45]
	v_add_co_u32 v100, vcc_lo, v106, v100
	v_add_co_ci_u32_e64 v101, null, v107, v101, vcc_lo
	flat_load_ushort v100, v[100:101]
	s_waitcnt vmcnt(0) lgkmcnt(0)
	v_mul_f16_e32 v100, s15, v100
	v_cvt_f32_f16_e32 v100, v100
	s_branch .LBB211_126
.LBB211_125:
	v_mov_b32_e32 v100, 0
.LBB211_126:
	v_pk_add_f16 v101, v0, v30
	v_pk_add_f16 v102, v1, v31
	v_max_f16_e32 v103, v99, v99
	v_lshrrev_b32_e32 v99, 16, v99
	v_max_f32_e32 v100, v100, v100
	v_lshrrev_b32_e32 v104, 16, v101
	v_lshrrev_b32_e32 v105, 16, v102
	v_min_f16_e32 v101, v103, v101
	v_min3_f16 v99, v99, v104, v105
	v_min3_f16 v99, v101, v102, v99
	v_cvt_f32_f16_e32 v99, v99
	v_min_f32_e32 v101, v100, v99
	v_lshlrev_b64 v[99:100], 1, v[44:45]
	v_cvt_f16_f32_e32 v101, v101
	v_add_co_u32 v99, vcc_lo, v28, v99
	v_add_co_ci_u32_e64 v100, null, v29, v100, vcc_lo
	flat_store_short v[99:100], v101
	s_or_b32 exec_lo, exec_lo, s12
	s_and_b32 s12, s7, s8
	s_and_saveexec_b32 s8, s12
	s_cbranch_execz .LBB211_131
.LBB211_127:
	v_cmp_ne_u32_e32 vcc_lo, 1, v68
	s_cbranch_vccnz .LBB211_129
; %bb.128:
	v_lshlrev_b64 v[99:100], 1, v[46:47]
	v_add_co_u32 v99, vcc_lo, v106, v99
	v_add_co_ci_u32_e64 v100, null, v107, v100, vcc_lo
	flat_load_ushort v99, v[99:100]
	s_waitcnt vmcnt(0) lgkmcnt(0)
	v_mul_f16_e32 v99, s15, v99
	v_cvt_f32_f16_e32 v99, v99
	s_branch .LBB211_130
.LBB211_129:
	v_mov_b32_e32 v99, 0
.LBB211_130:
	v_pk_add_f16 v30, v2, v30
	v_pk_add_f16 v31, v3, v31
	v_max_f16_e32 v100, v98, v98
	v_lshrrev_b32_e32 v98, 16, v98
	v_lshrrev_b32_e32 v101, 16, v30
	;; [unrolled: 1-line block ×3, first 2 shown]
	v_min_f16_e32 v30, v100, v30
	v_min3_f16 v98, v98, v101, v102
	v_min3_f16 v30, v30, v31, v98
	v_max_f32_e32 v31, v99, v99
	v_cvt_f32_f16_e32 v30, v30
	v_min_f32_e32 v98, v31, v30
	v_lshlrev_b64 v[30:31], 1, v[46:47]
	v_cvt_f16_f32_e32 v98, v98
	v_add_co_u32 v28, vcc_lo, v28, v30
	v_add_co_ci_u32_e64 v29, null, v29, v31, vcc_lo
	flat_store_short v[28:29], v98
.LBB211_131:
	s_or_b32 exec_lo, exec_lo, s8
	v_add_nc_u32_e32 v98, 16, v76
	v_mad_i64_i32 v[28:29], null, v98, s14, 0
	v_mad_i64_i32 v[30:31], null, v98, s9, 0
	v_cmp_gt_i32_e64 s8, s13, v98
	v_lshlrev_b64 v[28:29], 1, v[28:29]
	s_and_b32 s18, s0, s8
	v_lshlrev_b64 v[98:99], 1, v[30:31]
	v_add_co_u32 v30, vcc_lo, s10, v28
	v_add_co_ci_u32_e64 v31, null, s11, v29, vcc_lo
	v_add_co_u32 v28, vcc_lo, s16, v98
	v_add_co_ci_u32_e64 v29, null, s17, v99, vcc_lo
	s_and_saveexec_b32 s12, s18
	s_cbranch_execnz .LBB211_139
; %bb.132:
	s_or_b32 exec_lo, exec_lo, s12
	s_and_b32 s18, s1, s8
	s_and_saveexec_b32 s12, s18
	s_cbranch_execnz .LBB211_143
.LBB211_133:
	s_or_b32 exec_lo, exec_lo, s12
	s_and_b32 s18, s2, s8
	s_and_saveexec_b32 s12, s18
	s_cbranch_execnz .LBB211_147
.LBB211_134:
	s_or_b32 exec_lo, exec_lo, s12
	s_and_b32 s18, s3, s8
	s_and_saveexec_b32 s12, s18
	s_cbranch_execnz .LBB211_151
.LBB211_135:
	s_or_b32 exec_lo, exec_lo, s12
	s_and_b32 s18, s4, s8
	s_and_saveexec_b32 s12, s18
	s_cbranch_execnz .LBB211_155
.LBB211_136:
	s_or_b32 exec_lo, exec_lo, s12
	s_and_b32 s18, s5, s8
	s_and_saveexec_b32 s12, s18
	s_cbranch_execnz .LBB211_159
.LBB211_137:
	s_or_b32 exec_lo, exec_lo, s12
	s_and_b32 s18, s6, s8
	s_and_saveexec_b32 s12, s18
	s_cbranch_execnz .LBB211_163
.LBB211_138:
	s_or_b32 exec_lo, exec_lo, s12
	s_and_b32 s12, s7, s8
	s_and_saveexec_b32 s8, s12
	s_cbranch_execnz .LBB211_167
	s_branch .LBB211_171
.LBB211_139:
	v_cmp_ne_u32_e32 vcc_lo, 1, v68
	s_cbranch_vccnz .LBB211_141
; %bb.140:
	v_lshlrev_b64 v[98:99], 1, v[32:33]
	v_add_co_u32 v98, vcc_lo, v30, v98
	v_add_co_ci_u32_e64 v99, null, v31, v99, vcc_lo
	flat_load_ushort v98, v[98:99]
	s_waitcnt vmcnt(0) lgkmcnt(0)
	v_mul_f16_e32 v98, s15, v98
	v_cvt_f32_f16_e32 v98, v98
	s_branch .LBB211_142
.LBB211_141:
	v_mov_b32_e32 v98, 0
.LBB211_142:
	v_pk_add_f16 v99, v16, v24
	v_pk_add_f16 v100, v17, v25
	v_max_f16_e32 v101, v97, v97
	v_lshrrev_b32_e32 v97, 16, v97
	v_max_f32_e32 v98, v98, v98
	v_lshrrev_b32_e32 v102, 16, v99
	v_lshrrev_b32_e32 v103, 16, v100
	v_min_f16_e32 v99, v101, v99
	v_min3_f16 v97, v97, v102, v103
	v_min3_f16 v97, v99, v100, v97
	v_cvt_f32_f16_e32 v97, v97
	v_min_f32_e32 v99, v98, v97
	v_lshlrev_b64 v[97:98], 1, v[32:33]
	v_cvt_f16_f32_e32 v99, v99
	v_add_co_u32 v97, vcc_lo, v28, v97
	v_add_co_ci_u32_e64 v98, null, v29, v98, vcc_lo
	flat_store_short v[97:98], v99
	s_or_b32 exec_lo, exec_lo, s12
	s_and_b32 s18, s1, s8
	s_and_saveexec_b32 s12, s18
	s_cbranch_execz .LBB211_133
.LBB211_143:
	v_cmp_ne_u32_e32 vcc_lo, 1, v68
	s_cbranch_vccnz .LBB211_145
; %bb.144:
	v_lshlrev_b64 v[97:98], 1, v[34:35]
	v_add_co_u32 v97, vcc_lo, v30, v97
	v_add_co_ci_u32_e64 v98, null, v31, v98, vcc_lo
	flat_load_ushort v97, v[97:98]
	s_waitcnt vmcnt(0) lgkmcnt(0)
	v_mul_f16_e32 v97, s15, v97
	v_cvt_f32_f16_e32 v97, v97
	s_branch .LBB211_146
.LBB211_145:
	v_mov_b32_e32 v97, 0
.LBB211_146:
	v_pk_add_f16 v98, v18, v24
	v_pk_add_f16 v99, v19, v25
	v_max_f16_e32 v100, v96, v96
	v_lshrrev_b32_e32 v96, 16, v96
	v_max_f32_e32 v97, v97, v97
	v_lshrrev_b32_e32 v101, 16, v98
	v_lshrrev_b32_e32 v102, 16, v99
	v_min_f16_e32 v98, v100, v98
	v_min3_f16 v96, v96, v101, v102
	v_min3_f16 v96, v98, v99, v96
	v_cvt_f32_f16_e32 v96, v96
	v_min_f32_e32 v98, v97, v96
	v_lshlrev_b64 v[96:97], 1, v[34:35]
	v_cvt_f16_f32_e32 v98, v98
	v_add_co_u32 v96, vcc_lo, v28, v96
	v_add_co_ci_u32_e64 v97, null, v29, v97, vcc_lo
	flat_store_short v[96:97], v98
	s_or_b32 exec_lo, exec_lo, s12
	s_and_b32 s18, s2, s8
	s_and_saveexec_b32 s12, s18
	s_cbranch_execz .LBB211_134
.LBB211_147:
	v_cmp_ne_u32_e32 vcc_lo, 1, v68
	s_cbranch_vccnz .LBB211_149
; %bb.148:
	v_lshlrev_b64 v[96:97], 1, v[36:37]
	v_add_co_u32 v96, vcc_lo, v30, v96
	v_add_co_ci_u32_e64 v97, null, v31, v97, vcc_lo
	flat_load_ushort v96, v[96:97]
	s_waitcnt vmcnt(0) lgkmcnt(0)
	v_mul_f16_e32 v96, s15, v96
	v_cvt_f32_f16_e32 v96, v96
	s_branch .LBB211_150
.LBB211_149:
	v_mov_b32_e32 v96, 0
.LBB211_150:
	v_pk_add_f16 v97, v12, v24
	v_pk_add_f16 v98, v13, v25
	v_max_f16_e32 v99, v95, v95
	v_lshrrev_b32_e32 v95, 16, v95
	v_max_f32_e32 v96, v96, v96
	v_lshrrev_b32_e32 v100, 16, v97
	v_lshrrev_b32_e32 v101, 16, v98
	v_min_f16_e32 v97, v99, v97
	v_min3_f16 v95, v95, v100, v101
	v_min3_f16 v95, v97, v98, v95
	v_cvt_f32_f16_e32 v95, v95
	v_min_f32_e32 v97, v96, v95
	v_lshlrev_b64 v[95:96], 1, v[36:37]
	v_cvt_f16_f32_e32 v97, v97
	v_add_co_u32 v95, vcc_lo, v28, v95
	v_add_co_ci_u32_e64 v96, null, v29, v96, vcc_lo
	flat_store_short v[95:96], v97
	s_or_b32 exec_lo, exec_lo, s12
	s_and_b32 s18, s3, s8
	s_and_saveexec_b32 s12, s18
	s_cbranch_execz .LBB211_135
.LBB211_151:
	v_cmp_ne_u32_e32 vcc_lo, 1, v68
	s_cbranch_vccnz .LBB211_153
; %bb.152:
	v_lshlrev_b64 v[95:96], 1, v[38:39]
	v_add_co_u32 v95, vcc_lo, v30, v95
	v_add_co_ci_u32_e64 v96, null, v31, v96, vcc_lo
	flat_load_ushort v95, v[95:96]
	s_waitcnt vmcnt(0) lgkmcnt(0)
	v_mul_f16_e32 v95, s15, v95
	v_cvt_f32_f16_e32 v95, v95
	s_branch .LBB211_154
.LBB211_153:
	v_mov_b32_e32 v95, 0
.LBB211_154:
	v_pk_add_f16 v96, v14, v24
	v_pk_add_f16 v97, v15, v25
	v_max_f16_e32 v98, v94, v94
	v_lshrrev_b32_e32 v94, 16, v94
	v_max_f32_e32 v95, v95, v95
	v_lshrrev_b32_e32 v99, 16, v96
	v_lshrrev_b32_e32 v100, 16, v97
	v_min_f16_e32 v96, v98, v96
	v_min3_f16 v94, v94, v99, v100
	v_min3_f16 v94, v96, v97, v94
	v_cvt_f32_f16_e32 v94, v94
	v_min_f32_e32 v96, v95, v94
	v_lshlrev_b64 v[94:95], 1, v[38:39]
	v_cvt_f16_f32_e32 v96, v96
	v_add_co_u32 v94, vcc_lo, v28, v94
	v_add_co_ci_u32_e64 v95, null, v29, v95, vcc_lo
	flat_store_short v[94:95], v96
	s_or_b32 exec_lo, exec_lo, s12
	s_and_b32 s18, s4, s8
	s_and_saveexec_b32 s12, s18
	s_cbranch_execz .LBB211_136
.LBB211_155:
	v_cmp_ne_u32_e32 vcc_lo, 1, v68
	s_cbranch_vccnz .LBB211_157
; %bb.156:
	v_lshlrev_b64 v[94:95], 1, v[40:41]
	v_add_co_u32 v94, vcc_lo, v30, v94
	v_add_co_ci_u32_e64 v95, null, v31, v95, vcc_lo
	flat_load_ushort v94, v[94:95]
	s_waitcnt vmcnt(0) lgkmcnt(0)
	v_mul_f16_e32 v94, s15, v94
	v_cvt_f32_f16_e32 v94, v94
	s_branch .LBB211_158
.LBB211_157:
	v_mov_b32_e32 v94, 0
.LBB211_158:
	v_pk_add_f16 v95, v8, v24
	v_pk_add_f16 v96, v9, v25
	v_max_f16_e32 v97, v93, v93
	v_lshrrev_b32_e32 v93, 16, v93
	v_max_f32_e32 v94, v94, v94
	v_lshrrev_b32_e32 v98, 16, v95
	v_lshrrev_b32_e32 v99, 16, v96
	v_min_f16_e32 v95, v97, v95
	v_min3_f16 v93, v93, v98, v99
	v_min3_f16 v93, v95, v96, v93
	v_cvt_f32_f16_e32 v93, v93
	v_min_f32_e32 v95, v94, v93
	v_lshlrev_b64 v[93:94], 1, v[40:41]
	v_cvt_f16_f32_e32 v95, v95
	v_add_co_u32 v93, vcc_lo, v28, v93
	v_add_co_ci_u32_e64 v94, null, v29, v94, vcc_lo
	flat_store_short v[93:94], v95
	s_or_b32 exec_lo, exec_lo, s12
	s_and_b32 s18, s5, s8
	s_and_saveexec_b32 s12, s18
	s_cbranch_execz .LBB211_137
.LBB211_159:
	v_cmp_ne_u32_e32 vcc_lo, 1, v68
	s_cbranch_vccnz .LBB211_161
; %bb.160:
	v_lshlrev_b64 v[93:94], 1, v[42:43]
	v_add_co_u32 v93, vcc_lo, v30, v93
	v_add_co_ci_u32_e64 v94, null, v31, v94, vcc_lo
	flat_load_ushort v93, v[93:94]
	s_waitcnt vmcnt(0) lgkmcnt(0)
	v_mul_f16_e32 v93, s15, v93
	v_cvt_f32_f16_e32 v93, v93
	s_branch .LBB211_162
.LBB211_161:
	v_mov_b32_e32 v93, 0
.LBB211_162:
	v_pk_add_f16 v94, v10, v24
	v_pk_add_f16 v95, v11, v25
	v_max_f16_e32 v96, v92, v92
	v_lshrrev_b32_e32 v92, 16, v92
	v_max_f32_e32 v93, v93, v93
	v_lshrrev_b32_e32 v97, 16, v94
	v_lshrrev_b32_e32 v98, 16, v95
	v_min_f16_e32 v94, v96, v94
	v_min3_f16 v92, v92, v97, v98
	v_min3_f16 v92, v94, v95, v92
	v_cvt_f32_f16_e32 v92, v92
	v_min_f32_e32 v94, v93, v92
	v_lshlrev_b64 v[92:93], 1, v[42:43]
	v_cvt_f16_f32_e32 v94, v94
	v_add_co_u32 v92, vcc_lo, v28, v92
	v_add_co_ci_u32_e64 v93, null, v29, v93, vcc_lo
	flat_store_short v[92:93], v94
	s_or_b32 exec_lo, exec_lo, s12
	s_and_b32 s18, s6, s8
	s_and_saveexec_b32 s12, s18
	s_cbranch_execz .LBB211_138
.LBB211_163:
	v_cmp_ne_u32_e32 vcc_lo, 1, v68
	s_cbranch_vccnz .LBB211_165
; %bb.164:
	v_lshlrev_b64 v[92:93], 1, v[44:45]
	v_add_co_u32 v92, vcc_lo, v30, v92
	v_add_co_ci_u32_e64 v93, null, v31, v93, vcc_lo
	flat_load_ushort v92, v[92:93]
	s_waitcnt vmcnt(0) lgkmcnt(0)
	v_mul_f16_e32 v92, s15, v92
	v_cvt_f32_f16_e32 v92, v92
	s_branch .LBB211_166
.LBB211_165:
	v_mov_b32_e32 v92, 0
.LBB211_166:
	v_pk_add_f16 v93, v0, v24
	v_pk_add_f16 v94, v1, v25
	v_max_f16_e32 v95, v91, v91
	v_lshrrev_b32_e32 v91, 16, v91
	v_max_f32_e32 v92, v92, v92
	v_lshrrev_b32_e32 v96, 16, v93
	v_lshrrev_b32_e32 v97, 16, v94
	v_min_f16_e32 v93, v95, v93
	v_min3_f16 v91, v91, v96, v97
	v_min3_f16 v91, v93, v94, v91
	v_cvt_f32_f16_e32 v91, v91
	v_min_f32_e32 v93, v92, v91
	v_lshlrev_b64 v[91:92], 1, v[44:45]
	v_cvt_f16_f32_e32 v93, v93
	v_add_co_u32 v91, vcc_lo, v28, v91
	v_add_co_ci_u32_e64 v92, null, v29, v92, vcc_lo
	flat_store_short v[91:92], v93
	s_or_b32 exec_lo, exec_lo, s12
	s_and_b32 s12, s7, s8
	s_and_saveexec_b32 s8, s12
	s_cbranch_execz .LBB211_171
.LBB211_167:
	v_cmp_ne_u32_e32 vcc_lo, 1, v68
	s_cbranch_vccnz .LBB211_169
; %bb.168:
	v_lshlrev_b64 v[91:92], 1, v[46:47]
	v_add_co_u32 v30, vcc_lo, v30, v91
	v_add_co_ci_u32_e64 v31, null, v31, v92, vcc_lo
	flat_load_ushort v30, v[30:31]
	s_waitcnt vmcnt(0) lgkmcnt(0)
	v_mul_f16_e32 v30, s15, v30
	v_cvt_f32_f16_e32 v30, v30
	s_branch .LBB211_170
.LBB211_169:
	v_mov_b32_e32 v30, 0
.LBB211_170:
	v_pk_add_f16 v24, v2, v24
	v_pk_add_f16 v25, v3, v25
	v_max_f16_e32 v31, v90, v90
	v_lshrrev_b32_e32 v90, 16, v90
	v_lshrrev_b32_e32 v91, 16, v24
	;; [unrolled: 1-line block ×3, first 2 shown]
	v_min_f16_e32 v24, v31, v24
	v_min3_f16 v31, v90, v91, v92
	v_min3_f16 v24, v24, v25, v31
	v_max_f32_e32 v25, v30, v30
	v_cvt_f32_f16_e32 v24, v24
	v_min_f32_e32 v30, v25, v24
	v_lshlrev_b64 v[24:25], 1, v[46:47]
	v_cvt_f16_f32_e32 v30, v30
	v_add_co_u32 v24, vcc_lo, v28, v24
	v_add_co_ci_u32_e64 v25, null, v29, v25, vcc_lo
	flat_store_short v[24:25], v30
.LBB211_171:
	s_or_b32 exec_lo, exec_lo, s8
	v_add_nc_u32_e32 v30, 24, v76
	v_mad_i64_i32 v[24:25], null, v30, s14, 0
	v_mad_i64_i32 v[28:29], null, v30, s9, 0
	v_cmp_gt_i32_e64 s8, s13, v30
	v_lshlrev_b64 v[24:25], 1, v[24:25]
	s_and_b32 s18, s0, s8
	v_lshlrev_b64 v[30:31], 1, v[28:29]
	v_add_co_u32 v28, vcc_lo, s10, v24
	v_add_co_ci_u32_e64 v29, null, s11, v25, vcc_lo
	v_add_co_u32 v24, vcc_lo, s16, v30
	v_add_co_ci_u32_e64 v25, null, s17, v31, vcc_lo
	s_and_saveexec_b32 s12, s18
	s_cbranch_execnz .LBB211_179
; %bb.172:
	s_or_b32 exec_lo, exec_lo, s12
	s_and_b32 s18, s1, s8
	s_and_saveexec_b32 s12, s18
	s_cbranch_execnz .LBB211_183
.LBB211_173:
	s_or_b32 exec_lo, exec_lo, s12
	s_and_b32 s18, s2, s8
	s_and_saveexec_b32 s12, s18
	s_cbranch_execnz .LBB211_187
.LBB211_174:
	s_or_b32 exec_lo, exec_lo, s12
	s_and_b32 s18, s3, s8
	s_and_saveexec_b32 s12, s18
	s_cbranch_execnz .LBB211_191
.LBB211_175:
	s_or_b32 exec_lo, exec_lo, s12
	s_and_b32 s18, s4, s8
	s_and_saveexec_b32 s12, s18
	s_cbranch_execnz .LBB211_195
.LBB211_176:
	s_or_b32 exec_lo, exec_lo, s12
	s_and_b32 s18, s5, s8
	s_and_saveexec_b32 s12, s18
	s_cbranch_execnz .LBB211_199
.LBB211_177:
	s_or_b32 exec_lo, exec_lo, s12
	s_and_b32 s18, s6, s8
	s_and_saveexec_b32 s12, s18
	s_cbranch_execnz .LBB211_203
.LBB211_178:
	s_or_b32 exec_lo, exec_lo, s12
	s_and_b32 s12, s7, s8
	s_and_saveexec_b32 s8, s12
	s_cbranch_execnz .LBB211_207
	s_branch .LBB211_211
.LBB211_179:
	v_cmp_ne_u32_e32 vcc_lo, 1, v68
	s_cbranch_vccnz .LBB211_181
; %bb.180:
	v_lshlrev_b64 v[30:31], 1, v[32:33]
	v_add_co_u32 v30, vcc_lo, v28, v30
	v_add_co_ci_u32_e64 v31, null, v29, v31, vcc_lo
	flat_load_ushort v30, v[30:31]
	s_waitcnt vmcnt(0) lgkmcnt(0)
	v_mul_f16_e32 v30, s15, v30
	v_cvt_f32_f16_e32 v30, v30
	s_branch .LBB211_182
.LBB211_181:
	v_mov_b32_e32 v30, 0
.LBB211_182:
	v_pk_add_f16 v31, v16, v26
	v_pk_add_f16 v90, v17, v27
	v_max_f16_e32 v91, v89, v89
	v_lshrrev_b32_e32 v89, 16, v89
	v_max_f32_e32 v30, v30, v30
	v_lshrrev_b32_e32 v92, 16, v31
	v_lshrrev_b32_e32 v93, 16, v90
	v_min_f16_e32 v31, v91, v31
	v_min3_f16 v89, v89, v92, v93
	v_min3_f16 v31, v31, v90, v89
	v_cvt_f32_f16_e32 v31, v31
	v_min_f32_e32 v89, v30, v31
	v_lshlrev_b64 v[30:31], 1, v[32:33]
	v_cvt_f16_f32_e32 v89, v89
	v_add_co_u32 v30, vcc_lo, v24, v30
	v_add_co_ci_u32_e64 v31, null, v25, v31, vcc_lo
	flat_store_short v[30:31], v89
	s_or_b32 exec_lo, exec_lo, s12
	s_and_b32 s18, s1, s8
	s_and_saveexec_b32 s12, s18
	s_cbranch_execz .LBB211_173
.LBB211_183:
	v_cmp_ne_u32_e32 vcc_lo, 1, v68
	s_cbranch_vccnz .LBB211_185
; %bb.184:
	v_lshlrev_b64 v[30:31], 1, v[34:35]
	v_add_co_u32 v30, vcc_lo, v28, v30
	v_add_co_ci_u32_e64 v31, null, v29, v31, vcc_lo
	flat_load_ushort v30, v[30:31]
	s_waitcnt vmcnt(0) lgkmcnt(0)
	v_mul_f16_e32 v30, s15, v30
	v_cvt_f32_f16_e32 v30, v30
	s_branch .LBB211_186
.LBB211_185:
	v_mov_b32_e32 v30, 0
.LBB211_186:
	v_pk_add_f16 v31, v18, v26
	v_pk_add_f16 v89, v19, v27
	v_max_f16_e32 v90, v88, v88
	v_lshrrev_b32_e32 v88, 16, v88
	v_max_f32_e32 v30, v30, v30
	v_lshrrev_b32_e32 v91, 16, v31
	v_lshrrev_b32_e32 v92, 16, v89
	v_min_f16_e32 v31, v90, v31
	v_min3_f16 v88, v88, v91, v92
	v_min3_f16 v31, v31, v89, v88
	v_cvt_f32_f16_e32 v31, v31
	v_min_f32_e32 v88, v30, v31
	v_lshlrev_b64 v[30:31], 1, v[34:35]
	v_cvt_f16_f32_e32 v88, v88
	v_add_co_u32 v30, vcc_lo, v24, v30
	v_add_co_ci_u32_e64 v31, null, v25, v31, vcc_lo
	flat_store_short v[30:31], v88
	s_or_b32 exec_lo, exec_lo, s12
	s_and_b32 s18, s2, s8
	s_and_saveexec_b32 s12, s18
	s_cbranch_execz .LBB211_174
.LBB211_187:
	v_cmp_ne_u32_e32 vcc_lo, 1, v68
	s_cbranch_vccnz .LBB211_189
; %bb.188:
	v_lshlrev_b64 v[30:31], 1, v[36:37]
	v_add_co_u32 v30, vcc_lo, v28, v30
	v_add_co_ci_u32_e64 v31, null, v29, v31, vcc_lo
	flat_load_ushort v30, v[30:31]
	s_waitcnt vmcnt(0) lgkmcnt(0)
	v_mul_f16_e32 v30, s15, v30
	v_cvt_f32_f16_e32 v30, v30
	s_branch .LBB211_190
.LBB211_189:
	v_mov_b32_e32 v30, 0
.LBB211_190:
	v_pk_add_f16 v31, v12, v26
	v_pk_add_f16 v88, v13, v27
	v_max_f16_e32 v89, v87, v87
	v_lshrrev_b32_e32 v87, 16, v87
	v_max_f32_e32 v30, v30, v30
	v_lshrrev_b32_e32 v90, 16, v31
	v_lshrrev_b32_e32 v91, 16, v88
	v_min_f16_e32 v31, v89, v31
	v_min3_f16 v87, v87, v90, v91
	v_min3_f16 v31, v31, v88, v87
	v_cvt_f32_f16_e32 v31, v31
	v_min_f32_e32 v87, v30, v31
	v_lshlrev_b64 v[30:31], 1, v[36:37]
	v_cvt_f16_f32_e32 v87, v87
	v_add_co_u32 v30, vcc_lo, v24, v30
	v_add_co_ci_u32_e64 v31, null, v25, v31, vcc_lo
	flat_store_short v[30:31], v87
	s_or_b32 exec_lo, exec_lo, s12
	s_and_b32 s18, s3, s8
	s_and_saveexec_b32 s12, s18
	s_cbranch_execz .LBB211_175
.LBB211_191:
	v_cmp_ne_u32_e32 vcc_lo, 1, v68
	s_cbranch_vccnz .LBB211_193
; %bb.192:
	v_lshlrev_b64 v[30:31], 1, v[38:39]
	v_add_co_u32 v30, vcc_lo, v28, v30
	v_add_co_ci_u32_e64 v31, null, v29, v31, vcc_lo
	flat_load_ushort v30, v[30:31]
	s_waitcnt vmcnt(0) lgkmcnt(0)
	v_mul_f16_e32 v30, s15, v30
	v_cvt_f32_f16_e32 v30, v30
	s_branch .LBB211_194
.LBB211_193:
	v_mov_b32_e32 v30, 0
.LBB211_194:
	v_pk_add_f16 v31, v14, v26
	v_pk_add_f16 v87, v15, v27
	v_max_f16_e32 v88, v86, v86
	v_lshrrev_b32_e32 v86, 16, v86
	v_max_f32_e32 v30, v30, v30
	v_lshrrev_b32_e32 v89, 16, v31
	v_lshrrev_b32_e32 v90, 16, v87
	v_min_f16_e32 v31, v88, v31
	v_min3_f16 v86, v86, v89, v90
	v_min3_f16 v31, v31, v87, v86
	v_cvt_f32_f16_e32 v31, v31
	v_min_f32_e32 v86, v30, v31
	v_lshlrev_b64 v[30:31], 1, v[38:39]
	v_cvt_f16_f32_e32 v86, v86
	v_add_co_u32 v30, vcc_lo, v24, v30
	v_add_co_ci_u32_e64 v31, null, v25, v31, vcc_lo
	flat_store_short v[30:31], v86
	s_or_b32 exec_lo, exec_lo, s12
	s_and_b32 s18, s4, s8
	s_and_saveexec_b32 s12, s18
	s_cbranch_execz .LBB211_176
.LBB211_195:
	v_cmp_ne_u32_e32 vcc_lo, 1, v68
	s_cbranch_vccnz .LBB211_197
; %bb.196:
	v_lshlrev_b64 v[30:31], 1, v[40:41]
	v_add_co_u32 v30, vcc_lo, v28, v30
	v_add_co_ci_u32_e64 v31, null, v29, v31, vcc_lo
	flat_load_ushort v30, v[30:31]
	s_waitcnt vmcnt(0) lgkmcnt(0)
	v_mul_f16_e32 v30, s15, v30
	v_cvt_f32_f16_e32 v30, v30
	s_branch .LBB211_198
.LBB211_197:
	v_mov_b32_e32 v30, 0
.LBB211_198:
	v_pk_add_f16 v31, v8, v26
	v_pk_add_f16 v86, v9, v27
	v_max_f16_e32 v87, v85, v85
	v_lshrrev_b32_e32 v85, 16, v85
	v_max_f32_e32 v30, v30, v30
	v_lshrrev_b32_e32 v88, 16, v31
	v_lshrrev_b32_e32 v89, 16, v86
	v_min_f16_e32 v31, v87, v31
	v_min3_f16 v85, v85, v88, v89
	v_min3_f16 v31, v31, v86, v85
	v_cvt_f32_f16_e32 v31, v31
	v_min_f32_e32 v85, v30, v31
	v_lshlrev_b64 v[30:31], 1, v[40:41]
	v_cvt_f16_f32_e32 v85, v85
	v_add_co_u32 v30, vcc_lo, v24, v30
	v_add_co_ci_u32_e64 v31, null, v25, v31, vcc_lo
	flat_store_short v[30:31], v85
	s_or_b32 exec_lo, exec_lo, s12
	s_and_b32 s18, s5, s8
	s_and_saveexec_b32 s12, s18
	s_cbranch_execz .LBB211_177
.LBB211_199:
	v_cmp_ne_u32_e32 vcc_lo, 1, v68
	s_cbranch_vccnz .LBB211_201
; %bb.200:
	v_lshlrev_b64 v[30:31], 1, v[42:43]
	v_add_co_u32 v30, vcc_lo, v28, v30
	v_add_co_ci_u32_e64 v31, null, v29, v31, vcc_lo
	flat_load_ushort v30, v[30:31]
	s_waitcnt vmcnt(0) lgkmcnt(0)
	v_mul_f16_e32 v30, s15, v30
	v_cvt_f32_f16_e32 v30, v30
	s_branch .LBB211_202
.LBB211_201:
	v_mov_b32_e32 v30, 0
.LBB211_202:
	v_pk_add_f16 v31, v10, v26
	v_pk_add_f16 v85, v11, v27
	v_max_f16_e32 v86, v84, v84
	v_lshrrev_b32_e32 v84, 16, v84
	v_max_f32_e32 v30, v30, v30
	v_lshrrev_b32_e32 v87, 16, v31
	v_lshrrev_b32_e32 v88, 16, v85
	v_min_f16_e32 v31, v86, v31
	v_min3_f16 v84, v84, v87, v88
	v_min3_f16 v31, v31, v85, v84
	v_cvt_f32_f16_e32 v31, v31
	v_min_f32_e32 v84, v30, v31
	v_lshlrev_b64 v[30:31], 1, v[42:43]
	v_cvt_f16_f32_e32 v84, v84
	v_add_co_u32 v30, vcc_lo, v24, v30
	v_add_co_ci_u32_e64 v31, null, v25, v31, vcc_lo
	flat_store_short v[30:31], v84
	s_or_b32 exec_lo, exec_lo, s12
	s_and_b32 s18, s6, s8
	s_and_saveexec_b32 s12, s18
	s_cbranch_execz .LBB211_178
.LBB211_203:
	v_cmp_ne_u32_e32 vcc_lo, 1, v68
	s_cbranch_vccnz .LBB211_205
; %bb.204:
	v_lshlrev_b64 v[30:31], 1, v[44:45]
	v_add_co_u32 v30, vcc_lo, v28, v30
	v_add_co_ci_u32_e64 v31, null, v29, v31, vcc_lo
	flat_load_ushort v30, v[30:31]
	s_waitcnt vmcnt(0) lgkmcnt(0)
	v_mul_f16_e32 v30, s15, v30
	v_cvt_f32_f16_e32 v30, v30
	s_branch .LBB211_206
.LBB211_205:
	v_mov_b32_e32 v30, 0
.LBB211_206:
	v_pk_add_f16 v31, v0, v26
	v_pk_add_f16 v84, v1, v27
	v_max_f16_e32 v85, v83, v83
	v_lshrrev_b32_e32 v83, 16, v83
	v_max_f32_e32 v30, v30, v30
	v_lshrrev_b32_e32 v86, 16, v31
	v_lshrrev_b32_e32 v87, 16, v84
	v_min_f16_e32 v31, v85, v31
	v_min3_f16 v83, v83, v86, v87
	v_min3_f16 v31, v31, v84, v83
	v_cvt_f32_f16_e32 v31, v31
	v_min_f32_e32 v83, v30, v31
	v_lshlrev_b64 v[30:31], 1, v[44:45]
	v_cvt_f16_f32_e32 v83, v83
	v_add_co_u32 v30, vcc_lo, v24, v30
	v_add_co_ci_u32_e64 v31, null, v25, v31, vcc_lo
	flat_store_short v[30:31], v83
	s_or_b32 exec_lo, exec_lo, s12
	s_and_b32 s12, s7, s8
	s_and_saveexec_b32 s8, s12
	s_cbranch_execz .LBB211_211
.LBB211_207:
	v_cmp_ne_u32_e32 vcc_lo, 1, v68
	s_cbranch_vccnz .LBB211_209
; %bb.208:
	v_lshlrev_b64 v[30:31], 1, v[46:47]
	v_add_co_u32 v28, vcc_lo, v28, v30
	v_add_co_ci_u32_e64 v29, null, v29, v31, vcc_lo
	flat_load_ushort v28, v[28:29]
	s_waitcnt vmcnt(0) lgkmcnt(0)
	v_mul_f16_e32 v28, s15, v28
	v_cvt_f32_f16_e32 v28, v28
	s_branch .LBB211_210
.LBB211_209:
	v_mov_b32_e32 v28, 0
.LBB211_210:
	v_pk_add_f16 v26, v2, v26
	v_pk_add_f16 v27, v3, v27
	v_max_f16_e32 v29, v82, v82
	v_lshrrev_b32_e32 v30, 16, v82
	v_lshrrev_b32_e32 v31, 16, v26
	;; [unrolled: 1-line block ×3, first 2 shown]
	v_min_f16_e32 v26, v29, v26
	v_min3_f16 v29, v30, v31, v82
	v_min3_f16 v26, v26, v27, v29
	v_max_f32_e32 v27, v28, v28
	v_cvt_f32_f16_e32 v26, v26
	v_min_f32_e32 v28, v27, v26
	v_lshlrev_b64 v[26:27], 1, v[46:47]
	v_cvt_f16_f32_e32 v28, v28
	v_add_co_u32 v24, vcc_lo, v24, v26
	v_add_co_ci_u32_e64 v25, null, v25, v27, vcc_lo
	flat_store_short v[24:25], v28
.LBB211_211:
	s_or_b32 exec_lo, exec_lo, s8
	v_add_nc_u32_e32 v28, 32, v76
	v_mad_i64_i32 v[24:25], null, v28, s14, 0
	v_mad_i64_i32 v[26:27], null, v28, s9, 0
	v_cmp_gt_i32_e64 s8, s13, v28
	v_lshlrev_b64 v[24:25], 1, v[24:25]
	s_and_b32 s18, s0, s8
	v_lshlrev_b64 v[28:29], 1, v[26:27]
	v_add_co_u32 v26, vcc_lo, s10, v24
	v_add_co_ci_u32_e64 v27, null, s11, v25, vcc_lo
	v_add_co_u32 v24, vcc_lo, s16, v28
	v_add_co_ci_u32_e64 v25, null, s17, v29, vcc_lo
	s_and_saveexec_b32 s12, s18
	s_cbranch_execnz .LBB211_219
; %bb.212:
	s_or_b32 exec_lo, exec_lo, s12
	s_and_b32 s18, s1, s8
	s_and_saveexec_b32 s12, s18
	s_cbranch_execnz .LBB211_223
.LBB211_213:
	s_or_b32 exec_lo, exec_lo, s12
	s_and_b32 s18, s2, s8
	s_and_saveexec_b32 s12, s18
	s_cbranch_execnz .LBB211_227
.LBB211_214:
	s_or_b32 exec_lo, exec_lo, s12
	s_and_b32 s18, s3, s8
	s_and_saveexec_b32 s12, s18
	s_cbranch_execnz .LBB211_231
.LBB211_215:
	s_or_b32 exec_lo, exec_lo, s12
	s_and_b32 s18, s4, s8
	s_and_saveexec_b32 s12, s18
	s_cbranch_execnz .LBB211_235
.LBB211_216:
	s_or_b32 exec_lo, exec_lo, s12
	s_and_b32 s18, s5, s8
	s_and_saveexec_b32 s12, s18
	s_cbranch_execnz .LBB211_239
.LBB211_217:
	s_or_b32 exec_lo, exec_lo, s12
	s_and_b32 s18, s6, s8
	s_and_saveexec_b32 s12, s18
	s_cbranch_execnz .LBB211_243
.LBB211_218:
	s_or_b32 exec_lo, exec_lo, s12
	s_and_b32 s12, s7, s8
	s_and_saveexec_b32 s8, s12
	s_cbranch_execnz .LBB211_247
	s_branch .LBB211_251
.LBB211_219:
	v_cmp_ne_u32_e32 vcc_lo, 1, v68
	s_cbranch_vccnz .LBB211_221
; %bb.220:
	v_lshlrev_b64 v[28:29], 1, v[32:33]
	v_add_co_u32 v28, vcc_lo, v26, v28
	v_add_co_ci_u32_e64 v29, null, v27, v29, vcc_lo
	flat_load_ushort v28, v[28:29]
	s_waitcnt vmcnt(0) lgkmcnt(0)
	v_mul_f16_e32 v28, s15, v28
	v_cvt_f32_f16_e32 v28, v28
	s_branch .LBB211_222
.LBB211_221:
	v_mov_b32_e32 v28, 0
.LBB211_222:
	v_pk_add_f16 v29, v16, v20
	v_pk_add_f16 v30, v17, v21
	v_max_f16_e32 v31, v81, v81
	v_lshrrev_b32_e32 v81, 16, v81
	v_max_f32_e32 v28, v28, v28
	v_lshrrev_b32_e32 v82, 16, v29
	v_lshrrev_b32_e32 v83, 16, v30
	v_min_f16_e32 v29, v31, v29
	v_min3_f16 v31, v81, v82, v83
	v_min3_f16 v29, v29, v30, v31
	v_cvt_f32_f16_e32 v29, v29
	v_min_f32_e32 v30, v28, v29
	v_lshlrev_b64 v[28:29], 1, v[32:33]
	v_cvt_f16_f32_e32 v30, v30
	v_add_co_u32 v28, vcc_lo, v24, v28
	v_add_co_ci_u32_e64 v29, null, v25, v29, vcc_lo
	flat_store_short v[28:29], v30
	s_or_b32 exec_lo, exec_lo, s12
	s_and_b32 s18, s1, s8
	s_and_saveexec_b32 s12, s18
	s_cbranch_execz .LBB211_213
.LBB211_223:
	v_cmp_ne_u32_e32 vcc_lo, 1, v68
	s_cbranch_vccnz .LBB211_225
; %bb.224:
	v_lshlrev_b64 v[28:29], 1, v[34:35]
	v_add_co_u32 v28, vcc_lo, v26, v28
	v_add_co_ci_u32_e64 v29, null, v27, v29, vcc_lo
	flat_load_ushort v28, v[28:29]
	s_waitcnt vmcnt(0) lgkmcnt(0)
	v_mul_f16_e32 v28, s15, v28
	v_cvt_f32_f16_e32 v28, v28
	s_branch .LBB211_226
.LBB211_225:
	v_mov_b32_e32 v28, 0
.LBB211_226:
	v_pk_add_f16 v29, v18, v20
	v_pk_add_f16 v30, v19, v21
	v_max_f16_e32 v31, v80, v80
	v_lshrrev_b32_e32 v80, 16, v80
	v_max_f32_e32 v28, v28, v28
	v_lshrrev_b32_e32 v81, 16, v29
	v_lshrrev_b32_e32 v82, 16, v30
	v_min_f16_e32 v29, v31, v29
	v_min3_f16 v31, v80, v81, v82
	v_min3_f16 v29, v29, v30, v31
	v_cvt_f32_f16_e32 v29, v29
	v_min_f32_e32 v30, v28, v29
	v_lshlrev_b64 v[28:29], 1, v[34:35]
	v_cvt_f16_f32_e32 v30, v30
	v_add_co_u32 v28, vcc_lo, v24, v28
	v_add_co_ci_u32_e64 v29, null, v25, v29, vcc_lo
	flat_store_short v[28:29], v30
	s_or_b32 exec_lo, exec_lo, s12
	s_and_b32 s18, s2, s8
	s_and_saveexec_b32 s12, s18
	s_cbranch_execz .LBB211_214
.LBB211_227:
	v_cmp_ne_u32_e32 vcc_lo, 1, v68
	s_cbranch_vccnz .LBB211_229
; %bb.228:
	v_lshlrev_b64 v[28:29], 1, v[36:37]
	v_add_co_u32 v28, vcc_lo, v26, v28
	v_add_co_ci_u32_e64 v29, null, v27, v29, vcc_lo
	flat_load_ushort v28, v[28:29]
	s_waitcnt vmcnt(0) lgkmcnt(0)
	v_mul_f16_e32 v28, s15, v28
	v_cvt_f32_f16_e32 v28, v28
	s_branch .LBB211_230
.LBB211_229:
	v_mov_b32_e32 v28, 0
.LBB211_230:
	v_pk_add_f16 v29, v12, v20
	v_pk_add_f16 v30, v13, v21
	v_max_f16_e32 v31, v79, v79
	v_lshrrev_b32_e32 v79, 16, v79
	v_max_f32_e32 v28, v28, v28
	v_lshrrev_b32_e32 v80, 16, v29
	v_lshrrev_b32_e32 v81, 16, v30
	v_min_f16_e32 v29, v31, v29
	v_min3_f16 v31, v79, v80, v81
	v_min3_f16 v29, v29, v30, v31
	v_cvt_f32_f16_e32 v29, v29
	v_min_f32_e32 v30, v28, v29
	v_lshlrev_b64 v[28:29], 1, v[36:37]
	v_cvt_f16_f32_e32 v30, v30
	v_add_co_u32 v28, vcc_lo, v24, v28
	v_add_co_ci_u32_e64 v29, null, v25, v29, vcc_lo
	flat_store_short v[28:29], v30
	s_or_b32 exec_lo, exec_lo, s12
	s_and_b32 s18, s3, s8
	s_and_saveexec_b32 s12, s18
	s_cbranch_execz .LBB211_215
.LBB211_231:
	v_cmp_ne_u32_e32 vcc_lo, 1, v68
	s_cbranch_vccnz .LBB211_233
; %bb.232:
	v_lshlrev_b64 v[28:29], 1, v[38:39]
	v_add_co_u32 v28, vcc_lo, v26, v28
	v_add_co_ci_u32_e64 v29, null, v27, v29, vcc_lo
	flat_load_ushort v28, v[28:29]
	s_waitcnt vmcnt(0) lgkmcnt(0)
	v_mul_f16_e32 v28, s15, v28
	v_cvt_f32_f16_e32 v28, v28
	s_branch .LBB211_234
.LBB211_233:
	v_mov_b32_e32 v28, 0
.LBB211_234:
	v_pk_add_f16 v29, v14, v20
	v_pk_add_f16 v30, v15, v21
	v_max_f16_e32 v31, v78, v78
	v_lshrrev_b32_e32 v78, 16, v78
	v_max_f32_e32 v28, v28, v28
	v_lshrrev_b32_e32 v79, 16, v29
	v_lshrrev_b32_e32 v80, 16, v30
	v_min_f16_e32 v29, v31, v29
	v_min3_f16 v31, v78, v79, v80
	v_min3_f16 v29, v29, v30, v31
	v_cvt_f32_f16_e32 v29, v29
	v_min_f32_e32 v30, v28, v29
	v_lshlrev_b64 v[28:29], 1, v[38:39]
	v_cvt_f16_f32_e32 v30, v30
	v_add_co_u32 v28, vcc_lo, v24, v28
	v_add_co_ci_u32_e64 v29, null, v25, v29, vcc_lo
	flat_store_short v[28:29], v30
	s_or_b32 exec_lo, exec_lo, s12
	s_and_b32 s18, s4, s8
	s_and_saveexec_b32 s12, s18
	s_cbranch_execz .LBB211_216
.LBB211_235:
	v_cmp_ne_u32_e32 vcc_lo, 1, v68
	s_cbranch_vccnz .LBB211_237
; %bb.236:
	v_lshlrev_b64 v[28:29], 1, v[40:41]
	v_add_co_u32 v28, vcc_lo, v26, v28
	v_add_co_ci_u32_e64 v29, null, v27, v29, vcc_lo
	flat_load_ushort v28, v[28:29]
	s_waitcnt vmcnt(0) lgkmcnt(0)
	v_mul_f16_e32 v28, s15, v28
	v_cvt_f32_f16_e32 v28, v28
	s_branch .LBB211_238
.LBB211_237:
	v_mov_b32_e32 v28, 0
.LBB211_238:
	v_pk_add_f16 v29, v8, v20
	v_pk_add_f16 v30, v9, v21
	v_max_f16_e32 v31, v77, v77
	v_lshrrev_b32_e32 v77, 16, v77
	v_max_f32_e32 v28, v28, v28
	v_lshrrev_b32_e32 v78, 16, v29
	v_lshrrev_b32_e32 v79, 16, v30
	v_min_f16_e32 v29, v31, v29
	v_min3_f16 v31, v77, v78, v79
	v_min3_f16 v29, v29, v30, v31
	v_cvt_f32_f16_e32 v29, v29
	v_min_f32_e32 v30, v28, v29
	v_lshlrev_b64 v[28:29], 1, v[40:41]
	v_cvt_f16_f32_e32 v30, v30
	v_add_co_u32 v28, vcc_lo, v24, v28
	v_add_co_ci_u32_e64 v29, null, v25, v29, vcc_lo
	flat_store_short v[28:29], v30
	s_or_b32 exec_lo, exec_lo, s12
	s_and_b32 s18, s5, s8
	s_and_saveexec_b32 s12, s18
	s_cbranch_execz .LBB211_217
.LBB211_239:
	v_cmp_ne_u32_e32 vcc_lo, 1, v68
	s_cbranch_vccnz .LBB211_241
; %bb.240:
	v_lshlrev_b64 v[28:29], 1, v[42:43]
	v_add_co_u32 v28, vcc_lo, v26, v28
	v_add_co_ci_u32_e64 v29, null, v27, v29, vcc_lo
	flat_load_ushort v28, v[28:29]
	s_waitcnt vmcnt(0) lgkmcnt(0)
	v_mul_f16_e32 v28, s15, v28
	v_cvt_f32_f16_e32 v28, v28
	s_branch .LBB211_242
.LBB211_241:
	v_mov_b32_e32 v28, 0
.LBB211_242:
	v_pk_add_f16 v29, v10, v20
	v_pk_add_f16 v30, v11, v21
	v_max_f16_e32 v31, v75, v75
	v_lshrrev_b32_e32 v75, 16, v75
	v_max_f32_e32 v28, v28, v28
	v_lshrrev_b32_e32 v77, 16, v29
	v_lshrrev_b32_e32 v78, 16, v30
	v_min_f16_e32 v29, v31, v29
	v_min3_f16 v31, v75, v77, v78
	v_min3_f16 v29, v29, v30, v31
	v_cvt_f32_f16_e32 v29, v29
	v_min_f32_e32 v30, v28, v29
	v_lshlrev_b64 v[28:29], 1, v[42:43]
	v_cvt_f16_f32_e32 v30, v30
	v_add_co_u32 v28, vcc_lo, v24, v28
	v_add_co_ci_u32_e64 v29, null, v25, v29, vcc_lo
	flat_store_short v[28:29], v30
	s_or_b32 exec_lo, exec_lo, s12
	s_and_b32 s18, s6, s8
	s_and_saveexec_b32 s12, s18
	s_cbranch_execz .LBB211_218
.LBB211_243:
	v_cmp_ne_u32_e32 vcc_lo, 1, v68
	s_cbranch_vccnz .LBB211_245
; %bb.244:
	v_lshlrev_b64 v[28:29], 1, v[44:45]
	v_add_co_u32 v28, vcc_lo, v26, v28
	v_add_co_ci_u32_e64 v29, null, v27, v29, vcc_lo
	flat_load_ushort v28, v[28:29]
	s_waitcnt vmcnt(0) lgkmcnt(0)
	v_mul_f16_e32 v28, s15, v28
	v_cvt_f32_f16_e32 v28, v28
	s_branch .LBB211_246
.LBB211_245:
	v_mov_b32_e32 v28, 0
.LBB211_246:
	v_pk_add_f16 v29, v0, v20
	v_pk_add_f16 v30, v1, v21
	v_max_f16_e32 v31, v74, v74
	v_lshrrev_b32_e32 v74, 16, v74
	v_max_f32_e32 v28, v28, v28
	v_lshrrev_b32_e32 v75, 16, v29
	v_lshrrev_b32_e32 v77, 16, v30
	v_min_f16_e32 v29, v31, v29
	v_min3_f16 v31, v74, v75, v77
	v_min3_f16 v29, v29, v30, v31
	v_cvt_f32_f16_e32 v29, v29
	v_min_f32_e32 v30, v28, v29
	v_lshlrev_b64 v[28:29], 1, v[44:45]
	v_cvt_f16_f32_e32 v30, v30
	v_add_co_u32 v28, vcc_lo, v24, v28
	v_add_co_ci_u32_e64 v29, null, v25, v29, vcc_lo
	flat_store_short v[28:29], v30
	s_or_b32 exec_lo, exec_lo, s12
	s_and_b32 s12, s7, s8
	s_and_saveexec_b32 s8, s12
	s_cbranch_execz .LBB211_251
.LBB211_247:
	v_cmp_ne_u32_e32 vcc_lo, 1, v68
	s_cbranch_vccnz .LBB211_249
; %bb.248:
	v_lshlrev_b64 v[28:29], 1, v[46:47]
	v_add_co_u32 v26, vcc_lo, v26, v28
	v_add_co_ci_u32_e64 v27, null, v27, v29, vcc_lo
	flat_load_ushort v26, v[26:27]
	s_waitcnt vmcnt(0) lgkmcnt(0)
	v_mul_f16_e32 v26, s15, v26
	v_cvt_f32_f16_e32 v26, v26
	s_branch .LBB211_250
.LBB211_249:
	v_mov_b32_e32 v26, 0
.LBB211_250:
	v_pk_add_f16 v20, v2, v20
	v_pk_add_f16 v21, v3, v21
	v_max_f16_e32 v27, v73, v73
	v_lshrrev_b32_e32 v28, 16, v73
	v_lshrrev_b32_e32 v29, 16, v20
	;; [unrolled: 1-line block ×3, first 2 shown]
	v_min_f16_e32 v20, v27, v20
	v_min3_f16 v27, v28, v29, v30
	v_min3_f16 v20, v20, v21, v27
	v_max_f32_e32 v21, v26, v26
	v_cvt_f32_f16_e32 v20, v20
	v_min_f32_e32 v26, v21, v20
	v_lshlrev_b64 v[20:21], 1, v[46:47]
	v_cvt_f16_f32_e32 v26, v26
	v_add_co_u32 v20, vcc_lo, v24, v20
	v_add_co_ci_u32_e64 v21, null, v25, v21, vcc_lo
	flat_store_short v[20:21], v26
.LBB211_251:
	s_or_b32 exec_lo, exec_lo, s8
	v_add_nc_u32_e32 v26, 40, v76
	v_mad_i64_i32 v[20:21], null, v26, s14, 0
	v_mad_i64_i32 v[24:25], null, v26, s9, 0
	v_cmp_gt_i32_e64 s8, s13, v26
	v_lshlrev_b64 v[20:21], 1, v[20:21]
	s_and_b32 s18, s0, s8
	v_lshlrev_b64 v[26:27], 1, v[24:25]
	v_add_co_u32 v24, vcc_lo, s10, v20
	v_add_co_ci_u32_e64 v25, null, s11, v21, vcc_lo
	v_add_co_u32 v20, vcc_lo, s16, v26
	v_add_co_ci_u32_e64 v21, null, s17, v27, vcc_lo
	s_and_saveexec_b32 s12, s18
	s_cbranch_execnz .LBB211_259
; %bb.252:
	s_or_b32 exec_lo, exec_lo, s12
	s_and_b32 s18, s1, s8
	s_and_saveexec_b32 s12, s18
	s_cbranch_execnz .LBB211_263
.LBB211_253:
	s_or_b32 exec_lo, exec_lo, s12
	s_and_b32 s18, s2, s8
	s_and_saveexec_b32 s12, s18
	s_cbranch_execnz .LBB211_267
.LBB211_254:
	s_or_b32 exec_lo, exec_lo, s12
	s_and_b32 s18, s3, s8
	s_and_saveexec_b32 s12, s18
	s_cbranch_execnz .LBB211_271
.LBB211_255:
	s_or_b32 exec_lo, exec_lo, s12
	s_and_b32 s18, s4, s8
	s_and_saveexec_b32 s12, s18
	s_cbranch_execnz .LBB211_275
.LBB211_256:
	s_or_b32 exec_lo, exec_lo, s12
	s_and_b32 s18, s5, s8
	s_and_saveexec_b32 s12, s18
	s_cbranch_execnz .LBB211_279
.LBB211_257:
	s_or_b32 exec_lo, exec_lo, s12
	s_and_b32 s18, s6, s8
	s_and_saveexec_b32 s12, s18
	s_cbranch_execnz .LBB211_283
.LBB211_258:
	s_or_b32 exec_lo, exec_lo, s12
	s_and_b32 s12, s7, s8
	s_and_saveexec_b32 s8, s12
	s_cbranch_execnz .LBB211_287
	s_branch .LBB211_291
.LBB211_259:
	v_cmp_ne_u32_e32 vcc_lo, 1, v68
	s_cbranch_vccnz .LBB211_261
; %bb.260:
	v_lshlrev_b64 v[26:27], 1, v[32:33]
	v_add_co_u32 v26, vcc_lo, v24, v26
	v_add_co_ci_u32_e64 v27, null, v25, v27, vcc_lo
	flat_load_ushort v26, v[26:27]
	s_waitcnt vmcnt(0) lgkmcnt(0)
	v_mul_f16_e32 v26, s15, v26
	v_cvt_f32_f16_e32 v26, v26
	s_branch .LBB211_262
.LBB211_261:
	v_mov_b32_e32 v26, 0
.LBB211_262:
	v_pk_add_f16 v27, v16, v22
	v_pk_add_f16 v28, v17, v23
	v_max_f16_e32 v29, v72, v72
	v_lshrrev_b32_e32 v30, 16, v72
	v_max_f32_e32 v26, v26, v26
	v_lshrrev_b32_e32 v31, 16, v27
	v_lshrrev_b32_e32 v72, 16, v28
	v_min_f16_e32 v27, v29, v27
	v_min3_f16 v29, v30, v31, v72
	v_min3_f16 v27, v27, v28, v29
	v_cvt_f32_f16_e32 v27, v27
	v_min_f32_e32 v28, v26, v27
	v_lshlrev_b64 v[26:27], 1, v[32:33]
	v_cvt_f16_f32_e32 v28, v28
	v_add_co_u32 v26, vcc_lo, v20, v26
	v_add_co_ci_u32_e64 v27, null, v21, v27, vcc_lo
	flat_store_short v[26:27], v28
	s_or_b32 exec_lo, exec_lo, s12
	s_and_b32 s18, s1, s8
	s_and_saveexec_b32 s12, s18
	s_cbranch_execz .LBB211_253
.LBB211_263:
	v_cmp_ne_u32_e32 vcc_lo, 1, v68
	s_cbranch_vccnz .LBB211_265
; %bb.264:
	v_lshlrev_b64 v[26:27], 1, v[34:35]
	v_add_co_u32 v26, vcc_lo, v24, v26
	v_add_co_ci_u32_e64 v27, null, v25, v27, vcc_lo
	flat_load_ushort v26, v[26:27]
	s_waitcnt vmcnt(0) lgkmcnt(0)
	v_mul_f16_e32 v26, s15, v26
	v_cvt_f32_f16_e32 v26, v26
	s_branch .LBB211_266
.LBB211_265:
	v_mov_b32_e32 v26, 0
.LBB211_266:
	v_pk_add_f16 v27, v18, v22
	v_pk_add_f16 v28, v19, v23
	v_max_f16_e32 v29, v71, v71
	v_lshrrev_b32_e32 v30, 16, v71
	v_max_f32_e32 v26, v26, v26
	v_lshrrev_b32_e32 v31, 16, v27
	v_lshrrev_b32_e32 v71, 16, v28
	v_min_f16_e32 v27, v29, v27
	v_min3_f16 v29, v30, v31, v71
	v_min3_f16 v27, v27, v28, v29
	v_cvt_f32_f16_e32 v27, v27
	v_min_f32_e32 v28, v26, v27
	v_lshlrev_b64 v[26:27], 1, v[34:35]
	v_cvt_f16_f32_e32 v28, v28
	v_add_co_u32 v26, vcc_lo, v20, v26
	v_add_co_ci_u32_e64 v27, null, v21, v27, vcc_lo
	flat_store_short v[26:27], v28
	s_or_b32 exec_lo, exec_lo, s12
	s_and_b32 s18, s2, s8
	s_and_saveexec_b32 s12, s18
	s_cbranch_execz .LBB211_254
.LBB211_267:
	v_cmp_ne_u32_e32 vcc_lo, 1, v68
	s_cbranch_vccnz .LBB211_269
; %bb.268:
	v_lshlrev_b64 v[26:27], 1, v[36:37]
	v_add_co_u32 v26, vcc_lo, v24, v26
	v_add_co_ci_u32_e64 v27, null, v25, v27, vcc_lo
	flat_load_ushort v26, v[26:27]
	s_waitcnt vmcnt(0) lgkmcnt(0)
	v_mul_f16_e32 v26, s15, v26
	v_cvt_f32_f16_e32 v26, v26
	s_branch .LBB211_270
.LBB211_269:
	v_mov_b32_e32 v26, 0
.LBB211_270:
	v_pk_add_f16 v27, v12, v22
	v_pk_add_f16 v28, v13, v23
	v_max_f16_e32 v29, v70, v70
	v_lshrrev_b32_e32 v30, 16, v70
	v_max_f32_e32 v26, v26, v26
	v_lshrrev_b32_e32 v31, 16, v27
	v_lshrrev_b32_e32 v70, 16, v28
	v_min_f16_e32 v27, v29, v27
	v_min3_f16 v29, v30, v31, v70
	v_min3_f16 v27, v27, v28, v29
	v_cvt_f32_f16_e32 v27, v27
	v_min_f32_e32 v28, v26, v27
	v_lshlrev_b64 v[26:27], 1, v[36:37]
	v_cvt_f16_f32_e32 v28, v28
	v_add_co_u32 v26, vcc_lo, v20, v26
	v_add_co_ci_u32_e64 v27, null, v21, v27, vcc_lo
	flat_store_short v[26:27], v28
	s_or_b32 exec_lo, exec_lo, s12
	s_and_b32 s18, s3, s8
	s_and_saveexec_b32 s12, s18
	s_cbranch_execz .LBB211_255
.LBB211_271:
	v_cmp_ne_u32_e32 vcc_lo, 1, v68
	s_cbranch_vccnz .LBB211_273
; %bb.272:
	v_lshlrev_b64 v[26:27], 1, v[38:39]
	v_add_co_u32 v26, vcc_lo, v24, v26
	v_add_co_ci_u32_e64 v27, null, v25, v27, vcc_lo
	flat_load_ushort v26, v[26:27]
	s_waitcnt vmcnt(0) lgkmcnt(0)
	v_mul_f16_e32 v26, s15, v26
	v_cvt_f32_f16_e32 v26, v26
	s_branch .LBB211_274
.LBB211_273:
	v_mov_b32_e32 v26, 0
.LBB211_274:
	v_pk_add_f16 v27, v14, v22
	v_pk_add_f16 v28, v15, v23
	v_max_f16_e32 v29, v69, v69
	v_lshrrev_b32_e32 v30, 16, v69
	v_max_f32_e32 v26, v26, v26
	v_lshrrev_b32_e32 v31, 16, v27
	v_lshrrev_b32_e32 v69, 16, v28
	v_min_f16_e32 v27, v29, v27
	v_min3_f16 v29, v30, v31, v69
	v_min3_f16 v27, v27, v28, v29
	v_cvt_f32_f16_e32 v27, v27
	v_min_f32_e32 v28, v26, v27
	v_lshlrev_b64 v[26:27], 1, v[38:39]
	v_cvt_f16_f32_e32 v28, v28
	v_add_co_u32 v26, vcc_lo, v20, v26
	v_add_co_ci_u32_e64 v27, null, v21, v27, vcc_lo
	flat_store_short v[26:27], v28
	s_or_b32 exec_lo, exec_lo, s12
	s_and_b32 s18, s4, s8
	s_and_saveexec_b32 s12, s18
	s_cbranch_execz .LBB211_256
.LBB211_275:
	v_cmp_ne_u32_e32 vcc_lo, 1, v68
	s_cbranch_vccnz .LBB211_277
; %bb.276:
	v_lshlrev_b64 v[26:27], 1, v[40:41]
	v_add_co_u32 v26, vcc_lo, v24, v26
	v_add_co_ci_u32_e64 v27, null, v25, v27, vcc_lo
	flat_load_ushort v26, v[26:27]
	s_waitcnt vmcnt(0) lgkmcnt(0)
	v_mul_f16_e32 v26, s15, v26
	v_cvt_f32_f16_e32 v26, v26
	s_branch .LBB211_278
.LBB211_277:
	v_mov_b32_e32 v26, 0
.LBB211_278:
	v_pk_add_f16 v27, v8, v22
	v_pk_add_f16 v28, v9, v23
	v_max_f16_e32 v29, v67, v67
	v_lshrrev_b32_e32 v30, 16, v67
	v_max_f32_e32 v26, v26, v26
	v_lshrrev_b32_e32 v31, 16, v27
	v_lshrrev_b32_e32 v67, 16, v28
	v_min_f16_e32 v27, v29, v27
	v_min3_f16 v29, v30, v31, v67
	v_min3_f16 v27, v27, v28, v29
	v_cvt_f32_f16_e32 v27, v27
	v_min_f32_e32 v28, v26, v27
	v_lshlrev_b64 v[26:27], 1, v[40:41]
	v_cvt_f16_f32_e32 v28, v28
	v_add_co_u32 v26, vcc_lo, v20, v26
	v_add_co_ci_u32_e64 v27, null, v21, v27, vcc_lo
	flat_store_short v[26:27], v28
	s_or_b32 exec_lo, exec_lo, s12
	s_and_b32 s18, s5, s8
	s_and_saveexec_b32 s12, s18
	s_cbranch_execz .LBB211_257
.LBB211_279:
	v_cmp_ne_u32_e32 vcc_lo, 1, v68
	s_cbranch_vccnz .LBB211_281
; %bb.280:
	v_lshlrev_b64 v[26:27], 1, v[42:43]
	v_add_co_u32 v26, vcc_lo, v24, v26
	v_add_co_ci_u32_e64 v27, null, v25, v27, vcc_lo
	flat_load_ushort v26, v[26:27]
	s_waitcnt vmcnt(0) lgkmcnt(0)
	v_mul_f16_e32 v26, s15, v26
	v_cvt_f32_f16_e32 v26, v26
	s_branch .LBB211_282
.LBB211_281:
	v_mov_b32_e32 v26, 0
.LBB211_282:
	v_pk_add_f16 v27, v10, v22
	v_pk_add_f16 v28, v11, v23
	v_max_f16_e32 v29, v66, v66
	v_lshrrev_b32_e32 v30, 16, v66
	v_max_f32_e32 v26, v26, v26
	v_lshrrev_b32_e32 v31, 16, v27
	v_lshrrev_b32_e32 v66, 16, v28
	v_min_f16_e32 v27, v29, v27
	v_min3_f16 v29, v30, v31, v66
	v_min3_f16 v27, v27, v28, v29
	v_cvt_f32_f16_e32 v27, v27
	v_min_f32_e32 v28, v26, v27
	v_lshlrev_b64 v[26:27], 1, v[42:43]
	v_cvt_f16_f32_e32 v28, v28
	v_add_co_u32 v26, vcc_lo, v20, v26
	v_add_co_ci_u32_e64 v27, null, v21, v27, vcc_lo
	flat_store_short v[26:27], v28
	s_or_b32 exec_lo, exec_lo, s12
	s_and_b32 s18, s6, s8
	s_and_saveexec_b32 s12, s18
	s_cbranch_execz .LBB211_258
.LBB211_283:
	v_cmp_ne_u32_e32 vcc_lo, 1, v68
	s_cbranch_vccnz .LBB211_285
; %bb.284:
	v_lshlrev_b64 v[26:27], 1, v[44:45]
	v_add_co_u32 v26, vcc_lo, v24, v26
	v_add_co_ci_u32_e64 v27, null, v25, v27, vcc_lo
	flat_load_ushort v26, v[26:27]
	s_waitcnt vmcnt(0) lgkmcnt(0)
	v_mul_f16_e32 v26, s15, v26
	v_cvt_f32_f16_e32 v26, v26
	s_branch .LBB211_286
.LBB211_285:
	v_mov_b32_e32 v26, 0
.LBB211_286:
	v_pk_add_f16 v27, v0, v22
	v_pk_add_f16 v28, v1, v23
	v_max_f16_e32 v29, v65, v65
	v_lshrrev_b32_e32 v30, 16, v65
	v_max_f32_e32 v26, v26, v26
	v_lshrrev_b32_e32 v31, 16, v27
	v_lshrrev_b32_e32 v65, 16, v28
	v_min_f16_e32 v27, v29, v27
	v_min3_f16 v29, v30, v31, v65
	v_min3_f16 v27, v27, v28, v29
	v_cvt_f32_f16_e32 v27, v27
	v_min_f32_e32 v28, v26, v27
	v_lshlrev_b64 v[26:27], 1, v[44:45]
	v_cvt_f16_f32_e32 v28, v28
	v_add_co_u32 v26, vcc_lo, v20, v26
	v_add_co_ci_u32_e64 v27, null, v21, v27, vcc_lo
	flat_store_short v[26:27], v28
	s_or_b32 exec_lo, exec_lo, s12
	s_and_b32 s12, s7, s8
	s_and_saveexec_b32 s8, s12
	s_cbranch_execz .LBB211_291
.LBB211_287:
	v_cmp_ne_u32_e32 vcc_lo, 1, v68
	s_cbranch_vccnz .LBB211_289
; %bb.288:
	v_lshlrev_b64 v[26:27], 1, v[46:47]
	v_add_co_u32 v24, vcc_lo, v24, v26
	v_add_co_ci_u32_e64 v25, null, v25, v27, vcc_lo
	flat_load_ushort v24, v[24:25]
	s_waitcnt vmcnt(0) lgkmcnt(0)
	v_mul_f16_e32 v24, s15, v24
	v_cvt_f32_f16_e32 v24, v24
	s_branch .LBB211_290
.LBB211_289:
	v_mov_b32_e32 v24, 0
.LBB211_290:
	v_pk_add_f16 v22, v2, v22
	v_pk_add_f16 v23, v3, v23
	v_max_f16_e32 v25, v64, v64
	v_lshrrev_b32_e32 v26, 16, v64
	v_lshrrev_b32_e32 v27, 16, v22
	;; [unrolled: 1-line block ×3, first 2 shown]
	v_min_f16_e32 v22, v25, v22
	v_min3_f16 v25, v26, v27, v28
	v_min3_f16 v22, v22, v23, v25
	v_max_f32_e32 v23, v24, v24
	v_cvt_f32_f16_e32 v22, v22
	v_min_f32_e32 v24, v23, v22
	v_lshlrev_b64 v[22:23], 1, v[46:47]
	v_cvt_f16_f32_e32 v24, v24
	v_add_co_u32 v20, vcc_lo, v20, v22
	v_add_co_ci_u32_e64 v21, null, v21, v23, vcc_lo
	flat_store_short v[20:21], v24
.LBB211_291:
	s_or_b32 exec_lo, exec_lo, s8
	v_add_nc_u32_e32 v24, 48, v76
	v_mad_i64_i32 v[20:21], null, v24, s14, 0
	v_mad_i64_i32 v[22:23], null, v24, s9, 0
	v_cmp_gt_i32_e64 s8, s13, v24
	v_lshlrev_b64 v[20:21], 1, v[20:21]
	s_and_b32 s18, s0, s8
	v_lshlrev_b64 v[24:25], 1, v[22:23]
	v_add_co_u32 v22, vcc_lo, s10, v20
	v_add_co_ci_u32_e64 v23, null, s11, v21, vcc_lo
	v_add_co_u32 v20, vcc_lo, s16, v24
	v_add_co_ci_u32_e64 v21, null, s17, v25, vcc_lo
	s_and_saveexec_b32 s12, s18
	s_cbranch_execnz .LBB211_299
; %bb.292:
	s_or_b32 exec_lo, exec_lo, s12
	s_and_b32 s18, s1, s8
	s_and_saveexec_b32 s12, s18
	s_cbranch_execnz .LBB211_303
.LBB211_293:
	s_or_b32 exec_lo, exec_lo, s12
	s_and_b32 s18, s2, s8
	s_and_saveexec_b32 s12, s18
	s_cbranch_execnz .LBB211_307
.LBB211_294:
	s_or_b32 exec_lo, exec_lo, s12
	s_and_b32 s18, s3, s8
	s_and_saveexec_b32 s12, s18
	s_cbranch_execnz .LBB211_311
.LBB211_295:
	s_or_b32 exec_lo, exec_lo, s12
	s_and_b32 s18, s4, s8
	s_and_saveexec_b32 s12, s18
	s_cbranch_execnz .LBB211_315
.LBB211_296:
	s_or_b32 exec_lo, exec_lo, s12
	s_and_b32 s18, s5, s8
	s_and_saveexec_b32 s12, s18
	s_cbranch_execnz .LBB211_319
.LBB211_297:
	s_or_b32 exec_lo, exec_lo, s12
	s_and_b32 s18, s6, s8
	s_and_saveexec_b32 s12, s18
	s_cbranch_execnz .LBB211_323
.LBB211_298:
	s_or_b32 exec_lo, exec_lo, s12
	s_and_b32 s12, s7, s8
	s_and_saveexec_b32 s8, s12
	s_cbranch_execnz .LBB211_327
	s_branch .LBB211_331
.LBB211_299:
	v_cmp_ne_u32_e32 vcc_lo, 1, v68
	s_cbranch_vccnz .LBB211_301
; %bb.300:
	v_lshlrev_b64 v[24:25], 1, v[32:33]
	v_add_co_u32 v24, vcc_lo, v22, v24
	v_add_co_ci_u32_e64 v25, null, v23, v25, vcc_lo
	flat_load_ushort v24, v[24:25]
	s_waitcnt vmcnt(0) lgkmcnt(0)
	v_mul_f16_e32 v24, s15, v24
	v_cvt_f32_f16_e32 v24, v24
	s_branch .LBB211_302
.LBB211_301:
	v_mov_b32_e32 v24, 0
.LBB211_302:
	v_pk_add_f16 v25, v16, v4
	v_pk_add_f16 v26, v17, v5
	v_max_f16_e32 v27, v63, v63
	v_lshrrev_b32_e32 v28, 16, v63
	v_max_f32_e32 v24, v24, v24
	v_lshrrev_b32_e32 v29, 16, v25
	v_lshrrev_b32_e32 v30, 16, v26
	v_min_f16_e32 v25, v27, v25
	v_min3_f16 v27, v28, v29, v30
	v_min3_f16 v25, v25, v26, v27
	v_cvt_f32_f16_e32 v25, v25
	v_min_f32_e32 v26, v24, v25
	v_lshlrev_b64 v[24:25], 1, v[32:33]
	v_cvt_f16_f32_e32 v26, v26
	v_add_co_u32 v24, vcc_lo, v20, v24
	v_add_co_ci_u32_e64 v25, null, v21, v25, vcc_lo
	flat_store_short v[24:25], v26
	s_or_b32 exec_lo, exec_lo, s12
	s_and_b32 s18, s1, s8
	s_and_saveexec_b32 s12, s18
	s_cbranch_execz .LBB211_293
.LBB211_303:
	v_cmp_ne_u32_e32 vcc_lo, 1, v68
	s_cbranch_vccnz .LBB211_305
; %bb.304:
	v_lshlrev_b64 v[24:25], 1, v[34:35]
	v_add_co_u32 v24, vcc_lo, v22, v24
	v_add_co_ci_u32_e64 v25, null, v23, v25, vcc_lo
	flat_load_ushort v24, v[24:25]
	s_waitcnt vmcnt(0) lgkmcnt(0)
	v_mul_f16_e32 v24, s15, v24
	v_cvt_f32_f16_e32 v24, v24
	s_branch .LBB211_306
.LBB211_305:
	v_mov_b32_e32 v24, 0
.LBB211_306:
	v_pk_add_f16 v25, v18, v4
	v_pk_add_f16 v26, v19, v5
	v_max_f16_e32 v27, v62, v62
	v_lshrrev_b32_e32 v28, 16, v62
	v_max_f32_e32 v24, v24, v24
	v_lshrrev_b32_e32 v29, 16, v25
	v_lshrrev_b32_e32 v30, 16, v26
	v_min_f16_e32 v25, v27, v25
	v_min3_f16 v27, v28, v29, v30
	v_min3_f16 v25, v25, v26, v27
	v_cvt_f32_f16_e32 v25, v25
	v_min_f32_e32 v26, v24, v25
	v_lshlrev_b64 v[24:25], 1, v[34:35]
	v_cvt_f16_f32_e32 v26, v26
	v_add_co_u32 v24, vcc_lo, v20, v24
	v_add_co_ci_u32_e64 v25, null, v21, v25, vcc_lo
	flat_store_short v[24:25], v26
	s_or_b32 exec_lo, exec_lo, s12
	s_and_b32 s18, s2, s8
	s_and_saveexec_b32 s12, s18
	s_cbranch_execz .LBB211_294
.LBB211_307:
	v_cmp_ne_u32_e32 vcc_lo, 1, v68
	s_cbranch_vccnz .LBB211_309
; %bb.308:
	v_lshlrev_b64 v[24:25], 1, v[36:37]
	v_add_co_u32 v24, vcc_lo, v22, v24
	v_add_co_ci_u32_e64 v25, null, v23, v25, vcc_lo
	flat_load_ushort v24, v[24:25]
	s_waitcnt vmcnt(0) lgkmcnt(0)
	v_mul_f16_e32 v24, s15, v24
	v_cvt_f32_f16_e32 v24, v24
	s_branch .LBB211_310
.LBB211_309:
	v_mov_b32_e32 v24, 0
.LBB211_310:
	v_pk_add_f16 v25, v12, v4
	v_pk_add_f16 v26, v13, v5
	v_max_f16_e32 v27, v61, v61
	v_lshrrev_b32_e32 v28, 16, v61
	v_max_f32_e32 v24, v24, v24
	v_lshrrev_b32_e32 v29, 16, v25
	v_lshrrev_b32_e32 v30, 16, v26
	v_min_f16_e32 v25, v27, v25
	v_min3_f16 v27, v28, v29, v30
	v_min3_f16 v25, v25, v26, v27
	v_cvt_f32_f16_e32 v25, v25
	v_min_f32_e32 v26, v24, v25
	v_lshlrev_b64 v[24:25], 1, v[36:37]
	v_cvt_f16_f32_e32 v26, v26
	v_add_co_u32 v24, vcc_lo, v20, v24
	v_add_co_ci_u32_e64 v25, null, v21, v25, vcc_lo
	flat_store_short v[24:25], v26
	s_or_b32 exec_lo, exec_lo, s12
	s_and_b32 s18, s3, s8
	s_and_saveexec_b32 s12, s18
	s_cbranch_execz .LBB211_295
.LBB211_311:
	v_cmp_ne_u32_e32 vcc_lo, 1, v68
	s_cbranch_vccnz .LBB211_313
; %bb.312:
	v_lshlrev_b64 v[24:25], 1, v[38:39]
	v_add_co_u32 v24, vcc_lo, v22, v24
	v_add_co_ci_u32_e64 v25, null, v23, v25, vcc_lo
	flat_load_ushort v24, v[24:25]
	s_waitcnt vmcnt(0) lgkmcnt(0)
	v_mul_f16_e32 v24, s15, v24
	v_cvt_f32_f16_e32 v24, v24
	s_branch .LBB211_314
.LBB211_313:
	v_mov_b32_e32 v24, 0
.LBB211_314:
	v_pk_add_f16 v25, v14, v4
	v_pk_add_f16 v26, v15, v5
	v_max_f16_e32 v27, v60, v60
	v_lshrrev_b32_e32 v28, 16, v60
	v_max_f32_e32 v24, v24, v24
	v_lshrrev_b32_e32 v29, 16, v25
	v_lshrrev_b32_e32 v30, 16, v26
	v_min_f16_e32 v25, v27, v25
	v_min3_f16 v27, v28, v29, v30
	v_min3_f16 v25, v25, v26, v27
	v_cvt_f32_f16_e32 v25, v25
	v_min_f32_e32 v26, v24, v25
	v_lshlrev_b64 v[24:25], 1, v[38:39]
	v_cvt_f16_f32_e32 v26, v26
	v_add_co_u32 v24, vcc_lo, v20, v24
	v_add_co_ci_u32_e64 v25, null, v21, v25, vcc_lo
	flat_store_short v[24:25], v26
	s_or_b32 exec_lo, exec_lo, s12
	s_and_b32 s18, s4, s8
	s_and_saveexec_b32 s12, s18
	s_cbranch_execz .LBB211_296
.LBB211_315:
	v_cmp_ne_u32_e32 vcc_lo, 1, v68
	s_cbranch_vccnz .LBB211_317
; %bb.316:
	v_lshlrev_b64 v[24:25], 1, v[40:41]
	v_add_co_u32 v24, vcc_lo, v22, v24
	v_add_co_ci_u32_e64 v25, null, v23, v25, vcc_lo
	flat_load_ushort v24, v[24:25]
	s_waitcnt vmcnt(0) lgkmcnt(0)
	v_mul_f16_e32 v24, s15, v24
	v_cvt_f32_f16_e32 v24, v24
	s_branch .LBB211_318
.LBB211_317:
	v_mov_b32_e32 v24, 0
.LBB211_318:
	v_pk_add_f16 v25, v8, v4
	v_pk_add_f16 v26, v9, v5
	v_max_f16_e32 v27, v59, v59
	v_lshrrev_b32_e32 v28, 16, v59
	v_max_f32_e32 v24, v24, v24
	v_lshrrev_b32_e32 v29, 16, v25
	v_lshrrev_b32_e32 v30, 16, v26
	v_min_f16_e32 v25, v27, v25
	v_min3_f16 v27, v28, v29, v30
	v_min3_f16 v25, v25, v26, v27
	v_cvt_f32_f16_e32 v25, v25
	v_min_f32_e32 v26, v24, v25
	v_lshlrev_b64 v[24:25], 1, v[40:41]
	v_cvt_f16_f32_e32 v26, v26
	v_add_co_u32 v24, vcc_lo, v20, v24
	v_add_co_ci_u32_e64 v25, null, v21, v25, vcc_lo
	flat_store_short v[24:25], v26
	s_or_b32 exec_lo, exec_lo, s12
	s_and_b32 s18, s5, s8
	s_and_saveexec_b32 s12, s18
	s_cbranch_execz .LBB211_297
.LBB211_319:
	v_cmp_ne_u32_e32 vcc_lo, 1, v68
	s_cbranch_vccnz .LBB211_321
; %bb.320:
	v_lshlrev_b64 v[24:25], 1, v[42:43]
	v_add_co_u32 v24, vcc_lo, v22, v24
	v_add_co_ci_u32_e64 v25, null, v23, v25, vcc_lo
	flat_load_ushort v24, v[24:25]
	s_waitcnt vmcnt(0) lgkmcnt(0)
	v_mul_f16_e32 v24, s15, v24
	v_cvt_f32_f16_e32 v24, v24
	s_branch .LBB211_322
.LBB211_321:
	v_mov_b32_e32 v24, 0
.LBB211_322:
	v_pk_add_f16 v25, v10, v4
	v_pk_add_f16 v26, v11, v5
	v_max_f16_e32 v27, v58, v58
	v_lshrrev_b32_e32 v28, 16, v58
	v_max_f32_e32 v24, v24, v24
	v_lshrrev_b32_e32 v29, 16, v25
	v_lshrrev_b32_e32 v30, 16, v26
	v_min_f16_e32 v25, v27, v25
	v_min3_f16 v27, v28, v29, v30
	v_min3_f16 v25, v25, v26, v27
	v_cvt_f32_f16_e32 v25, v25
	v_min_f32_e32 v26, v24, v25
	v_lshlrev_b64 v[24:25], 1, v[42:43]
	v_cvt_f16_f32_e32 v26, v26
	v_add_co_u32 v24, vcc_lo, v20, v24
	v_add_co_ci_u32_e64 v25, null, v21, v25, vcc_lo
	flat_store_short v[24:25], v26
	s_or_b32 exec_lo, exec_lo, s12
	s_and_b32 s18, s6, s8
	s_and_saveexec_b32 s12, s18
	s_cbranch_execz .LBB211_298
.LBB211_323:
	v_cmp_ne_u32_e32 vcc_lo, 1, v68
	s_cbranch_vccnz .LBB211_325
; %bb.324:
	v_lshlrev_b64 v[24:25], 1, v[44:45]
	v_add_co_u32 v24, vcc_lo, v22, v24
	v_add_co_ci_u32_e64 v25, null, v23, v25, vcc_lo
	flat_load_ushort v24, v[24:25]
	s_waitcnt vmcnt(0) lgkmcnt(0)
	v_mul_f16_e32 v24, s15, v24
	v_cvt_f32_f16_e32 v24, v24
	s_branch .LBB211_326
.LBB211_325:
	v_mov_b32_e32 v24, 0
.LBB211_326:
	v_pk_add_f16 v25, v0, v4
	v_pk_add_f16 v26, v1, v5
	v_max_f16_e32 v27, v57, v57
	v_lshrrev_b32_e32 v28, 16, v57
	v_max_f32_e32 v24, v24, v24
	v_lshrrev_b32_e32 v29, 16, v25
	v_lshrrev_b32_e32 v30, 16, v26
	v_min_f16_e32 v25, v27, v25
	v_min3_f16 v27, v28, v29, v30
	v_min3_f16 v25, v25, v26, v27
	v_cvt_f32_f16_e32 v25, v25
	v_min_f32_e32 v26, v24, v25
	v_lshlrev_b64 v[24:25], 1, v[44:45]
	v_cvt_f16_f32_e32 v26, v26
	v_add_co_u32 v24, vcc_lo, v20, v24
	v_add_co_ci_u32_e64 v25, null, v21, v25, vcc_lo
	flat_store_short v[24:25], v26
	s_or_b32 exec_lo, exec_lo, s12
	s_and_b32 s12, s7, s8
	s_and_saveexec_b32 s8, s12
	s_cbranch_execz .LBB211_331
.LBB211_327:
	v_cmp_ne_u32_e32 vcc_lo, 1, v68
	s_cbranch_vccnz .LBB211_329
; %bb.328:
	v_lshlrev_b64 v[24:25], 1, v[46:47]
	v_add_co_u32 v22, vcc_lo, v22, v24
	v_add_co_ci_u32_e64 v23, null, v23, v25, vcc_lo
	flat_load_ushort v22, v[22:23]
	s_waitcnt vmcnt(0) lgkmcnt(0)
	v_mul_f16_e32 v22, s15, v22
	v_cvt_f32_f16_e32 v22, v22
	s_branch .LBB211_330
.LBB211_329:
	v_mov_b32_e32 v22, 0
.LBB211_330:
	v_pk_add_f16 v4, v2, v4
	v_pk_add_f16 v5, v3, v5
	v_max_f16_e32 v23, v56, v56
	v_lshrrev_b32_e32 v24, 16, v56
	v_lshrrev_b32_e32 v25, 16, v4
	;; [unrolled: 1-line block ×3, first 2 shown]
	v_min_f16_e32 v4, v23, v4
	v_min3_f16 v23, v24, v25, v26
	v_min3_f16 v4, v4, v5, v23
	v_max_f32_e32 v5, v22, v22
	v_cvt_f32_f16_e32 v4, v4
	v_min_f32_e32 v22, v5, v4
	v_lshlrev_b64 v[4:5], 1, v[46:47]
	v_cvt_f16_f32_e32 v22, v22
	v_add_co_u32 v4, vcc_lo, v20, v4
	v_add_co_ci_u32_e64 v5, null, v21, v5, vcc_lo
	flat_store_short v[4:5], v22
.LBB211_331:
	s_or_b32 exec_lo, exec_lo, s8
	v_add_nc_u32_e32 v22, 56, v76
	v_mad_i64_i32 v[4:5], null, v22, s14, 0
	v_mad_i64_i32 v[20:21], null, v22, s9, 0
	v_cmp_gt_i32_e64 s8, s13, v22
	v_lshlrev_b64 v[4:5], 1, v[4:5]
	s_and_b32 s9, s0, s8
	v_lshlrev_b64 v[20:21], 1, v[20:21]
	v_add_co_u32 v22, vcc_lo, s10, v4
	v_add_co_ci_u32_e64 v23, null, s11, v5, vcc_lo
	v_add_co_u32 v20, vcc_lo, s16, v20
	v_add_co_ci_u32_e64 v21, null, s17, v21, vcc_lo
	s_and_saveexec_b32 s0, s9
	s_cbranch_execnz .LBB211_340
; %bb.332:
	s_or_b32 exec_lo, exec_lo, s0
	s_and_b32 s1, s1, s8
	s_and_saveexec_b32 s0, s1
	s_cbranch_execnz .LBB211_344
.LBB211_333:
	s_or_b32 exec_lo, exec_lo, s0
	s_and_b32 s1, s2, s8
	s_and_saveexec_b32 s0, s1
	s_cbranch_execnz .LBB211_348
.LBB211_334:
	s_or_b32 exec_lo, exec_lo, s0
	s_and_b32 s1, s3, s8
	s_and_saveexec_b32 s0, s1
	s_cbranch_execnz .LBB211_352
.LBB211_335:
	s_or_b32 exec_lo, exec_lo, s0
	s_and_b32 s1, s4, s8
	s_and_saveexec_b32 s0, s1
	s_cbranch_execnz .LBB211_356
.LBB211_336:
	s_or_b32 exec_lo, exec_lo, s0
	s_and_b32 s1, s5, s8
	s_and_saveexec_b32 s0, s1
	s_cbranch_execnz .LBB211_360
.LBB211_337:
	s_or_b32 exec_lo, exec_lo, s0
	s_and_b32 s1, s6, s8
	s_and_saveexec_b32 s0, s1
	s_cbranch_execnz .LBB211_364
.LBB211_338:
	s_or_b32 exec_lo, exec_lo, s0
	s_and_b32 s0, s7, s8
	s_and_saveexec_b32 s1, s0
	s_cbranch_execnz .LBB211_368
.LBB211_339:
	s_endpgm
.LBB211_340:
	v_cmp_ne_u32_e32 vcc_lo, 1, v68
	v_lshlrev_b64 v[4:5], 1, v[32:33]
	s_cbranch_vccnz .LBB211_342
; %bb.341:
	v_add_co_u32 v24, vcc_lo, v22, v4
	v_add_co_ci_u32_e64 v25, null, v23, v5, vcc_lo
	flat_load_ushort v24, v[24:25]
	s_waitcnt vmcnt(0) lgkmcnt(0)
	v_mul_f16_e32 v24, s15, v24
	v_cvt_f32_f16_e32 v24, v24
	s_branch .LBB211_343
.LBB211_342:
	v_mov_b32_e32 v24, 0
.LBB211_343:
	v_pk_add_f16 v16, v16, v6
	v_pk_add_f16 v17, v17, v7
	v_max_f16_e32 v25, v55, v55
	v_lshrrev_b32_e32 v26, 16, v55
	v_add_co_u32 v4, vcc_lo, v20, v4
	v_lshrrev_b32_e32 v27, 16, v16
	v_lshrrev_b32_e32 v28, 16, v17
	v_min_f16_e32 v16, v25, v16
	v_add_co_ci_u32_e64 v5, null, v21, v5, vcc_lo
	v_min3_f16 v25, v26, v27, v28
	v_min3_f16 v16, v16, v17, v25
	v_max_f32_e32 v17, v24, v24
	v_cvt_f32_f16_e32 v16, v16
	v_min_f32_e32 v16, v17, v16
	v_cvt_f16_f32_e32 v16, v16
	flat_store_short v[4:5], v16
	s_or_b32 exec_lo, exec_lo, s0
	s_and_b32 s1, s1, s8
	s_and_saveexec_b32 s0, s1
	s_cbranch_execz .LBB211_333
.LBB211_344:
	v_cmp_ne_u32_e32 vcc_lo, 1, v68
	v_lshlrev_b64 v[4:5], 1, v[34:35]
	s_cbranch_vccnz .LBB211_346
; %bb.345:
	v_add_co_u32 v16, vcc_lo, v22, v4
	v_add_co_ci_u32_e64 v17, null, v23, v5, vcc_lo
	flat_load_ushort v16, v[16:17]
	s_waitcnt vmcnt(0) lgkmcnt(0)
	v_mul_f16_e32 v16, s15, v16
	v_cvt_f32_f16_e32 v16, v16
	s_branch .LBB211_347
.LBB211_346:
	v_mov_b32_e32 v16, 0
.LBB211_347:
	v_pk_add_f16 v17, v18, v6
	v_pk_add_f16 v18, v19, v7
	v_max_f16_e32 v19, v54, v54
	v_lshrrev_b32_e32 v24, 16, v54
	v_max_f32_e32 v16, v16, v16
	v_lshrrev_b32_e32 v25, 16, v17
	v_lshrrev_b32_e32 v26, 16, v18
	v_min_f16_e32 v17, v19, v17
	v_add_co_u32 v4, vcc_lo, v20, v4
	v_add_co_ci_u32_e64 v5, null, v21, v5, vcc_lo
	v_min3_f16 v19, v24, v25, v26
	v_min3_f16 v17, v17, v18, v19
	v_cvt_f32_f16_e32 v17, v17
	v_min_f32_e32 v16, v16, v17
	v_cvt_f16_f32_e32 v16, v16
	flat_store_short v[4:5], v16
	s_or_b32 exec_lo, exec_lo, s0
	s_and_b32 s1, s2, s8
	s_and_saveexec_b32 s0, s1
	s_cbranch_execz .LBB211_334
.LBB211_348:
	v_cmp_ne_u32_e32 vcc_lo, 1, v68
	v_lshlrev_b64 v[4:5], 1, v[36:37]
	s_cbranch_vccnz .LBB211_350
; %bb.349:
	v_add_co_u32 v16, vcc_lo, v22, v4
	v_add_co_ci_u32_e64 v17, null, v23, v5, vcc_lo
	flat_load_ushort v16, v[16:17]
	s_waitcnt vmcnt(0) lgkmcnt(0)
	v_mul_f16_e32 v16, s15, v16
	v_cvt_f32_f16_e32 v16, v16
	s_branch .LBB211_351
.LBB211_350:
	v_mov_b32_e32 v16, 0
.LBB211_351:
	v_pk_add_f16 v12, v12, v6
	v_pk_add_f16 v13, v13, v7
	v_max_f16_e32 v17, v53, v53
	v_lshrrev_b32_e32 v18, 16, v53
	v_add_co_u32 v4, vcc_lo, v20, v4
	v_lshrrev_b32_e32 v19, 16, v12
	v_lshrrev_b32_e32 v24, 16, v13
	v_min_f16_e32 v12, v17, v12
	v_add_co_ci_u32_e64 v5, null, v21, v5, vcc_lo
	v_min3_f16 v17, v18, v19, v24
	v_min3_f16 v12, v12, v13, v17
	v_max_f32_e32 v13, v16, v16
	v_cvt_f32_f16_e32 v12, v12
	v_min_f32_e32 v12, v13, v12
	v_cvt_f16_f32_e32 v12, v12
	flat_store_short v[4:5], v12
	s_or_b32 exec_lo, exec_lo, s0
	s_and_b32 s1, s3, s8
	s_and_saveexec_b32 s0, s1
	s_cbranch_execz .LBB211_335
.LBB211_352:
	v_cmp_ne_u32_e32 vcc_lo, 1, v68
	v_lshlrev_b64 v[4:5], 1, v[38:39]
	s_cbranch_vccnz .LBB211_354
; %bb.353:
	v_add_co_u32 v12, vcc_lo, v22, v4
	v_add_co_ci_u32_e64 v13, null, v23, v5, vcc_lo
	flat_load_ushort v12, v[12:13]
	s_waitcnt vmcnt(0) lgkmcnt(0)
	v_mul_f16_e32 v12, s15, v12
	v_cvt_f32_f16_e32 v12, v12
	s_branch .LBB211_355
.LBB211_354:
	v_mov_b32_e32 v12, 0
.LBB211_355:
	v_pk_add_f16 v13, v14, v6
	v_pk_add_f16 v14, v15, v7
	v_max_f16_e32 v15, v52, v52
	v_lshrrev_b32_e32 v16, 16, v52
	v_max_f32_e32 v12, v12, v12
	v_lshrrev_b32_e32 v17, 16, v13
	v_lshrrev_b32_e32 v18, 16, v14
	v_min_f16_e32 v13, v15, v13
	v_add_co_u32 v4, vcc_lo, v20, v4
	v_add_co_ci_u32_e64 v5, null, v21, v5, vcc_lo
	v_min3_f16 v15, v16, v17, v18
	v_min3_f16 v13, v13, v14, v15
	v_cvt_f32_f16_e32 v13, v13
	v_min_f32_e32 v12, v12, v13
	v_cvt_f16_f32_e32 v12, v12
	flat_store_short v[4:5], v12
	s_or_b32 exec_lo, exec_lo, s0
	s_and_b32 s1, s4, s8
	s_and_saveexec_b32 s0, s1
	s_cbranch_execz .LBB211_336
.LBB211_356:
	v_cmp_ne_u32_e32 vcc_lo, 1, v68
	v_lshlrev_b64 v[4:5], 1, v[40:41]
	s_cbranch_vccnz .LBB211_358
; %bb.357:
	v_add_co_u32 v12, vcc_lo, v22, v4
	v_add_co_ci_u32_e64 v13, null, v23, v5, vcc_lo
	flat_load_ushort v12, v[12:13]
	s_waitcnt vmcnt(0) lgkmcnt(0)
	v_mul_f16_e32 v12, s15, v12
	v_cvt_f32_f16_e32 v12, v12
	s_branch .LBB211_359
.LBB211_358:
	v_mov_b32_e32 v12, 0
.LBB211_359:
	v_pk_add_f16 v8, v8, v6
	v_pk_add_f16 v9, v9, v7
	v_max_f16_e32 v13, v51, v51
	v_lshrrev_b32_e32 v14, 16, v51
	v_add_co_u32 v4, vcc_lo, v20, v4
	v_lshrrev_b32_e32 v15, 16, v8
	v_lshrrev_b32_e32 v16, 16, v9
	v_min_f16_e32 v8, v13, v8
	v_add_co_ci_u32_e64 v5, null, v21, v5, vcc_lo
	v_min3_f16 v13, v14, v15, v16
	v_min3_f16 v8, v8, v9, v13
	v_max_f32_e32 v9, v12, v12
	v_cvt_f32_f16_e32 v8, v8
	v_min_f32_e32 v8, v9, v8
	v_cvt_f16_f32_e32 v8, v8
	flat_store_short v[4:5], v8
	s_or_b32 exec_lo, exec_lo, s0
	s_and_b32 s1, s5, s8
	s_and_saveexec_b32 s0, s1
	s_cbranch_execz .LBB211_337
.LBB211_360:
	v_cmp_ne_u32_e32 vcc_lo, 1, v68
	v_lshlrev_b64 v[4:5], 1, v[42:43]
	s_cbranch_vccnz .LBB211_362
; %bb.361:
	v_add_co_u32 v8, vcc_lo, v22, v4
	v_add_co_ci_u32_e64 v9, null, v23, v5, vcc_lo
	flat_load_ushort v8, v[8:9]
	s_waitcnt vmcnt(0) lgkmcnt(0)
	v_mul_f16_e32 v8, s15, v8
	v_cvt_f32_f16_e32 v8, v8
	s_branch .LBB211_363
.LBB211_362:
	v_mov_b32_e32 v8, 0
.LBB211_363:
	v_pk_add_f16 v9, v10, v6
	v_pk_add_f16 v10, v11, v7
	v_max_f16_e32 v11, v50, v50
	v_lshrrev_b32_e32 v12, 16, v50
	v_max_f32_e32 v8, v8, v8
	v_lshrrev_b32_e32 v13, 16, v9
	v_lshrrev_b32_e32 v14, 16, v10
	v_min_f16_e32 v9, v11, v9
	v_add_co_u32 v4, vcc_lo, v20, v4
	v_add_co_ci_u32_e64 v5, null, v21, v5, vcc_lo
	v_min3_f16 v11, v12, v13, v14
	v_min3_f16 v9, v9, v10, v11
	v_cvt_f32_f16_e32 v9, v9
	v_min_f32_e32 v8, v8, v9
	v_cvt_f16_f32_e32 v8, v8
	flat_store_short v[4:5], v8
	s_or_b32 exec_lo, exec_lo, s0
	s_and_b32 s1, s6, s8
	s_and_saveexec_b32 s0, s1
	s_cbranch_execz .LBB211_338
.LBB211_364:
	v_cmp_ne_u32_e32 vcc_lo, 1, v68
	v_lshlrev_b64 v[4:5], 1, v[44:45]
	s_cbranch_vccnz .LBB211_366
; %bb.365:
	v_add_co_u32 v8, vcc_lo, v22, v4
	v_add_co_ci_u32_e64 v9, null, v23, v5, vcc_lo
	flat_load_ushort v8, v[8:9]
	s_waitcnt vmcnt(0) lgkmcnt(0)
	v_mul_f16_e32 v8, s15, v8
	v_cvt_f32_f16_e32 v8, v8
	s_branch .LBB211_367
.LBB211_366:
	v_mov_b32_e32 v8, 0
.LBB211_367:
	v_pk_add_f16 v0, v0, v6
	v_pk_add_f16 v1, v1, v7
	v_max_f16_e32 v9, v49, v49
	v_lshrrev_b32_e32 v10, 16, v49
	v_lshrrev_b32_e32 v11, 16, v0
	;; [unrolled: 1-line block ×3, first 2 shown]
	v_min_f16_e32 v0, v9, v0
	v_min3_f16 v9, v10, v11, v12
	v_min3_f16 v0, v0, v1, v9
	v_max_f32_e32 v1, v8, v8
	v_cvt_f32_f16_e32 v0, v0
	v_min_f32_e32 v0, v1, v0
	v_cvt_f16_f32_e32 v8, v0
	v_add_co_u32 v0, vcc_lo, v20, v4
	v_add_co_ci_u32_e64 v1, null, v21, v5, vcc_lo
	flat_store_short v[0:1], v8
	s_or_b32 exec_lo, exec_lo, s0
	s_and_b32 s0, s7, s8
	s_and_saveexec_b32 s1, s0
	s_cbranch_execz .LBB211_339
.LBB211_368:
	v_cmp_ne_u32_e32 vcc_lo, 1, v68
	v_lshlrev_b64 v[0:1], 1, v[46:47]
	s_cbranch_vccnz .LBB211_370
; %bb.369:
	v_add_co_u32 v4, vcc_lo, v22, v0
	v_add_co_ci_u32_e64 v5, null, v23, v1, vcc_lo
	flat_load_ushort v4, v[4:5]
	s_waitcnt vmcnt(0) lgkmcnt(0)
	v_mul_f16_e32 v4, s15, v4
	v_cvt_f32_f16_e32 v4, v4
	s_branch .LBB211_371
.LBB211_370:
	v_mov_b32_e32 v4, 0
.LBB211_371:
	v_pk_add_f16 v2, v2, v6
	v_pk_add_f16 v3, v3, v7
	v_max_f16_e32 v5, v48, v48
	v_lshrrev_b32_e32 v6, 16, v48
	v_add_co_u32 v0, vcc_lo, v20, v0
	v_lshrrev_b32_e32 v7, 16, v2
	v_lshrrev_b32_e32 v8, 16, v3
	v_min_f16_e32 v2, v5, v2
	v_add_co_ci_u32_e64 v1, null, v21, v1, vcc_lo
	v_min3_f16 v5, v6, v7, v8
	v_min3_f16 v2, v2, v3, v5
	v_max_f32_e32 v3, v4, v4
	v_cvt_f32_f16_e32 v2, v2
	v_min_f32_e32 v2, v3, v2
	v_cvt_f16_f32_e32 v2, v2
	flat_store_short v[0:1], v2
	s_endpgm
	.section	.rodata,"a",@progbits
	.p2align	6, 0x0
	.amdhsa_kernel _ZN12_GLOBAL__N_120geam_min_plus_kernelIDF16_Dv2_DF16_S1_Li32ELi8ELi256ELi64ELi4ELi64ELi4ELi4ELi64ELc78ELc78ELb1ELb1ELb1EDF16_KPKDF16_KPDF16_EEviiiT16_PT17_ilS9_ilS7_S9_ilPT18_ili26rocblas_geam_ex_operation_
		.amdhsa_group_segment_fixed_size 5120
		.amdhsa_private_segment_fixed_size 0
		.amdhsa_kernarg_size 128
		.amdhsa_user_sgpr_count 6
		.amdhsa_user_sgpr_private_segment_buffer 1
		.amdhsa_user_sgpr_dispatch_ptr 0
		.amdhsa_user_sgpr_queue_ptr 0
		.amdhsa_user_sgpr_kernarg_segment_ptr 1
		.amdhsa_user_sgpr_dispatch_id 0
		.amdhsa_user_sgpr_flat_scratch_init 0
		.amdhsa_user_sgpr_private_segment_size 0
		.amdhsa_wavefront_size32 1
		.amdhsa_uses_dynamic_stack 0
		.amdhsa_system_sgpr_private_segment_wavefront_offset 0
		.amdhsa_system_sgpr_workgroup_id_x 1
		.amdhsa_system_sgpr_workgroup_id_y 0
		.amdhsa_system_sgpr_workgroup_id_z 1
		.amdhsa_system_sgpr_workgroup_info 0
		.amdhsa_system_vgpr_workitem_id 1
		.amdhsa_next_free_vgpr 167
		.amdhsa_next_free_sgpr 27
		.amdhsa_reserve_vcc 1
		.amdhsa_reserve_flat_scratch 0
		.amdhsa_float_round_mode_32 0
		.amdhsa_float_round_mode_16_64 0
		.amdhsa_float_denorm_mode_32 3
		.amdhsa_float_denorm_mode_16_64 3
		.amdhsa_dx10_clamp 1
		.amdhsa_ieee_mode 1
		.amdhsa_fp16_overflow 0
		.amdhsa_workgroup_processor_mode 1
		.amdhsa_memory_ordered 1
		.amdhsa_forward_progress 1
		.amdhsa_shared_vgpr_count 0
		.amdhsa_exception_fp_ieee_invalid_op 0
		.amdhsa_exception_fp_denorm_src 0
		.amdhsa_exception_fp_ieee_div_zero 0
		.amdhsa_exception_fp_ieee_overflow 0
		.amdhsa_exception_fp_ieee_underflow 0
		.amdhsa_exception_fp_ieee_inexact 0
		.amdhsa_exception_int_div_zero 0
	.end_amdhsa_kernel
	.section	.text._ZN12_GLOBAL__N_120geam_min_plus_kernelIDF16_Dv2_DF16_S1_Li32ELi8ELi256ELi64ELi4ELi64ELi4ELi4ELi64ELc78ELc78ELb1ELb1ELb1EDF16_KPKDF16_KPDF16_EEviiiT16_PT17_ilS9_ilS7_S9_ilPT18_ili26rocblas_geam_ex_operation_,"axG",@progbits,_ZN12_GLOBAL__N_120geam_min_plus_kernelIDF16_Dv2_DF16_S1_Li32ELi8ELi256ELi64ELi4ELi64ELi4ELi4ELi64ELc78ELc78ELb1ELb1ELb1EDF16_KPKDF16_KPDF16_EEviiiT16_PT17_ilS9_ilS7_S9_ilPT18_ili26rocblas_geam_ex_operation_,comdat
.Lfunc_end211:
	.size	_ZN12_GLOBAL__N_120geam_min_plus_kernelIDF16_Dv2_DF16_S1_Li32ELi8ELi256ELi64ELi4ELi64ELi4ELi4ELi64ELc78ELc78ELb1ELb1ELb1EDF16_KPKDF16_KPDF16_EEviiiT16_PT17_ilS9_ilS7_S9_ilPT18_ili26rocblas_geam_ex_operation_, .Lfunc_end211-_ZN12_GLOBAL__N_120geam_min_plus_kernelIDF16_Dv2_DF16_S1_Li32ELi8ELi256ELi64ELi4ELi64ELi4ELi4ELi64ELc78ELc78ELb1ELb1ELb1EDF16_KPKDF16_KPDF16_EEviiiT16_PT17_ilS9_ilS7_S9_ilPT18_ili26rocblas_geam_ex_operation_
                                        ; -- End function
	.set _ZN12_GLOBAL__N_120geam_min_plus_kernelIDF16_Dv2_DF16_S1_Li32ELi8ELi256ELi64ELi4ELi64ELi4ELi4ELi64ELc78ELc78ELb1ELb1ELb1EDF16_KPKDF16_KPDF16_EEviiiT16_PT17_ilS9_ilS7_S9_ilPT18_ili26rocblas_geam_ex_operation_.num_vgpr, 167
	.set _ZN12_GLOBAL__N_120geam_min_plus_kernelIDF16_Dv2_DF16_S1_Li32ELi8ELi256ELi64ELi4ELi64ELi4ELi4ELi64ELc78ELc78ELb1ELb1ELb1EDF16_KPKDF16_KPDF16_EEviiiT16_PT17_ilS9_ilS7_S9_ilPT18_ili26rocblas_geam_ex_operation_.num_agpr, 0
	.set _ZN12_GLOBAL__N_120geam_min_plus_kernelIDF16_Dv2_DF16_S1_Li32ELi8ELi256ELi64ELi4ELi64ELi4ELi4ELi64ELc78ELc78ELb1ELb1ELb1EDF16_KPKDF16_KPDF16_EEviiiT16_PT17_ilS9_ilS7_S9_ilPT18_ili26rocblas_geam_ex_operation_.numbered_sgpr, 27
	.set _ZN12_GLOBAL__N_120geam_min_plus_kernelIDF16_Dv2_DF16_S1_Li32ELi8ELi256ELi64ELi4ELi64ELi4ELi4ELi64ELc78ELc78ELb1ELb1ELb1EDF16_KPKDF16_KPDF16_EEviiiT16_PT17_ilS9_ilS7_S9_ilPT18_ili26rocblas_geam_ex_operation_.num_named_barrier, 0
	.set _ZN12_GLOBAL__N_120geam_min_plus_kernelIDF16_Dv2_DF16_S1_Li32ELi8ELi256ELi64ELi4ELi64ELi4ELi4ELi64ELc78ELc78ELb1ELb1ELb1EDF16_KPKDF16_KPDF16_EEviiiT16_PT17_ilS9_ilS7_S9_ilPT18_ili26rocblas_geam_ex_operation_.private_seg_size, 0
	.set _ZN12_GLOBAL__N_120geam_min_plus_kernelIDF16_Dv2_DF16_S1_Li32ELi8ELi256ELi64ELi4ELi64ELi4ELi4ELi64ELc78ELc78ELb1ELb1ELb1EDF16_KPKDF16_KPDF16_EEviiiT16_PT17_ilS9_ilS7_S9_ilPT18_ili26rocblas_geam_ex_operation_.uses_vcc, 1
	.set _ZN12_GLOBAL__N_120geam_min_plus_kernelIDF16_Dv2_DF16_S1_Li32ELi8ELi256ELi64ELi4ELi64ELi4ELi4ELi64ELc78ELc78ELb1ELb1ELb1EDF16_KPKDF16_KPDF16_EEviiiT16_PT17_ilS9_ilS7_S9_ilPT18_ili26rocblas_geam_ex_operation_.uses_flat_scratch, 0
	.set _ZN12_GLOBAL__N_120geam_min_plus_kernelIDF16_Dv2_DF16_S1_Li32ELi8ELi256ELi64ELi4ELi64ELi4ELi4ELi64ELc78ELc78ELb1ELb1ELb1EDF16_KPKDF16_KPDF16_EEviiiT16_PT17_ilS9_ilS7_S9_ilPT18_ili26rocblas_geam_ex_operation_.has_dyn_sized_stack, 0
	.set _ZN12_GLOBAL__N_120geam_min_plus_kernelIDF16_Dv2_DF16_S1_Li32ELi8ELi256ELi64ELi4ELi64ELi4ELi4ELi64ELc78ELc78ELb1ELb1ELb1EDF16_KPKDF16_KPDF16_EEviiiT16_PT17_ilS9_ilS7_S9_ilPT18_ili26rocblas_geam_ex_operation_.has_recursion, 0
	.set _ZN12_GLOBAL__N_120geam_min_plus_kernelIDF16_Dv2_DF16_S1_Li32ELi8ELi256ELi64ELi4ELi64ELi4ELi4ELi64ELc78ELc78ELb1ELb1ELb1EDF16_KPKDF16_KPDF16_EEviiiT16_PT17_ilS9_ilS7_S9_ilPT18_ili26rocblas_geam_ex_operation_.has_indirect_call, 0
	.section	.AMDGPU.csdata,"",@progbits
; Kernel info:
; codeLenInByte = 22916
; TotalNumSgprs: 29
; NumVgprs: 167
; ScratchSize: 0
; MemoryBound: 0
; FloatMode: 240
; IeeeMode: 1
; LDSByteSize: 5120 bytes/workgroup (compile time only)
; SGPRBlocks: 0
; VGPRBlocks: 20
; NumSGPRsForWavesPerEU: 29
; NumVGPRsForWavesPerEU: 167
; Occupancy: 5
; WaveLimiterHint : 1
; COMPUTE_PGM_RSRC2:SCRATCH_EN: 0
; COMPUTE_PGM_RSRC2:USER_SGPR: 6
; COMPUTE_PGM_RSRC2:TRAP_HANDLER: 0
; COMPUTE_PGM_RSRC2:TGID_X_EN: 1
; COMPUTE_PGM_RSRC2:TGID_Y_EN: 0
; COMPUTE_PGM_RSRC2:TGID_Z_EN: 1
; COMPUTE_PGM_RSRC2:TIDIG_COMP_CNT: 1
	.section	.text._ZN12_GLOBAL__N_120geam_min_plus_kernelIDF16_Dv2_DF16_S1_Li32ELi8ELi256ELi64ELi4ELi64ELi4ELi4ELi64ELc78ELc78ELb0ELb1ELb1EDF16_KPKDF16_KPDF16_EEviiiT16_PT17_ilS9_ilS7_S9_ilPT18_ili26rocblas_geam_ex_operation_,"axG",@progbits,_ZN12_GLOBAL__N_120geam_min_plus_kernelIDF16_Dv2_DF16_S1_Li32ELi8ELi256ELi64ELi4ELi64ELi4ELi4ELi64ELc78ELc78ELb0ELb1ELb1EDF16_KPKDF16_KPDF16_EEviiiT16_PT17_ilS9_ilS7_S9_ilPT18_ili26rocblas_geam_ex_operation_,comdat
	.globl	_ZN12_GLOBAL__N_120geam_min_plus_kernelIDF16_Dv2_DF16_S1_Li32ELi8ELi256ELi64ELi4ELi64ELi4ELi4ELi64ELc78ELc78ELb0ELb1ELb1EDF16_KPKDF16_KPDF16_EEviiiT16_PT17_ilS9_ilS7_S9_ilPT18_ili26rocblas_geam_ex_operation_ ; -- Begin function _ZN12_GLOBAL__N_120geam_min_plus_kernelIDF16_Dv2_DF16_S1_Li32ELi8ELi256ELi64ELi4ELi64ELi4ELi4ELi64ELc78ELc78ELb0ELb1ELb1EDF16_KPKDF16_KPDF16_EEviiiT16_PT17_ilS9_ilS7_S9_ilPT18_ili26rocblas_geam_ex_operation_
	.p2align	8
	.type	_ZN12_GLOBAL__N_120geam_min_plus_kernelIDF16_Dv2_DF16_S1_Li32ELi8ELi256ELi64ELi4ELi64ELi4ELi4ELi64ELc78ELc78ELb0ELb1ELb1EDF16_KPKDF16_KPDF16_EEviiiT16_PT17_ilS9_ilS7_S9_ilPT18_ili26rocblas_geam_ex_operation_,@function
_ZN12_GLOBAL__N_120geam_min_plus_kernelIDF16_Dv2_DF16_S1_Li32ELi8ELi256ELi64ELi4ELi64ELi4ELi4ELi64ELc78ELc78ELb0ELb1ELb1EDF16_KPKDF16_KPDF16_EEviiiT16_PT17_ilS9_ilS7_S9_ilPT18_ili26rocblas_geam_ex_operation_: ; @_ZN12_GLOBAL__N_120geam_min_plus_kernelIDF16_Dv2_DF16_S1_Li32ELi8ELi256ELi64ELi4ELi64ELi4ELi4ELi64ELc78ELc78ELb0ELb1ELb1EDF16_KPKDF16_KPDF16_EEviiiT16_PT17_ilS9_ilS7_S9_ilPT18_ili26rocblas_geam_ex_operation_
; %bb.0:
	s_clause 0x1
	s_load_dwordx4 s[12:15], s[4:5], 0x0
	s_load_dwordx4 s[0:3], s[4:5], 0x20
	s_mov_b32 s16, s7
	s_mov_b32 s17, 0
	s_waitcnt lgkmcnt(0)
	v_cmp_eq_f16_e64 s7, s15, 0
	s_and_b32 vcc_lo, exec_lo, s7
	s_cbranch_vccnz .LBB212_3
; %bb.1:
	s_load_dwordx2 s[8:9], s[4:5], 0x10
	s_lshl_b64 s[10:11], s[16:17], 3
	s_waitcnt lgkmcnt(0)
	s_add_u32 s8, s8, s10
	s_addc_u32 s9, s9, s11
	s_lshl_b64 s[0:1], s[0:1], 1
	s_load_dwordx2 s[8:9], s[8:9], 0x0
	s_waitcnt lgkmcnt(0)
	s_add_u32 s8, s8, s0
	s_addc_u32 s9, s9, s1
	s_andn2_b32 vcc_lo, exec_lo, s7
	s_cbranch_vccnz .LBB212_4
.LBB212_2:
	s_mov_b32 s21, 0
	s_mov_b32 s20, s16
	s_mov_b32 s0, s21
	s_mov_b64 s[10:11], 0
	s_andn2_b32 vcc_lo, exec_lo, s0
	s_mov_b64 s[18:19], 0
	s_cbranch_vccz .LBB212_5
	s_branch .LBB212_6
.LBB212_3:
	s_mov_b64 s[8:9], 0
	s_andn2_b32 vcc_lo, exec_lo, s7
	s_cbranch_vccz .LBB212_2
.LBB212_4:
	s_mov_b64 s[20:21], s[16:17]
	s_mov_b64 s[10:11], 0
	;; [unrolled: 1-line block ×3, first 2 shown]
.LBB212_5:
	s_lshl_b64 s[0:1], s[16:17], 3
	s_load_dwordx2 s[16:17], s[4:5], 0x38
	s_add_u32 s0, s2, s0
	s_addc_u32 s1, s3, s1
	s_load_dwordx2 s[0:1], s[0:1], 0x0
	s_waitcnt lgkmcnt(0)
	s_lshl_b64 s[2:3], s[16:17], 1
	s_add_u32 s18, s0, s2
	s_addc_u32 s19, s1, s3
.LBB212_6:
	s_clause 0x1
	s_load_dword s22, s[4:5], 0x40
	s_load_dwordx4 s[0:3], s[4:5], 0x58
	s_waitcnt lgkmcnt(0)
	v_cmp_eq_f16_e64 s7, s22, 0
	v_cmp_neq_f16_e64 s23, s22, 0
	s_and_b32 vcc_lo, exec_lo, s7
	s_cbranch_vccnz .LBB212_8
; %bb.7:
	s_load_dwordx2 s[10:11], s[4:5], 0x48
	s_lshl_b64 s[16:17], s[20:21], 3
	s_waitcnt lgkmcnt(0)
	s_add_u32 s10, s10, s16
	s_addc_u32 s11, s11, s17
	s_lshl_b64 s[0:1], s[0:1], 1
	s_load_dwordx2 s[10:11], s[10:11], 0x0
	s_waitcnt lgkmcnt(0)
	s_add_u32 s10, s10, s0
	s_addc_u32 s11, s11, s1
.LBB212_8:
	s_lshl_b64 s[0:1], s[20:21], 3
	s_load_dword s24, s[4:5], 0x18
	s_add_u32 s16, s2, s0
	s_addc_u32 s17, s3, s1
	s_add_i32 s7, s12, -1
	v_lshl_add_u32 v10, v1, 5, v0
	s_ashr_i32 s0, s7, 31
	v_cmp_eq_f16_e64 s26, s15, 0
	s_lshr_b32 s0, s0, 24
	s_add_i32 s0, s7, s0
	v_lshrrev_b32_e32 v47, 6, v10
	s_ashr_i32 s0, s0, 8
	v_and_b32_e32 v15, 63, v10
	s_add_i32 s1, s0, 1
	s_not_b32 s0, s0
	v_cvt_f32_u32_e32 v2, s1
	v_rcp_iflag_f32_e32 v2, v2
	v_mul_f32_e32 v2, 0x4f7ffffe, v2
	v_cvt_u32_f32_e32 v2, v2
	v_readfirstlane_b32 s2, v2
	s_mul_i32 s0, s0, s2
	s_mul_hi_u32 s0, s2, s0
	s_add_i32 s2, s2, s0
	s_mul_hi_u32 s0, s6, s2
	s_mul_i32 s2, s0, s1
	s_add_i32 s3, s0, 1
	s_sub_i32 s2, s6, s2
	s_sub_i32 s20, s2, s1
	s_cmp_ge_u32 s2, s1
	s_cselect_b32 s0, s3, s0
	s_cselect_b32 s2, s20, s2
	s_add_i32 s3, s0, 1
	s_cmp_ge_u32 s2, s1
	s_cselect_b32 s21, s3, s0
	s_add_i32 s25, s14, -1
	s_mul_i32 s0, s21, s1
	v_min_i32_e32 v2, s25, v47
	s_sub_i32 s0, s6, s0
	v_cmp_le_i32_e64 s3, s14, v47
	s_lshl_b32 s20, s0, 8
	s_waitcnt lgkmcnt(0)
	v_mad_i64_i32 v[3:4], null, s24, v2, 0
	v_or_b32_e32 v2, s20, v15
	v_cmp_le_i32_e32 vcc_lo, s12, v2
	v_lshlrev_b64 v[3:4], 1, v[3:4]
	s_or_b32 s1, vcc_lo, s3
	v_add_co_u32 v11, s0, s8, v3
	v_cndmask_b32_e64 v18, 0, 0x7c00, s1
	v_add_co_ci_u32_e64 v12, null, s9, v4, s0
	v_ashrrev_i32_e32 v3, 31, v2
	s_nor_b32 s0, s26, s1
	s_and_saveexec_b32 s1, s0
	s_cbranch_execz .LBB212_10
; %bb.9:
	v_lshlrev_b64 v[4:5], 1, v[2:3]
	v_add_co_u32 v4, s0, v11, v4
	v_add_co_ci_u32_e64 v5, null, v12, v5, s0
	flat_load_ushort v4, v[4:5]
	s_waitcnt vmcnt(0) lgkmcnt(0)
	v_mul_f16_e32 v18, s15, v4
.LBB212_10:
	s_or_b32 exec_lo, exec_lo, s1
	v_or_b32_e32 v4, 64, v2
	v_cmp_le_i32_e64 s0, s12, v4
	v_min_i32_e32 v4, s7, v4
	s_or_b32 s1, s0, s3
	v_ashrrev_i32_e32 v5, 31, v4
	v_cndmask_b32_e64 v19, 0, 0x7c00, s1
	s_nor_b32 s1, s1, s26
	s_and_saveexec_b32 s2, s1
	s_cbranch_execz .LBB212_12
; %bb.11:
	v_lshlrev_b64 v[6:7], 1, v[4:5]
	v_add_co_u32 v6, s1, v11, v6
	v_add_co_ci_u32_e64 v7, null, v12, v7, s1
	flat_load_ushort v6, v[6:7]
	s_waitcnt vmcnt(0) lgkmcnt(0)
	v_mul_f16_e32 v19, s15, v6
.LBB212_12:
	s_or_b32 exec_lo, exec_lo, s2
	v_or_b32_e32 v6, 0x80, v2
	v_cmp_le_i32_e64 s1, s12, v6
	v_min_i32_e32 v6, s7, v6
	s_or_b32 s2, s1, s3
	v_ashrrev_i32_e32 v7, 31, v6
	v_cndmask_b32_e64 v20, 0, 0x7c00, s2
	;; [unrolled: 18-line block ×3, first 2 shown]
	s_nor_b32 s3, s3, s26
	s_and_saveexec_b32 s6, s3
	s_cbranch_execz .LBB212_16
; %bb.15:
	v_lshlrev_b64 v[13:14], 1, v[8:9]
	v_add_co_u32 v11, s3, v11, v13
	v_add_co_ci_u32_e64 v12, null, v12, v14, s3
	flat_load_ushort v11, v[11:12]
	s_waitcnt vmcnt(0) lgkmcnt(0)
	v_mul_f16_e32 v21, s15, v11
.LBB212_16:
	s_or_b32 exec_lo, exec_lo, s6
	v_lshrrev_b32_e32 v17, 2, v10
	s_load_dword s27, s[4:5], 0x30
	s_lshl_b32 s21, s21, 6
	v_and_b32_e32 v97, 3, v0
	v_add_nc_u32_e32 v10, s21, v17
	v_cmp_le_i32_e64 s6, s14, v97
	v_cmp_le_i32_e64 s3, s13, v10
	s_or_b32 s6, s6, s3
	v_cndmask_b32_e64 v22, 0, 0x7c00, s6
	s_nor_b32 s6, s26, s6
	s_and_saveexec_b32 s7, s6
	s_cbranch_execz .LBB212_18
; %bb.17:
	s_waitcnt lgkmcnt(0)
	v_mad_i64_i32 v[11:12], null, v10, s27, 0
	v_min_u32_e32 v13, s25, v97
	v_lshlrev_b32_e32 v13, 1, v13
	v_lshlrev_b64 v[11:12], 1, v[11:12]
	v_add_co_u32 v11, s6, s18, v11
	v_add_co_ci_u32_e64 v12, null, s19, v12, s6
	v_add_co_u32 v11, s6, v11, v13
	v_add_co_ci_u32_e64 v12, null, 0, v12, s6
	flat_load_ushort v11, v[11:12]
	s_waitcnt vmcnt(0) lgkmcnt(0)
	v_mul_f16_e32 v22, s15, v11
.LBB212_18:
	s_or_b32 exec_lo, exec_lo, s7
	v_add_nc_u32_e32 v13, 4, v47
	v_min_i32_e32 v11, s25, v13
	v_cmp_le_i32_e64 s6, s14, v13
	v_mad_i64_i32 v[11:12], null, s24, v11, 0
	v_lshlrev_b64 v[11:12], 1, v[11:12]
	v_add_co_u32 v16, s7, s8, v11
	v_add_co_ci_u32_e64 v23, null, s9, v12, s7
	s_or_b32 s7, vcc_lo, s6
	v_cndmask_b32_e64 v11, 0, 0x7c00, s7
	s_nor_b32 s7, s26, s7
	s_and_saveexec_b32 s28, s7
	s_cbranch_execz .LBB212_20
; %bb.19:
	v_lshlrev_b64 v[11:12], 1, v[2:3]
	v_add_co_u32 v11, s7, v16, v11
	v_add_co_ci_u32_e64 v12, null, v23, v12, s7
	flat_load_ushort v11, v[11:12]
	s_waitcnt vmcnt(0) lgkmcnt(0)
	v_mul_f16_e32 v11, s15, v11
.LBB212_20:
	s_or_b32 exec_lo, exec_lo, s28
	s_or_b32 s7, s0, s6
	v_cndmask_b32_e64 v12, 0, 0x7c00, s7
	s_nor_b32 s7, s7, s26
	s_and_saveexec_b32 s28, s7
	s_cbranch_execz .LBB212_22
; %bb.21:
	v_lshlrev_b64 v[12:13], 1, v[4:5]
	v_add_co_u32 v12, s7, v16, v12
	v_add_co_ci_u32_e64 v13, null, v23, v13, s7
	flat_load_ushort v12, v[12:13]
	s_waitcnt vmcnt(0) lgkmcnt(0)
	v_mul_f16_e32 v12, s15, v12
.LBB212_22:
	s_or_b32 exec_lo, exec_lo, s28
	s_or_b32 s7, s1, s6
	;; [unrolled: 14-line block ×3, first 2 shown]
	v_cndmask_b32_e64 v14, 0, 0x7c00, s6
	s_nor_b32 s6, s6, s26
	s_and_saveexec_b32 s7, s6
	s_cbranch_execz .LBB212_26
; %bb.25:
	v_lshlrev_b64 v[24:25], 1, v[8:9]
	v_add_co_u32 v24, s6, v16, v24
	v_add_co_ci_u32_e64 v25, null, v23, v25, s6
	flat_load_ushort v14, v[24:25]
	s_waitcnt vmcnt(0) lgkmcnt(0)
	v_mul_f16_e32 v14, s15, v14
.LBB212_26:
	s_or_b32 exec_lo, exec_lo, s7
	v_or_b32_e32 v23, 4, v97
	v_cmp_le_i32_e64 s6, s14, v23
	s_or_b32 s6, s6, s3
	v_cndmask_b32_e64 v16, 0, 0x7c00, s6
	s_nor_b32 s6, s26, s6
	s_and_saveexec_b32 s7, s6
	s_cbranch_execz .LBB212_28
; %bb.27:
	s_waitcnt lgkmcnt(0)
	v_mad_i64_i32 v[24:25], null, v10, s27, 0
	v_min_u32_e32 v16, s25, v23
	v_lshlrev_b32_e32 v16, 1, v16
	v_lshlrev_b64 v[23:24], 1, v[24:25]
	v_add_co_u32 v23, s6, s18, v23
	v_add_co_ci_u32_e64 v24, null, s19, v24, s6
	v_add_co_u32 v23, s6, v23, v16
	v_add_co_ci_u32_e64 v24, null, 0, v24, s6
	flat_load_ushort v16, v[23:24]
	s_waitcnt vmcnt(0) lgkmcnt(0)
	v_mul_f16_e32 v16, s15, v16
.LBB212_28:
	s_or_b32 exec_lo, exec_lo, s7
	v_lshlrev_b32_e32 v23, 3, v15
	v_lshlrev_b32_e32 v69, 3, v1
	;; [unrolled: 1-line block ×4, first 2 shown]
	s_load_dwordx2 s[16:17], s[16:17], 0x0
	v_lshl_add_u32 v101, v47, 1, v23
	v_add_nc_u32_e32 v42, 0x1000, v69
	v_lshl_or_b32 v17, v17, 3, v15
	s_cmp_lt_i32 s14, 9
	ds_write_b16 v101, v18
	ds_write_b16 v101, v19 offset:512
	ds_write_b16 v101, v20 offset:1024
	;; [unrolled: 1-line block ×4, first 2 shown]
	s_waitcnt lgkmcnt(0)
	s_barrier
	buffer_gl0_inv
	ds_read2_b64 v[18:21], v77 offset1:32
	ds_read2_b64 v[22:25], v42 offset1:8
	ds_read2_b64 v[26:29], v77 offset0:64 offset1:96
	ds_read2_b64 v[30:33], v77 offset0:128 offset1:160
	;; [unrolled: 1-line block ×4, first 2 shown]
	s_waitcnt lgkmcnt(4)
	v_pk_add_f16 v43, v18, v22
	v_pk_add_f16 v44, v20, v22
	s_waitcnt lgkmcnt(3)
	v_pk_add_f16 v45, v26, v22
	v_pk_add_f16 v46, v28, v22
	;; [unrolled: 3-line block ×4, first 2 shown]
	v_pk_add_f16 v52, v18, v24
	v_pk_add_f16 v53, v20, v24
	;; [unrolled: 1-line block ×24, first 2 shown]
	s_waitcnt lgkmcnt(0)
	v_pk_add_f16 v78, v18, v38
	v_pk_add_f16 v79, v20, v38
	;; [unrolled: 1-line block ×13, first 2 shown]
	ds_read2_b64 v[22:25], v42 offset0:32 offset1:40
	v_pk_add_f16 v114, v32, v40
	v_pk_add_f16 v115, v34, v40
	;; [unrolled: 1-line block ×19, first 2 shown]
	ds_read2_b64 v[38:41], v42 offset0:48 offset1:56
	s_waitcnt lgkmcnt(1)
	v_pk_add_f16 v132, v18, v22
	v_pk_add_f16 v133, v20, v22
	;; [unrolled: 1-line block ×32, first 2 shown]
	s_waitcnt lgkmcnt(0)
	v_pk_add_f16 v159, v18, v38
	v_pk_add_f16 v160, v20, v38
	;; [unrolled: 1-line block ×31, first 2 shown]
	v_pk_min_f16 v45, 0x7c00, v45 op_sel_hi:[0,1]
	v_pk_add_f16 v37, v37, v41
	v_pk_min_f16 v41, 0x7c00, v48 op_sel_hi:[0,1]
	v_pk_min_f16 v43, 0x7c00, v43 op_sel_hi:[0,1]
	;; [unrolled: 1-line block ×3, first 2 shown]
	v_pk_min_f16 v119, v45, v62
	v_pk_min_f16 v45, 0x7c00, v51 op_sel_hi:[0,1]
	v_pk_min_f16 v111, v41, v64
	v_pk_min_f16 v41, 0x7c00, v53 op_sel_hi:[0,1]
	v_pk_min_f16 v46, 0x7c00, v46 op_sel_hi:[0,1]
	v_pk_min_f16 v121, v43, v60
	v_pk_min_f16 v120, v44, v61
	v_pk_min_f16 v43, 0x7c00, v49 op_sel_hi:[0,1]
	v_pk_min_f16 v44, 0x7c00, v50 op_sel_hi:[0,1]
	v_pk_min_f16 v108, v45, v67
	v_pk_min_f16 v45, 0x7c00, v56 op_sel_hi:[0,1]
	v_pk_min_f16 v106, v41, v70
	v_pk_min_f16 v41, 0x7c00, v58 op_sel_hi:[0,1]
	v_pk_min_f16 v112, v46, v63
	v_pk_min_f16 v46, 0x7c00, v52 op_sel_hi:[0,1]
	v_pk_min_f16 v110, v43, v65
	v_pk_min_f16 v109, v44, v66
	v_pk_min_f16 v43, 0x7c00, v54 op_sel_hi:[0,1]
	v_pk_min_f16 v44, 0x7c00, v55 op_sel_hi:[0,1]
	v_pk_min_f16 v103, v45, v73
	v_pk_min_f16 v45, 0x7c00, v79 op_sel_hi:[0,1]
	v_pk_min_f16 v100, v41, v75
	v_pk_min_f16 v41, 0x7c00, v81 op_sel_hi:[0,1]
	v_pk_min_f16 v107, v46, v68
	;; [unrolled: 10-line block ×3, first 2 shown]
	v_pk_min_f16 v46, 0x7c00, v80 op_sel_hi:[0,1]
	v_pk_min_f16 v99, v43, v76
	v_pk_min_f16 v98, v44, v90
	v_pk_min_f16 v43, 0x7c00, v82 op_sel_hi:[0,1]
	v_pk_min_f16 v44, 0x7c00, v83 op_sel_hi:[0,1]
	v_pk_min_f16 v91, v45, v122
	v_pk_min_f16 v45, 0x7c00, v89 op_sel_hi:[0,1]
	v_pk_min_f16 v89, v41, v124
	v_pk_min_f16 v41, 0x7c00, v114 op_sel_hi:[0,1]
	v_pk_min_f16 v22, 0x7c00, v22 op_sel_hi:[0,1]
	v_pk_min_f16 v95, v46, v92
	v_pk_min_f16 v46, 0x7c00, v85 op_sel_hi:[0,1]
	v_pk_min_f16 v93, v43, v117
	v_pk_min_f16 v92, v44, v118
	v_pk_min_f16 v43, 0x7c00, v87 op_sel_hi:[0,1]
	v_pk_min_f16 v44, 0x7c00, v88 op_sel_hi:[0,1]
	v_pk_min_f16 v84, v41, v129
	v_pk_min_f16 v41, 0x7c00, v134 op_sel_hi:[0,1]
	v_pk_min_f16 v73, v22, v23
	;; [unrolled: 2-line block ×4, first 2 shown]
	v_pk_min_f16 v87, v44, v126
	v_pk_min_f16 v86, v45, v127
	v_pk_min_f16 v43, 0x7c00, v115 op_sel_hi:[0,1]
	v_pk_min_f16 v44, 0x7c00, v116 op_sel_hi:[0,1]
	;; [unrolled: 1-line block ×3, first 2 shown]
	v_pk_min_f16 v79, v41, v147
	v_pk_min_f16 v41, 0x7c00, v139 op_sel_hi:[0,1]
	v_pk_min_f16 v23, 0x7c00, v42 op_sel_hi:[0,1]
	;; [unrolled: 1-line block ×3, first 2 shown]
	v_pk_min_f16 v67, v22, v156
	v_pk_min_f16 v22, 0x7c00, v160 op_sel_hi:[0,1]
	v_pk_min_f16 v85, v46, v128
	v_pk_min_f16 v46, 0x7c00, v133 op_sel_hi:[0,1]
	v_pk_min_f16 v83, v43, v130
	v_pk_min_f16 v82, v44, v131
	;; [unrolled: 1-line block ×3, first 2 shown]
	v_pk_min_f16 v43, 0x7c00, v135 op_sel_hi:[0,1]
	v_pk_min_f16 v44, 0x7c00, v136 op_sel_hi:[0,1]
	;; [unrolled: 1-line block ×3, first 2 shown]
	v_pk_min_f16 v72, v41, v152
	v_pk_min_f16 v41, 0x7c00, v144 op_sel_hi:[0,1]
	v_pk_min_f16 v66, v23, v157
	v_pk_min_f16 v64, v24, v25
	v_pk_min_f16 v23, 0x7c00, v163 op_sel_hi:[0,1]
	v_pk_min_f16 v24, 0x7c00, v164 op_sel_hi:[0,1]
	v_pk_min_f16 v62, v22, v162
	v_pk_min_f16 v22, 0x7c00, v171 op_sel_hi:[0,1]
	v_pk_min_f16 v18, 0x7c00, v18 op_sel_hi:[0,1]
	;; [unrolled: 1-line block ×3, first 2 shown]
	v_pk_min_f16 v80, v46, v146
	v_pk_min_f16 v46, 0x7c00, v138 op_sel_hi:[0,1]
	v_pk_min_f16 v78, v43, v148
	v_pk_min_f16 v76, v44, v149
	;; [unrolled: 1-line block ×3, first 2 shown]
	v_pk_min_f16 v43, 0x7c00, v140 op_sel_hi:[0,1]
	v_pk_min_f16 v44, 0x7c00, v141 op_sel_hi:[0,1]
	;; [unrolled: 1-line block ×4, first 2 shown]
	v_pk_min_f16 v65, v41, v158
	v_pk_min_f16 v25, 0x7c00, v167 op_sel_hi:[0,1]
	v_pk_min_f16 v41, 0x7c00, v168 op_sel_hi:[0,1]
	v_pk_min_f16 v61, v23, v165
	v_pk_min_f16 v60, v24, v166
	v_pk_min_f16 v23, 0x7c00, v38 op_sel_hi:[0,1]
	v_pk_min_f16 v24, 0x7c00, v26 op_sel_hi:[0,1]
	v_pk_min_f16 v57, v22, v40
	v_pk_min_f16 v55, v18, v19
	;; [unrolled: 1-line block ×3, first 2 shown]
	v_pk_min_f16 v18, 0x7c00, v28 op_sel_hi:[0,1]
	v_pk_min_f16 v19, 0x7c00, v30 op_sel_hi:[0,1]
	;; [unrolled: 1-line block ×5, first 2 shown]
	v_pk_min_f16 v74, v46, v151
	v_pk_min_f16 v71, v43, v153
	;; [unrolled: 1-line block ×14, first 2 shown]
	ds_write_b16 v101, v11 offset:2048
	ds_write_b16 v101, v12 offset:2560
	;; [unrolled: 1-line block ×5, first 2 shown]
	s_waitcnt lgkmcnt(0)
	s_barrier
	buffer_gl0_inv
	s_cbranch_scc1 .LBB212_51
; %bb.29:
	v_mad_i64_i32 v[10:11], null, s27, v10, 0
	v_lshlrev_b64 v[37:38], 1, v[2:3]
	v_lshlrev_b64 v[39:40], 1, v[4:5]
	;; [unrolled: 1-line block ×4, first 2 shown]
	v_add_nc_u32_e32 v113, 0x1000, v17
	v_or_b32_e32 v114, 0x1000, v69
	v_lshlrev_b64 v[10:11], 1, v[10:11]
	v_or_b32_e32 v115, 0x800, v101
	v_add_nc_u32_e32 v116, 0x1200, v17
	v_lshl_or_b32 v117, v0, 3, 0x800
	v_lshl_add_u32 v118, v1, 3, 0x1200
	v_add_co_u32 v2, s6, v10, v15
	v_add_co_ci_u32_e64 v3, null, 0, v11, s6
	v_add_co_u32 v2, s6, s18, v2
	v_add_co_ci_u32_e64 v3, null, s19, v3, s6
	s_add_i32 s18, s14, -8
	v_add_co_u32 v45, s6, v2, 24
	v_add_co_ci_u32_e64 v46, null, 0, v3, s6
	s_mov_b32 s19, 0
	s_branch .LBB212_31
.LBB212_30:                             ;   in Loop: Header=BB212_31 Depth=1
	s_or_b32 exec_lo, exec_lo, s6
	v_pk_add_f16 v14, v6, v33
	v_pk_max_f16 v15, v121, v121
	v_pk_add_f16 v16, v8, v33
	v_pk_max_f16 v120, v120, v120
	;; [unrolled: 2-line block ×3, first 2 shown]
	v_pk_min_f16 v14, v15, v14
	v_pk_max_f16 v15, v119, v119
	v_pk_add_f16 v119, v4, v33
	v_pk_add_f16 v127, v21, v33
	v_pk_max_f16 v111, v111, v111
	v_pk_add_f16 v128, v23, v33
	v_pk_min_f16 v16, v120, v16
	v_pk_min_f16 v15, v15, v121
	;; [unrolled: 1-line block ×3, first 2 shown]
	v_pk_add_f16 v119, v17, v33
	v_pk_max_f16 v109, v109, v109
	v_pk_add_f16 v33, v19, v33
	v_pk_max_f16 v108, v108, v108
	;; [unrolled: 2-line block ×4, first 2 shown]
	v_pk_min_f16 v111, v111, v127
	v_pk_add_f16 v127, v2, v35
	v_pk_min_f16 v109, v109, v119
	v_pk_min_f16 v33, v108, v33
	;; [unrolled: 1-line block ×4, first 2 shown]
	v_pk_add_f16 v108, v4, v35
	v_pk_max_f16 v104, v104, v104
	v_pk_add_f16 v119, v21, v35
	v_pk_add_f16 v120, v23, v35
	;; [unrolled: 1-line block ×4, first 2 shown]
	v_pk_max_f16 v99, v99, v99
	v_pk_max_f16 v103, v103, v103
	;; [unrolled: 1-line block ×4, first 2 shown]
	v_pk_min_f16 v104, v104, v108
	v_pk_min_f16 v35, v99, v35
	v_pk_add_f16 v99, v6, v29
	v_pk_max_f16 v98, v98, v98
	v_pk_add_f16 v108, v8, v29
	v_pk_max_f16 v96, v96, v96
	v_pk_min_f16 v103, v103, v119
	v_pk_min_f16 v102, v102, v120
	;; [unrolled: 1-line block ×3, first 2 shown]
	v_pk_add_f16 v119, v2, v29
	v_pk_max_f16 v95, v95, v95
	v_pk_add_f16 v120, v4, v29
	v_pk_max_f16 v94, v94, v94
	v_pk_add_f16 v121, v21, v29
	v_pk_min_f16 v98, v98, v99
	v_pk_min_f16 v96, v96, v108
	v_pk_add_f16 v99, v23, v29
	v_pk_max_f16 v92, v92, v92
	v_pk_add_f16 v108, v17, v29
	v_pk_add_f16 v29, v19, v29
	v_pk_max_f16 v90, v90, v90
	v_pk_min_f16 v95, v95, v119
	v_pk_min_f16 v94, v94, v120
	v_pk_max_f16 v91, v91, v91
	v_pk_add_f16 v119, v6, v31
	v_pk_max_f16 v89, v89, v89
	v_pk_add_f16 v120, v8, v31
	v_pk_max_f16 v88, v88, v88
	v_pk_min_f16 v92, v92, v99
	v_pk_min_f16 v29, v90, v29
	v_pk_add_f16 v90, v2, v31
	v_pk_max_f16 v87, v87, v87
	v_pk_add_f16 v99, v4, v31
	v_pk_max_f16 v86, v86, v86
	v_pk_min_f16 v91, v91, v108
	v_pk_min_f16 v89, v89, v119
	;; [unrolled: 1-line block ×3, first 2 shown]
	v_pk_add_f16 v108, v21, v31
	v_pk_max_f16 v85, v85, v85
	v_pk_add_f16 v119, v23, v31
	v_pk_max_f16 v84, v84, v84
	v_pk_add_f16 v120, v17, v31
	v_pk_min_f16 v87, v87, v90
	v_pk_min_f16 v86, v86, v99
	v_pk_add_f16 v31, v19, v31
	v_pk_max_f16 v82, v82, v82
	v_pk_add_f16 v90, v6, v10
	v_pk_max_f16 v81, v81, v81
	;; [unrolled: 2-line block ×3, first 2 shown]
	v_pk_min_f16 v85, v85, v108
	v_pk_min_f16 v84, v84, v119
	v_pk_add_f16 v108, v2, v10
	v_pk_add_f16 v119, v4, v10
	v_pk_min_f16 v31, v82, v31
	v_pk_min_f16 v81, v81, v90
	;; [unrolled: 1-line block ×3, first 2 shown]
	v_pk_add_f16 v82, v21, v10
	v_pk_add_f16 v90, v23, v10
	;; [unrolled: 1-line block ×3, first 2 shown]
	v_pk_max_f16 v74, v74, v74
	v_pk_add_f16 v10, v19, v10
	v_pk_max_f16 v73, v73, v73
	v_pk_max_f16 v71, v71, v71
	;; [unrolled: 1-line block ×3, first 2 shown]
	v_pk_min_f16 v74, v74, v99
	v_pk_add_f16 v99, v21, v12
	v_pk_min_f16 v10, v73, v10
	v_pk_add_f16 v73, v8, v12
	v_pk_max_f16 v79, v79, v79
	v_pk_max_f16 v76, v76, v76
	;; [unrolled: 1-line block ×3, first 2 shown]
	v_pk_min_f16 v67, v67, v99
	v_pk_min_f16 v71, v71, v73
	v_pk_add_f16 v73, v17, v12
	v_pk_max_f16 v65, v65, v65
	v_pk_add_f16 v99, v2, v25
	v_pk_max_f16 v61, v61, v61
	v_pk_max_f16 v83, v83, v83
	v_pk_max_f16 v78, v78, v78
	v_pk_min_f16 v79, v79, v108
	v_pk_add_f16 v108, v6, v12
	v_pk_max_f16 v72, v72, v72
	v_pk_min_f16 v76, v76, v82
	v_pk_min_f16 v75, v75, v90
	v_pk_add_f16 v82, v2, v12
	v_pk_max_f16 v70, v70, v70
	v_pk_add_f16 v90, v4, v12
	v_pk_max_f16 v68, v68, v68
	v_pk_min_f16 v65, v65, v73
	v_pk_min_f16 v73, v61, v99
	v_pk_add_f16 v61, v4, v25
	v_pk_add_f16 v2, v2, v27
	v_pk_max_f16 v53, v53, v53
	v_pk_add_f16 v4, v4, v27
	v_pk_max_f16 v52, v52, v52
	v_pk_max_f16 v93, v93, v93
	v_pk_min_f16 v83, v83, v120
	v_pk_min_f16 v78, v78, v119
	;; [unrolled: 1-line block ×3, first 2 shown]
	v_pk_add_f16 v108, v23, v12
	v_pk_min_f16 v70, v70, v82
	v_pk_min_f16 v68, v68, v90
	v_pk_add_f16 v12, v19, v12
	v_pk_max_f16 v64, v64, v64
	v_pk_add_f16 v82, v6, v25
	v_pk_max_f16 v63, v63, v63
	;; [unrolled: 2-line block ×3, first 2 shown]
	v_pk_min_f16 v119, v53, v2
	v_pk_min_f16 v120, v52, v4
	v_pk_add_f16 v2, v23, v27
	v_pk_max_f16 v4, v50, v50
	v_pk_max_f16 v110, v110, v110
	v_pk_min_f16 v93, v93, v121
	v_pk_min_f16 v12, v64, v12
	;; [unrolled: 1-line block ×4, first 2 shown]
	v_pk_add_f16 v62, v21, v25
	v_pk_add_f16 v82, v23, v25
	;; [unrolled: 1-line block ×8, first 2 shown]
	v_pk_max_f16 v23, v49, v49
	v_pk_add_f16 v19, v19, v27
	v_pk_max_f16 v27, v48, v48
	v_pk_add_f16 v48, v7, v34
	v_pk_add_f16 v49, v9, v34
	v_pk_min_f16 v121, v4, v2
	v_pk_add_f16 v2, v3, v34
	v_pk_add_f16 v4, v5, v34
	v_pk_min_f16 v110, v110, v128
	v_pk_max_f16 v105, v105, v105
	v_pk_min_f16 v131, v14, v48
	v_pk_min_f16 v132, v16, v49
	v_pk_add_f16 v14, v22, v34
	v_pk_add_f16 v16, v24, v34
	v_pk_min_f16 v133, v15, v2
	v_pk_min_f16 v112, v112, v4
	v_pk_add_f16 v2, v20, v34
	v_pk_add_f16 v4, v7, v36
	v_pk_min_f16 v105, v105, v127
	v_pk_min_f16 v111, v111, v14
	v_pk_min_f16 v110, v110, v16
	v_pk_add_f16 v14, v9, v36
	v_pk_add_f16 v15, v3, v36
	v_pk_add_f16 v16, v5, v36
	v_pk_min_f16 v134, v33, v2
	v_pk_min_f16 v107, v107, v4
	v_pk_add_f16 v2, v22, v36
	v_pk_add_f16 v4, v24, v36
	v_pk_min_f16 v106, v106, v14
	v_pk_min_f16 v105, v105, v15
	v_pk_min_f16 v104, v104, v16
	v_pk_add_f16 v14, v18, v36
	;; [unrolled: 10-line block ×5, first 2 shown]
	v_pk_add_f16 v15, v18, v32
	v_pk_add_f16 v16, v20, v32
	v_pk_min_f16 v86, v86, v2
	v_pk_min_f16 v85, v85, v4
	v_pk_add_f16 v2, v7, v11
	v_pk_add_f16 v4, v9, v11
	v_pk_max_f16 v66, v66, v66
	v_pk_max_f16 v60, v60, v60
	;; [unrolled: 1-line block ×3, first 2 shown]
	v_pk_min_f16 v84, v84, v14
	v_pk_min_f16 v83, v83, v15
	v_pk_min_f16 v137, v31, v16
	v_pk_add_f16 v14, v3, v11
	v_pk_add_f16 v15, v5, v11
	;; [unrolled: 1-line block ×3, first 2 shown]
	v_pk_min_f16 v81, v81, v2
	v_pk_min_f16 v80, v80, v4
	v_pk_add_f16 v2, v24, v11
	v_pk_add_f16 v4, v18, v11
	;; [unrolled: 1-line block ×3, first 2 shown]
	v_pk_min_f16 v66, v66, v108
	v_pk_max_f16 v59, v59, v59
	v_pk_max_f16 v56, v56, v56
	v_pk_min_f16 v99, v60, v61
	v_pk_min_f16 v82, v58, v82
	v_pk_max_f16 v54, v54, v54
	v_pk_min_f16 v79, v79, v14
	v_pk_add_f16 v14, v7, v13
	v_pk_min_f16 v60, v74, v4
	v_pk_min_f16 v58, v10, v11
	v_pk_add_f16 v4, v5, v13
	v_pk_add_f16 v10, v22, v13
	;; [unrolled: 1-line block ×3, first 2 shown]
	v_pk_max_f16 v57, v57, v57
	v_pk_min_f16 v108, v59, v62
	v_pk_min_f16 v25, v56, v25
	v_pk_max_f16 v55, v55, v55
	v_pk_min_f16 v8, v54, v8
	v_pk_min_f16 v127, v23, v17
	v_pk_add_f16 v17, v18, v34
	v_pk_min_f16 v62, v78, v15
	v_pk_add_f16 v15, v9, v13
	v_pk_min_f16 v61, v75, v2
	v_pk_min_f16 v56, v72, v14
	v_pk_add_f16 v2, v3, v13
	v_pk_add_f16 v14, v18, v13
	v_pk_min_f16 v54, v68, v4
	v_pk_min_f16 v53, v67, v10
	;; [unrolled: 1-line block ×3, first 2 shown]
	v_pk_add_f16 v4, v7, v26
	v_pk_add_f16 v10, v9, v26
	;; [unrolled: 1-line block ×3, first 2 shown]
	v_pk_min_f16 v90, v57, v90
	v_pk_max_f16 v51, v51, v51
	v_pk_min_f16 v6, v55, v6
	v_pk_min_f16 v109, v109, v17
	v_pk_min_f16 v59, v76, v16
	v_pk_min_f16 v55, v71, v15
	v_pk_min_f16 v57, v70, v2
	v_pk_min_f16 v50, v65, v14
	v_pk_add_f16 v2, v20, v13
	v_pk_add_f16 v13, v5, v26
	v_pk_min_f16 v49, v63, v4
	v_pk_min_f16 v48, v64, v10
	;; [unrolled: 1-line block ×3, first 2 shown]
	v_pk_add_f16 v10, v18, v26
	v_pk_add_f16 v11, v20, v26
	ds_read2_b64 v[14:17], v77 offset1:32
	ds_read2_b64 v[63:66], v114 offset1:8
	v_pk_min_f16 v21, v51, v21
	v_pk_min_f16 v51, v12, v2
	;; [unrolled: 1-line block ×3, first 2 shown]
	v_pk_add_f16 v2, v22, v26
	v_pk_min_f16 v29, v90, v10
	v_pk_min_f16 v25, v25, v11
	ds_read2_b64 v[10:13], v77 offset0:64 offset1:96
	v_pk_add_f16 v7, v7, v28
	v_pk_min_f16 v33, v108, v2
	v_pk_add_f16 v2, v9, v28
	v_pk_min_f16 v19, v27, v19
	;; [unrolled: 2-line block ×4, first 2 shown]
	ds_read2_b64 v[6:9], v77 offset0:128 offset1:160
	v_pk_add_f16 v27, v5, v28
	v_pk_add_f16 v22, v22, v28
	;; [unrolled: 1-line block ×5, first 2 shown]
	s_waitcnt lgkmcnt(2)
	v_pk_add_f16 v28, v14, v63
	v_pk_max_f16 v108, v131, v131
	v_pk_min_f16 v31, v82, v4
	ds_read2_b64 v[2:5], v77 offset0:192 offset1:224
	v_pk_min_f16 v34, v119, v26
	s_waitcnt lgkmcnt(2)
	v_pk_add_f16 v68, v10, v63
	v_pk_min_f16 v28, v108, v28
	v_pk_max_f16 v108, v133, v133
	v_pk_min_f16 v26, v121, v24
	v_pk_add_f16 v67, v16, v63
	v_pk_add_f16 v119, v15, v64
	;; [unrolled: 1-line block ×3, first 2 shown]
	v_pk_max_f16 v121, v132, v132
	v_pk_min_f16 v68, v108, v68
	s_waitcnt lgkmcnt(1)
	v_pk_add_f16 v75, v6, v63
	v_pk_add_f16 v76, v8, v63
	;; [unrolled: 1-line block ×3, first 2 shown]
	v_pk_min_f16 v67, v121, v67
	v_pk_min_f16 v121, v28, v119
	;; [unrolled: 1-line block ×3, first 2 shown]
	v_pk_max_f16 v68, v111, v111
	v_pk_max_f16 v108, v110, v110
	v_pk_add_f16 v154, v9, v64
	s_waitcnt lgkmcnt(0)
	v_pk_add_f16 v78, v2, v63
	v_pk_add_f16 v74, v12, v63
	v_pk_min_f16 v68, v68, v75
	v_pk_min_f16 v76, v108, v76
	v_pk_add_f16 v63, v4, v63
	v_pk_add_f16 v82, v14, v65
	;; [unrolled: 1-line block ×3, first 2 shown]
	v_pk_min_f16 v111, v68, v153
	v_pk_max_f16 v68, v109, v109
	v_pk_min_f16 v110, v76, v154
	v_pk_max_f16 v76, v134, v134
	v_pk_add_f16 v156, v15, v66
	ds_read2_b64 v[70:73], v114 offset0:16 offset1:24
	v_pk_min_f16 v68, v68, v78
	v_pk_max_f16 v78, v107, v107
	v_pk_min_f16 v63, v76, v63
	v_pk_add_f16 v99, v10, v65
	v_pk_add_f16 v159, v13, v66
	;; [unrolled: 1-line block ×3, first 2 shown]
	v_pk_min_f16 v76, v78, v82
	v_pk_max_f16 v78, v104, v104
	v_pk_add_f16 v158, v11, v66
	v_pk_min_f16 v30, v120, v27
	v_pk_min_f16 v27, v21, v22
	;; [unrolled: 1-line block ×3, first 2 shown]
	v_pk_max_f16 v76, v105, v105
	v_pk_min_f16 v78, v78, v138
	v_pk_min_f16 v24, v127, v18
	;; [unrolled: 1-line block ×3, first 2 shown]
	ds_read2_b64 v[127:130], v114 offset0:32 offset1:40
	ds_read2_b64 v[18:21], v114 offset0:48 offset1:56
	v_pk_min_f16 v76, v76, v99
	v_pk_min_f16 v104, v78, v159
	v_pk_max_f16 v78, v102, v102
	v_pk_add_f16 v139, v6, v65
	v_pk_add_f16 v161, v9, v66
	v_pk_min_f16 v105, v76, v158
	v_pk_max_f16 v76, v103, v103
	v_pk_min_f16 v78, v78, v140
	v_pk_add_f16 v90, v16, v65
	v_pk_add_f16 v141, v2, v65
	;; [unrolled: 1-line block ×8, first 2 shown]
	v_pk_min_f16 v76, v76, v139
	v_pk_max_f16 v82, v100, v100
	v_pk_min_f16 v102, v78, v161
	v_pk_max_f16 v78, v135, v135
	s_waitcnt lgkmcnt(2)
	v_pk_add_f16 v143, v16, v70
	v_pk_add_f16 v144, v10, v70
	;; [unrolled: 1-line block ×5, first 2 shown]
	v_pk_min_f16 v120, v67, v120
	v_pk_max_f16 v67, v112, v112
	v_pk_min_f16 v108, v63, v64
	v_pk_max_f16 v63, v106, v106
	v_pk_min_f16 v103, v76, v160
	v_pk_min_f16 v76, v82, v141
	;; [unrolled: 1-line block ×3, first 2 shown]
	v_pk_max_f16 v78, v96, v96
	v_pk_max_f16 v82, v95, v95
	v_pk_add_f16 v142, v14, v70
	v_pk_add_f16 v145, v12, v70
	v_pk_min_f16 v67, v67, v74
	v_pk_min_f16 v63, v63, v90
	;; [unrolled: 1-line block ×3, first 2 shown]
	v_pk_max_f16 v76, v98, v98
	v_pk_min_f16 v78, v78, v143
	v_pk_min_f16 v82, v82, v144
	v_pk_add_f16 v95, v17, v71
	v_pk_min_f16 v99, v65, v66
	v_pk_add_f16 v65, v11, v71
	v_pk_max_f16 v66, v94, v94
	v_pk_add_f16 v146, v6, v70
	v_pk_add_f16 v147, v8, v70
	;; [unrolled: 1-line block ×12, first 2 shown]
	s_waitcnt lgkmcnt(1)
	v_pk_add_f16 v28, v14, v127
	v_pk_add_f16 v133, v16, v127
	;; [unrolled: 1-line block ×6, first 2 shown]
	v_pk_min_f16 v112, v67, v152
	v_pk_add_f16 v67, v2, v127
	v_pk_add_f16 v127, v4, v127
	;; [unrolled: 1-line block ×6, first 2 shown]
	v_pk_min_f16 v109, v68, v155
	v_pk_add_f16 v68, v6, v129
	v_pk_add_f16 v155, v8, v129
	;; [unrolled: 1-line block ×4, first 2 shown]
	s_waitcnt lgkmcnt(0)
	v_pk_add_f16 v156, v14, v18
	v_pk_add_f16 v167, v16, v18
	v_pk_min_f16 v106, v63, v157
	v_pk_add_f16 v63, v10, v18
	v_pk_add_f16 v138, v12, v18
	;; [unrolled: 1-line block ×11, first 2 shown]
	v_pk_min_f16 v76, v76, v142
	v_pk_add_f16 v8, v8, v20
	v_pk_add_f16 v90, v15, v71
	;; [unrolled: 1-line block ×3, first 2 shown]
	v_pk_min_f16 v96, v78, v95
	v_pk_add_f16 v4, v4, v20
	v_pk_min_f16 v95, v82, v65
	v_pk_add_f16 v20, v13, v71
	v_pk_max_f16 v65, v93, v93
	v_pk_min_f16 v66, v66, v145
	v_pk_min_f16 v98, v76, v90
	v_pk_max_f16 v76, v92, v92
	v_pk_add_f16 v78, v7, v71
	v_pk_min_f16 v65, v65, v146
	v_pk_min_f16 v94, v66, v20
	v_pk_max_f16 v20, v136, v136
	v_pk_max_f16 v82, v91, v91
	v_pk_add_f16 v90, v9, v71
	v_pk_min_f16 v76, v76, v147
	v_pk_min_f16 v93, v65, v78
	v_pk_add_f16 v65, v5, v71
	v_pk_max_f16 v66, v89, v89
	v_pk_min_f16 v20, v20, v70
	v_pk_add_f16 v91, v3, v71
	v_pk_min_f16 v82, v82, v148
	v_pk_min_f16 v92, v76, v90
	v_pk_add_f16 v71, v15, v73
	v_pk_max_f16 v76, v87, v87
	v_pk_min_f16 v66, v66, v149
	v_pk_min_f16 v90, v20, v65
	v_pk_max_f16 v20, v86, v86
	v_pk_min_f16 v91, v82, v91
	v_pk_add_f16 v82, v11, v73
	v_pk_min_f16 v76, v76, v151
	v_pk_min_f16 v89, v66, v71
	v_pk_add_f16 v65, v13, v73
	v_pk_max_f16 v66, v85, v85
	v_pk_min_f16 v20, v20, v163
	v_pk_max_f16 v70, v88, v88
	v_pk_min_f16 v87, v76, v82
	v_pk_add_f16 v71, v7, v73
	v_pk_max_f16 v76, v83, v83
	v_pk_min_f16 v66, v66, v164
	v_pk_min_f16 v86, v20, v65
	v_pk_max_f16 v20, v137, v137
	v_pk_add_f16 v78, v17, v73
	v_pk_min_f16 v70, v70, v150
	v_pk_add_f16 v82, v3, v73
	v_pk_min_f16 v76, v76, v165
	v_pk_min_f16 v85, v66, v71
	v_pk_add_f16 v65, v5, v73
	v_pk_max_f16 v66, v81, v81
	v_pk_min_f16 v20, v20, v72
	v_pk_min_f16 v88, v70, v78
	v_pk_max_f16 v70, v84, v84
	v_pk_min_f16 v83, v76, v82
	v_pk_add_f16 v71, v15, v128
	v_pk_min_f16 v28, v66, v28
	v_pk_min_f16 v82, v20, v65
	v_pk_max_f16 v20, v62, v62
	v_pk_add_f16 v78, v9, v73
	v_pk_min_f16 v70, v70, v132
	v_pk_min_f16 v81, v28, v71
	v_pk_add_f16 v28, v13, v128
	v_pk_min_f16 v20, v20, v131
	v_pk_max_f16 v72, v79, v79
	v_pk_min_f16 v84, v70, v78
	v_pk_add_f16 v73, v11, v128
	v_pk_max_f16 v53, v53, v53
	v_pk_min_f16 v78, v20, v28
	v_pk_max_f16 v20, v58, v58
	v_pk_min_f16 v72, v72, v166
	v_pk_add_f16 v28, v5, v128
	v_pk_max_f16 v70, v80, v80
	v_pk_min_f16 v53, v53, v68
	v_pk_min_f16 v20, v20, v127
	;; [unrolled: 1-line block ×3, first 2 shown]
	v_pk_add_f16 v66, v17, v128
	v_pk_min_f16 v70, v70, v133
	v_pk_max_f16 v59, v59, v59
	v_pk_min_f16 v73, v20, v28
	v_pk_max_f16 v20, v54, v54
	v_pk_add_f16 v28, v13, v130
	v_pk_max_f16 v60, v60, v60
	v_pk_max_f16 v50, v50, v50
	v_pk_min_f16 v80, v70, v66
	v_pk_min_f16 v20, v20, v154
	v_pk_add_f16 v62, v7, v128
	v_pk_min_f16 v59, v59, v74
	v_pk_add_f16 v66, v3, v128
	v_pk_min_f16 v60, v60, v67
	v_pk_min_f16 v68, v20, v28
	v_pk_max_f16 v20, v51, v51
	v_pk_add_f16 v28, v5, v130
	v_pk_max_f16 v56, v56, v56
	v_pk_max_f16 v55, v55, v55
	;; [unrolled: 1-line block ×3, first 2 shown]
	v_pk_min_f16 v20, v20, v129
	v_pk_min_f16 v50, v50, v64
	v_pk_max_f16 v61, v61, v61
	v_pk_min_f16 v76, v59, v62
	v_pk_min_f16 v74, v60, v66
	;; [unrolled: 1-line block ×3, first 2 shown]
	v_pk_max_f16 v20, v32, v32
	v_pk_add_f16 v58, v15, v130
	v_pk_min_f16 v56, v56, v152
	v_pk_add_f16 v59, v17, v130
	v_pk_min_f16 v55, v55, v134
	;; [unrolled: 2-line block ×3, first 2 shown]
	v_pk_max_f16 v52, v52, v52
	v_pk_add_f16 v28, v13, v19
	v_pk_min_f16 v20, v20, v138
	v_pk_add_f16 v65, v9, v128
	v_pk_min_f16 v61, v61, v75
	v_pk_min_f16 v72, v56, v58
	;; [unrolled: 1-line block ×4, first 2 shown]
	v_pk_add_f16 v55, v9, v130
	v_pk_min_f16 v52, v52, v155
	v_pk_add_f16 v56, v3, v130
	v_pk_min_f16 v60, v20, v28
	v_pk_max_f16 v20, v25, v25
	v_pk_max_f16 v23, v23, v23
	;; [unrolled: 1-line block ×3, first 2 shown]
	v_pk_min_f16 v75, v61, v65
	v_pk_add_f16 v54, v7, v130
	v_pk_min_f16 v66, v52, v55
	v_pk_min_f16 v65, v50, v56
	v_pk_add_f16 v50, v15, v19
	v_pk_add_f16 v52, v11, v19
	;; [unrolled: 1-line block ×3, first 2 shown]
	v_pk_min_f16 v14, v23, v14
	v_pk_add_f16 v11, v11, v21
	v_pk_min_f16 v10, v25, v10
	v_pk_min_f16 v67, v53, v54
	v_pk_max_f16 v48, v48, v48
	v_pk_max_f16 v36, v36, v36
	v_pk_min_f16 v55, v14, v15
	v_pk_max_f16 v14, v30, v30
	v_pk_min_f16 v53, v10, v11
	v_pk_max_f16 v10, v27, v27
	v_pk_max_f16 v49, v49, v49
	v_pk_add_f16 v51, v17, v19
	v_pk_min_f16 v48, v48, v167
	v_pk_min_f16 v36, v36, v63
	v_pk_max_f16 v32, v33, v33
	v_pk_max_f16 v31, v31, v31
	;; [unrolled: 1-line block ×3, first 2 shown]
	v_pk_min_f16 v18, v20, v18
	v_pk_max_f16 v20, v35, v35
	v_pk_add_f16 v11, v13, v21
	v_pk_min_f16 v12, v14, v12
	v_pk_max_f16 v13, v26, v26
	v_pk_min_f16 v6, v10, v6
	v_pk_max_f16 v10, v24, v24
	v_pk_max_f16 v14, v22, v22
	v_pk_min_f16 v49, v49, v156
	v_pk_min_f16 v62, v48, v51
	;; [unrolled: 1-line block ×3, first 2 shown]
	v_pk_add_f16 v33, v7, v19
	v_pk_min_f16 v32, v32, v157
	v_pk_add_f16 v36, v9, v19
	v_pk_min_f16 v31, v31, v158
	;; [unrolled: 2-line block ×3, first 2 shown]
	v_pk_add_f16 v19, v5, v19
	v_pk_add_f16 v17, v17, v21
	v_pk_min_f16 v16, v20, v16
	v_pk_add_f16 v7, v7, v21
	v_pk_add_f16 v9, v9, v21
	v_pk_min_f16 v8, v13, v8
	v_pk_add_f16 v3, v3, v21
	v_pk_min_f16 v2, v10, v2
	;; [unrolled: 2-line block ×3, first 2 shown]
	v_add_co_u32 v45, s6, v45, 16
	v_pk_min_f16 v63, v49, v50
	v_pk_min_f16 v59, v32, v33
	;; [unrolled: 1-line block ×11, first 2 shown]
	v_add_co_ci_u32_e64 v46, null, 0, v46, s6
	s_add_i32 s19, s19, 8
	ds_write_b16 v115, v122
	ds_write_b16 v115, v123 offset:512
	ds_write_b16 v115, v124 offset:1024
	;; [unrolled: 1-line block ×3, first 2 shown]
	ds_write_b16 v116, v126
	s_cmp_ge_i32 s19, s18
	s_waitcnt lgkmcnt(0)
	s_barrier
	buffer_gl0_inv
	s_cbranch_scc1 .LBB212_51
.LBB212_31:                             ; =>This Inner Loop Header: Depth=1
	v_add_nc_u32_e32 v2, s19, v47
	v_add_nc_u32_e32 v5, 8, v2
	v_min_i32_e32 v3, s25, v5
	v_cmp_le_i32_e64 s6, s14, v5
	v_mad_i64_i32 v[3:4], null, v3, s24, 0
	v_lshlrev_b64 v[3:4], 1, v[3:4]
	v_add_co_u32 v3, s7, s8, v3
	v_add_co_ci_u32_e64 v4, null, s9, v4, s7
	s_or_b32 s7, vcc_lo, s6
	v_cndmask_b32_e64 v15, 0, 0x7c00, s7
	s_nor_b32 s7, s26, s7
	s_and_saveexec_b32 s27, s7
	s_cbranch_execz .LBB212_33
; %bb.32:                               ;   in Loop: Header=BB212_31 Depth=1
	v_add_co_u32 v5, s7, v3, v37
	v_add_co_ci_u32_e64 v6, null, v4, v38, s7
	flat_load_ushort v5, v[5:6]
	s_waitcnt vmcnt(0) lgkmcnt(0)
	v_mul_f16_e32 v15, s15, v5
.LBB212_33:                             ;   in Loop: Header=BB212_31 Depth=1
	s_or_b32 exec_lo, exec_lo, s27
	s_or_b32 s7, s0, s6
	v_cndmask_b32_e64 v16, 0, 0x7c00, s7
	s_nor_b32 s7, s7, s26
	s_and_saveexec_b32 s27, s7
	s_cbranch_execz .LBB212_35
; %bb.34:                               ;   in Loop: Header=BB212_31 Depth=1
	v_add_co_u32 v5, s7, v3, v39
	v_add_co_ci_u32_e64 v6, null, v4, v40, s7
	flat_load_ushort v5, v[5:6]
	s_waitcnt vmcnt(0) lgkmcnt(0)
	v_mul_f16_e32 v16, s15, v5
.LBB212_35:                             ;   in Loop: Header=BB212_31 Depth=1
	s_or_b32 exec_lo, exec_lo, s27
	s_or_b32 s7, s1, s6
	;; [unrolled: 13-line block ×3, first 2 shown]
	v_cndmask_b32_e64 v123, 0, 0x7c00, s6
	s_nor_b32 s6, s6, s26
	s_and_saveexec_b32 s7, s6
	s_cbranch_execz .LBB212_39
; %bb.38:                               ;   in Loop: Header=BB212_31 Depth=1
	v_add_co_u32 v3, s6, v3, v43
	v_add_co_ci_u32_e64 v4, null, v4, v44, s6
	flat_load_ushort v3, v[3:4]
	s_waitcnt vmcnt(0) lgkmcnt(0)
	v_mul_f16_e32 v123, s15, v3
.LBB212_39:                             ;   in Loop: Header=BB212_31 Depth=1
	s_or_b32 exec_lo, exec_lo, s7
	v_add_nc_u32_e32 v14, s19, v97
	v_add_nc_u32_e32 v3, 8, v14
	v_cmp_le_i32_e64 s6, s14, v3
	s_or_b32 s6, s6, s3
	v_cndmask_b32_e64 v124, 0, 0x7c00, s6
	s_nor_b32 s6, s26, s6
	s_and_saveexec_b32 s7, s6
	s_cbranch_execz .LBB212_41
; %bb.40:                               ;   in Loop: Header=BB212_31 Depth=1
	v_add_co_u32 v3, s6, -8, v45
	v_add_co_ci_u32_e64 v4, null, -1, v46, s6
	flat_load_ushort v3, v[3:4]
	s_waitcnt vmcnt(0) lgkmcnt(0)
	v_mul_f16_e32 v124, s15, v3
.LBB212_41:                             ;   in Loop: Header=BB212_31 Depth=1
	s_or_b32 exec_lo, exec_lo, s7
	v_add_nc_u32_e32 v127, 12, v2
	ds_read2_b64 v[6:9], v117 offset1:32
	ds_read2_b64 v[2:5], v117 offset0:64 offset1:96
	ds_read2_b64 v[21:24], v117 offset0:128 offset1:160
	;; [unrolled: 1-line block ×3, first 2 shown]
	ds_read2_b64 v[33:36], v118 offset1:8
	v_min_i32_e32 v10, s25, v127
	v_cmp_le_i32_e64 s6, s14, v127
	v_mad_i64_i32 v[125:126], null, v10, s24, 0
	ds_read2_b64 v[29:32], v118 offset0:16 offset1:24
	ds_read2_b64 v[10:13], v118 offset0:32 offset1:40
	;; [unrolled: 1-line block ×3, first 2 shown]
	ds_write_b16 v101, v15
	ds_write_b16 v101, v16 offset:512
	ds_write_b16 v101, v122 offset:1024
	;; [unrolled: 1-line block ×3, first 2 shown]
	ds_write_b16 v113, v124
	s_waitcnt lgkmcnt(0)
	s_barrier
	buffer_gl0_inv
	v_lshlrev_b64 v[15:16], 1, v[125:126]
	v_add_co_u32 v15, s7, s8, v15
	v_add_co_ci_u32_e64 v16, null, s9, v16, s7
	s_or_b32 s7, vcc_lo, s6
	v_cndmask_b32_e64 v122, 0, 0x7c00, s7
	s_nor_b32 s7, s26, s7
	s_and_saveexec_b32 s27, s7
	s_cbranch_execz .LBB212_43
; %bb.42:                               ;   in Loop: Header=BB212_31 Depth=1
	v_add_co_u32 v122, s7, v15, v37
	v_add_co_ci_u32_e64 v123, null, v16, v38, s7
	flat_load_ushort v122, v[122:123]
	s_waitcnt vmcnt(0) lgkmcnt(0)
	v_mul_f16_e32 v122, s15, v122
.LBB212_43:                             ;   in Loop: Header=BB212_31 Depth=1
	s_or_b32 exec_lo, exec_lo, s27
	s_or_b32 s7, s0, s6
	v_cndmask_b32_e64 v123, 0, 0x7c00, s7
	s_nor_b32 s7, s7, s26
	s_and_saveexec_b32 s27, s7
	s_cbranch_execz .LBB212_45
; %bb.44:                               ;   in Loop: Header=BB212_31 Depth=1
	v_add_co_u32 v123, s7, v15, v39
	v_add_co_ci_u32_e64 v124, null, v16, v40, s7
	flat_load_ushort v123, v[123:124]
	s_waitcnt vmcnt(0) lgkmcnt(0)
	v_mul_f16_e32 v123, s15, v123
.LBB212_45:                             ;   in Loop: Header=BB212_31 Depth=1
	s_or_b32 exec_lo, exec_lo, s27
	s_or_b32 s7, s1, s6
	;; [unrolled: 13-line block ×3, first 2 shown]
	v_cndmask_b32_e64 v125, 0, 0x7c00, s6
	s_nor_b32 s6, s6, s26
	s_and_saveexec_b32 s7, s6
	s_cbranch_execz .LBB212_49
; %bb.48:                               ;   in Loop: Header=BB212_31 Depth=1
	v_add_co_u32 v15, s6, v15, v43
	v_add_co_ci_u32_e64 v16, null, v16, v44, s6
	flat_load_ushort v15, v[15:16]
	s_waitcnt vmcnt(0) lgkmcnt(0)
	v_mul_f16_e32 v125, s15, v15
.LBB212_49:                             ;   in Loop: Header=BB212_31 Depth=1
	s_or_b32 exec_lo, exec_lo, s7
	v_add_nc_u32_e32 v14, 12, v14
	v_cmp_le_i32_e64 s6, s14, v14
	s_or_b32 s6, s6, s3
	v_cndmask_b32_e64 v126, 0, 0x7c00, s6
	s_nor_b32 s7, s26, s6
	s_and_saveexec_b32 s6, s7
	s_cbranch_execz .LBB212_30
; %bb.50:                               ;   in Loop: Header=BB212_31 Depth=1
	flat_load_ushort v14, v[45:46]
	s_waitcnt vmcnt(0) lgkmcnt(0)
	v_mul_f16_e32 v126, s15, v14
	s_branch .LBB212_30
.LBB212_51:
	s_clause 0x2
	s_load_dword s14, s[4:5], 0x50
	s_load_dword s9, s[4:5], 0x68
	s_load_dwordx2 s[2:3], s[4:5], 0x70
	v_add_nc_u32_e32 v2, 0x800, v77
	v_add_nc_u32_e32 v77, s21, v1
	;; [unrolled: 1-line block ×4, first 2 shown]
	ds_read2_b64 v[16:19], v2 offset1:32
	ds_read2_b64 v[12:15], v2 offset0:64 offset1:96
	ds_read2_b64 v[8:11], v2 offset0:128 offset1:160
	;; [unrolled: 1-line block ×7, first 2 shown]
	v_cmp_gt_i32_e64 s0, s12, v32
	v_cmp_gt_i32_e64 s8, s13, v77
	v_ashrrev_i32_e32 v33, 31, v32
	v_cndmask_b32_e64 v69, 0, 1, s23
	s_waitcnt lgkmcnt(0)
	v_mad_i64_i32 v[34:35], null, v77, s14, 0
	v_mad_i64_i32 v[36:37], null, v77, s9, 0
	s_lshl_b64 s[2:3], s[2:3], 1
	s_add_u32 s15, s16, s2
	s_addc_u32 s16, s17, s3
	v_lshlrev_b64 v[34:35], 1, v[34:35]
	s_and_b32 s2, s0, s8
	v_lshlrev_b64 v[36:37], 1, v[36:37]
	v_add_co_u32 v113, vcc_lo, s10, v34
	v_add_co_ci_u32_e64 v114, null, s11, v35, vcc_lo
	v_add_co_u32 v97, vcc_lo, s15, v36
	v_add_co_ci_u32_e64 v101, null, s16, v37, vcc_lo
	s_and_saveexec_b32 s1, s2
	s_cbranch_execz .LBB212_56
; %bb.52:
	s_andn2_b32 vcc_lo, exec_lo, s23
	s_cbranch_vccnz .LBB212_54
; %bb.53:
	v_lshlrev_b64 v[34:35], 1, v[32:33]
	v_add_co_u32 v34, vcc_lo, v113, v34
	v_add_co_ci_u32_e64 v35, null, v114, v35, vcc_lo
	flat_load_ushort v34, v[34:35]
	s_waitcnt vmcnt(0) lgkmcnt(0)
	v_mul_f16_e32 v34, s22, v34
	v_cvt_f32_f16_e32 v34, v34
	s_branch .LBB212_55
.LBB212_54:
	v_mov_b32_e32 v34, 0
.LBB212_55:
	v_pk_add_f16 v35, v16, v28
	v_pk_add_f16 v36, v17, v29
	v_max_f16_e32 v37, v121, v121
	v_lshrrev_b32_e32 v38, 16, v121
	v_max_f32_e32 v34, v34, v34
	v_lshrrev_b32_e32 v39, 16, v35
	v_lshrrev_b32_e32 v40, 16, v36
	v_min_f16_e32 v35, v37, v35
	v_min3_f16 v37, v38, v39, v40
	v_min3_f16 v35, v35, v36, v37
	v_cvt_f32_f16_e32 v35, v35
	v_min_f32_e32 v36, v34, v35
	v_lshlrev_b64 v[34:35], 1, v[32:33]
	v_cvt_f16_f32_e32 v36, v36
	v_add_co_u32 v34, vcc_lo, v97, v34
	v_add_co_ci_u32_e64 v35, null, v101, v35, vcc_lo
	flat_store_short v[34:35], v36
.LBB212_56:
	s_or_b32 exec_lo, exec_lo, s1
	v_add_nc_u32_e32 v34, 32, v32
	v_cmp_gt_i32_e64 s1, s12, v34
	v_ashrrev_i32_e32 v35, 31, v34
	s_and_b32 s3, s1, s8
	s_and_saveexec_b32 s2, s3
	s_cbranch_execz .LBB212_61
; %bb.57:
	v_cmp_ne_u32_e32 vcc_lo, 1, v69
	s_cbranch_vccnz .LBB212_59
; %bb.58:
	v_lshlrev_b64 v[36:37], 1, v[34:35]
	v_add_co_u32 v36, vcc_lo, v113, v36
	v_add_co_ci_u32_e64 v37, null, v114, v37, vcc_lo
	flat_load_ushort v36, v[36:37]
	s_waitcnt vmcnt(0) lgkmcnt(0)
	v_mul_f16_e32 v36, s22, v36
	v_cvt_f32_f16_e32 v36, v36
	s_branch .LBB212_60
.LBB212_59:
	v_mov_b32_e32 v36, 0
.LBB212_60:
	v_pk_add_f16 v37, v18, v28
	v_pk_add_f16 v38, v19, v29
	v_max_f16_e32 v39, v120, v120
	v_lshrrev_b32_e32 v40, 16, v120
	v_max_f32_e32 v36, v36, v36
	v_lshrrev_b32_e32 v41, 16, v37
	v_lshrrev_b32_e32 v42, 16, v38
	v_min_f16_e32 v37, v39, v37
	v_min3_f16 v39, v40, v41, v42
	v_min3_f16 v37, v37, v38, v39
	v_cvt_f32_f16_e32 v37, v37
	v_min_f32_e32 v38, v36, v37
	v_lshlrev_b64 v[36:37], 1, v[34:35]
	v_cvt_f16_f32_e32 v38, v38
	v_add_co_u32 v36, vcc_lo, v97, v36
	v_add_co_ci_u32_e64 v37, null, v101, v37, vcc_lo
	flat_store_short v[36:37], v38
.LBB212_61:
	s_or_b32 exec_lo, exec_lo, s2
	v_add_nc_u32_e32 v36, 64, v32
	v_cmp_gt_i32_e64 s2, s12, v36
	v_ashrrev_i32_e32 v37, 31, v36
	s_and_b32 s4, s2, s8
	s_and_saveexec_b32 s3, s4
	s_cbranch_execz .LBB212_66
; %bb.62:
	v_cmp_ne_u32_e32 vcc_lo, 1, v69
	s_cbranch_vccnz .LBB212_64
; %bb.63:
	v_lshlrev_b64 v[38:39], 1, v[36:37]
	v_add_co_u32 v38, vcc_lo, v113, v38
	v_add_co_ci_u32_e64 v39, null, v114, v39, vcc_lo
	flat_load_ushort v38, v[38:39]
	s_waitcnt vmcnt(0) lgkmcnt(0)
	v_mul_f16_e32 v38, s22, v38
	v_cvt_f32_f16_e32 v38, v38
	s_branch .LBB212_65
.LBB212_64:
	v_mov_b32_e32 v38, 0
.LBB212_65:
	v_pk_add_f16 v39, v12, v28
	v_pk_add_f16 v40, v13, v29
	v_max_f16_e32 v41, v119, v119
	v_lshrrev_b32_e32 v42, 16, v119
	v_max_f32_e32 v38, v38, v38
	v_lshrrev_b32_e32 v43, 16, v39
	v_lshrrev_b32_e32 v44, 16, v40
	v_min_f16_e32 v39, v41, v39
	v_min3_f16 v41, v42, v43, v44
	v_min3_f16 v39, v39, v40, v41
	v_cvt_f32_f16_e32 v39, v39
	v_min_f32_e32 v40, v38, v39
	v_lshlrev_b64 v[38:39], 1, v[36:37]
	v_cvt_f16_f32_e32 v40, v40
	v_add_co_u32 v38, vcc_lo, v97, v38
	v_add_co_ci_u32_e64 v39, null, v101, v39, vcc_lo
	flat_store_short v[38:39], v40
.LBB212_66:
	;; [unrolled: 40-line block ×6, first 2 shown]
	s_or_b32 exec_lo, exec_lo, s7
	v_add_nc_u32_e32 v46, 0xe0, v32
	v_cmp_gt_i32_e64 s7, s12, v46
	v_ashrrev_i32_e32 v47, 31, v46
	s_and_b32 s12, s7, s8
	s_and_saveexec_b32 s8, s12
	s_cbranch_execz .LBB212_91
; %bb.87:
	v_cmp_ne_u32_e32 vcc_lo, 1, v69
	s_cbranch_vccnz .LBB212_89
; %bb.88:
	v_lshlrev_b64 v[109:110], 1, v[46:47]
	v_add_co_u32 v109, vcc_lo, v113, v109
	v_add_co_ci_u32_e64 v110, null, v114, v110, vcc_lo
	flat_load_ushort v109, v[109:110]
	s_waitcnt vmcnt(0) lgkmcnt(0)
	v_mul_f16_e32 v109, s22, v109
	v_cvt_f32_f16_e32 v109, v109
	s_branch .LBB212_90
.LBB212_89:
	v_mov_b32_e32 v109, 0
.LBB212_90:
	v_pk_add_f16 v28, v2, v28
	v_pk_add_f16 v29, v3, v29
	v_max_f16_e32 v110, v108, v108
	v_lshrrev_b32_e32 v108, 16, v108
	v_lshrrev_b32_e32 v111, 16, v28
	;; [unrolled: 1-line block ×3, first 2 shown]
	v_min_f16_e32 v28, v110, v28
	v_min3_f16 v108, v108, v111, v112
	v_min3_f16 v28, v28, v29, v108
	v_max_f32_e32 v29, v109, v109
	v_cvt_f32_f16_e32 v28, v28
	v_min_f32_e32 v108, v29, v28
	v_lshlrev_b64 v[28:29], 1, v[46:47]
	v_cvt_f16_f32_e32 v108, v108
	v_add_co_u32 v28, vcc_lo, v97, v28
	v_add_co_ci_u32_e64 v29, null, v101, v29, vcc_lo
	flat_store_short v[28:29], v108
.LBB212_91:
	s_or_b32 exec_lo, exec_lo, s8
	v_add_nc_u32_e32 v97, 8, v77
	v_mad_i64_i32 v[28:29], null, v97, s14, 0
	v_mad_i64_i32 v[108:109], null, v97, s9, 0
	v_cmp_gt_i32_e64 s8, s13, v97
	v_lshlrev_b64 v[28:29], 1, v[28:29]
	s_and_b32 s17, s0, s8
	v_lshlrev_b64 v[108:109], 1, v[108:109]
	v_add_co_u32 v97, vcc_lo, s10, v28
	v_add_co_ci_u32_e64 v101, null, s11, v29, vcc_lo
	v_add_co_u32 v28, vcc_lo, s15, v108
	v_add_co_ci_u32_e64 v29, null, s16, v109, vcc_lo
	s_and_saveexec_b32 s12, s17
	s_cbranch_execnz .LBB212_99
; %bb.92:
	s_or_b32 exec_lo, exec_lo, s12
	s_and_b32 s17, s1, s8
	s_and_saveexec_b32 s12, s17
	s_cbranch_execnz .LBB212_103
.LBB212_93:
	s_or_b32 exec_lo, exec_lo, s12
	s_and_b32 s17, s2, s8
	s_and_saveexec_b32 s12, s17
	s_cbranch_execnz .LBB212_107
.LBB212_94:
	s_or_b32 exec_lo, exec_lo, s12
	s_and_b32 s17, s3, s8
	s_and_saveexec_b32 s12, s17
	s_cbranch_execnz .LBB212_111
.LBB212_95:
	s_or_b32 exec_lo, exec_lo, s12
	s_and_b32 s17, s4, s8
	s_and_saveexec_b32 s12, s17
	s_cbranch_execnz .LBB212_115
.LBB212_96:
	s_or_b32 exec_lo, exec_lo, s12
	s_and_b32 s17, s5, s8
	s_and_saveexec_b32 s12, s17
	s_cbranch_execnz .LBB212_119
.LBB212_97:
	s_or_b32 exec_lo, exec_lo, s12
	s_and_b32 s17, s6, s8
	s_and_saveexec_b32 s12, s17
	s_cbranch_execnz .LBB212_123
.LBB212_98:
	s_or_b32 exec_lo, exec_lo, s12
	s_and_b32 s12, s7, s8
	s_and_saveexec_b32 s8, s12
	s_cbranch_execnz .LBB212_127
	s_branch .LBB212_131
.LBB212_99:
	v_cmp_ne_u32_e32 vcc_lo, 1, v69
	s_cbranch_vccnz .LBB212_101
; %bb.100:
	v_lshlrev_b64 v[108:109], 1, v[32:33]
	v_add_co_u32 v108, vcc_lo, v97, v108
	v_add_co_ci_u32_e64 v109, null, v101, v109, vcc_lo
	flat_load_ushort v108, v[108:109]
	s_waitcnt vmcnt(0) lgkmcnt(0)
	v_mul_f16_e32 v108, s22, v108
	v_cvt_f32_f16_e32 v108, v108
	s_branch .LBB212_102
.LBB212_101:
	v_mov_b32_e32 v108, 0
.LBB212_102:
	v_pk_add_f16 v109, v16, v30
	v_pk_add_f16 v110, v17, v31
	v_max_f16_e32 v111, v107, v107
	v_lshrrev_b32_e32 v107, 16, v107
	v_max_f32_e32 v108, v108, v108
	v_lshrrev_b32_e32 v112, 16, v109
	v_lshrrev_b32_e32 v113, 16, v110
	v_min_f16_e32 v109, v111, v109
	v_min3_f16 v107, v107, v112, v113
	v_min3_f16 v107, v109, v110, v107
	v_cvt_f32_f16_e32 v107, v107
	v_min_f32_e32 v109, v108, v107
	v_lshlrev_b64 v[107:108], 1, v[32:33]
	v_cvt_f16_f32_e32 v109, v109
	v_add_co_u32 v107, vcc_lo, v28, v107
	v_add_co_ci_u32_e64 v108, null, v29, v108, vcc_lo
	flat_store_short v[107:108], v109
	s_or_b32 exec_lo, exec_lo, s12
	s_and_b32 s17, s1, s8
	s_and_saveexec_b32 s12, s17
	s_cbranch_execz .LBB212_93
.LBB212_103:
	v_cmp_ne_u32_e32 vcc_lo, 1, v69
	s_cbranch_vccnz .LBB212_105
; %bb.104:
	v_lshlrev_b64 v[107:108], 1, v[34:35]
	v_add_co_u32 v107, vcc_lo, v97, v107
	v_add_co_ci_u32_e64 v108, null, v101, v108, vcc_lo
	flat_load_ushort v107, v[107:108]
	s_waitcnt vmcnt(0) lgkmcnt(0)
	v_mul_f16_e32 v107, s22, v107
	v_cvt_f32_f16_e32 v107, v107
	s_branch .LBB212_106
.LBB212_105:
	v_mov_b32_e32 v107, 0
.LBB212_106:
	v_pk_add_f16 v108, v18, v30
	v_pk_add_f16 v109, v19, v31
	v_max_f16_e32 v110, v106, v106
	v_lshrrev_b32_e32 v106, 16, v106
	v_max_f32_e32 v107, v107, v107
	v_lshrrev_b32_e32 v111, 16, v108
	v_lshrrev_b32_e32 v112, 16, v109
	v_min_f16_e32 v108, v110, v108
	v_min3_f16 v106, v106, v111, v112
	v_min3_f16 v106, v108, v109, v106
	v_cvt_f32_f16_e32 v106, v106
	v_min_f32_e32 v108, v107, v106
	v_lshlrev_b64 v[106:107], 1, v[34:35]
	v_cvt_f16_f32_e32 v108, v108
	v_add_co_u32 v106, vcc_lo, v28, v106
	v_add_co_ci_u32_e64 v107, null, v29, v107, vcc_lo
	flat_store_short v[106:107], v108
	s_or_b32 exec_lo, exec_lo, s12
	s_and_b32 s17, s2, s8
	s_and_saveexec_b32 s12, s17
	s_cbranch_execz .LBB212_94
.LBB212_107:
	v_cmp_ne_u32_e32 vcc_lo, 1, v69
	s_cbranch_vccnz .LBB212_109
; %bb.108:
	v_lshlrev_b64 v[106:107], 1, v[36:37]
	v_add_co_u32 v106, vcc_lo, v97, v106
	v_add_co_ci_u32_e64 v107, null, v101, v107, vcc_lo
	flat_load_ushort v106, v[106:107]
	s_waitcnt vmcnt(0) lgkmcnt(0)
	v_mul_f16_e32 v106, s22, v106
	v_cvt_f32_f16_e32 v106, v106
	s_branch .LBB212_110
.LBB212_109:
	v_mov_b32_e32 v106, 0
.LBB212_110:
	v_pk_add_f16 v107, v12, v30
	v_pk_add_f16 v108, v13, v31
	v_max_f16_e32 v109, v105, v105
	v_lshrrev_b32_e32 v105, 16, v105
	v_max_f32_e32 v106, v106, v106
	v_lshrrev_b32_e32 v110, 16, v107
	v_lshrrev_b32_e32 v111, 16, v108
	v_min_f16_e32 v107, v109, v107
	v_min3_f16 v105, v105, v110, v111
	v_min3_f16 v105, v107, v108, v105
	v_cvt_f32_f16_e32 v105, v105
	v_min_f32_e32 v107, v106, v105
	v_lshlrev_b64 v[105:106], 1, v[36:37]
	v_cvt_f16_f32_e32 v107, v107
	v_add_co_u32 v105, vcc_lo, v28, v105
	v_add_co_ci_u32_e64 v106, null, v29, v106, vcc_lo
	flat_store_short v[105:106], v107
	s_or_b32 exec_lo, exec_lo, s12
	s_and_b32 s17, s3, s8
	s_and_saveexec_b32 s12, s17
	s_cbranch_execz .LBB212_95
.LBB212_111:
	v_cmp_ne_u32_e32 vcc_lo, 1, v69
	s_cbranch_vccnz .LBB212_113
; %bb.112:
	v_lshlrev_b64 v[105:106], 1, v[38:39]
	v_add_co_u32 v105, vcc_lo, v97, v105
	v_add_co_ci_u32_e64 v106, null, v101, v106, vcc_lo
	flat_load_ushort v105, v[105:106]
	s_waitcnt vmcnt(0) lgkmcnt(0)
	v_mul_f16_e32 v105, s22, v105
	v_cvt_f32_f16_e32 v105, v105
	s_branch .LBB212_114
.LBB212_113:
	v_mov_b32_e32 v105, 0
.LBB212_114:
	v_pk_add_f16 v106, v14, v30
	v_pk_add_f16 v107, v15, v31
	v_max_f16_e32 v108, v104, v104
	v_lshrrev_b32_e32 v104, 16, v104
	v_max_f32_e32 v105, v105, v105
	v_lshrrev_b32_e32 v109, 16, v106
	v_lshrrev_b32_e32 v110, 16, v107
	v_min_f16_e32 v106, v108, v106
	v_min3_f16 v104, v104, v109, v110
	v_min3_f16 v104, v106, v107, v104
	v_cvt_f32_f16_e32 v104, v104
	v_min_f32_e32 v106, v105, v104
	v_lshlrev_b64 v[104:105], 1, v[38:39]
	v_cvt_f16_f32_e32 v106, v106
	v_add_co_u32 v104, vcc_lo, v28, v104
	v_add_co_ci_u32_e64 v105, null, v29, v105, vcc_lo
	flat_store_short v[104:105], v106
	s_or_b32 exec_lo, exec_lo, s12
	s_and_b32 s17, s4, s8
	s_and_saveexec_b32 s12, s17
	s_cbranch_execz .LBB212_96
.LBB212_115:
	v_cmp_ne_u32_e32 vcc_lo, 1, v69
	s_cbranch_vccnz .LBB212_117
; %bb.116:
	v_lshlrev_b64 v[104:105], 1, v[40:41]
	v_add_co_u32 v104, vcc_lo, v97, v104
	v_add_co_ci_u32_e64 v105, null, v101, v105, vcc_lo
	flat_load_ushort v104, v[104:105]
	s_waitcnt vmcnt(0) lgkmcnt(0)
	v_mul_f16_e32 v104, s22, v104
	v_cvt_f32_f16_e32 v104, v104
	s_branch .LBB212_118
.LBB212_117:
	v_mov_b32_e32 v104, 0
.LBB212_118:
	v_pk_add_f16 v105, v8, v30
	v_pk_add_f16 v106, v9, v31
	v_max_f16_e32 v107, v103, v103
	v_lshrrev_b32_e32 v103, 16, v103
	v_max_f32_e32 v104, v104, v104
	v_lshrrev_b32_e32 v108, 16, v105
	v_lshrrev_b32_e32 v109, 16, v106
	v_min_f16_e32 v105, v107, v105
	v_min3_f16 v103, v103, v108, v109
	v_min3_f16 v103, v105, v106, v103
	v_cvt_f32_f16_e32 v103, v103
	v_min_f32_e32 v105, v104, v103
	v_lshlrev_b64 v[103:104], 1, v[40:41]
	v_cvt_f16_f32_e32 v105, v105
	v_add_co_u32 v103, vcc_lo, v28, v103
	v_add_co_ci_u32_e64 v104, null, v29, v104, vcc_lo
	flat_store_short v[103:104], v105
	s_or_b32 exec_lo, exec_lo, s12
	s_and_b32 s17, s5, s8
	s_and_saveexec_b32 s12, s17
	s_cbranch_execz .LBB212_97
.LBB212_119:
	v_cmp_ne_u32_e32 vcc_lo, 1, v69
	s_cbranch_vccnz .LBB212_121
; %bb.120:
	v_lshlrev_b64 v[103:104], 1, v[42:43]
	v_add_co_u32 v103, vcc_lo, v97, v103
	v_add_co_ci_u32_e64 v104, null, v101, v104, vcc_lo
	flat_load_ushort v103, v[103:104]
	s_waitcnt vmcnt(0) lgkmcnt(0)
	v_mul_f16_e32 v103, s22, v103
	v_cvt_f32_f16_e32 v103, v103
	s_branch .LBB212_122
.LBB212_121:
	v_mov_b32_e32 v103, 0
.LBB212_122:
	v_pk_add_f16 v104, v10, v30
	v_pk_add_f16 v105, v11, v31
	v_max_f16_e32 v106, v102, v102
	v_lshrrev_b32_e32 v102, 16, v102
	v_max_f32_e32 v103, v103, v103
	v_lshrrev_b32_e32 v107, 16, v104
	v_lshrrev_b32_e32 v108, 16, v105
	v_min_f16_e32 v104, v106, v104
	v_min3_f16 v102, v102, v107, v108
	v_min3_f16 v102, v104, v105, v102
	v_cvt_f32_f16_e32 v102, v102
	v_min_f32_e32 v104, v103, v102
	v_lshlrev_b64 v[102:103], 1, v[42:43]
	v_cvt_f16_f32_e32 v104, v104
	v_add_co_u32 v102, vcc_lo, v28, v102
	v_add_co_ci_u32_e64 v103, null, v29, v103, vcc_lo
	flat_store_short v[102:103], v104
	s_or_b32 exec_lo, exec_lo, s12
	s_and_b32 s17, s6, s8
	s_and_saveexec_b32 s12, s17
	s_cbranch_execz .LBB212_98
.LBB212_123:
	v_cmp_ne_u32_e32 vcc_lo, 1, v69
	s_cbranch_vccnz .LBB212_125
; %bb.124:
	v_lshlrev_b64 v[102:103], 1, v[44:45]
	v_add_co_u32 v102, vcc_lo, v97, v102
	v_add_co_ci_u32_e64 v103, null, v101, v103, vcc_lo
	flat_load_ushort v102, v[102:103]
	s_waitcnt vmcnt(0) lgkmcnt(0)
	v_mul_f16_e32 v102, s22, v102
	v_cvt_f32_f16_e32 v102, v102
	s_branch .LBB212_126
.LBB212_125:
	v_mov_b32_e32 v102, 0
.LBB212_126:
	v_pk_add_f16 v103, v0, v30
	v_pk_add_f16 v104, v1, v31
	v_max_f16_e32 v105, v100, v100
	v_lshrrev_b32_e32 v100, 16, v100
	v_max_f32_e32 v102, v102, v102
	v_lshrrev_b32_e32 v106, 16, v103
	v_lshrrev_b32_e32 v107, 16, v104
	v_min_f16_e32 v103, v105, v103
	v_min3_f16 v100, v100, v106, v107
	v_min3_f16 v100, v103, v104, v100
	v_cvt_f32_f16_e32 v100, v100
	v_min_f32_e32 v100, v102, v100
	v_lshlrev_b64 v[102:103], 1, v[44:45]
	v_cvt_f16_f32_e32 v100, v100
	v_add_co_u32 v102, vcc_lo, v28, v102
	v_add_co_ci_u32_e64 v103, null, v29, v103, vcc_lo
	flat_store_short v[102:103], v100
	s_or_b32 exec_lo, exec_lo, s12
	s_and_b32 s12, s7, s8
	s_and_saveexec_b32 s8, s12
	s_cbranch_execz .LBB212_131
.LBB212_127:
	v_cmp_ne_u32_e32 vcc_lo, 1, v69
	s_cbranch_vccnz .LBB212_129
; %bb.128:
	v_lshlrev_b64 v[102:103], 1, v[46:47]
	v_add_co_u32 v100, vcc_lo, v97, v102
	v_add_co_ci_u32_e64 v101, null, v101, v103, vcc_lo
	flat_load_ushort v97, v[100:101]
	s_waitcnt vmcnt(0) lgkmcnt(0)
	v_mul_f16_e32 v97, s22, v97
	v_cvt_f32_f16_e32 v97, v97
	s_branch .LBB212_130
.LBB212_129:
	v_mov_b32_e32 v97, 0
.LBB212_130:
	v_pk_add_f16 v30, v2, v30
	v_pk_add_f16 v31, v3, v31
	v_max_f16_e32 v100, v99, v99
	v_lshrrev_b32_e32 v99, 16, v99
	v_lshrrev_b32_e32 v101, 16, v30
	;; [unrolled: 1-line block ×3, first 2 shown]
	v_min_f16_e32 v30, v100, v30
	v_min3_f16 v99, v99, v101, v102
	v_min3_f16 v30, v30, v31, v99
	v_max_f32_e32 v31, v97, v97
	v_cvt_f32_f16_e32 v30, v30
	v_min_f32_e32 v97, v31, v30
	v_lshlrev_b64 v[30:31], 1, v[46:47]
	v_cvt_f16_f32_e32 v97, v97
	v_add_co_u32 v28, vcc_lo, v28, v30
	v_add_co_ci_u32_e64 v29, null, v29, v31, vcc_lo
	flat_store_short v[28:29], v97
.LBB212_131:
	s_or_b32 exec_lo, exec_lo, s8
	v_add_nc_u32_e32 v97, 16, v77
	v_mad_i64_i32 v[28:29], null, v97, s14, 0
	v_mad_i64_i32 v[30:31], null, v97, s9, 0
	v_cmp_gt_i32_e64 s8, s13, v97
	v_lshlrev_b64 v[28:29], 1, v[28:29]
	s_and_b32 s17, s0, s8
	v_lshlrev_b64 v[99:100], 1, v[30:31]
	v_add_co_u32 v30, vcc_lo, s10, v28
	v_add_co_ci_u32_e64 v31, null, s11, v29, vcc_lo
	v_add_co_u32 v28, vcc_lo, s15, v99
	v_add_co_ci_u32_e64 v29, null, s16, v100, vcc_lo
	s_and_saveexec_b32 s12, s17
	s_cbranch_execnz .LBB212_139
; %bb.132:
	s_or_b32 exec_lo, exec_lo, s12
	s_and_b32 s17, s1, s8
	s_and_saveexec_b32 s12, s17
	s_cbranch_execnz .LBB212_143
.LBB212_133:
	s_or_b32 exec_lo, exec_lo, s12
	s_and_b32 s17, s2, s8
	s_and_saveexec_b32 s12, s17
	s_cbranch_execnz .LBB212_147
.LBB212_134:
	s_or_b32 exec_lo, exec_lo, s12
	s_and_b32 s17, s3, s8
	s_and_saveexec_b32 s12, s17
	s_cbranch_execnz .LBB212_151
.LBB212_135:
	s_or_b32 exec_lo, exec_lo, s12
	s_and_b32 s17, s4, s8
	s_and_saveexec_b32 s12, s17
	s_cbranch_execnz .LBB212_155
.LBB212_136:
	s_or_b32 exec_lo, exec_lo, s12
	s_and_b32 s17, s5, s8
	s_and_saveexec_b32 s12, s17
	s_cbranch_execnz .LBB212_159
.LBB212_137:
	s_or_b32 exec_lo, exec_lo, s12
	s_and_b32 s17, s6, s8
	s_and_saveexec_b32 s12, s17
	s_cbranch_execnz .LBB212_163
.LBB212_138:
	s_or_b32 exec_lo, exec_lo, s12
	s_and_b32 s12, s7, s8
	s_and_saveexec_b32 s8, s12
	s_cbranch_execnz .LBB212_167
	s_branch .LBB212_171
.LBB212_139:
	v_cmp_ne_u32_e32 vcc_lo, 1, v69
	s_cbranch_vccnz .LBB212_141
; %bb.140:
	v_lshlrev_b64 v[99:100], 1, v[32:33]
	v_add_co_u32 v99, vcc_lo, v30, v99
	v_add_co_ci_u32_e64 v100, null, v31, v100, vcc_lo
	flat_load_ushort v97, v[99:100]
	s_waitcnt vmcnt(0) lgkmcnt(0)
	v_mul_f16_e32 v97, s22, v97
	v_cvt_f32_f16_e32 v97, v97
	s_branch .LBB212_142
.LBB212_141:
	v_mov_b32_e32 v97, 0
.LBB212_142:
	v_pk_add_f16 v99, v16, v24
	v_pk_add_f16 v100, v17, v25
	v_max_f16_e32 v101, v98, v98
	v_lshrrev_b32_e32 v98, 16, v98
	v_max_f32_e32 v97, v97, v97
	v_lshrrev_b32_e32 v102, 16, v99
	v_lshrrev_b32_e32 v103, 16, v100
	v_min_f16_e32 v99, v101, v99
	v_min3_f16 v98, v98, v102, v103
	v_min3_f16 v98, v99, v100, v98
	v_cvt_f32_f16_e32 v98, v98
	v_min_f32_e32 v99, v97, v98
	v_lshlrev_b64 v[97:98], 1, v[32:33]
	v_cvt_f16_f32_e32 v99, v99
	v_add_co_u32 v97, vcc_lo, v28, v97
	v_add_co_ci_u32_e64 v98, null, v29, v98, vcc_lo
	flat_store_short v[97:98], v99
	s_or_b32 exec_lo, exec_lo, s12
	s_and_b32 s17, s1, s8
	s_and_saveexec_b32 s12, s17
	s_cbranch_execz .LBB212_133
.LBB212_143:
	v_cmp_ne_u32_e32 vcc_lo, 1, v69
	s_cbranch_vccnz .LBB212_145
; %bb.144:
	v_lshlrev_b64 v[97:98], 1, v[34:35]
	v_add_co_u32 v97, vcc_lo, v30, v97
	v_add_co_ci_u32_e64 v98, null, v31, v98, vcc_lo
	flat_load_ushort v97, v[97:98]
	s_waitcnt vmcnt(0) lgkmcnt(0)
	v_mul_f16_e32 v97, s22, v97
	v_cvt_f32_f16_e32 v97, v97
	s_branch .LBB212_146
.LBB212_145:
	v_mov_b32_e32 v97, 0
.LBB212_146:
	v_pk_add_f16 v98, v18, v24
	v_pk_add_f16 v99, v19, v25
	v_max_f16_e32 v100, v96, v96
	v_lshrrev_b32_e32 v96, 16, v96
	v_max_f32_e32 v97, v97, v97
	v_lshrrev_b32_e32 v101, 16, v98
	v_lshrrev_b32_e32 v102, 16, v99
	v_min_f16_e32 v98, v100, v98
	v_min3_f16 v96, v96, v101, v102
	v_min3_f16 v96, v98, v99, v96
	v_cvt_f32_f16_e32 v96, v96
	v_min_f32_e32 v98, v97, v96
	v_lshlrev_b64 v[96:97], 1, v[34:35]
	v_cvt_f16_f32_e32 v98, v98
	v_add_co_u32 v96, vcc_lo, v28, v96
	v_add_co_ci_u32_e64 v97, null, v29, v97, vcc_lo
	flat_store_short v[96:97], v98
	s_or_b32 exec_lo, exec_lo, s12
	s_and_b32 s17, s2, s8
	s_and_saveexec_b32 s12, s17
	s_cbranch_execz .LBB212_134
.LBB212_147:
	v_cmp_ne_u32_e32 vcc_lo, 1, v69
	s_cbranch_vccnz .LBB212_149
; %bb.148:
	v_lshlrev_b64 v[96:97], 1, v[36:37]
	v_add_co_u32 v96, vcc_lo, v30, v96
	v_add_co_ci_u32_e64 v97, null, v31, v97, vcc_lo
	flat_load_ushort v96, v[96:97]
	s_waitcnt vmcnt(0) lgkmcnt(0)
	v_mul_f16_e32 v96, s22, v96
	v_cvt_f32_f16_e32 v96, v96
	s_branch .LBB212_150
.LBB212_149:
	v_mov_b32_e32 v96, 0
.LBB212_150:
	v_pk_add_f16 v97, v12, v24
	v_pk_add_f16 v98, v13, v25
	v_max_f16_e32 v99, v95, v95
	v_lshrrev_b32_e32 v95, 16, v95
	v_max_f32_e32 v96, v96, v96
	v_lshrrev_b32_e32 v100, 16, v97
	v_lshrrev_b32_e32 v101, 16, v98
	v_min_f16_e32 v97, v99, v97
	v_min3_f16 v95, v95, v100, v101
	v_min3_f16 v95, v97, v98, v95
	v_cvt_f32_f16_e32 v95, v95
	v_min_f32_e32 v97, v96, v95
	v_lshlrev_b64 v[95:96], 1, v[36:37]
	v_cvt_f16_f32_e32 v97, v97
	v_add_co_u32 v95, vcc_lo, v28, v95
	v_add_co_ci_u32_e64 v96, null, v29, v96, vcc_lo
	flat_store_short v[95:96], v97
	s_or_b32 exec_lo, exec_lo, s12
	s_and_b32 s17, s3, s8
	s_and_saveexec_b32 s12, s17
	s_cbranch_execz .LBB212_135
.LBB212_151:
	v_cmp_ne_u32_e32 vcc_lo, 1, v69
	s_cbranch_vccnz .LBB212_153
; %bb.152:
	v_lshlrev_b64 v[95:96], 1, v[38:39]
	v_add_co_u32 v95, vcc_lo, v30, v95
	v_add_co_ci_u32_e64 v96, null, v31, v96, vcc_lo
	flat_load_ushort v95, v[95:96]
	s_waitcnt vmcnt(0) lgkmcnt(0)
	v_mul_f16_e32 v95, s22, v95
	v_cvt_f32_f16_e32 v95, v95
	s_branch .LBB212_154
.LBB212_153:
	v_mov_b32_e32 v95, 0
.LBB212_154:
	v_pk_add_f16 v96, v14, v24
	v_pk_add_f16 v97, v15, v25
	v_max_f16_e32 v98, v94, v94
	v_lshrrev_b32_e32 v94, 16, v94
	v_max_f32_e32 v95, v95, v95
	v_lshrrev_b32_e32 v99, 16, v96
	v_lshrrev_b32_e32 v100, 16, v97
	v_min_f16_e32 v96, v98, v96
	v_min3_f16 v94, v94, v99, v100
	v_min3_f16 v94, v96, v97, v94
	v_cvt_f32_f16_e32 v94, v94
	v_min_f32_e32 v96, v95, v94
	v_lshlrev_b64 v[94:95], 1, v[38:39]
	v_cvt_f16_f32_e32 v96, v96
	v_add_co_u32 v94, vcc_lo, v28, v94
	v_add_co_ci_u32_e64 v95, null, v29, v95, vcc_lo
	flat_store_short v[94:95], v96
	s_or_b32 exec_lo, exec_lo, s12
	s_and_b32 s17, s4, s8
	s_and_saveexec_b32 s12, s17
	s_cbranch_execz .LBB212_136
.LBB212_155:
	v_cmp_ne_u32_e32 vcc_lo, 1, v69
	s_cbranch_vccnz .LBB212_157
; %bb.156:
	v_lshlrev_b64 v[94:95], 1, v[40:41]
	v_add_co_u32 v94, vcc_lo, v30, v94
	v_add_co_ci_u32_e64 v95, null, v31, v95, vcc_lo
	flat_load_ushort v94, v[94:95]
	s_waitcnt vmcnt(0) lgkmcnt(0)
	v_mul_f16_e32 v94, s22, v94
	v_cvt_f32_f16_e32 v94, v94
	s_branch .LBB212_158
.LBB212_157:
	v_mov_b32_e32 v94, 0
.LBB212_158:
	v_pk_add_f16 v95, v8, v24
	v_pk_add_f16 v96, v9, v25
	v_max_f16_e32 v97, v93, v93
	v_lshrrev_b32_e32 v93, 16, v93
	v_max_f32_e32 v94, v94, v94
	v_lshrrev_b32_e32 v98, 16, v95
	v_lshrrev_b32_e32 v99, 16, v96
	v_min_f16_e32 v95, v97, v95
	v_min3_f16 v93, v93, v98, v99
	v_min3_f16 v93, v95, v96, v93
	v_cvt_f32_f16_e32 v93, v93
	v_min_f32_e32 v95, v94, v93
	v_lshlrev_b64 v[93:94], 1, v[40:41]
	v_cvt_f16_f32_e32 v95, v95
	v_add_co_u32 v93, vcc_lo, v28, v93
	v_add_co_ci_u32_e64 v94, null, v29, v94, vcc_lo
	flat_store_short v[93:94], v95
	s_or_b32 exec_lo, exec_lo, s12
	s_and_b32 s17, s5, s8
	s_and_saveexec_b32 s12, s17
	s_cbranch_execz .LBB212_137
.LBB212_159:
	v_cmp_ne_u32_e32 vcc_lo, 1, v69
	s_cbranch_vccnz .LBB212_161
; %bb.160:
	v_lshlrev_b64 v[93:94], 1, v[42:43]
	v_add_co_u32 v93, vcc_lo, v30, v93
	v_add_co_ci_u32_e64 v94, null, v31, v94, vcc_lo
	flat_load_ushort v93, v[93:94]
	s_waitcnt vmcnt(0) lgkmcnt(0)
	v_mul_f16_e32 v93, s22, v93
	v_cvt_f32_f16_e32 v93, v93
	s_branch .LBB212_162
.LBB212_161:
	v_mov_b32_e32 v93, 0
.LBB212_162:
	v_pk_add_f16 v94, v10, v24
	v_pk_add_f16 v95, v11, v25
	v_max_f16_e32 v96, v92, v92
	v_lshrrev_b32_e32 v92, 16, v92
	v_max_f32_e32 v93, v93, v93
	v_lshrrev_b32_e32 v97, 16, v94
	v_lshrrev_b32_e32 v98, 16, v95
	v_min_f16_e32 v94, v96, v94
	v_min3_f16 v92, v92, v97, v98
	v_min3_f16 v92, v94, v95, v92
	v_cvt_f32_f16_e32 v92, v92
	v_min_f32_e32 v94, v93, v92
	v_lshlrev_b64 v[92:93], 1, v[42:43]
	v_cvt_f16_f32_e32 v94, v94
	v_add_co_u32 v92, vcc_lo, v28, v92
	v_add_co_ci_u32_e64 v93, null, v29, v93, vcc_lo
	flat_store_short v[92:93], v94
	s_or_b32 exec_lo, exec_lo, s12
	s_and_b32 s17, s6, s8
	s_and_saveexec_b32 s12, s17
	s_cbranch_execz .LBB212_138
.LBB212_163:
	v_cmp_ne_u32_e32 vcc_lo, 1, v69
	s_cbranch_vccnz .LBB212_165
; %bb.164:
	v_lshlrev_b64 v[92:93], 1, v[44:45]
	v_add_co_u32 v92, vcc_lo, v30, v92
	v_add_co_ci_u32_e64 v93, null, v31, v93, vcc_lo
	flat_load_ushort v92, v[92:93]
	s_waitcnt vmcnt(0) lgkmcnt(0)
	v_mul_f16_e32 v92, s22, v92
	v_cvt_f32_f16_e32 v92, v92
	s_branch .LBB212_166
.LBB212_165:
	v_mov_b32_e32 v92, 0
.LBB212_166:
	v_pk_add_f16 v93, v0, v24
	v_pk_add_f16 v94, v1, v25
	v_max_f16_e32 v95, v91, v91
	v_lshrrev_b32_e32 v91, 16, v91
	v_max_f32_e32 v92, v92, v92
	v_lshrrev_b32_e32 v96, 16, v93
	v_lshrrev_b32_e32 v97, 16, v94
	v_min_f16_e32 v93, v95, v93
	v_min3_f16 v91, v91, v96, v97
	v_min3_f16 v91, v93, v94, v91
	v_cvt_f32_f16_e32 v91, v91
	v_min_f32_e32 v93, v92, v91
	v_lshlrev_b64 v[91:92], 1, v[44:45]
	v_cvt_f16_f32_e32 v93, v93
	v_add_co_u32 v91, vcc_lo, v28, v91
	v_add_co_ci_u32_e64 v92, null, v29, v92, vcc_lo
	flat_store_short v[91:92], v93
	s_or_b32 exec_lo, exec_lo, s12
	s_and_b32 s12, s7, s8
	s_and_saveexec_b32 s8, s12
	s_cbranch_execz .LBB212_171
.LBB212_167:
	v_cmp_ne_u32_e32 vcc_lo, 1, v69
	s_cbranch_vccnz .LBB212_169
; %bb.168:
	v_lshlrev_b64 v[91:92], 1, v[46:47]
	v_add_co_u32 v30, vcc_lo, v30, v91
	v_add_co_ci_u32_e64 v31, null, v31, v92, vcc_lo
	flat_load_ushort v30, v[30:31]
	s_waitcnt vmcnt(0) lgkmcnt(0)
	v_mul_f16_e32 v30, s22, v30
	v_cvt_f32_f16_e32 v30, v30
	s_branch .LBB212_170
.LBB212_169:
	v_mov_b32_e32 v30, 0
.LBB212_170:
	v_pk_add_f16 v24, v2, v24
	v_pk_add_f16 v25, v3, v25
	v_max_f16_e32 v31, v90, v90
	v_lshrrev_b32_e32 v90, 16, v90
	v_lshrrev_b32_e32 v91, 16, v24
	;; [unrolled: 1-line block ×3, first 2 shown]
	v_min_f16_e32 v24, v31, v24
	v_min3_f16 v31, v90, v91, v92
	v_min3_f16 v24, v24, v25, v31
	v_max_f32_e32 v25, v30, v30
	v_cvt_f32_f16_e32 v24, v24
	v_min_f32_e32 v30, v25, v24
	v_lshlrev_b64 v[24:25], 1, v[46:47]
	v_cvt_f16_f32_e32 v30, v30
	v_add_co_u32 v24, vcc_lo, v28, v24
	v_add_co_ci_u32_e64 v25, null, v29, v25, vcc_lo
	flat_store_short v[24:25], v30
.LBB212_171:
	s_or_b32 exec_lo, exec_lo, s8
	v_add_nc_u32_e32 v30, 24, v77
	v_mad_i64_i32 v[24:25], null, v30, s14, 0
	v_mad_i64_i32 v[28:29], null, v30, s9, 0
	v_cmp_gt_i32_e64 s8, s13, v30
	v_lshlrev_b64 v[24:25], 1, v[24:25]
	s_and_b32 s17, s0, s8
	v_lshlrev_b64 v[30:31], 1, v[28:29]
	v_add_co_u32 v28, vcc_lo, s10, v24
	v_add_co_ci_u32_e64 v29, null, s11, v25, vcc_lo
	v_add_co_u32 v24, vcc_lo, s15, v30
	v_add_co_ci_u32_e64 v25, null, s16, v31, vcc_lo
	s_and_saveexec_b32 s12, s17
	s_cbranch_execnz .LBB212_179
; %bb.172:
	s_or_b32 exec_lo, exec_lo, s12
	s_and_b32 s17, s1, s8
	s_and_saveexec_b32 s12, s17
	s_cbranch_execnz .LBB212_183
.LBB212_173:
	s_or_b32 exec_lo, exec_lo, s12
	s_and_b32 s17, s2, s8
	s_and_saveexec_b32 s12, s17
	s_cbranch_execnz .LBB212_187
.LBB212_174:
	s_or_b32 exec_lo, exec_lo, s12
	s_and_b32 s17, s3, s8
	s_and_saveexec_b32 s12, s17
	s_cbranch_execnz .LBB212_191
.LBB212_175:
	s_or_b32 exec_lo, exec_lo, s12
	s_and_b32 s17, s4, s8
	s_and_saveexec_b32 s12, s17
	s_cbranch_execnz .LBB212_195
.LBB212_176:
	s_or_b32 exec_lo, exec_lo, s12
	s_and_b32 s17, s5, s8
	s_and_saveexec_b32 s12, s17
	s_cbranch_execnz .LBB212_199
.LBB212_177:
	s_or_b32 exec_lo, exec_lo, s12
	s_and_b32 s17, s6, s8
	s_and_saveexec_b32 s12, s17
	s_cbranch_execnz .LBB212_203
.LBB212_178:
	s_or_b32 exec_lo, exec_lo, s12
	s_and_b32 s12, s7, s8
	s_and_saveexec_b32 s8, s12
	s_cbranch_execnz .LBB212_207
	s_branch .LBB212_211
.LBB212_179:
	v_cmp_ne_u32_e32 vcc_lo, 1, v69
	s_cbranch_vccnz .LBB212_181
; %bb.180:
	v_lshlrev_b64 v[30:31], 1, v[32:33]
	v_add_co_u32 v30, vcc_lo, v28, v30
	v_add_co_ci_u32_e64 v31, null, v29, v31, vcc_lo
	flat_load_ushort v30, v[30:31]
	s_waitcnt vmcnt(0) lgkmcnt(0)
	v_mul_f16_e32 v30, s22, v30
	v_cvt_f32_f16_e32 v30, v30
	s_branch .LBB212_182
.LBB212_181:
	v_mov_b32_e32 v30, 0
.LBB212_182:
	v_pk_add_f16 v31, v16, v26
	v_pk_add_f16 v90, v17, v27
	v_max_f16_e32 v91, v89, v89
	v_lshrrev_b32_e32 v89, 16, v89
	v_max_f32_e32 v30, v30, v30
	v_lshrrev_b32_e32 v92, 16, v31
	v_lshrrev_b32_e32 v93, 16, v90
	v_min_f16_e32 v31, v91, v31
	v_min3_f16 v89, v89, v92, v93
	v_min3_f16 v31, v31, v90, v89
	v_cvt_f32_f16_e32 v31, v31
	v_min_f32_e32 v89, v30, v31
	v_lshlrev_b64 v[30:31], 1, v[32:33]
	v_cvt_f16_f32_e32 v89, v89
	v_add_co_u32 v30, vcc_lo, v24, v30
	v_add_co_ci_u32_e64 v31, null, v25, v31, vcc_lo
	flat_store_short v[30:31], v89
	s_or_b32 exec_lo, exec_lo, s12
	s_and_b32 s17, s1, s8
	s_and_saveexec_b32 s12, s17
	s_cbranch_execz .LBB212_173
.LBB212_183:
	v_cmp_ne_u32_e32 vcc_lo, 1, v69
	s_cbranch_vccnz .LBB212_185
; %bb.184:
	v_lshlrev_b64 v[30:31], 1, v[34:35]
	v_add_co_u32 v30, vcc_lo, v28, v30
	v_add_co_ci_u32_e64 v31, null, v29, v31, vcc_lo
	flat_load_ushort v30, v[30:31]
	s_waitcnt vmcnt(0) lgkmcnt(0)
	v_mul_f16_e32 v30, s22, v30
	v_cvt_f32_f16_e32 v30, v30
	s_branch .LBB212_186
.LBB212_185:
	v_mov_b32_e32 v30, 0
.LBB212_186:
	v_pk_add_f16 v31, v18, v26
	v_pk_add_f16 v89, v19, v27
	v_max_f16_e32 v90, v88, v88
	v_lshrrev_b32_e32 v88, 16, v88
	v_max_f32_e32 v30, v30, v30
	v_lshrrev_b32_e32 v91, 16, v31
	v_lshrrev_b32_e32 v92, 16, v89
	v_min_f16_e32 v31, v90, v31
	v_min3_f16 v88, v88, v91, v92
	v_min3_f16 v31, v31, v89, v88
	v_cvt_f32_f16_e32 v31, v31
	v_min_f32_e32 v88, v30, v31
	v_lshlrev_b64 v[30:31], 1, v[34:35]
	v_cvt_f16_f32_e32 v88, v88
	v_add_co_u32 v30, vcc_lo, v24, v30
	v_add_co_ci_u32_e64 v31, null, v25, v31, vcc_lo
	flat_store_short v[30:31], v88
	s_or_b32 exec_lo, exec_lo, s12
	s_and_b32 s17, s2, s8
	s_and_saveexec_b32 s12, s17
	s_cbranch_execz .LBB212_174
.LBB212_187:
	v_cmp_ne_u32_e32 vcc_lo, 1, v69
	s_cbranch_vccnz .LBB212_189
; %bb.188:
	v_lshlrev_b64 v[30:31], 1, v[36:37]
	v_add_co_u32 v30, vcc_lo, v28, v30
	v_add_co_ci_u32_e64 v31, null, v29, v31, vcc_lo
	flat_load_ushort v30, v[30:31]
	s_waitcnt vmcnt(0) lgkmcnt(0)
	v_mul_f16_e32 v30, s22, v30
	v_cvt_f32_f16_e32 v30, v30
	s_branch .LBB212_190
.LBB212_189:
	v_mov_b32_e32 v30, 0
.LBB212_190:
	v_pk_add_f16 v31, v12, v26
	v_pk_add_f16 v88, v13, v27
	v_max_f16_e32 v89, v87, v87
	v_lshrrev_b32_e32 v87, 16, v87
	v_max_f32_e32 v30, v30, v30
	v_lshrrev_b32_e32 v90, 16, v31
	v_lshrrev_b32_e32 v91, 16, v88
	v_min_f16_e32 v31, v89, v31
	v_min3_f16 v87, v87, v90, v91
	v_min3_f16 v31, v31, v88, v87
	v_cvt_f32_f16_e32 v31, v31
	v_min_f32_e32 v87, v30, v31
	v_lshlrev_b64 v[30:31], 1, v[36:37]
	v_cvt_f16_f32_e32 v87, v87
	v_add_co_u32 v30, vcc_lo, v24, v30
	v_add_co_ci_u32_e64 v31, null, v25, v31, vcc_lo
	flat_store_short v[30:31], v87
	s_or_b32 exec_lo, exec_lo, s12
	s_and_b32 s17, s3, s8
	s_and_saveexec_b32 s12, s17
	s_cbranch_execz .LBB212_175
.LBB212_191:
	v_cmp_ne_u32_e32 vcc_lo, 1, v69
	s_cbranch_vccnz .LBB212_193
; %bb.192:
	v_lshlrev_b64 v[30:31], 1, v[38:39]
	v_add_co_u32 v30, vcc_lo, v28, v30
	v_add_co_ci_u32_e64 v31, null, v29, v31, vcc_lo
	flat_load_ushort v30, v[30:31]
	s_waitcnt vmcnt(0) lgkmcnt(0)
	v_mul_f16_e32 v30, s22, v30
	v_cvt_f32_f16_e32 v30, v30
	s_branch .LBB212_194
.LBB212_193:
	v_mov_b32_e32 v30, 0
.LBB212_194:
	v_pk_add_f16 v31, v14, v26
	v_pk_add_f16 v87, v15, v27
	v_max_f16_e32 v88, v86, v86
	v_lshrrev_b32_e32 v86, 16, v86
	v_max_f32_e32 v30, v30, v30
	v_lshrrev_b32_e32 v89, 16, v31
	v_lshrrev_b32_e32 v90, 16, v87
	v_min_f16_e32 v31, v88, v31
	v_min3_f16 v86, v86, v89, v90
	v_min3_f16 v31, v31, v87, v86
	v_cvt_f32_f16_e32 v31, v31
	v_min_f32_e32 v86, v30, v31
	v_lshlrev_b64 v[30:31], 1, v[38:39]
	v_cvt_f16_f32_e32 v86, v86
	v_add_co_u32 v30, vcc_lo, v24, v30
	v_add_co_ci_u32_e64 v31, null, v25, v31, vcc_lo
	flat_store_short v[30:31], v86
	s_or_b32 exec_lo, exec_lo, s12
	s_and_b32 s17, s4, s8
	s_and_saveexec_b32 s12, s17
	s_cbranch_execz .LBB212_176
.LBB212_195:
	v_cmp_ne_u32_e32 vcc_lo, 1, v69
	s_cbranch_vccnz .LBB212_197
; %bb.196:
	v_lshlrev_b64 v[30:31], 1, v[40:41]
	v_add_co_u32 v30, vcc_lo, v28, v30
	v_add_co_ci_u32_e64 v31, null, v29, v31, vcc_lo
	flat_load_ushort v30, v[30:31]
	s_waitcnt vmcnt(0) lgkmcnt(0)
	v_mul_f16_e32 v30, s22, v30
	v_cvt_f32_f16_e32 v30, v30
	s_branch .LBB212_198
.LBB212_197:
	v_mov_b32_e32 v30, 0
.LBB212_198:
	v_pk_add_f16 v31, v8, v26
	v_pk_add_f16 v86, v9, v27
	v_max_f16_e32 v87, v85, v85
	v_lshrrev_b32_e32 v85, 16, v85
	v_max_f32_e32 v30, v30, v30
	v_lshrrev_b32_e32 v88, 16, v31
	v_lshrrev_b32_e32 v89, 16, v86
	v_min_f16_e32 v31, v87, v31
	v_min3_f16 v85, v85, v88, v89
	v_min3_f16 v31, v31, v86, v85
	v_cvt_f32_f16_e32 v31, v31
	v_min_f32_e32 v85, v30, v31
	v_lshlrev_b64 v[30:31], 1, v[40:41]
	v_cvt_f16_f32_e32 v85, v85
	v_add_co_u32 v30, vcc_lo, v24, v30
	v_add_co_ci_u32_e64 v31, null, v25, v31, vcc_lo
	flat_store_short v[30:31], v85
	s_or_b32 exec_lo, exec_lo, s12
	s_and_b32 s17, s5, s8
	s_and_saveexec_b32 s12, s17
	s_cbranch_execz .LBB212_177
.LBB212_199:
	v_cmp_ne_u32_e32 vcc_lo, 1, v69
	s_cbranch_vccnz .LBB212_201
; %bb.200:
	v_lshlrev_b64 v[30:31], 1, v[42:43]
	v_add_co_u32 v30, vcc_lo, v28, v30
	v_add_co_ci_u32_e64 v31, null, v29, v31, vcc_lo
	flat_load_ushort v30, v[30:31]
	s_waitcnt vmcnt(0) lgkmcnt(0)
	v_mul_f16_e32 v30, s22, v30
	v_cvt_f32_f16_e32 v30, v30
	s_branch .LBB212_202
.LBB212_201:
	v_mov_b32_e32 v30, 0
.LBB212_202:
	v_pk_add_f16 v31, v10, v26
	v_pk_add_f16 v85, v11, v27
	v_max_f16_e32 v86, v84, v84
	v_lshrrev_b32_e32 v84, 16, v84
	v_max_f32_e32 v30, v30, v30
	v_lshrrev_b32_e32 v87, 16, v31
	v_lshrrev_b32_e32 v88, 16, v85
	v_min_f16_e32 v31, v86, v31
	v_min3_f16 v84, v84, v87, v88
	v_min3_f16 v31, v31, v85, v84
	v_cvt_f32_f16_e32 v31, v31
	v_min_f32_e32 v84, v30, v31
	v_lshlrev_b64 v[30:31], 1, v[42:43]
	v_cvt_f16_f32_e32 v84, v84
	v_add_co_u32 v30, vcc_lo, v24, v30
	v_add_co_ci_u32_e64 v31, null, v25, v31, vcc_lo
	flat_store_short v[30:31], v84
	s_or_b32 exec_lo, exec_lo, s12
	s_and_b32 s17, s6, s8
	s_and_saveexec_b32 s12, s17
	s_cbranch_execz .LBB212_178
.LBB212_203:
	v_cmp_ne_u32_e32 vcc_lo, 1, v69
	s_cbranch_vccnz .LBB212_205
; %bb.204:
	v_lshlrev_b64 v[30:31], 1, v[44:45]
	v_add_co_u32 v30, vcc_lo, v28, v30
	v_add_co_ci_u32_e64 v31, null, v29, v31, vcc_lo
	flat_load_ushort v30, v[30:31]
	s_waitcnt vmcnt(0) lgkmcnt(0)
	v_mul_f16_e32 v30, s22, v30
	v_cvt_f32_f16_e32 v30, v30
	s_branch .LBB212_206
.LBB212_205:
	v_mov_b32_e32 v30, 0
.LBB212_206:
	v_pk_add_f16 v31, v0, v26
	v_pk_add_f16 v84, v1, v27
	v_max_f16_e32 v85, v83, v83
	v_lshrrev_b32_e32 v83, 16, v83
	v_max_f32_e32 v30, v30, v30
	v_lshrrev_b32_e32 v86, 16, v31
	v_lshrrev_b32_e32 v87, 16, v84
	v_min_f16_e32 v31, v85, v31
	v_min3_f16 v83, v83, v86, v87
	v_min3_f16 v31, v31, v84, v83
	v_cvt_f32_f16_e32 v31, v31
	v_min_f32_e32 v83, v30, v31
	v_lshlrev_b64 v[30:31], 1, v[44:45]
	v_cvt_f16_f32_e32 v83, v83
	v_add_co_u32 v30, vcc_lo, v24, v30
	v_add_co_ci_u32_e64 v31, null, v25, v31, vcc_lo
	flat_store_short v[30:31], v83
	s_or_b32 exec_lo, exec_lo, s12
	s_and_b32 s12, s7, s8
	s_and_saveexec_b32 s8, s12
	s_cbranch_execz .LBB212_211
.LBB212_207:
	v_cmp_ne_u32_e32 vcc_lo, 1, v69
	s_cbranch_vccnz .LBB212_209
; %bb.208:
	v_lshlrev_b64 v[30:31], 1, v[46:47]
	v_add_co_u32 v28, vcc_lo, v28, v30
	v_add_co_ci_u32_e64 v29, null, v29, v31, vcc_lo
	flat_load_ushort v28, v[28:29]
	s_waitcnt vmcnt(0) lgkmcnt(0)
	v_mul_f16_e32 v28, s22, v28
	v_cvt_f32_f16_e32 v28, v28
	s_branch .LBB212_210
.LBB212_209:
	v_mov_b32_e32 v28, 0
.LBB212_210:
	v_pk_add_f16 v26, v2, v26
	v_pk_add_f16 v27, v3, v27
	v_max_f16_e32 v29, v82, v82
	v_lshrrev_b32_e32 v30, 16, v82
	v_lshrrev_b32_e32 v31, 16, v26
	;; [unrolled: 1-line block ×3, first 2 shown]
	v_min_f16_e32 v26, v29, v26
	v_min3_f16 v29, v30, v31, v82
	v_min3_f16 v26, v26, v27, v29
	v_max_f32_e32 v27, v28, v28
	v_cvt_f32_f16_e32 v26, v26
	v_min_f32_e32 v28, v27, v26
	v_lshlrev_b64 v[26:27], 1, v[46:47]
	v_cvt_f16_f32_e32 v28, v28
	v_add_co_u32 v24, vcc_lo, v24, v26
	v_add_co_ci_u32_e64 v25, null, v25, v27, vcc_lo
	flat_store_short v[24:25], v28
.LBB212_211:
	s_or_b32 exec_lo, exec_lo, s8
	v_add_nc_u32_e32 v28, 32, v77
	v_mad_i64_i32 v[24:25], null, v28, s14, 0
	v_mad_i64_i32 v[26:27], null, v28, s9, 0
	v_cmp_gt_i32_e64 s8, s13, v28
	v_lshlrev_b64 v[24:25], 1, v[24:25]
	s_and_b32 s17, s0, s8
	v_lshlrev_b64 v[28:29], 1, v[26:27]
	v_add_co_u32 v26, vcc_lo, s10, v24
	v_add_co_ci_u32_e64 v27, null, s11, v25, vcc_lo
	v_add_co_u32 v24, vcc_lo, s15, v28
	v_add_co_ci_u32_e64 v25, null, s16, v29, vcc_lo
	s_and_saveexec_b32 s12, s17
	s_cbranch_execnz .LBB212_219
; %bb.212:
	s_or_b32 exec_lo, exec_lo, s12
	s_and_b32 s17, s1, s8
	s_and_saveexec_b32 s12, s17
	s_cbranch_execnz .LBB212_223
.LBB212_213:
	s_or_b32 exec_lo, exec_lo, s12
	s_and_b32 s17, s2, s8
	s_and_saveexec_b32 s12, s17
	s_cbranch_execnz .LBB212_227
.LBB212_214:
	s_or_b32 exec_lo, exec_lo, s12
	s_and_b32 s17, s3, s8
	s_and_saveexec_b32 s12, s17
	s_cbranch_execnz .LBB212_231
.LBB212_215:
	s_or_b32 exec_lo, exec_lo, s12
	s_and_b32 s17, s4, s8
	s_and_saveexec_b32 s12, s17
	s_cbranch_execnz .LBB212_235
.LBB212_216:
	s_or_b32 exec_lo, exec_lo, s12
	s_and_b32 s17, s5, s8
	s_and_saveexec_b32 s12, s17
	s_cbranch_execnz .LBB212_239
.LBB212_217:
	s_or_b32 exec_lo, exec_lo, s12
	s_and_b32 s17, s6, s8
	s_and_saveexec_b32 s12, s17
	s_cbranch_execnz .LBB212_243
.LBB212_218:
	s_or_b32 exec_lo, exec_lo, s12
	s_and_b32 s12, s7, s8
	s_and_saveexec_b32 s8, s12
	s_cbranch_execnz .LBB212_247
	s_branch .LBB212_251
.LBB212_219:
	v_cmp_ne_u32_e32 vcc_lo, 1, v69
	s_cbranch_vccnz .LBB212_221
; %bb.220:
	v_lshlrev_b64 v[28:29], 1, v[32:33]
	v_add_co_u32 v28, vcc_lo, v26, v28
	v_add_co_ci_u32_e64 v29, null, v27, v29, vcc_lo
	flat_load_ushort v28, v[28:29]
	s_waitcnt vmcnt(0) lgkmcnt(0)
	v_mul_f16_e32 v28, s22, v28
	v_cvt_f32_f16_e32 v28, v28
	s_branch .LBB212_222
.LBB212_221:
	v_mov_b32_e32 v28, 0
.LBB212_222:
	v_pk_add_f16 v29, v16, v20
	v_pk_add_f16 v30, v17, v21
	v_max_f16_e32 v31, v81, v81
	v_lshrrev_b32_e32 v81, 16, v81
	v_max_f32_e32 v28, v28, v28
	v_lshrrev_b32_e32 v82, 16, v29
	v_lshrrev_b32_e32 v83, 16, v30
	v_min_f16_e32 v29, v31, v29
	v_min3_f16 v31, v81, v82, v83
	v_min3_f16 v29, v29, v30, v31
	v_cvt_f32_f16_e32 v29, v29
	v_min_f32_e32 v30, v28, v29
	v_lshlrev_b64 v[28:29], 1, v[32:33]
	v_cvt_f16_f32_e32 v30, v30
	v_add_co_u32 v28, vcc_lo, v24, v28
	v_add_co_ci_u32_e64 v29, null, v25, v29, vcc_lo
	flat_store_short v[28:29], v30
	s_or_b32 exec_lo, exec_lo, s12
	s_and_b32 s17, s1, s8
	s_and_saveexec_b32 s12, s17
	s_cbranch_execz .LBB212_213
.LBB212_223:
	v_cmp_ne_u32_e32 vcc_lo, 1, v69
	s_cbranch_vccnz .LBB212_225
; %bb.224:
	v_lshlrev_b64 v[28:29], 1, v[34:35]
	v_add_co_u32 v28, vcc_lo, v26, v28
	v_add_co_ci_u32_e64 v29, null, v27, v29, vcc_lo
	flat_load_ushort v28, v[28:29]
	s_waitcnt vmcnt(0) lgkmcnt(0)
	v_mul_f16_e32 v28, s22, v28
	v_cvt_f32_f16_e32 v28, v28
	s_branch .LBB212_226
.LBB212_225:
	v_mov_b32_e32 v28, 0
.LBB212_226:
	v_pk_add_f16 v29, v18, v20
	v_pk_add_f16 v30, v19, v21
	v_max_f16_e32 v31, v80, v80
	v_lshrrev_b32_e32 v80, 16, v80
	v_max_f32_e32 v28, v28, v28
	v_lshrrev_b32_e32 v81, 16, v29
	v_lshrrev_b32_e32 v82, 16, v30
	v_min_f16_e32 v29, v31, v29
	v_min3_f16 v31, v80, v81, v82
	v_min3_f16 v29, v29, v30, v31
	v_cvt_f32_f16_e32 v29, v29
	v_min_f32_e32 v30, v28, v29
	v_lshlrev_b64 v[28:29], 1, v[34:35]
	v_cvt_f16_f32_e32 v30, v30
	v_add_co_u32 v28, vcc_lo, v24, v28
	v_add_co_ci_u32_e64 v29, null, v25, v29, vcc_lo
	flat_store_short v[28:29], v30
	s_or_b32 exec_lo, exec_lo, s12
	s_and_b32 s17, s2, s8
	s_and_saveexec_b32 s12, s17
	s_cbranch_execz .LBB212_214
.LBB212_227:
	v_cmp_ne_u32_e32 vcc_lo, 1, v69
	s_cbranch_vccnz .LBB212_229
; %bb.228:
	v_lshlrev_b64 v[28:29], 1, v[36:37]
	v_add_co_u32 v28, vcc_lo, v26, v28
	v_add_co_ci_u32_e64 v29, null, v27, v29, vcc_lo
	flat_load_ushort v28, v[28:29]
	s_waitcnt vmcnt(0) lgkmcnt(0)
	v_mul_f16_e32 v28, s22, v28
	v_cvt_f32_f16_e32 v28, v28
	s_branch .LBB212_230
.LBB212_229:
	v_mov_b32_e32 v28, 0
.LBB212_230:
	v_pk_add_f16 v29, v12, v20
	v_pk_add_f16 v30, v13, v21
	v_max_f16_e32 v31, v79, v79
	v_lshrrev_b32_e32 v79, 16, v79
	v_max_f32_e32 v28, v28, v28
	v_lshrrev_b32_e32 v80, 16, v29
	v_lshrrev_b32_e32 v81, 16, v30
	v_min_f16_e32 v29, v31, v29
	v_min3_f16 v31, v79, v80, v81
	v_min3_f16 v29, v29, v30, v31
	v_cvt_f32_f16_e32 v29, v29
	v_min_f32_e32 v30, v28, v29
	v_lshlrev_b64 v[28:29], 1, v[36:37]
	v_cvt_f16_f32_e32 v30, v30
	v_add_co_u32 v28, vcc_lo, v24, v28
	v_add_co_ci_u32_e64 v29, null, v25, v29, vcc_lo
	flat_store_short v[28:29], v30
	s_or_b32 exec_lo, exec_lo, s12
	s_and_b32 s17, s3, s8
	s_and_saveexec_b32 s12, s17
	s_cbranch_execz .LBB212_215
.LBB212_231:
	v_cmp_ne_u32_e32 vcc_lo, 1, v69
	s_cbranch_vccnz .LBB212_233
; %bb.232:
	v_lshlrev_b64 v[28:29], 1, v[38:39]
	v_add_co_u32 v28, vcc_lo, v26, v28
	v_add_co_ci_u32_e64 v29, null, v27, v29, vcc_lo
	flat_load_ushort v28, v[28:29]
	s_waitcnt vmcnt(0) lgkmcnt(0)
	v_mul_f16_e32 v28, s22, v28
	v_cvt_f32_f16_e32 v28, v28
	s_branch .LBB212_234
.LBB212_233:
	v_mov_b32_e32 v28, 0
.LBB212_234:
	v_pk_add_f16 v29, v14, v20
	v_pk_add_f16 v30, v15, v21
	v_max_f16_e32 v31, v78, v78
	v_lshrrev_b32_e32 v78, 16, v78
	v_max_f32_e32 v28, v28, v28
	v_lshrrev_b32_e32 v79, 16, v29
	v_lshrrev_b32_e32 v80, 16, v30
	v_min_f16_e32 v29, v31, v29
	v_min3_f16 v31, v78, v79, v80
	v_min3_f16 v29, v29, v30, v31
	v_cvt_f32_f16_e32 v29, v29
	v_min_f32_e32 v30, v28, v29
	v_lshlrev_b64 v[28:29], 1, v[38:39]
	v_cvt_f16_f32_e32 v30, v30
	v_add_co_u32 v28, vcc_lo, v24, v28
	v_add_co_ci_u32_e64 v29, null, v25, v29, vcc_lo
	flat_store_short v[28:29], v30
	s_or_b32 exec_lo, exec_lo, s12
	s_and_b32 s17, s4, s8
	s_and_saveexec_b32 s12, s17
	s_cbranch_execz .LBB212_216
.LBB212_235:
	v_cmp_ne_u32_e32 vcc_lo, 1, v69
	s_cbranch_vccnz .LBB212_237
; %bb.236:
	v_lshlrev_b64 v[28:29], 1, v[40:41]
	v_add_co_u32 v28, vcc_lo, v26, v28
	v_add_co_ci_u32_e64 v29, null, v27, v29, vcc_lo
	flat_load_ushort v28, v[28:29]
	s_waitcnt vmcnt(0) lgkmcnt(0)
	v_mul_f16_e32 v28, s22, v28
	v_cvt_f32_f16_e32 v28, v28
	s_branch .LBB212_238
.LBB212_237:
	v_mov_b32_e32 v28, 0
.LBB212_238:
	v_pk_add_f16 v29, v8, v20
	v_pk_add_f16 v30, v9, v21
	v_max_f16_e32 v31, v76, v76
	v_lshrrev_b32_e32 v76, 16, v76
	v_max_f32_e32 v28, v28, v28
	v_lshrrev_b32_e32 v78, 16, v29
	v_lshrrev_b32_e32 v79, 16, v30
	v_min_f16_e32 v29, v31, v29
	v_min3_f16 v31, v76, v78, v79
	v_min3_f16 v29, v29, v30, v31
	v_cvt_f32_f16_e32 v29, v29
	v_min_f32_e32 v30, v28, v29
	v_lshlrev_b64 v[28:29], 1, v[40:41]
	v_cvt_f16_f32_e32 v30, v30
	v_add_co_u32 v28, vcc_lo, v24, v28
	v_add_co_ci_u32_e64 v29, null, v25, v29, vcc_lo
	flat_store_short v[28:29], v30
	s_or_b32 exec_lo, exec_lo, s12
	s_and_b32 s17, s5, s8
	s_and_saveexec_b32 s12, s17
	s_cbranch_execz .LBB212_217
.LBB212_239:
	v_cmp_ne_u32_e32 vcc_lo, 1, v69
	s_cbranch_vccnz .LBB212_241
; %bb.240:
	v_lshlrev_b64 v[28:29], 1, v[42:43]
	v_add_co_u32 v28, vcc_lo, v26, v28
	v_add_co_ci_u32_e64 v29, null, v27, v29, vcc_lo
	flat_load_ushort v28, v[28:29]
	s_waitcnt vmcnt(0) lgkmcnt(0)
	v_mul_f16_e32 v28, s22, v28
	v_cvt_f32_f16_e32 v28, v28
	s_branch .LBB212_242
.LBB212_241:
	v_mov_b32_e32 v28, 0
.LBB212_242:
	v_pk_add_f16 v29, v10, v20
	v_pk_add_f16 v30, v11, v21
	v_max_f16_e32 v31, v75, v75
	v_lshrrev_b32_e32 v75, 16, v75
	v_max_f32_e32 v28, v28, v28
	v_lshrrev_b32_e32 v76, 16, v29
	v_lshrrev_b32_e32 v78, 16, v30
	v_min_f16_e32 v29, v31, v29
	v_min3_f16 v31, v75, v76, v78
	v_min3_f16 v29, v29, v30, v31
	v_cvt_f32_f16_e32 v29, v29
	v_min_f32_e32 v30, v28, v29
	v_lshlrev_b64 v[28:29], 1, v[42:43]
	v_cvt_f16_f32_e32 v30, v30
	v_add_co_u32 v28, vcc_lo, v24, v28
	v_add_co_ci_u32_e64 v29, null, v25, v29, vcc_lo
	flat_store_short v[28:29], v30
	s_or_b32 exec_lo, exec_lo, s12
	s_and_b32 s17, s6, s8
	s_and_saveexec_b32 s12, s17
	s_cbranch_execz .LBB212_218
.LBB212_243:
	v_cmp_ne_u32_e32 vcc_lo, 1, v69
	s_cbranch_vccnz .LBB212_245
; %bb.244:
	v_lshlrev_b64 v[28:29], 1, v[44:45]
	v_add_co_u32 v28, vcc_lo, v26, v28
	v_add_co_ci_u32_e64 v29, null, v27, v29, vcc_lo
	flat_load_ushort v28, v[28:29]
	s_waitcnt vmcnt(0) lgkmcnt(0)
	v_mul_f16_e32 v28, s22, v28
	v_cvt_f32_f16_e32 v28, v28
	s_branch .LBB212_246
.LBB212_245:
	v_mov_b32_e32 v28, 0
.LBB212_246:
	v_pk_add_f16 v29, v0, v20
	v_pk_add_f16 v30, v1, v21
	v_max_f16_e32 v31, v74, v74
	v_lshrrev_b32_e32 v74, 16, v74
	v_max_f32_e32 v28, v28, v28
	v_lshrrev_b32_e32 v75, 16, v29
	v_lshrrev_b32_e32 v76, 16, v30
	v_min_f16_e32 v29, v31, v29
	v_min3_f16 v31, v74, v75, v76
	v_min3_f16 v29, v29, v30, v31
	v_cvt_f32_f16_e32 v29, v29
	v_min_f32_e32 v30, v28, v29
	v_lshlrev_b64 v[28:29], 1, v[44:45]
	v_cvt_f16_f32_e32 v30, v30
	v_add_co_u32 v28, vcc_lo, v24, v28
	v_add_co_ci_u32_e64 v29, null, v25, v29, vcc_lo
	flat_store_short v[28:29], v30
	s_or_b32 exec_lo, exec_lo, s12
	s_and_b32 s12, s7, s8
	s_and_saveexec_b32 s8, s12
	s_cbranch_execz .LBB212_251
.LBB212_247:
	v_cmp_ne_u32_e32 vcc_lo, 1, v69
	s_cbranch_vccnz .LBB212_249
; %bb.248:
	v_lshlrev_b64 v[28:29], 1, v[46:47]
	v_add_co_u32 v26, vcc_lo, v26, v28
	v_add_co_ci_u32_e64 v27, null, v27, v29, vcc_lo
	flat_load_ushort v26, v[26:27]
	s_waitcnt vmcnt(0) lgkmcnt(0)
	v_mul_f16_e32 v26, s22, v26
	v_cvt_f32_f16_e32 v26, v26
	s_branch .LBB212_250
.LBB212_249:
	v_mov_b32_e32 v26, 0
.LBB212_250:
	v_pk_add_f16 v20, v2, v20
	v_pk_add_f16 v21, v3, v21
	v_max_f16_e32 v27, v73, v73
	v_lshrrev_b32_e32 v28, 16, v73
	v_lshrrev_b32_e32 v29, 16, v20
	;; [unrolled: 1-line block ×3, first 2 shown]
	v_min_f16_e32 v20, v27, v20
	v_min3_f16 v27, v28, v29, v30
	v_min3_f16 v20, v20, v21, v27
	v_max_f32_e32 v21, v26, v26
	v_cvt_f32_f16_e32 v20, v20
	v_min_f32_e32 v26, v21, v20
	v_lshlrev_b64 v[20:21], 1, v[46:47]
	v_cvt_f16_f32_e32 v26, v26
	v_add_co_u32 v20, vcc_lo, v24, v20
	v_add_co_ci_u32_e64 v21, null, v25, v21, vcc_lo
	flat_store_short v[20:21], v26
.LBB212_251:
	s_or_b32 exec_lo, exec_lo, s8
	v_add_nc_u32_e32 v26, 40, v77
	v_mad_i64_i32 v[20:21], null, v26, s14, 0
	v_mad_i64_i32 v[24:25], null, v26, s9, 0
	v_cmp_gt_i32_e64 s8, s13, v26
	v_lshlrev_b64 v[20:21], 1, v[20:21]
	s_and_b32 s17, s0, s8
	v_lshlrev_b64 v[26:27], 1, v[24:25]
	v_add_co_u32 v24, vcc_lo, s10, v20
	v_add_co_ci_u32_e64 v25, null, s11, v21, vcc_lo
	v_add_co_u32 v20, vcc_lo, s15, v26
	v_add_co_ci_u32_e64 v21, null, s16, v27, vcc_lo
	s_and_saveexec_b32 s12, s17
	s_cbranch_execnz .LBB212_259
; %bb.252:
	s_or_b32 exec_lo, exec_lo, s12
	s_and_b32 s17, s1, s8
	s_and_saveexec_b32 s12, s17
	s_cbranch_execnz .LBB212_263
.LBB212_253:
	s_or_b32 exec_lo, exec_lo, s12
	s_and_b32 s17, s2, s8
	s_and_saveexec_b32 s12, s17
	s_cbranch_execnz .LBB212_267
.LBB212_254:
	s_or_b32 exec_lo, exec_lo, s12
	s_and_b32 s17, s3, s8
	s_and_saveexec_b32 s12, s17
	s_cbranch_execnz .LBB212_271
.LBB212_255:
	s_or_b32 exec_lo, exec_lo, s12
	s_and_b32 s17, s4, s8
	s_and_saveexec_b32 s12, s17
	s_cbranch_execnz .LBB212_275
.LBB212_256:
	s_or_b32 exec_lo, exec_lo, s12
	s_and_b32 s17, s5, s8
	s_and_saveexec_b32 s12, s17
	s_cbranch_execnz .LBB212_279
.LBB212_257:
	s_or_b32 exec_lo, exec_lo, s12
	s_and_b32 s17, s6, s8
	s_and_saveexec_b32 s12, s17
	s_cbranch_execnz .LBB212_283
.LBB212_258:
	s_or_b32 exec_lo, exec_lo, s12
	s_and_b32 s12, s7, s8
	s_and_saveexec_b32 s8, s12
	s_cbranch_execnz .LBB212_287
	s_branch .LBB212_291
.LBB212_259:
	v_cmp_ne_u32_e32 vcc_lo, 1, v69
	s_cbranch_vccnz .LBB212_261
; %bb.260:
	v_lshlrev_b64 v[26:27], 1, v[32:33]
	v_add_co_u32 v26, vcc_lo, v24, v26
	v_add_co_ci_u32_e64 v27, null, v25, v27, vcc_lo
	flat_load_ushort v26, v[26:27]
	s_waitcnt vmcnt(0) lgkmcnt(0)
	v_mul_f16_e32 v26, s22, v26
	v_cvt_f32_f16_e32 v26, v26
	s_branch .LBB212_262
.LBB212_261:
	v_mov_b32_e32 v26, 0
.LBB212_262:
	v_pk_add_f16 v27, v16, v22
	v_pk_add_f16 v28, v17, v23
	v_max_f16_e32 v29, v72, v72
	v_lshrrev_b32_e32 v30, 16, v72
	v_max_f32_e32 v26, v26, v26
	v_lshrrev_b32_e32 v31, 16, v27
	v_lshrrev_b32_e32 v72, 16, v28
	v_min_f16_e32 v27, v29, v27
	v_min3_f16 v29, v30, v31, v72
	v_min3_f16 v27, v27, v28, v29
	v_cvt_f32_f16_e32 v27, v27
	v_min_f32_e32 v28, v26, v27
	v_lshlrev_b64 v[26:27], 1, v[32:33]
	v_cvt_f16_f32_e32 v28, v28
	v_add_co_u32 v26, vcc_lo, v20, v26
	v_add_co_ci_u32_e64 v27, null, v21, v27, vcc_lo
	flat_store_short v[26:27], v28
	s_or_b32 exec_lo, exec_lo, s12
	s_and_b32 s17, s1, s8
	s_and_saveexec_b32 s12, s17
	s_cbranch_execz .LBB212_253
.LBB212_263:
	v_cmp_ne_u32_e32 vcc_lo, 1, v69
	s_cbranch_vccnz .LBB212_265
; %bb.264:
	v_lshlrev_b64 v[26:27], 1, v[34:35]
	v_add_co_u32 v26, vcc_lo, v24, v26
	v_add_co_ci_u32_e64 v27, null, v25, v27, vcc_lo
	flat_load_ushort v26, v[26:27]
	s_waitcnt vmcnt(0) lgkmcnt(0)
	v_mul_f16_e32 v26, s22, v26
	v_cvt_f32_f16_e32 v26, v26
	s_branch .LBB212_266
.LBB212_265:
	v_mov_b32_e32 v26, 0
.LBB212_266:
	v_pk_add_f16 v27, v18, v22
	v_pk_add_f16 v28, v19, v23
	v_max_f16_e32 v29, v71, v71
	v_lshrrev_b32_e32 v30, 16, v71
	v_max_f32_e32 v26, v26, v26
	v_lshrrev_b32_e32 v31, 16, v27
	v_lshrrev_b32_e32 v71, 16, v28
	v_min_f16_e32 v27, v29, v27
	v_min3_f16 v29, v30, v31, v71
	v_min3_f16 v27, v27, v28, v29
	v_cvt_f32_f16_e32 v27, v27
	v_min_f32_e32 v28, v26, v27
	v_lshlrev_b64 v[26:27], 1, v[34:35]
	v_cvt_f16_f32_e32 v28, v28
	v_add_co_u32 v26, vcc_lo, v20, v26
	v_add_co_ci_u32_e64 v27, null, v21, v27, vcc_lo
	flat_store_short v[26:27], v28
	s_or_b32 exec_lo, exec_lo, s12
	s_and_b32 s17, s2, s8
	s_and_saveexec_b32 s12, s17
	s_cbranch_execz .LBB212_254
.LBB212_267:
	v_cmp_ne_u32_e32 vcc_lo, 1, v69
	s_cbranch_vccnz .LBB212_269
; %bb.268:
	v_lshlrev_b64 v[26:27], 1, v[36:37]
	v_add_co_u32 v26, vcc_lo, v24, v26
	v_add_co_ci_u32_e64 v27, null, v25, v27, vcc_lo
	flat_load_ushort v26, v[26:27]
	s_waitcnt vmcnt(0) lgkmcnt(0)
	v_mul_f16_e32 v26, s22, v26
	v_cvt_f32_f16_e32 v26, v26
	s_branch .LBB212_270
.LBB212_269:
	v_mov_b32_e32 v26, 0
.LBB212_270:
	v_pk_add_f16 v27, v12, v22
	v_pk_add_f16 v28, v13, v23
	v_max_f16_e32 v29, v70, v70
	v_lshrrev_b32_e32 v30, 16, v70
	v_max_f32_e32 v26, v26, v26
	v_lshrrev_b32_e32 v31, 16, v27
	v_lshrrev_b32_e32 v70, 16, v28
	v_min_f16_e32 v27, v29, v27
	v_min3_f16 v29, v30, v31, v70
	v_min3_f16 v27, v27, v28, v29
	v_cvt_f32_f16_e32 v27, v27
	v_min_f32_e32 v28, v26, v27
	v_lshlrev_b64 v[26:27], 1, v[36:37]
	v_cvt_f16_f32_e32 v28, v28
	v_add_co_u32 v26, vcc_lo, v20, v26
	v_add_co_ci_u32_e64 v27, null, v21, v27, vcc_lo
	flat_store_short v[26:27], v28
	s_or_b32 exec_lo, exec_lo, s12
	s_and_b32 s17, s3, s8
	s_and_saveexec_b32 s12, s17
	s_cbranch_execz .LBB212_255
.LBB212_271:
	v_cmp_ne_u32_e32 vcc_lo, 1, v69
	s_cbranch_vccnz .LBB212_273
; %bb.272:
	v_lshlrev_b64 v[26:27], 1, v[38:39]
	v_add_co_u32 v26, vcc_lo, v24, v26
	v_add_co_ci_u32_e64 v27, null, v25, v27, vcc_lo
	flat_load_ushort v26, v[26:27]
	s_waitcnt vmcnt(0) lgkmcnt(0)
	v_mul_f16_e32 v26, s22, v26
	v_cvt_f32_f16_e32 v26, v26
	s_branch .LBB212_274
.LBB212_273:
	v_mov_b32_e32 v26, 0
.LBB212_274:
	v_pk_add_f16 v27, v14, v22
	v_pk_add_f16 v28, v15, v23
	v_max_f16_e32 v29, v68, v68
	v_lshrrev_b32_e32 v30, 16, v68
	v_max_f32_e32 v26, v26, v26
	v_lshrrev_b32_e32 v31, 16, v27
	v_lshrrev_b32_e32 v68, 16, v28
	v_min_f16_e32 v27, v29, v27
	v_min3_f16 v29, v30, v31, v68
	v_min3_f16 v27, v27, v28, v29
	v_cvt_f32_f16_e32 v27, v27
	v_min_f32_e32 v28, v26, v27
	v_lshlrev_b64 v[26:27], 1, v[38:39]
	v_cvt_f16_f32_e32 v28, v28
	v_add_co_u32 v26, vcc_lo, v20, v26
	v_add_co_ci_u32_e64 v27, null, v21, v27, vcc_lo
	flat_store_short v[26:27], v28
	s_or_b32 exec_lo, exec_lo, s12
	s_and_b32 s17, s4, s8
	s_and_saveexec_b32 s12, s17
	s_cbranch_execz .LBB212_256
.LBB212_275:
	v_cmp_ne_u32_e32 vcc_lo, 1, v69
	s_cbranch_vccnz .LBB212_277
; %bb.276:
	v_lshlrev_b64 v[26:27], 1, v[40:41]
	v_add_co_u32 v26, vcc_lo, v24, v26
	v_add_co_ci_u32_e64 v27, null, v25, v27, vcc_lo
	flat_load_ushort v26, v[26:27]
	s_waitcnt vmcnt(0) lgkmcnt(0)
	v_mul_f16_e32 v26, s22, v26
	v_cvt_f32_f16_e32 v26, v26
	s_branch .LBB212_278
.LBB212_277:
	v_mov_b32_e32 v26, 0
.LBB212_278:
	v_pk_add_f16 v27, v8, v22
	v_pk_add_f16 v28, v9, v23
	v_max_f16_e32 v29, v67, v67
	v_lshrrev_b32_e32 v30, 16, v67
	v_max_f32_e32 v26, v26, v26
	v_lshrrev_b32_e32 v31, 16, v27
	v_lshrrev_b32_e32 v67, 16, v28
	v_min_f16_e32 v27, v29, v27
	v_min3_f16 v29, v30, v31, v67
	v_min3_f16 v27, v27, v28, v29
	v_cvt_f32_f16_e32 v27, v27
	v_min_f32_e32 v28, v26, v27
	v_lshlrev_b64 v[26:27], 1, v[40:41]
	v_cvt_f16_f32_e32 v28, v28
	v_add_co_u32 v26, vcc_lo, v20, v26
	v_add_co_ci_u32_e64 v27, null, v21, v27, vcc_lo
	flat_store_short v[26:27], v28
	s_or_b32 exec_lo, exec_lo, s12
	s_and_b32 s17, s5, s8
	s_and_saveexec_b32 s12, s17
	s_cbranch_execz .LBB212_257
.LBB212_279:
	v_cmp_ne_u32_e32 vcc_lo, 1, v69
	s_cbranch_vccnz .LBB212_281
; %bb.280:
	v_lshlrev_b64 v[26:27], 1, v[42:43]
	v_add_co_u32 v26, vcc_lo, v24, v26
	v_add_co_ci_u32_e64 v27, null, v25, v27, vcc_lo
	flat_load_ushort v26, v[26:27]
	s_waitcnt vmcnt(0) lgkmcnt(0)
	v_mul_f16_e32 v26, s22, v26
	v_cvt_f32_f16_e32 v26, v26
	s_branch .LBB212_282
.LBB212_281:
	v_mov_b32_e32 v26, 0
.LBB212_282:
	v_pk_add_f16 v27, v10, v22
	v_pk_add_f16 v28, v11, v23
	v_max_f16_e32 v29, v66, v66
	v_lshrrev_b32_e32 v30, 16, v66
	v_max_f32_e32 v26, v26, v26
	v_lshrrev_b32_e32 v31, 16, v27
	v_lshrrev_b32_e32 v66, 16, v28
	v_min_f16_e32 v27, v29, v27
	v_min3_f16 v29, v30, v31, v66
	v_min3_f16 v27, v27, v28, v29
	v_cvt_f32_f16_e32 v27, v27
	v_min_f32_e32 v28, v26, v27
	v_lshlrev_b64 v[26:27], 1, v[42:43]
	v_cvt_f16_f32_e32 v28, v28
	v_add_co_u32 v26, vcc_lo, v20, v26
	v_add_co_ci_u32_e64 v27, null, v21, v27, vcc_lo
	flat_store_short v[26:27], v28
	s_or_b32 exec_lo, exec_lo, s12
	s_and_b32 s17, s6, s8
	s_and_saveexec_b32 s12, s17
	s_cbranch_execz .LBB212_258
.LBB212_283:
	v_cmp_ne_u32_e32 vcc_lo, 1, v69
	s_cbranch_vccnz .LBB212_285
; %bb.284:
	v_lshlrev_b64 v[26:27], 1, v[44:45]
	v_add_co_u32 v26, vcc_lo, v24, v26
	v_add_co_ci_u32_e64 v27, null, v25, v27, vcc_lo
	flat_load_ushort v26, v[26:27]
	s_waitcnt vmcnt(0) lgkmcnt(0)
	v_mul_f16_e32 v26, s22, v26
	v_cvt_f32_f16_e32 v26, v26
	s_branch .LBB212_286
.LBB212_285:
	v_mov_b32_e32 v26, 0
.LBB212_286:
	v_pk_add_f16 v27, v0, v22
	v_pk_add_f16 v28, v1, v23
	v_max_f16_e32 v29, v65, v65
	v_lshrrev_b32_e32 v30, 16, v65
	v_max_f32_e32 v26, v26, v26
	v_lshrrev_b32_e32 v31, 16, v27
	v_lshrrev_b32_e32 v65, 16, v28
	v_min_f16_e32 v27, v29, v27
	v_min3_f16 v29, v30, v31, v65
	v_min3_f16 v27, v27, v28, v29
	v_cvt_f32_f16_e32 v27, v27
	v_min_f32_e32 v28, v26, v27
	v_lshlrev_b64 v[26:27], 1, v[44:45]
	v_cvt_f16_f32_e32 v28, v28
	v_add_co_u32 v26, vcc_lo, v20, v26
	v_add_co_ci_u32_e64 v27, null, v21, v27, vcc_lo
	flat_store_short v[26:27], v28
	s_or_b32 exec_lo, exec_lo, s12
	s_and_b32 s12, s7, s8
	s_and_saveexec_b32 s8, s12
	s_cbranch_execz .LBB212_291
.LBB212_287:
	v_cmp_ne_u32_e32 vcc_lo, 1, v69
	s_cbranch_vccnz .LBB212_289
; %bb.288:
	v_lshlrev_b64 v[26:27], 1, v[46:47]
	v_add_co_u32 v24, vcc_lo, v24, v26
	v_add_co_ci_u32_e64 v25, null, v25, v27, vcc_lo
	flat_load_ushort v24, v[24:25]
	s_waitcnt vmcnt(0) lgkmcnt(0)
	v_mul_f16_e32 v24, s22, v24
	v_cvt_f32_f16_e32 v24, v24
	s_branch .LBB212_290
.LBB212_289:
	v_mov_b32_e32 v24, 0
.LBB212_290:
	v_pk_add_f16 v22, v2, v22
	v_pk_add_f16 v23, v3, v23
	v_max_f16_e32 v25, v64, v64
	v_lshrrev_b32_e32 v26, 16, v64
	v_lshrrev_b32_e32 v27, 16, v22
	v_lshrrev_b32_e32 v28, 16, v23
	v_min_f16_e32 v22, v25, v22
	v_min3_f16 v25, v26, v27, v28
	v_min3_f16 v22, v22, v23, v25
	v_max_f32_e32 v23, v24, v24
	v_cvt_f32_f16_e32 v22, v22
	v_min_f32_e32 v24, v23, v22
	v_lshlrev_b64 v[22:23], 1, v[46:47]
	v_cvt_f16_f32_e32 v24, v24
	v_add_co_u32 v20, vcc_lo, v20, v22
	v_add_co_ci_u32_e64 v21, null, v21, v23, vcc_lo
	flat_store_short v[20:21], v24
.LBB212_291:
	s_or_b32 exec_lo, exec_lo, s8
	v_add_nc_u32_e32 v24, 48, v77
	v_mad_i64_i32 v[20:21], null, v24, s14, 0
	v_mad_i64_i32 v[22:23], null, v24, s9, 0
	v_cmp_gt_i32_e64 s8, s13, v24
	v_lshlrev_b64 v[20:21], 1, v[20:21]
	s_and_b32 s17, s0, s8
	v_lshlrev_b64 v[24:25], 1, v[22:23]
	v_add_co_u32 v22, vcc_lo, s10, v20
	v_add_co_ci_u32_e64 v23, null, s11, v21, vcc_lo
	v_add_co_u32 v20, vcc_lo, s15, v24
	v_add_co_ci_u32_e64 v21, null, s16, v25, vcc_lo
	s_and_saveexec_b32 s12, s17
	s_cbranch_execnz .LBB212_299
; %bb.292:
	s_or_b32 exec_lo, exec_lo, s12
	s_and_b32 s17, s1, s8
	s_and_saveexec_b32 s12, s17
	s_cbranch_execnz .LBB212_303
.LBB212_293:
	s_or_b32 exec_lo, exec_lo, s12
	s_and_b32 s17, s2, s8
	s_and_saveexec_b32 s12, s17
	s_cbranch_execnz .LBB212_307
.LBB212_294:
	s_or_b32 exec_lo, exec_lo, s12
	s_and_b32 s17, s3, s8
	s_and_saveexec_b32 s12, s17
	s_cbranch_execnz .LBB212_311
.LBB212_295:
	s_or_b32 exec_lo, exec_lo, s12
	s_and_b32 s17, s4, s8
	s_and_saveexec_b32 s12, s17
	s_cbranch_execnz .LBB212_315
.LBB212_296:
	s_or_b32 exec_lo, exec_lo, s12
	s_and_b32 s17, s5, s8
	s_and_saveexec_b32 s12, s17
	s_cbranch_execnz .LBB212_319
.LBB212_297:
	s_or_b32 exec_lo, exec_lo, s12
	s_and_b32 s17, s6, s8
	s_and_saveexec_b32 s12, s17
	s_cbranch_execnz .LBB212_323
.LBB212_298:
	s_or_b32 exec_lo, exec_lo, s12
	s_and_b32 s12, s7, s8
	s_and_saveexec_b32 s8, s12
	s_cbranch_execnz .LBB212_327
	s_branch .LBB212_331
.LBB212_299:
	v_cmp_ne_u32_e32 vcc_lo, 1, v69
	s_cbranch_vccnz .LBB212_301
; %bb.300:
	v_lshlrev_b64 v[24:25], 1, v[32:33]
	v_add_co_u32 v24, vcc_lo, v22, v24
	v_add_co_ci_u32_e64 v25, null, v23, v25, vcc_lo
	flat_load_ushort v24, v[24:25]
	s_waitcnt vmcnt(0) lgkmcnt(0)
	v_mul_f16_e32 v24, s22, v24
	v_cvt_f32_f16_e32 v24, v24
	s_branch .LBB212_302
.LBB212_301:
	v_mov_b32_e32 v24, 0
.LBB212_302:
	v_pk_add_f16 v25, v16, v4
	v_pk_add_f16 v26, v17, v5
	v_max_f16_e32 v27, v63, v63
	v_lshrrev_b32_e32 v28, 16, v63
	v_max_f32_e32 v24, v24, v24
	v_lshrrev_b32_e32 v29, 16, v25
	v_lshrrev_b32_e32 v30, 16, v26
	v_min_f16_e32 v25, v27, v25
	v_min3_f16 v27, v28, v29, v30
	v_min3_f16 v25, v25, v26, v27
	v_cvt_f32_f16_e32 v25, v25
	v_min_f32_e32 v26, v24, v25
	v_lshlrev_b64 v[24:25], 1, v[32:33]
	v_cvt_f16_f32_e32 v26, v26
	v_add_co_u32 v24, vcc_lo, v20, v24
	v_add_co_ci_u32_e64 v25, null, v21, v25, vcc_lo
	flat_store_short v[24:25], v26
	s_or_b32 exec_lo, exec_lo, s12
	s_and_b32 s17, s1, s8
	s_and_saveexec_b32 s12, s17
	s_cbranch_execz .LBB212_293
.LBB212_303:
	v_cmp_ne_u32_e32 vcc_lo, 1, v69
	s_cbranch_vccnz .LBB212_305
; %bb.304:
	v_lshlrev_b64 v[24:25], 1, v[34:35]
	v_add_co_u32 v24, vcc_lo, v22, v24
	v_add_co_ci_u32_e64 v25, null, v23, v25, vcc_lo
	flat_load_ushort v24, v[24:25]
	s_waitcnt vmcnt(0) lgkmcnt(0)
	v_mul_f16_e32 v24, s22, v24
	v_cvt_f32_f16_e32 v24, v24
	s_branch .LBB212_306
.LBB212_305:
	v_mov_b32_e32 v24, 0
.LBB212_306:
	v_pk_add_f16 v25, v18, v4
	v_pk_add_f16 v26, v19, v5
	v_max_f16_e32 v27, v62, v62
	v_lshrrev_b32_e32 v28, 16, v62
	v_max_f32_e32 v24, v24, v24
	v_lshrrev_b32_e32 v29, 16, v25
	v_lshrrev_b32_e32 v30, 16, v26
	v_min_f16_e32 v25, v27, v25
	v_min3_f16 v27, v28, v29, v30
	v_min3_f16 v25, v25, v26, v27
	v_cvt_f32_f16_e32 v25, v25
	v_min_f32_e32 v26, v24, v25
	v_lshlrev_b64 v[24:25], 1, v[34:35]
	v_cvt_f16_f32_e32 v26, v26
	v_add_co_u32 v24, vcc_lo, v20, v24
	v_add_co_ci_u32_e64 v25, null, v21, v25, vcc_lo
	flat_store_short v[24:25], v26
	s_or_b32 exec_lo, exec_lo, s12
	s_and_b32 s17, s2, s8
	s_and_saveexec_b32 s12, s17
	s_cbranch_execz .LBB212_294
.LBB212_307:
	v_cmp_ne_u32_e32 vcc_lo, 1, v69
	s_cbranch_vccnz .LBB212_309
; %bb.308:
	v_lshlrev_b64 v[24:25], 1, v[36:37]
	v_add_co_u32 v24, vcc_lo, v22, v24
	v_add_co_ci_u32_e64 v25, null, v23, v25, vcc_lo
	flat_load_ushort v24, v[24:25]
	s_waitcnt vmcnt(0) lgkmcnt(0)
	v_mul_f16_e32 v24, s22, v24
	v_cvt_f32_f16_e32 v24, v24
	s_branch .LBB212_310
.LBB212_309:
	v_mov_b32_e32 v24, 0
.LBB212_310:
	v_pk_add_f16 v25, v12, v4
	v_pk_add_f16 v26, v13, v5
	v_max_f16_e32 v27, v61, v61
	v_lshrrev_b32_e32 v28, 16, v61
	v_max_f32_e32 v24, v24, v24
	v_lshrrev_b32_e32 v29, 16, v25
	v_lshrrev_b32_e32 v30, 16, v26
	v_min_f16_e32 v25, v27, v25
	v_min3_f16 v27, v28, v29, v30
	v_min3_f16 v25, v25, v26, v27
	v_cvt_f32_f16_e32 v25, v25
	v_min_f32_e32 v26, v24, v25
	v_lshlrev_b64 v[24:25], 1, v[36:37]
	v_cvt_f16_f32_e32 v26, v26
	v_add_co_u32 v24, vcc_lo, v20, v24
	v_add_co_ci_u32_e64 v25, null, v21, v25, vcc_lo
	flat_store_short v[24:25], v26
	s_or_b32 exec_lo, exec_lo, s12
	s_and_b32 s17, s3, s8
	s_and_saveexec_b32 s12, s17
	s_cbranch_execz .LBB212_295
.LBB212_311:
	v_cmp_ne_u32_e32 vcc_lo, 1, v69
	s_cbranch_vccnz .LBB212_313
; %bb.312:
	v_lshlrev_b64 v[24:25], 1, v[38:39]
	v_add_co_u32 v24, vcc_lo, v22, v24
	v_add_co_ci_u32_e64 v25, null, v23, v25, vcc_lo
	flat_load_ushort v24, v[24:25]
	s_waitcnt vmcnt(0) lgkmcnt(0)
	v_mul_f16_e32 v24, s22, v24
	v_cvt_f32_f16_e32 v24, v24
	s_branch .LBB212_314
.LBB212_313:
	v_mov_b32_e32 v24, 0
.LBB212_314:
	v_pk_add_f16 v25, v14, v4
	v_pk_add_f16 v26, v15, v5
	v_max_f16_e32 v27, v60, v60
	v_lshrrev_b32_e32 v28, 16, v60
	v_max_f32_e32 v24, v24, v24
	v_lshrrev_b32_e32 v29, 16, v25
	v_lshrrev_b32_e32 v30, 16, v26
	v_min_f16_e32 v25, v27, v25
	v_min3_f16 v27, v28, v29, v30
	v_min3_f16 v25, v25, v26, v27
	v_cvt_f32_f16_e32 v25, v25
	v_min_f32_e32 v26, v24, v25
	v_lshlrev_b64 v[24:25], 1, v[38:39]
	v_cvt_f16_f32_e32 v26, v26
	v_add_co_u32 v24, vcc_lo, v20, v24
	v_add_co_ci_u32_e64 v25, null, v21, v25, vcc_lo
	flat_store_short v[24:25], v26
	s_or_b32 exec_lo, exec_lo, s12
	s_and_b32 s17, s4, s8
	s_and_saveexec_b32 s12, s17
	s_cbranch_execz .LBB212_296
.LBB212_315:
	v_cmp_ne_u32_e32 vcc_lo, 1, v69
	s_cbranch_vccnz .LBB212_317
; %bb.316:
	v_lshlrev_b64 v[24:25], 1, v[40:41]
	v_add_co_u32 v24, vcc_lo, v22, v24
	v_add_co_ci_u32_e64 v25, null, v23, v25, vcc_lo
	flat_load_ushort v24, v[24:25]
	s_waitcnt vmcnt(0) lgkmcnt(0)
	v_mul_f16_e32 v24, s22, v24
	v_cvt_f32_f16_e32 v24, v24
	s_branch .LBB212_318
.LBB212_317:
	v_mov_b32_e32 v24, 0
.LBB212_318:
	v_pk_add_f16 v25, v8, v4
	v_pk_add_f16 v26, v9, v5
	v_max_f16_e32 v27, v59, v59
	v_lshrrev_b32_e32 v28, 16, v59
	v_max_f32_e32 v24, v24, v24
	v_lshrrev_b32_e32 v29, 16, v25
	v_lshrrev_b32_e32 v30, 16, v26
	v_min_f16_e32 v25, v27, v25
	v_min3_f16 v27, v28, v29, v30
	v_min3_f16 v25, v25, v26, v27
	v_cvt_f32_f16_e32 v25, v25
	v_min_f32_e32 v26, v24, v25
	v_lshlrev_b64 v[24:25], 1, v[40:41]
	v_cvt_f16_f32_e32 v26, v26
	v_add_co_u32 v24, vcc_lo, v20, v24
	v_add_co_ci_u32_e64 v25, null, v21, v25, vcc_lo
	flat_store_short v[24:25], v26
	s_or_b32 exec_lo, exec_lo, s12
	s_and_b32 s17, s5, s8
	s_and_saveexec_b32 s12, s17
	s_cbranch_execz .LBB212_297
.LBB212_319:
	v_cmp_ne_u32_e32 vcc_lo, 1, v69
	s_cbranch_vccnz .LBB212_321
; %bb.320:
	v_lshlrev_b64 v[24:25], 1, v[42:43]
	v_add_co_u32 v24, vcc_lo, v22, v24
	v_add_co_ci_u32_e64 v25, null, v23, v25, vcc_lo
	flat_load_ushort v24, v[24:25]
	s_waitcnt vmcnt(0) lgkmcnt(0)
	v_mul_f16_e32 v24, s22, v24
	v_cvt_f32_f16_e32 v24, v24
	s_branch .LBB212_322
.LBB212_321:
	v_mov_b32_e32 v24, 0
.LBB212_322:
	v_pk_add_f16 v25, v10, v4
	v_pk_add_f16 v26, v11, v5
	v_max_f16_e32 v27, v58, v58
	v_lshrrev_b32_e32 v28, 16, v58
	v_max_f32_e32 v24, v24, v24
	v_lshrrev_b32_e32 v29, 16, v25
	v_lshrrev_b32_e32 v30, 16, v26
	v_min_f16_e32 v25, v27, v25
	v_min3_f16 v27, v28, v29, v30
	v_min3_f16 v25, v25, v26, v27
	v_cvt_f32_f16_e32 v25, v25
	v_min_f32_e32 v26, v24, v25
	v_lshlrev_b64 v[24:25], 1, v[42:43]
	v_cvt_f16_f32_e32 v26, v26
	v_add_co_u32 v24, vcc_lo, v20, v24
	v_add_co_ci_u32_e64 v25, null, v21, v25, vcc_lo
	flat_store_short v[24:25], v26
	s_or_b32 exec_lo, exec_lo, s12
	s_and_b32 s17, s6, s8
	s_and_saveexec_b32 s12, s17
	s_cbranch_execz .LBB212_298
.LBB212_323:
	v_cmp_ne_u32_e32 vcc_lo, 1, v69
	s_cbranch_vccnz .LBB212_325
; %bb.324:
	v_lshlrev_b64 v[24:25], 1, v[44:45]
	v_add_co_u32 v24, vcc_lo, v22, v24
	v_add_co_ci_u32_e64 v25, null, v23, v25, vcc_lo
	flat_load_ushort v24, v[24:25]
	s_waitcnt vmcnt(0) lgkmcnt(0)
	v_mul_f16_e32 v24, s22, v24
	v_cvt_f32_f16_e32 v24, v24
	s_branch .LBB212_326
.LBB212_325:
	v_mov_b32_e32 v24, 0
.LBB212_326:
	v_pk_add_f16 v25, v0, v4
	v_pk_add_f16 v26, v1, v5
	v_max_f16_e32 v27, v57, v57
	v_lshrrev_b32_e32 v28, 16, v57
	v_max_f32_e32 v24, v24, v24
	v_lshrrev_b32_e32 v29, 16, v25
	v_lshrrev_b32_e32 v30, 16, v26
	v_min_f16_e32 v25, v27, v25
	v_min3_f16 v27, v28, v29, v30
	v_min3_f16 v25, v25, v26, v27
	v_cvt_f32_f16_e32 v25, v25
	v_min_f32_e32 v26, v24, v25
	v_lshlrev_b64 v[24:25], 1, v[44:45]
	v_cvt_f16_f32_e32 v26, v26
	v_add_co_u32 v24, vcc_lo, v20, v24
	v_add_co_ci_u32_e64 v25, null, v21, v25, vcc_lo
	flat_store_short v[24:25], v26
	s_or_b32 exec_lo, exec_lo, s12
	s_and_b32 s12, s7, s8
	s_and_saveexec_b32 s8, s12
	s_cbranch_execz .LBB212_331
.LBB212_327:
	v_cmp_ne_u32_e32 vcc_lo, 1, v69
	s_cbranch_vccnz .LBB212_329
; %bb.328:
	v_lshlrev_b64 v[24:25], 1, v[46:47]
	v_add_co_u32 v22, vcc_lo, v22, v24
	v_add_co_ci_u32_e64 v23, null, v23, v25, vcc_lo
	flat_load_ushort v22, v[22:23]
	s_waitcnt vmcnt(0) lgkmcnt(0)
	v_mul_f16_e32 v22, s22, v22
	v_cvt_f32_f16_e32 v22, v22
	s_branch .LBB212_330
.LBB212_329:
	v_mov_b32_e32 v22, 0
.LBB212_330:
	v_pk_add_f16 v4, v2, v4
	v_pk_add_f16 v5, v3, v5
	v_max_f16_e32 v23, v56, v56
	v_lshrrev_b32_e32 v24, 16, v56
	v_lshrrev_b32_e32 v25, 16, v4
	;; [unrolled: 1-line block ×3, first 2 shown]
	v_min_f16_e32 v4, v23, v4
	v_min3_f16 v23, v24, v25, v26
	v_min3_f16 v4, v4, v5, v23
	v_max_f32_e32 v5, v22, v22
	v_cvt_f32_f16_e32 v4, v4
	v_min_f32_e32 v22, v5, v4
	v_lshlrev_b64 v[4:5], 1, v[46:47]
	v_cvt_f16_f32_e32 v22, v22
	v_add_co_u32 v4, vcc_lo, v20, v4
	v_add_co_ci_u32_e64 v5, null, v21, v5, vcc_lo
	flat_store_short v[4:5], v22
.LBB212_331:
	s_or_b32 exec_lo, exec_lo, s8
	v_add_nc_u32_e32 v22, 56, v77
	v_mad_i64_i32 v[4:5], null, v22, s14, 0
	v_mad_i64_i32 v[20:21], null, v22, s9, 0
	v_cmp_gt_i32_e64 s8, s13, v22
	v_lshlrev_b64 v[4:5], 1, v[4:5]
	s_and_b32 s9, s0, s8
	v_lshlrev_b64 v[20:21], 1, v[20:21]
	v_add_co_u32 v22, vcc_lo, s10, v4
	v_add_co_ci_u32_e64 v23, null, s11, v5, vcc_lo
	v_add_co_u32 v20, vcc_lo, s15, v20
	v_add_co_ci_u32_e64 v21, null, s16, v21, vcc_lo
	s_and_saveexec_b32 s0, s9
	s_cbranch_execnz .LBB212_340
; %bb.332:
	s_or_b32 exec_lo, exec_lo, s0
	s_and_b32 s1, s1, s8
	s_and_saveexec_b32 s0, s1
	s_cbranch_execnz .LBB212_344
.LBB212_333:
	s_or_b32 exec_lo, exec_lo, s0
	s_and_b32 s1, s2, s8
	s_and_saveexec_b32 s0, s1
	s_cbranch_execnz .LBB212_348
.LBB212_334:
	s_or_b32 exec_lo, exec_lo, s0
	s_and_b32 s1, s3, s8
	s_and_saveexec_b32 s0, s1
	s_cbranch_execnz .LBB212_352
.LBB212_335:
	s_or_b32 exec_lo, exec_lo, s0
	s_and_b32 s1, s4, s8
	s_and_saveexec_b32 s0, s1
	s_cbranch_execnz .LBB212_356
.LBB212_336:
	s_or_b32 exec_lo, exec_lo, s0
	s_and_b32 s1, s5, s8
	s_and_saveexec_b32 s0, s1
	s_cbranch_execnz .LBB212_360
.LBB212_337:
	s_or_b32 exec_lo, exec_lo, s0
	s_and_b32 s1, s6, s8
	s_and_saveexec_b32 s0, s1
	s_cbranch_execnz .LBB212_364
.LBB212_338:
	s_or_b32 exec_lo, exec_lo, s0
	s_and_b32 s0, s7, s8
	s_and_saveexec_b32 s1, s0
	s_cbranch_execnz .LBB212_368
.LBB212_339:
	s_endpgm
.LBB212_340:
	v_cmp_ne_u32_e32 vcc_lo, 1, v69
	v_lshlrev_b64 v[4:5], 1, v[32:33]
	s_cbranch_vccnz .LBB212_342
; %bb.341:
	v_add_co_u32 v24, vcc_lo, v22, v4
	v_add_co_ci_u32_e64 v25, null, v23, v5, vcc_lo
	flat_load_ushort v24, v[24:25]
	s_waitcnt vmcnt(0) lgkmcnt(0)
	v_mul_f16_e32 v24, s22, v24
	v_cvt_f32_f16_e32 v24, v24
	s_branch .LBB212_343
.LBB212_342:
	v_mov_b32_e32 v24, 0
.LBB212_343:
	v_pk_add_f16 v16, v16, v6
	v_pk_add_f16 v17, v17, v7
	v_max_f16_e32 v25, v55, v55
	v_lshrrev_b32_e32 v26, 16, v55
	v_add_co_u32 v4, vcc_lo, v20, v4
	v_lshrrev_b32_e32 v27, 16, v16
	v_lshrrev_b32_e32 v28, 16, v17
	v_min_f16_e32 v16, v25, v16
	v_add_co_ci_u32_e64 v5, null, v21, v5, vcc_lo
	v_min3_f16 v25, v26, v27, v28
	v_min3_f16 v16, v16, v17, v25
	v_max_f32_e32 v17, v24, v24
	v_cvt_f32_f16_e32 v16, v16
	v_min_f32_e32 v16, v17, v16
	v_cvt_f16_f32_e32 v16, v16
	flat_store_short v[4:5], v16
	s_or_b32 exec_lo, exec_lo, s0
	s_and_b32 s1, s1, s8
	s_and_saveexec_b32 s0, s1
	s_cbranch_execz .LBB212_333
.LBB212_344:
	v_cmp_ne_u32_e32 vcc_lo, 1, v69
	v_lshlrev_b64 v[4:5], 1, v[34:35]
	s_cbranch_vccnz .LBB212_346
; %bb.345:
	v_add_co_u32 v16, vcc_lo, v22, v4
	v_add_co_ci_u32_e64 v17, null, v23, v5, vcc_lo
	flat_load_ushort v16, v[16:17]
	s_waitcnt vmcnt(0) lgkmcnt(0)
	v_mul_f16_e32 v16, s22, v16
	v_cvt_f32_f16_e32 v16, v16
	s_branch .LBB212_347
.LBB212_346:
	v_mov_b32_e32 v16, 0
.LBB212_347:
	v_pk_add_f16 v17, v18, v6
	v_pk_add_f16 v18, v19, v7
	v_max_f16_e32 v19, v54, v54
	v_lshrrev_b32_e32 v24, 16, v54
	v_max_f32_e32 v16, v16, v16
	v_lshrrev_b32_e32 v25, 16, v17
	v_lshrrev_b32_e32 v26, 16, v18
	v_min_f16_e32 v17, v19, v17
	v_add_co_u32 v4, vcc_lo, v20, v4
	v_add_co_ci_u32_e64 v5, null, v21, v5, vcc_lo
	v_min3_f16 v19, v24, v25, v26
	v_min3_f16 v17, v17, v18, v19
	v_cvt_f32_f16_e32 v17, v17
	v_min_f32_e32 v16, v16, v17
	v_cvt_f16_f32_e32 v16, v16
	flat_store_short v[4:5], v16
	s_or_b32 exec_lo, exec_lo, s0
	s_and_b32 s1, s2, s8
	s_and_saveexec_b32 s0, s1
	s_cbranch_execz .LBB212_334
.LBB212_348:
	v_cmp_ne_u32_e32 vcc_lo, 1, v69
	v_lshlrev_b64 v[4:5], 1, v[36:37]
	s_cbranch_vccnz .LBB212_350
; %bb.349:
	v_add_co_u32 v16, vcc_lo, v22, v4
	v_add_co_ci_u32_e64 v17, null, v23, v5, vcc_lo
	flat_load_ushort v16, v[16:17]
	s_waitcnt vmcnt(0) lgkmcnt(0)
	v_mul_f16_e32 v16, s22, v16
	v_cvt_f32_f16_e32 v16, v16
	s_branch .LBB212_351
.LBB212_350:
	v_mov_b32_e32 v16, 0
.LBB212_351:
	v_pk_add_f16 v12, v12, v6
	v_pk_add_f16 v13, v13, v7
	v_max_f16_e32 v17, v53, v53
	v_lshrrev_b32_e32 v18, 16, v53
	v_add_co_u32 v4, vcc_lo, v20, v4
	v_lshrrev_b32_e32 v19, 16, v12
	v_lshrrev_b32_e32 v24, 16, v13
	v_min_f16_e32 v12, v17, v12
	v_add_co_ci_u32_e64 v5, null, v21, v5, vcc_lo
	v_min3_f16 v17, v18, v19, v24
	v_min3_f16 v12, v12, v13, v17
	v_max_f32_e32 v13, v16, v16
	v_cvt_f32_f16_e32 v12, v12
	v_min_f32_e32 v12, v13, v12
	v_cvt_f16_f32_e32 v12, v12
	flat_store_short v[4:5], v12
	s_or_b32 exec_lo, exec_lo, s0
	s_and_b32 s1, s3, s8
	s_and_saveexec_b32 s0, s1
	s_cbranch_execz .LBB212_335
.LBB212_352:
	v_cmp_ne_u32_e32 vcc_lo, 1, v69
	v_lshlrev_b64 v[4:5], 1, v[38:39]
	s_cbranch_vccnz .LBB212_354
; %bb.353:
	v_add_co_u32 v12, vcc_lo, v22, v4
	v_add_co_ci_u32_e64 v13, null, v23, v5, vcc_lo
	flat_load_ushort v12, v[12:13]
	s_waitcnt vmcnt(0) lgkmcnt(0)
	v_mul_f16_e32 v12, s22, v12
	v_cvt_f32_f16_e32 v12, v12
	s_branch .LBB212_355
.LBB212_354:
	v_mov_b32_e32 v12, 0
.LBB212_355:
	v_pk_add_f16 v13, v14, v6
	v_pk_add_f16 v14, v15, v7
	v_max_f16_e32 v15, v52, v52
	v_lshrrev_b32_e32 v16, 16, v52
	v_max_f32_e32 v12, v12, v12
	v_lshrrev_b32_e32 v17, 16, v13
	v_lshrrev_b32_e32 v18, 16, v14
	v_min_f16_e32 v13, v15, v13
	v_add_co_u32 v4, vcc_lo, v20, v4
	v_add_co_ci_u32_e64 v5, null, v21, v5, vcc_lo
	v_min3_f16 v15, v16, v17, v18
	v_min3_f16 v13, v13, v14, v15
	v_cvt_f32_f16_e32 v13, v13
	v_min_f32_e32 v12, v12, v13
	v_cvt_f16_f32_e32 v12, v12
	flat_store_short v[4:5], v12
	s_or_b32 exec_lo, exec_lo, s0
	s_and_b32 s1, s4, s8
	s_and_saveexec_b32 s0, s1
	s_cbranch_execz .LBB212_336
.LBB212_356:
	v_cmp_ne_u32_e32 vcc_lo, 1, v69
	v_lshlrev_b64 v[4:5], 1, v[40:41]
	s_cbranch_vccnz .LBB212_358
; %bb.357:
	v_add_co_u32 v12, vcc_lo, v22, v4
	v_add_co_ci_u32_e64 v13, null, v23, v5, vcc_lo
	flat_load_ushort v12, v[12:13]
	s_waitcnt vmcnt(0) lgkmcnt(0)
	v_mul_f16_e32 v12, s22, v12
	v_cvt_f32_f16_e32 v12, v12
	s_branch .LBB212_359
.LBB212_358:
	v_mov_b32_e32 v12, 0
.LBB212_359:
	v_pk_add_f16 v8, v8, v6
	v_pk_add_f16 v9, v9, v7
	v_max_f16_e32 v13, v51, v51
	v_lshrrev_b32_e32 v14, 16, v51
	v_add_co_u32 v4, vcc_lo, v20, v4
	v_lshrrev_b32_e32 v15, 16, v8
	v_lshrrev_b32_e32 v16, 16, v9
	v_min_f16_e32 v8, v13, v8
	v_add_co_ci_u32_e64 v5, null, v21, v5, vcc_lo
	v_min3_f16 v13, v14, v15, v16
	v_min3_f16 v8, v8, v9, v13
	v_max_f32_e32 v9, v12, v12
	v_cvt_f32_f16_e32 v8, v8
	v_min_f32_e32 v8, v9, v8
	v_cvt_f16_f32_e32 v8, v8
	flat_store_short v[4:5], v8
	s_or_b32 exec_lo, exec_lo, s0
	s_and_b32 s1, s5, s8
	s_and_saveexec_b32 s0, s1
	s_cbranch_execz .LBB212_337
.LBB212_360:
	v_cmp_ne_u32_e32 vcc_lo, 1, v69
	v_lshlrev_b64 v[4:5], 1, v[42:43]
	s_cbranch_vccnz .LBB212_362
; %bb.361:
	v_add_co_u32 v8, vcc_lo, v22, v4
	v_add_co_ci_u32_e64 v9, null, v23, v5, vcc_lo
	flat_load_ushort v8, v[8:9]
	s_waitcnt vmcnt(0) lgkmcnt(0)
	v_mul_f16_e32 v8, s22, v8
	v_cvt_f32_f16_e32 v8, v8
	s_branch .LBB212_363
.LBB212_362:
	v_mov_b32_e32 v8, 0
.LBB212_363:
	v_pk_add_f16 v9, v10, v6
	v_pk_add_f16 v10, v11, v7
	v_max_f16_e32 v11, v50, v50
	v_lshrrev_b32_e32 v12, 16, v50
	v_max_f32_e32 v8, v8, v8
	v_lshrrev_b32_e32 v13, 16, v9
	v_lshrrev_b32_e32 v14, 16, v10
	v_min_f16_e32 v9, v11, v9
	v_add_co_u32 v4, vcc_lo, v20, v4
	v_add_co_ci_u32_e64 v5, null, v21, v5, vcc_lo
	v_min3_f16 v11, v12, v13, v14
	v_min3_f16 v9, v9, v10, v11
	v_cvt_f32_f16_e32 v9, v9
	v_min_f32_e32 v8, v8, v9
	v_cvt_f16_f32_e32 v8, v8
	flat_store_short v[4:5], v8
	s_or_b32 exec_lo, exec_lo, s0
	s_and_b32 s1, s6, s8
	s_and_saveexec_b32 s0, s1
	s_cbranch_execz .LBB212_338
.LBB212_364:
	v_cmp_ne_u32_e32 vcc_lo, 1, v69
	v_lshlrev_b64 v[4:5], 1, v[44:45]
	s_cbranch_vccnz .LBB212_366
; %bb.365:
	v_add_co_u32 v8, vcc_lo, v22, v4
	v_add_co_ci_u32_e64 v9, null, v23, v5, vcc_lo
	flat_load_ushort v8, v[8:9]
	s_waitcnt vmcnt(0) lgkmcnt(0)
	v_mul_f16_e32 v8, s22, v8
	v_cvt_f32_f16_e32 v8, v8
	s_branch .LBB212_367
.LBB212_366:
	v_mov_b32_e32 v8, 0
.LBB212_367:
	v_pk_add_f16 v0, v0, v6
	v_pk_add_f16 v1, v1, v7
	v_max_f16_e32 v9, v49, v49
	v_lshrrev_b32_e32 v10, 16, v49
	v_lshrrev_b32_e32 v11, 16, v0
	;; [unrolled: 1-line block ×3, first 2 shown]
	v_min_f16_e32 v0, v9, v0
	v_min3_f16 v9, v10, v11, v12
	v_min3_f16 v0, v0, v1, v9
	v_max_f32_e32 v1, v8, v8
	v_cvt_f32_f16_e32 v0, v0
	v_min_f32_e32 v0, v1, v0
	v_cvt_f16_f32_e32 v8, v0
	v_add_co_u32 v0, vcc_lo, v20, v4
	v_add_co_ci_u32_e64 v1, null, v21, v5, vcc_lo
	flat_store_short v[0:1], v8
	s_or_b32 exec_lo, exec_lo, s0
	s_and_b32 s0, s7, s8
	s_and_saveexec_b32 s1, s0
	s_cbranch_execz .LBB212_339
.LBB212_368:
	v_cmp_ne_u32_e32 vcc_lo, 1, v69
	v_lshlrev_b64 v[0:1], 1, v[46:47]
	s_cbranch_vccnz .LBB212_370
; %bb.369:
	v_add_co_u32 v4, vcc_lo, v22, v0
	v_add_co_ci_u32_e64 v5, null, v23, v1, vcc_lo
	flat_load_ushort v4, v[4:5]
	s_waitcnt vmcnt(0) lgkmcnt(0)
	v_mul_f16_e32 v4, s22, v4
	v_cvt_f32_f16_e32 v4, v4
	s_branch .LBB212_371
.LBB212_370:
	v_mov_b32_e32 v4, 0
.LBB212_371:
	v_pk_add_f16 v2, v2, v6
	v_pk_add_f16 v3, v3, v7
	v_max_f16_e32 v5, v48, v48
	v_lshrrev_b32_e32 v6, 16, v48
	v_add_co_u32 v0, vcc_lo, v20, v0
	v_lshrrev_b32_e32 v7, 16, v2
	v_lshrrev_b32_e32 v8, 16, v3
	v_min_f16_e32 v2, v5, v2
	v_add_co_ci_u32_e64 v1, null, v21, v1, vcc_lo
	v_min3_f16 v5, v6, v7, v8
	v_min3_f16 v2, v2, v3, v5
	v_max_f32_e32 v3, v4, v4
	v_cvt_f32_f16_e32 v2, v2
	v_min_f32_e32 v2, v3, v2
	v_cvt_f16_f32_e32 v2, v2
	flat_store_short v[0:1], v2
	s_endpgm
	.section	.rodata,"a",@progbits
	.p2align	6, 0x0
	.amdhsa_kernel _ZN12_GLOBAL__N_120geam_min_plus_kernelIDF16_Dv2_DF16_S1_Li32ELi8ELi256ELi64ELi4ELi64ELi4ELi4ELi64ELc78ELc78ELb0ELb1ELb1EDF16_KPKDF16_KPDF16_EEviiiT16_PT17_ilS9_ilS7_S9_ilPT18_ili26rocblas_geam_ex_operation_
		.amdhsa_group_segment_fixed_size 5120
		.amdhsa_private_segment_fixed_size 0
		.amdhsa_kernarg_size 128
		.amdhsa_user_sgpr_count 6
		.amdhsa_user_sgpr_private_segment_buffer 1
		.amdhsa_user_sgpr_dispatch_ptr 0
		.amdhsa_user_sgpr_queue_ptr 0
		.amdhsa_user_sgpr_kernarg_segment_ptr 1
		.amdhsa_user_sgpr_dispatch_id 0
		.amdhsa_user_sgpr_flat_scratch_init 0
		.amdhsa_user_sgpr_private_segment_size 0
		.amdhsa_wavefront_size32 1
		.amdhsa_uses_dynamic_stack 0
		.amdhsa_system_sgpr_private_segment_wavefront_offset 0
		.amdhsa_system_sgpr_workgroup_id_x 1
		.amdhsa_system_sgpr_workgroup_id_y 0
		.amdhsa_system_sgpr_workgroup_id_z 1
		.amdhsa_system_sgpr_workgroup_info 0
		.amdhsa_system_vgpr_workitem_id 1
		.amdhsa_next_free_vgpr 172
		.amdhsa_next_free_sgpr 29
		.amdhsa_reserve_vcc 1
		.amdhsa_reserve_flat_scratch 0
		.amdhsa_float_round_mode_32 0
		.amdhsa_float_round_mode_16_64 0
		.amdhsa_float_denorm_mode_32 3
		.amdhsa_float_denorm_mode_16_64 3
		.amdhsa_dx10_clamp 1
		.amdhsa_ieee_mode 1
		.amdhsa_fp16_overflow 0
		.amdhsa_workgroup_processor_mode 1
		.amdhsa_memory_ordered 1
		.amdhsa_forward_progress 1
		.amdhsa_shared_vgpr_count 0
		.amdhsa_exception_fp_ieee_invalid_op 0
		.amdhsa_exception_fp_denorm_src 0
		.amdhsa_exception_fp_ieee_div_zero 0
		.amdhsa_exception_fp_ieee_overflow 0
		.amdhsa_exception_fp_ieee_underflow 0
		.amdhsa_exception_fp_ieee_inexact 0
		.amdhsa_exception_int_div_zero 0
	.end_amdhsa_kernel
	.section	.text._ZN12_GLOBAL__N_120geam_min_plus_kernelIDF16_Dv2_DF16_S1_Li32ELi8ELi256ELi64ELi4ELi64ELi4ELi4ELi64ELc78ELc78ELb0ELb1ELb1EDF16_KPKDF16_KPDF16_EEviiiT16_PT17_ilS9_ilS7_S9_ilPT18_ili26rocblas_geam_ex_operation_,"axG",@progbits,_ZN12_GLOBAL__N_120geam_min_plus_kernelIDF16_Dv2_DF16_S1_Li32ELi8ELi256ELi64ELi4ELi64ELi4ELi4ELi64ELc78ELc78ELb0ELb1ELb1EDF16_KPKDF16_KPDF16_EEviiiT16_PT17_ilS9_ilS7_S9_ilPT18_ili26rocblas_geam_ex_operation_,comdat
.Lfunc_end212:
	.size	_ZN12_GLOBAL__N_120geam_min_plus_kernelIDF16_Dv2_DF16_S1_Li32ELi8ELi256ELi64ELi4ELi64ELi4ELi4ELi64ELc78ELc78ELb0ELb1ELb1EDF16_KPKDF16_KPDF16_EEviiiT16_PT17_ilS9_ilS7_S9_ilPT18_ili26rocblas_geam_ex_operation_, .Lfunc_end212-_ZN12_GLOBAL__N_120geam_min_plus_kernelIDF16_Dv2_DF16_S1_Li32ELi8ELi256ELi64ELi4ELi64ELi4ELi4ELi64ELc78ELc78ELb0ELb1ELb1EDF16_KPKDF16_KPDF16_EEviiiT16_PT17_ilS9_ilS7_S9_ilPT18_ili26rocblas_geam_ex_operation_
                                        ; -- End function
	.set _ZN12_GLOBAL__N_120geam_min_plus_kernelIDF16_Dv2_DF16_S1_Li32ELi8ELi256ELi64ELi4ELi64ELi4ELi4ELi64ELc78ELc78ELb0ELb1ELb1EDF16_KPKDF16_KPDF16_EEviiiT16_PT17_ilS9_ilS7_S9_ilPT18_ili26rocblas_geam_ex_operation_.num_vgpr, 172
	.set _ZN12_GLOBAL__N_120geam_min_plus_kernelIDF16_Dv2_DF16_S1_Li32ELi8ELi256ELi64ELi4ELi64ELi4ELi4ELi64ELc78ELc78ELb0ELb1ELb1EDF16_KPKDF16_KPDF16_EEviiiT16_PT17_ilS9_ilS7_S9_ilPT18_ili26rocblas_geam_ex_operation_.num_agpr, 0
	.set _ZN12_GLOBAL__N_120geam_min_plus_kernelIDF16_Dv2_DF16_S1_Li32ELi8ELi256ELi64ELi4ELi64ELi4ELi4ELi64ELc78ELc78ELb0ELb1ELb1EDF16_KPKDF16_KPDF16_EEviiiT16_PT17_ilS9_ilS7_S9_ilPT18_ili26rocblas_geam_ex_operation_.numbered_sgpr, 29
	.set _ZN12_GLOBAL__N_120geam_min_plus_kernelIDF16_Dv2_DF16_S1_Li32ELi8ELi256ELi64ELi4ELi64ELi4ELi4ELi64ELc78ELc78ELb0ELb1ELb1EDF16_KPKDF16_KPDF16_EEviiiT16_PT17_ilS9_ilS7_S9_ilPT18_ili26rocblas_geam_ex_operation_.num_named_barrier, 0
	.set _ZN12_GLOBAL__N_120geam_min_plus_kernelIDF16_Dv2_DF16_S1_Li32ELi8ELi256ELi64ELi4ELi64ELi4ELi4ELi64ELc78ELc78ELb0ELb1ELb1EDF16_KPKDF16_KPDF16_EEviiiT16_PT17_ilS9_ilS7_S9_ilPT18_ili26rocblas_geam_ex_operation_.private_seg_size, 0
	.set _ZN12_GLOBAL__N_120geam_min_plus_kernelIDF16_Dv2_DF16_S1_Li32ELi8ELi256ELi64ELi4ELi64ELi4ELi4ELi64ELc78ELc78ELb0ELb1ELb1EDF16_KPKDF16_KPDF16_EEviiiT16_PT17_ilS9_ilS7_S9_ilPT18_ili26rocblas_geam_ex_operation_.uses_vcc, 1
	.set _ZN12_GLOBAL__N_120geam_min_plus_kernelIDF16_Dv2_DF16_S1_Li32ELi8ELi256ELi64ELi4ELi64ELi4ELi4ELi64ELc78ELc78ELb0ELb1ELb1EDF16_KPKDF16_KPDF16_EEviiiT16_PT17_ilS9_ilS7_S9_ilPT18_ili26rocblas_geam_ex_operation_.uses_flat_scratch, 0
	.set _ZN12_GLOBAL__N_120geam_min_plus_kernelIDF16_Dv2_DF16_S1_Li32ELi8ELi256ELi64ELi4ELi64ELi4ELi4ELi64ELc78ELc78ELb0ELb1ELb1EDF16_KPKDF16_KPDF16_EEviiiT16_PT17_ilS9_ilS7_S9_ilPT18_ili26rocblas_geam_ex_operation_.has_dyn_sized_stack, 0
	.set _ZN12_GLOBAL__N_120geam_min_plus_kernelIDF16_Dv2_DF16_S1_Li32ELi8ELi256ELi64ELi4ELi64ELi4ELi4ELi64ELc78ELc78ELb0ELb1ELb1EDF16_KPKDF16_KPDF16_EEviiiT16_PT17_ilS9_ilS7_S9_ilPT18_ili26rocblas_geam_ex_operation_.has_recursion, 0
	.set _ZN12_GLOBAL__N_120geam_min_plus_kernelIDF16_Dv2_DF16_S1_Li32ELi8ELi256ELi64ELi4ELi64ELi4ELi4ELi64ELc78ELc78ELb0ELb1ELb1EDF16_KPKDF16_KPDF16_EEviiiT16_PT17_ilS9_ilS7_S9_ilPT18_ili26rocblas_geam_ex_operation_.has_indirect_call, 0
	.section	.AMDGPU.csdata,"",@progbits
; Kernel info:
; codeLenInByte = 23288
; TotalNumSgprs: 31
; NumVgprs: 172
; ScratchSize: 0
; MemoryBound: 0
; FloatMode: 240
; IeeeMode: 1
; LDSByteSize: 5120 bytes/workgroup (compile time only)
; SGPRBlocks: 0
; VGPRBlocks: 21
; NumSGPRsForWavesPerEU: 31
; NumVGPRsForWavesPerEU: 172
; Occupancy: 5
; WaveLimiterHint : 1
; COMPUTE_PGM_RSRC2:SCRATCH_EN: 0
; COMPUTE_PGM_RSRC2:USER_SGPR: 6
; COMPUTE_PGM_RSRC2:TRAP_HANDLER: 0
; COMPUTE_PGM_RSRC2:TGID_X_EN: 1
; COMPUTE_PGM_RSRC2:TGID_Y_EN: 0
; COMPUTE_PGM_RSRC2:TGID_Z_EN: 1
; COMPUTE_PGM_RSRC2:TIDIG_COMP_CNT: 1
	.section	.text._ZN12_GLOBAL__N_120geam_min_plus_kernelIDF16_Dv2_DF16_S1_Li32ELi8ELi128ELi128ELi4ELi4ELi64ELi4ELi64ELc84ELc78ELb0ELb0ELb1EPKDF16_KS3_KPDF16_EEviiiT16_PT17_ilS9_ilS7_S9_ilPT18_ili26rocblas_geam_ex_operation_,"axG",@progbits,_ZN12_GLOBAL__N_120geam_min_plus_kernelIDF16_Dv2_DF16_S1_Li32ELi8ELi128ELi128ELi4ELi4ELi64ELi4ELi64ELc84ELc78ELb0ELb0ELb1EPKDF16_KS3_KPDF16_EEviiiT16_PT17_ilS9_ilS7_S9_ilPT18_ili26rocblas_geam_ex_operation_,comdat
	.globl	_ZN12_GLOBAL__N_120geam_min_plus_kernelIDF16_Dv2_DF16_S1_Li32ELi8ELi128ELi128ELi4ELi4ELi64ELi4ELi64ELc84ELc78ELb0ELb0ELb1EPKDF16_KS3_KPDF16_EEviiiT16_PT17_ilS9_ilS7_S9_ilPT18_ili26rocblas_geam_ex_operation_ ; -- Begin function _ZN12_GLOBAL__N_120geam_min_plus_kernelIDF16_Dv2_DF16_S1_Li32ELi8ELi128ELi128ELi4ELi4ELi64ELi4ELi64ELc84ELc78ELb0ELb0ELb1EPKDF16_KS3_KPDF16_EEviiiT16_PT17_ilS9_ilS7_S9_ilPT18_ili26rocblas_geam_ex_operation_
	.p2align	8
	.type	_ZN12_GLOBAL__N_120geam_min_plus_kernelIDF16_Dv2_DF16_S1_Li32ELi8ELi128ELi128ELi4ELi4ELi64ELi4ELi64ELc84ELc78ELb0ELb0ELb1EPKDF16_KS3_KPDF16_EEviiiT16_PT17_ilS9_ilS7_S9_ilPT18_ili26rocblas_geam_ex_operation_,@function
_ZN12_GLOBAL__N_120geam_min_plus_kernelIDF16_Dv2_DF16_S1_Li32ELi8ELi128ELi128ELi4ELi4ELi64ELi4ELi64ELc84ELc78ELb0ELb0ELb1EPKDF16_KS3_KPDF16_EEviiiT16_PT17_ilS9_ilS7_S9_ilPT18_ili26rocblas_geam_ex_operation_: ; @_ZN12_GLOBAL__N_120geam_min_plus_kernelIDF16_Dv2_DF16_S1_Li32ELi8ELi128ELi128ELi4ELi4ELi64ELi4ELi64ELc84ELc78ELb0ELb0ELb1EPKDF16_KS3_KPDF16_EEviiiT16_PT17_ilS9_ilS7_S9_ilPT18_ili26rocblas_geam_ex_operation_
; %bb.0:
	s_clause 0x1
	s_load_dwordx4 s[0:3], s[4:5], 0x10
	s_load_dwordx4 s[8:11], s[4:5], 0x28
	s_mov_b32 s18, s7
	s_mov_b32 s19, 0
	v_mov_b32_e32 v2, 0
	s_lshl_b64 s[16:17], s[18:19], 1
	s_waitcnt lgkmcnt(0)
	s_add_u32 s0, s0, s16
	s_addc_u32 s1, s1, s17
	global_load_ushort v45, v2, s[0:1]
	s_clause 0x1
	s_load_dwordx4 s[12:15], s[4:5], 0x40
	s_load_dwordx2 s[20:21], s[4:5], 0x50
	s_waitcnt lgkmcnt(0)
	s_add_u32 s22, s14, s16
	s_addc_u32 s23, s15, s17
	s_mov_b64 s[16:17], 0
	s_mov_b64 s[14:15], 0
	s_waitcnt vmcnt(0)
	v_cmp_eq_f16_e32 vcc_lo, 0, v45
	v_cmp_neq_f16_e64 s0, 0, v45
	s_cbranch_vccnz .LBB213_2
; %bb.1:
	s_lshl_b64 s[14:15], s[18:19], 3
	s_add_u32 s2, s2, s14
	s_addc_u32 s3, s3, s15
	s_lshl_b64 s[8:9], s[8:9], 1
	s_load_dwordx2 s[2:3], s[2:3], 0x0
	s_waitcnt lgkmcnt(0)
	s_add_u32 s14, s2, s8
	s_addc_u32 s15, s3, s9
.LBB213_2:
	global_load_ushort v48, v2, s[22:23]
	v_cndmask_b32_e64 v2, 0, 1, s0
	s_andn2_b32 vcc_lo, exec_lo, s0
	v_cmp_ne_u32_e64 s1, 1, v2
	s_cbranch_vccnz .LBB213_4
; %bb.3:
	s_lshl_b64 s[2:3], s[18:19], 3
	s_add_u32 s2, s10, s2
	s_addc_u32 s3, s11, s3
	s_lshl_b64 s[8:9], s[12:13], 1
	s_load_dwordx2 s[2:3], s[2:3], 0x0
	s_waitcnt lgkmcnt(0)
	s_add_u32 s16, s2, s8
	s_addc_u32 s17, s3, s9
.LBB213_4:
	s_load_dwordx4 s[8:11], s[4:5], 0x60
	s_waitcnt vmcnt(0)
	v_cmp_eq_f16_e32 vcc_lo, 0, v48
	s_and_b32 s0, exec_lo, vcc_lo
	s_mov_b32 vcc_lo, s0
	s_cbranch_vccnz .LBB213_6
; %bb.5:
	s_lshl_b64 s[2:3], s[18:19], 3
	s_add_u32 s2, s20, s2
	s_addc_u32 s3, s21, s3
	s_waitcnt lgkmcnt(0)
	s_lshl_b64 s[8:9], s[8:9], 1
	s_load_dwordx2 s[2:3], s[2:3], 0x0
	s_waitcnt lgkmcnt(0)
	s_add_u32 s8, s2, s8
	s_addc_u32 s9, s3, s9
	s_branch .LBB213_7
.LBB213_6:
	s_waitcnt lgkmcnt(0)
	s_mov_b64 s[8:9], 0
.LBB213_7:
	s_clause 0x1
	s_load_dword s7, s[4:5], 0x0
	s_load_dword s12, s[4:5], 0x20
	s_lshl_b64 s[2:3], s[18:19], 3
	v_and_b32_e32 v10, 3, v0
	s_add_u32 s2, s10, s2
	s_addc_u32 s3, s11, s3
	v_mov_b32_e32 v13, 0
	v_mov_b32_e32 v11, 0
	v_lshlrev_b32_e32 v46, 1, v10
	s_waitcnt lgkmcnt(0)
	s_add_i32 s7, s7, -1
	s_ashr_i32 s10, s7, 31
	s_lshr_b32 s10, s10, 25
	s_add_i32 s7, s7, s10
	s_ashr_i32 s7, s7, 7
	s_add_i32 s10, s7, 1
	s_not_b32 s7, s7
	v_cvt_f32_u32_e32 v2, s10
	v_rcp_iflag_f32_e32 v2, v2
	v_mul_f32_e32 v2, 0x4f7ffffe, v2
	v_cvt_u32_f32_e32 v2, v2
	v_readfirstlane_b32 s11, v2
	v_lshl_add_u32 v2, v1, 5, v0
	s_mul_i32 s7, s7, s11
	v_lshrrev_b32_e32 v12, 2, v2
	s_mul_hi_u32 s7, s11, s7
	s_add_i32 s11, s11, s7
	s_mul_hi_u32 s7, s6, s11
	s_mul_i32 s11, s7, s10
	s_add_i32 s13, s7, 1
	s_sub_i32 s11, s6, s11
	s_sub_i32 s18, s11, s10
	s_cmp_ge_u32 s11, s10
	s_cselect_b32 s7, s13, s7
	s_cselect_b32 s11, s18, s11
	s_add_i32 s13, s7, 1
	s_cmp_ge_u32 s11, s10
	s_cselect_b32 s7, s13, s7
	s_and_b32 vcc_lo, exec_lo, s1
	s_mul_i32 s10, s7, s10
	s_sub_i32 s6, s6, s10
	s_lshl_b32 s10, s6, 7
	v_add_co_u32 v14, s6, s14, v46
	v_add_co_ci_u32_e64 v15, null, s15, 0, s6
	v_add_nc_u32_e32 v2, s10, v12
	s_cbranch_vccnz .LBB213_9
; %bb.8:
	v_mad_i64_i32 v[3:4], null, v2, s12, 0
	v_lshlrev_b64 v[3:4], 1, v[3:4]
	v_add_co_u32 v3, vcc_lo, v14, v3
	v_add_co_ci_u32_e64 v4, null, v15, v4, vcc_lo
	flat_load_ushort v3, v[3:4]
	s_waitcnt vmcnt(0) lgkmcnt(0)
	v_mul_f16_e32 v11, v45, v3
.LBB213_9:
	s_load_dword s13, s[4:5], 0x38
	s_lshl_b32 s11, s7, 7
	v_add_nc_u32_e32 v3, 64, v2
	v_add_nc_u32_e32 v4, s11, v12
	v_mov_b32_e32 v16, 0
	v_mov_b32_e32 v17, 0
	s_and_b32 vcc_lo, exec_lo, s1
	v_add_nc_u32_e32 v5, 64, v4
	s_cbranch_vccnz .LBB213_11
; %bb.10:
	v_mad_i64_i32 v[6:7], null, v3, s12, 0
	s_waitcnt lgkmcnt(0)
	v_mad_i64_i32 v[8:9], null, v4, s13, 0
	v_mad_i64_i32 v[16:17], null, v5, s13, 0
	v_add_co_u32 v13, s6, s16, v46
	v_lshlrev_b64 v[6:7], 1, v[6:7]
	v_add_co_ci_u32_e64 v18, null, s17, 0, s6
	v_lshlrev_b64 v[8:9], 1, v[8:9]
	v_lshlrev_b64 v[16:17], 1, v[16:17]
	v_add_co_u32 v6, vcc_lo, v14, v6
	v_add_co_ci_u32_e64 v7, null, v15, v7, vcc_lo
	v_add_co_u32 v8, vcc_lo, v13, v8
	v_add_co_ci_u32_e64 v9, null, v18, v9, vcc_lo
	v_add_co_u32 v16, vcc_lo, v13, v16
	v_add_co_ci_u32_e64 v17, null, v18, v17, vcc_lo
	flat_load_ushort v6, v[6:7]
	s_clause 0x1
	flat_load_ushort v7, v[8:9]
	flat_load_ushort v8, v[16:17]
	s_waitcnt vmcnt(2) lgkmcnt(2)
	v_mul_f16_e32 v13, v45, v6
	s_waitcnt vmcnt(1) lgkmcnt(1)
	v_mul_f16_e32 v16, v45, v7
	s_waitcnt vmcnt(0) lgkmcnt(0)
	v_mul_f16_e32 v17, v45, v8
.LBB213_11:
	v_mov_b32_e32 v7, 0
	v_mov_b32_e32 v6, 0
	s_and_b32 vcc_lo, exec_lo, s1
	s_cbranch_vccnz .LBB213_13
; %bb.12:
	v_mad_i64_i32 v[8:9], null, v2, s12, 0
	v_lshlrev_b64 v[8:9], 1, v[8:9]
	v_add_co_u32 v8, vcc_lo, v14, v8
	v_add_co_ci_u32_e64 v9, null, v15, v9, vcc_lo
	flat_load_ushort v6, v[8:9] offset:8
	s_waitcnt vmcnt(0) lgkmcnt(0)
	v_mul_f16_e32 v6, v45, v6
.LBB213_13:
	v_mov_b32_e32 v8, 0
	v_mov_b32_e32 v9, 0
	s_and_b32 vcc_lo, exec_lo, s1
	s_cbranch_vccnz .LBB213_15
; %bb.14:
	v_mad_i64_i32 v[7:8], null, v3, s12, 0
	s_waitcnt lgkmcnt(0)
	v_mad_i64_i32 v[18:19], null, v4, s13, 0
	v_mad_i64_i32 v[20:21], null, v5, s13, 0
	v_add_co_u32 v9, s6, s16, v46
	v_lshlrev_b64 v[7:8], 1, v[7:8]
	v_add_co_ci_u32_e64 v22, null, s17, 0, s6
	v_lshlrev_b64 v[18:19], 1, v[18:19]
	v_add_co_u32 v7, vcc_lo, v14, v7
	v_add_co_ci_u32_e64 v8, null, v15, v8, vcc_lo
	v_lshlrev_b64 v[14:15], 1, v[20:21]
	v_add_co_u32 v18, vcc_lo, v9, v18
	v_add_co_ci_u32_e64 v19, null, v22, v19, vcc_lo
	v_add_co_u32 v14, vcc_lo, v9, v14
	v_add_co_ci_u32_e64 v15, null, v22, v15, vcc_lo
	flat_load_ushort v7, v[7:8] offset:8
	s_clause 0x1
	flat_load_ushort v8, v[18:19] offset:8
	flat_load_ushort v9, v[14:15] offset:8
	s_waitcnt vmcnt(2) lgkmcnt(2)
	v_mul_f16_e32 v7, v45, v7
	s_waitcnt vmcnt(1) lgkmcnt(1)
	v_mul_f16_e32 v8, v45, v8
	;; [unrolled: 2-line block ×3, first 2 shown]
.LBB213_15:
	v_lshlrev_b32_e32 v12, 3, v12
	v_lshlrev_b32_e32 v86, 3, v1
	;; [unrolled: 1-line block ×3, first 2 shown]
	s_load_dwordx2 s[6:7], s[2:3], 0x0
	s_load_dword s2, s[4:5], 0x8
	v_lshl_or_b32 v47, v10, 1, v12
	v_add_nc_u32_e32 v30, 0x800, v86
	ds_write_b16 v47, v11
	ds_write_b16 v47, v13 offset:512
	ds_write_b16 v47, v16 offset:2048
	;; [unrolled: 1-line block ×3, first 2 shown]
	s_waitcnt lgkmcnt(0)
	s_barrier
	buffer_gl0_inv
	ds_read2_b64 v[10:13], v87 offset1:32
	ds_read2_b64 v[14:17], v30 offset1:8
	ds_read2_b64 v[18:21], v87 offset0:64 offset1:96
	ds_read2_b64 v[22:25], v30 offset0:16 offset1:24
	;; [unrolled: 1-line block ×3, first 2 shown]
	s_cmp_lt_i32 s2, 9
	s_waitcnt lgkmcnt(3)
	v_pk_add_f16 v31, v10, v14
	v_pk_add_f16 v32, v12, v14
	s_waitcnt lgkmcnt(2)
	v_pk_add_f16 v33, v18, v14
	v_pk_add_f16 v34, v20, v14
	;; [unrolled: 1-line block ×6, first 2 shown]
	s_waitcnt lgkmcnt(1)
	v_pk_add_f16 v39, v10, v22
	v_pk_add_f16 v40, v12, v22
	;; [unrolled: 1-line block ×19, first 2 shown]
	ds_read2_b64 v[14:17], v30 offset0:48 offset1:56
	v_pk_add_f16 v65, v21, v23
	v_pk_add_f16 v66, v11, v25
	;; [unrolled: 1-line block ×5, first 2 shown]
	ds_read2_b64 v[22:25], v30 offset0:64 offset1:72
	s_waitcnt lgkmcnt(2)
	v_pk_add_f16 v51, v10, v26
	v_pk_add_f16 v52, v12, v26
	;; [unrolled: 1-line block ×16, first 2 shown]
	s_waitcnt lgkmcnt(1)
	v_pk_add_f16 v83, v10, v14
	v_pk_add_f16 v84, v12, v14
	;; [unrolled: 1-line block ×14, first 2 shown]
	ds_read2_b64 v[26:29], v30 offset0:80 offset1:88
	v_pk_add_f16 v120, v19, v17
	v_pk_add_f16 v121, v21, v17
	s_waitcnt lgkmcnt(1)
	v_pk_add_f16 v122, v10, v22
	v_pk_add_f16 v123, v12, v22
	;; [unrolled: 1-line block ×14, first 2 shown]
	ds_read2_b64 v[14:17], v30 offset0:96 offset1:104
	v_pk_add_f16 v139, v19, v25
	v_pk_add_f16 v140, v21, v25
	ds_read2_b64 v[22:25], v30 offset0:112 offset1:120
	s_waitcnt lgkmcnt(2)
	v_pk_add_f16 v141, v10, v26
	v_pk_add_f16 v142, v12, v26
	v_pk_add_f16 v143, v18, v26
	v_pk_add_f16 v26, v20, v26
	v_pk_add_f16 v144, v10, v28
	v_pk_add_f16 v145, v12, v28
	v_pk_add_f16 v146, v18, v28
	v_pk_add_f16 v28, v20, v28
	v_pk_add_f16 v147, v11, v27
	v_pk_add_f16 v148, v13, v27
	v_pk_add_f16 v149, v19, v27
	v_pk_add_f16 v27, v21, v27
	v_pk_add_f16 v150, v11, v29
	v_pk_add_f16 v30, v13, v29
	v_pk_add_f16 v151, v19, v29
	v_pk_add_f16 v29, v21, v29
	s_waitcnt lgkmcnt(1)
	v_pk_add_f16 v152, v10, v14
	v_pk_add_f16 v153, v12, v14
	v_pk_add_f16 v154, v18, v14
	v_pk_add_f16 v14, v20, v14
	v_pk_add_f16 v155, v10, v16
	v_pk_add_f16 v156, v12, v16
	v_pk_add_f16 v157, v18, v16
	v_pk_add_f16 v16, v20, v16
	v_pk_add_f16 v158, v11, v15
	v_pk_add_f16 v159, v13, v15
	v_pk_add_f16 v160, v19, v15
	v_pk_add_f16 v15, v21, v15
	v_pk_add_f16 v161, v11, v17
	v_pk_add_f16 v162, v13, v17
	v_pk_add_f16 v163, v19, v17
	v_pk_add_f16 v17, v21, v17
	;; [unrolled: 17-line block ×3, first 2 shown]
	v_pk_min_f16 v25, 0x7c00, v31 op_sel_hi:[0,1]
	v_pk_min_f16 v31, 0x7c00, v32 op_sel_hi:[0,1]
	;; [unrolled: 1-line block ×5, first 2 shown]
	v_pk_min_f16 v128, v25, v54
	v_pk_min_f16 v25, 0x7c00, v36 op_sel_hi:[0,1]
	v_pk_min_f16 v126, v31, v55
	v_pk_min_f16 v31, 0x7c00, v37 op_sel_hi:[0,1]
	;; [unrolled: 2-line block ×4, first 2 shown]
	v_pk_min_f16 v116, v32, v56
	v_pk_min_f16 v127, v33, v57
	;; [unrolled: 1-line block ×3, first 2 shown]
	v_pk_min_f16 v34, 0x7c00, v49 op_sel_hi:[0,1]
	v_pk_min_f16 v105, v25, v64
	v_pk_min_f16 v25, 0x7c00, v50 op_sel_hi:[0,1]
	v_pk_min_f16 v32, 0x7c00, v38 op_sel_hi:[0,1]
	v_pk_min_f16 v33, 0x7c00, v39 op_sel_hi:[0,1]
	v_pk_min_f16 v109, v31, v60
	v_pk_min_f16 v31, 0x7c00, v42 op_sel_hi:[0,1]
	v_pk_min_f16 v101, v34, v68
	v_pk_min_f16 v34, 0x7c00, v70 op_sel_hi:[0,1]
	v_pk_min_f16 v100, v25, v69
	v_pk_min_f16 v25, 0x7c00, v71 op_sel_hi:[0,1]
	v_pk_min_f16 v108, v32, v61
	v_pk_min_f16 v107, v33, v62
	v_pk_min_f16 v32, 0x7c00, v43 op_sel_hi:[0,1]
	v_pk_min_f16 v33, 0x7c00, v44 op_sel_hi:[0,1]
	v_pk_min_f16 v104, v31, v65
	v_pk_min_f16 v31, 0x7c00, v51 op_sel_hi:[0,1]
	v_pk_min_f16 v96, v34, v78
	v_pk_min_f16 v34, 0x7c00, v83 op_sel_hi:[0,1]
	v_pk_min_f16 v95, v25, v79
	v_pk_min_f16 v25, 0x7c00, v84 op_sel_hi:[0,1]
	v_pk_min_f16 v103, v32, v66
	v_pk_min_f16 v102, v33, v67
	v_pk_min_f16 v32, 0x7c00, v52 op_sel_hi:[0,1]
	v_pk_min_f16 v33, 0x7c00, v53 op_sel_hi:[0,1]
	;; [unrolled: 10-line block ×3, first 2 shown]
	v_pk_min_f16 v94, v31, v80
	v_pk_min_f16 v31, 0x7c00, v85 op_sel_hi:[0,1]
	v_pk_min_f16 v83, v25, v120
	v_pk_min_f16 v25, 0x7c00, v125 op_sel_hi:[0,1]
	v_pk_min_f16 v93, v32, v81
	v_pk_min_f16 v92, v33, v82
	v_pk_min_f16 v32, 0x7c00, v88 op_sel_hi:[0,1]
	v_pk_min_f16 v33, 0x7c00, v89 op_sel_hi:[0,1]
	v_pk_min_f16 v89, v31, v114
	v_pk_min_f16 v31, 0x7c00, v112 op_sel_hi:[0,1]
	v_pk_min_f16 v78, v25, v136
	;; [unrolled: 2-line block ×3, first 2 shown]
	v_pk_min_f16 v85, v33, v118
	v_pk_min_f16 v32, 0x7c00, v122 op_sel_hi:[0,1]
	v_pk_min_f16 v33, 0x7c00, v123 op_sel_hi:[0,1]
	v_pk_min_f16 v82, v31, v121
	v_pk_min_f16 v31, 0x7c00, v129 op_sel_hi:[0,1]
	v_pk_min_f16 v26, 0x7c00, v26 op_sel_hi:[0,1]
	;; [unrolled: 3-line block ×3, first 2 shown]
	v_pk_min_f16 v84, v34, v119
	v_pk_min_f16 v34, 0x7c00, v124 op_sel_hi:[0,1]
	v_pk_min_f16 v81, v32, v133
	v_pk_min_f16 v80, v33, v134
	v_pk_min_f16 v32, 0x7c00, v130 op_sel_hi:[0,1]
	v_pk_min_f16 v33, 0x7c00, v131 op_sel_hi:[0,1]
	v_pk_min_f16 v77, v31, v137
	v_pk_min_f16 v31, 0x7c00, v142 op_sel_hi:[0,1]
	v_pk_min_f16 v69, v26, v27
	v_pk_min_f16 v26, 0x7c00, v146 op_sel_hi:[0,1]
	v_pk_min_f16 v27, 0x7c00, v28 op_sel_hi:[0,1]
	;; [unrolled: 1-line block ×3, first 2 shown]
	v_pk_min_f16 v67, v25, v30
	v_pk_min_f16 v25, 0x7c00, v154 op_sel_hi:[0,1]
	v_pk_min_f16 v61, v14, v15
	v_pk_min_f16 v14, 0x7c00, v16 op_sel_hi:[0,1]
	v_pk_min_f16 v15, 0x7c00, v164 op_sel_hi:[0,1]
	;; [unrolled: 1-line block ×3, first 2 shown]
	v_pk_min_f16 v79, v34, v135
	v_pk_min_f16 v34, 0x7c00, v132 op_sel_hi:[0,1]
	v_pk_min_f16 v75, v32, v138
	v_pk_min_f16 v74, v33, v139
	v_pk_min_f16 v32, 0x7c00, v143 op_sel_hi:[0,1]
	v_pk_min_f16 v33, 0x7c00, v144 op_sel_hi:[0,1]
	v_pk_min_f16 v71, v31, v148
	v_pk_min_f16 v31, 0x7c00, v153 op_sel_hi:[0,1]
	v_pk_min_f16 v66, v26, v151
	v_pk_min_f16 v65, v27, v29
	;; [unrolled: 1-line block ×3, first 2 shown]
	v_pk_min_f16 v26, 0x7c00, v155 op_sel_hi:[0,1]
	v_pk_min_f16 v27, 0x7c00, v156 op_sel_hi:[0,1]
	;; [unrolled: 1-line block ×3, first 2 shown]
	v_pk_min_f16 v62, v25, v160
	v_pk_min_f16 v25, 0x7c00, v168 op_sel_hi:[0,1]
	v_pk_min_f16 v58, v14, v17
	v_pk_min_f16 v56, v15, v166
	;; [unrolled: 1-line block ×3, first 2 shown]
	v_pk_min_f16 v14, 0x7c00, v22 op_sel_hi:[0,1]
	v_pk_min_f16 v10, 0x7c00, v10 op_sel_hi:[0,1]
	;; [unrolled: 1-line block ×5, first 2 shown]
	v_pk_min_f16 v73, v34, v140
	v_pk_min_f16 v70, v32, v149
	;; [unrolled: 1-line block ×13, first 2 shown]
	ds_write_b16 v47, v6 offset:1024
	ds_write_b16 v47, v7 offset:1536
	;; [unrolled: 1-line block ×4, first 2 shown]
	s_waitcnt lgkmcnt(0)
	s_barrier
	buffer_gl0_inv
	s_cbranch_scc1 .LBB213_27
; %bb.16:
	v_mad_i64_i32 v[5:6], null, s13, v5, 0
	v_mad_i64_i32 v[7:8], null, s13, v4, 0
	;; [unrolled: 1-line block ×4, first 2 shown]
	v_lshlrev_b64 v[4:5], 1, v[5:6]
	v_add_nc_u32_e32 v76, 0x800, v47
	v_lshlrev_b64 v[6:7], 1, v[7:8]
	v_or_b32_e32 v111, 0x800, v86
	v_add_nc_u32_e32 v112, 0x400, v47
	v_add_nc_u32_e32 v113, 0xc00, v47
	v_add_co_u32 v118, vcc_lo, s16, v4
	v_add_co_ci_u32_e64 v119, null, s17, v5, vcc_lo
	v_lshlrev_b64 v[4:5], 1, v[9:10]
	v_lshlrev_b64 v[2:3], 1, v[2:3]
	v_add_co_u32 v120, vcc_lo, s16, v6
	v_add_co_ci_u32_e64 v121, null, s17, v7, vcc_lo
	v_add_co_u32 v122, vcc_lo, s14, v4
	v_add_co_ci_u32_e64 v123, null, s15, v5, vcc_lo
	v_add_co_u32 v124, vcc_lo, s14, v2
	v_lshl_add_u32 v114, v0, 3, 0x400
	v_lshl_add_u32 v115, v1, 3, 0xc00
	v_add_co_ci_u32_e64 v125, null, s15, v3, vcc_lo
	s_add_i32 s2, s2, -8
	s_mov_b32 s3, 0
	s_branch .LBB213_19
.LBB213_17:                             ;   in Loop: Header=BB213_19 Depth=1
	v_add_co_u32 v6, vcc_lo, v122, v46
	v_add_co_ci_u32_e64 v7, null, 0, v123, vcc_lo
	v_add_co_u32 v130, vcc_lo, v120, v46
	v_add_co_ci_u32_e64 v131, null, 0, v121, vcc_lo
	;; [unrolled: 2-line block ×3, first 2 shown]
	flat_load_ushort v6, v[6:7] offset:24
	flat_load_ushort v7, v[130:131] offset:24
	;; [unrolled: 1-line block ×3, first 2 shown]
	s_waitcnt vmcnt(2) lgkmcnt(2)
	v_mul_f16_e32 v130, v45, v6
	s_waitcnt vmcnt(1) lgkmcnt(1)
	v_mul_f16_e32 v131, v45, v7
	;; [unrolled: 2-line block ×3, first 2 shown]
.LBB213_18:                             ;   in Loop: Header=BB213_19 Depth=1
	v_pk_add_f16 v6, v13, v41
	v_pk_max_f16 v7, v128, v128
	v_pk_add_f16 v8, v15, v41
	v_pk_max_f16 v126, v126, v126
	v_pk_add_f16 v128, v9, v41
	v_pk_max_f16 v116, v116, v116
	v_pk_min_f16 v6, v7, v6
	v_pk_add_f16 v41, v11, v41
	v_pk_min_f16 v7, v126, v8
	v_pk_add_f16 v126, v13, v43
	v_pk_min_f16 v8, v116, v128
	v_pk_max_f16 v116, v127, v127
	v_pk_max_f16 v117, v117, v117
	v_pk_add_f16 v127, v15, v43
	v_pk_add_f16 v128, v9, v43
	;; [unrolled: 1-line block ×3, first 2 shown]
	v_pk_max_f16 v108, v108, v108
	v_pk_max_f16 v110, v110, v110
	v_pk_min_f16 v41, v116, v41
	v_pk_min_f16 v116, v117, v126
	v_pk_max_f16 v107, v107, v107
	v_pk_min_f16 v43, v108, v43
	v_pk_add_f16 v108, v13, v37
	v_pk_add_f16 v117, v15, v37
	;; [unrolled: 1-line block ×4, first 2 shown]
	v_pk_max_f16 v104, v104, v104
	v_pk_min_f16 v110, v110, v127
	v_pk_max_f16 v106, v106, v106
	v_pk_max_f16 v105, v105, v105
	v_pk_add_f16 v127, v13, v39
	v_pk_min_f16 v107, v107, v108
	v_pk_min_f16 v37, v104, v37
	v_pk_add_f16 v104, v15, v39
	v_pk_max_f16 v102, v102, v102
	v_pk_add_f16 v108, v9, v39
	v_pk_add_f16 v39, v11, v39
	v_pk_max_f16 v100, v100, v100
	v_pk_min_f16 v106, v106, v117
	v_pk_min_f16 v105, v105, v126
	v_pk_max_f16 v101, v101, v101
	v_pk_add_f16 v117, v13, v33
	v_pk_max_f16 v99, v99, v99
	v_pk_add_f16 v126, v15, v33
	v_pk_min_f16 v102, v102, v104
	v_pk_min_f16 v39, v100, v39
	v_pk_add_f16 v100, v9, v33
	v_pk_max_f16 v97, v97, v97
	v_pk_add_f16 v33, v11, v33
	v_pk_max_f16 v96, v96, v96
	;; [unrolled: 2-line block ×3, first 2 shown]
	v_pk_min_f16 v101, v101, v108
	v_pk_min_f16 v99, v99, v117
	v_pk_add_f16 v108, v15, v35
	v_pk_add_f16 v117, v9, v35
	v_pk_min_f16 v97, v97, v100
	v_pk_min_f16 v33, v96, v33
	;; [unrolled: 1-line block ×3, first 2 shown]
	v_pk_add_f16 v35, v11, v35
	v_pk_max_f16 v92, v92, v92
	v_pk_add_f16 v96, v13, v29
	v_pk_max_f16 v91, v91, v91
	v_pk_add_f16 v100, v15, v29
	v_pk_add_f16 v104, v9, v29
	;; [unrolled: 1-line block ×3, first 2 shown]
	v_pk_max_f16 v88, v88, v88
	v_pk_max_f16 v90, v90, v90
	v_pk_min_f16 v35, v92, v35
	v_pk_min_f16 v91, v91, v96
	v_pk_max_f16 v85, v85, v85
	v_pk_min_f16 v29, v88, v29
	v_pk_add_f16 v88, v13, v31
	v_pk_add_f16 v92, v15, v31
	v_pk_max_f16 v84, v84, v84
	v_pk_add_f16 v96, v9, v31
	v_pk_add_f16 v31, v11, v31
	v_pk_max_f16 v82, v82, v82
	v_pk_min_f16 v90, v90, v100
	v_pk_max_f16 v83, v83, v83
	v_pk_add_f16 v100, v13, v25
	v_pk_min_f16 v85, v85, v88
	v_pk_min_f16 v84, v84, v92
	;; [unrolled: 1-line block ×3, first 2 shown]
	v_pk_add_f16 v82, v15, v25
	v_pk_max_f16 v80, v80, v80
	v_pk_add_f16 v88, v9, v25
	v_pk_max_f16 v79, v79, v79
	;; [unrolled: 2-line block ×4, first 2 shown]
	v_pk_min_f16 v83, v83, v96
	v_pk_add_f16 v96, v15, v27
	v_pk_min_f16 v80, v80, v82
	v_pk_min_f16 v79, v79, v88
	;; [unrolled: 1-line block ×4, first 2 shown]
	v_pk_add_f16 v78, v9, v27
	v_pk_max_f16 v74, v74, v74
	v_pk_add_f16 v27, v11, v27
	v_pk_max_f16 v73, v73, v73
	;; [unrolled: 2-line block ×3, first 2 shown]
	v_pk_add_f16 v88, v15, v21
	v_pk_add_f16 v92, v9, v21
	;; [unrolled: 1-line block ×3, first 2 shown]
	v_pk_max_f16 v69, v69, v69
	v_pk_min_f16 v74, v74, v78
	v_pk_min_f16 v27, v73, v27
	v_pk_min_f16 v72, v72, v82
	v_pk_add_f16 v73, v13, v23
	v_pk_max_f16 v68, v68, v68
	v_pk_add_f16 v78, v15, v23
	v_pk_max_f16 v67, v67, v67
	v_pk_add_f16 v82, v9, v23
	v_pk_add_f16 v23, v11, v23
	v_pk_max_f16 v65, v65, v65
	v_pk_min_f16 v21, v69, v21
	v_pk_add_f16 v69, v15, v2
	v_pk_max_f16 v63, v63, v63
	v_pk_max_f16 v81, v81, v81
	v_pk_min_f16 v68, v68, v73
	v_pk_min_f16 v67, v67, v78
	;; [unrolled: 1-line block ×3, first 2 shown]
	v_pk_add_f16 v65, v13, v2
	v_pk_add_f16 v73, v9, v2
	v_pk_max_f16 v62, v62, v62
	v_pk_add_f16 v2, v11, v2
	v_pk_max_f16 v61, v61, v61
	;; [unrolled: 2-line block ×3, first 2 shown]
	v_pk_min_f16 v69, v63, v69
	v_pk_add_f16 v63, v15, v17
	v_pk_max_f16 v55, v55, v55
	v_pk_max_f16 v94, v94, v94
	;; [unrolled: 1-line block ×3, first 2 shown]
	v_pk_min_f16 v81, v81, v100
	v_pk_min_f16 v73, v62, v73
	;; [unrolled: 1-line block ×4, first 2 shown]
	v_pk_add_f16 v60, v15, v4
	v_pk_add_f16 v61, v9, v4
	;; [unrolled: 1-line block ×4, first 2 shown]
	v_pk_min_f16 v100, v55, v63
	v_pk_add_f16 v55, v9, v17
	v_pk_add_f16 v17, v11, v17
	;; [unrolled: 1-line block ×5, first 2 shown]
	v_pk_max_f16 v50, v50, v50
	v_pk_add_f16 v11, v11, v19
	v_pk_max_f16 v19, v49, v49
	v_pk_add_f16 v49, v14, v42
	v_pk_max_f16 v109, v109, v109
	v_pk_max_f16 v98, v98, v98
	v_pk_min_f16 v94, v94, v108
	v_pk_min_f16 v93, v93, v117
	;; [unrolled: 1-line block ×3, first 2 shown]
	v_pk_add_f16 v9, v16, v42
	v_pk_min_f16 v117, v6, v49
	v_pk_add_f16 v6, v12, v42
	v_pk_min_f16 v109, v109, v128
	v_pk_min_f16 v98, v98, v126
	;; [unrolled: 1-line block ×3, first 2 shown]
	v_pk_add_f16 v7, v14, v44
	v_pk_min_f16 v128, v41, v6
	v_pk_add_f16 v6, v10, v44
	v_pk_max_f16 v103, v103, v103
	v_pk_add_f16 v50, v10, v42
	v_pk_min_f16 v116, v116, v7
	v_pk_add_f16 v7, v14, v38
	v_pk_min_f16 v109, v109, v6
	;; [unrolled: 2-line block ×3, first 2 shown]
	v_pk_min_f16 v127, v8, v50
	v_pk_min_f16 v107, v107, v7
	v_pk_add_f16 v7, v12, v38
	v_pk_min_f16 v106, v106, v6
	v_pk_add_f16 v6, v16, v40
	v_pk_add_f16 v8, v16, v44
	v_pk_max_f16 v89, v89, v89
	v_pk_min_f16 v146, v37, v7
	v_pk_add_f16 v7, v10, v40
	v_pk_min_f16 v102, v102, v6
	v_pk_add_f16 v6, v14, v34
	v_pk_max_f16 v75, v75, v75
	v_pk_max_f16 v66, v66, v66
	v_pk_min_f16 v101, v101, v7
	v_pk_add_f16 v7, v10, v34
	v_pk_min_f16 v99, v99, v6
	v_pk_add_f16 v6, v12, v34
	v_pk_max_f16 v64, v64, v64
	v_pk_max_f16 v56, v56, v56
	v_pk_min_f16 v110, v110, v8
	v_pk_add_f16 v8, v10, v38
	v_pk_min_f16 v97, v97, v7
	v_pk_add_f16 v7, v16, v36
	;; [unrolled: 2-line block ×3, first 2 shown]
	v_pk_min_f16 v89, v89, v104
	v_pk_min_f16 v75, v75, v96
	v_pk_max_f16 v71, v71, v71
	v_pk_max_f16 v70, v70, v70
	v_pk_min_f16 v66, v66, v82
	v_pk_min_f16 v82, v64, v65
	v_pk_max_f16 v59, v59, v59
	v_pk_max_f16 v57, v57, v57
	v_pk_min_f16 v96, v56, v62
	v_pk_min_f16 v105, v105, v8
	v_pk_add_f16 v8, v12, v40
	v_pk_min_f16 v65, v94, v7
	v_pk_add_f16 v7, v14, v30
	;; [unrolled: 2-line block ×3, first 2 shown]
	v_pk_min_f16 v71, v71, v88
	v_pk_min_f16 v70, v70, v92
	;; [unrolled: 1-line block ×5, first 2 shown]
	v_pk_add_f16 v8, v14, v36
	v_pk_min_f16 v61, v91, v7
	v_pk_add_f16 v7, v14, v32
	v_pk_min_f16 v59, v89, v6
	v_pk_add_f16 v6, v16, v32
	v_pk_max_f16 v54, v54, v54
	v_pk_max_f16 v52, v52, v52
	v_pk_add_f16 v9, v12, v44
	v_pk_min_f16 v63, v95, v8
	v_pk_add_f16 v8, v16, v30
	v_pk_min_f16 v56, v85, v7
	;; [unrolled: 2-line block ×3, first 2 shown]
	v_pk_add_f16 v6, v16, v26
	v_pk_max_f16 v53, v53, v53
	v_pk_min_f16 v104, v54, v55
	v_pk_min_f16 v13, v52, v13
	v_pk_min_f16 v145, v43, v9
	v_pk_add_f16 v9, v14, v40
	v_pk_min_f16 v60, v90, v8
	v_pk_add_f16 v8, v10, v32
	v_pk_min_f16 v54, v31, v7
	;; [unrolled: 2-line block ×4, first 2 shown]
	v_pk_min_f16 v103, v103, v9
	v_pk_add_f16 v9, v16, v34
	v_pk_min_f16 v55, v83, v8
	v_pk_add_f16 v8, v12, v26
	v_pk_min_f16 v53, v79, v7
	v_pk_add_f16 v7, v10, v28
	v_pk_min_f16 v49, v77, v6
	v_pk_add_f16 v6, v12, v28
	v_pk_min_f16 v98, v98, v9
	v_pk_add_f16 v9, v10, v36
	v_pk_min_f16 v50, v25, v8
	v_pk_add_f16 v8, v14, v22
	v_pk_min_f16 v44, v74, v7
	v_pk_add_f16 v7, v16, v22
	v_pk_min_f16 v42, v27, v6
	v_pk_add_f16 v6, v12, v22
	v_pk_max_f16 v58, v58, v58
	v_pk_min_f16 v64, v93, v9
	v_pk_add_f16 v9, v12, v30
	v_pk_min_f16 v41, v72, v8
	v_pk_min_f16 v40, v71, v7
	v_pk_add_f16 v7, v14, v24
	v_pk_add_f16 v8, v16, v24
	v_pk_min_f16 v38, v21, v6
	v_pk_add_f16 v6, v10, v24
	v_pk_min_f16 v4, v58, v4
	v_pk_max_f16 v51, v51, v51
	v_pk_min_f16 v58, v29, v9
	v_pk_add_f16 v9, v14, v26
	v_pk_min_f16 v37, v68, v7
	v_pk_min_f16 v36, v67, v8
	v_pk_add_f16 v7, v14, v3
	v_pk_min_f16 v35, v66, v6
	v_pk_add_f16 v6, v16, v3
	v_pk_add_f16 v8, v10, v3
	;; [unrolled: 1-line block ×3, first 2 shown]
	v_pk_min_f16 v15, v51, v15
	v_pk_min_f16 v51, v81, v9
	v_pk_add_f16 v9, v16, v28
	v_pk_min_f16 v32, v82, v7
	v_pk_add_f16 v7, v14, v5
	;; [unrolled: 2-line block ×4, first 2 shown]
	v_pk_add_f16 v3, v12, v5
	v_pk_add_f16 v5, v14, v18
	v_pk_min_f16 v43, v75, v9
	v_pk_add_f16 v9, v10, v22
	v_pk_min_f16 v26, v92, v2
	v_pk_min_f16 v22, v4, v3
	;; [unrolled: 1-line block ×3, first 2 shown]
	ds_read2_b64 v[2:5], v87 offset1:32
	ds_read2_b64 v[66:69], v111 offset1:8
	v_pk_min_f16 v39, v70, v9
	v_pk_add_f16 v9, v12, v24
	v_pk_min_f16 v25, v88, v6
	v_pk_add_f16 v6, v16, v18
	v_pk_min_f16 v31, v73, v8
	v_pk_min_f16 v24, v78, v7
	;; [unrolled: 1-line block ×5, first 2 shown]
	ds_read2_b64 v[6:9], v87 offset0:64 offset1:96
	v_pk_add_f16 v19, v10, v18
	ds_read2_b64 v[70:73], v111 offset0:16 offset1:24
	v_pk_max_f16 v126, v126, v126
	v_pk_max_f16 v100, v117, v117
	v_pk_add_f16 v10, v10, v20
	v_pk_min_f16 v27, v104, v19
	v_pk_max_f16 v127, v127, v127
	v_pk_max_f16 v141, v128, v128
	v_pk_add_f16 v18, v12, v18
	s_waitcnt lgkmcnt(2)
	v_pk_add_f16 v75, v4, v66
	v_pk_add_f16 v74, v2, v66
	;; [unrolled: 1-line block ×5, first 2 shown]
	v_pk_min_f16 v75, v126, v75
	v_pk_add_f16 v96, v3, v67
	v_pk_min_f16 v74, v100, v74
	v_pk_min_f16 v19, v108, v10
	v_pk_add_f16 v117, v3, v69
	s_waitcnt lgkmcnt(1)
	v_pk_add_f16 v81, v6, v66
	v_pk_add_f16 v84, v6, v68
	;; [unrolled: 1-line block ×3, first 2 shown]
	v_pk_min_f16 v126, v75, v104
	v_pk_max_f16 v104, v145, v145
	v_pk_add_f16 v108, v7, v67
	v_pk_add_f16 v152, v5, v69
	;; [unrolled: 1-line block ×4, first 2 shown]
	v_pk_min_f16 v81, v127, v81
	v_pk_min_f16 v128, v74, v96
	v_pk_max_f16 v74, v116, v116
	v_pk_min_f16 v68, v104, v68
	s_waitcnt lgkmcnt(0)
	v_pk_add_f16 v88, v4, v70
	v_pk_min_f16 v116, v81, v108
	v_pk_add_f16 v14, v14, v20
	v_pk_min_f16 v74, v74, v82
	v_pk_min_f16 v108, v68, v69
	v_pk_max_f16 v68, v106, v106
	v_pk_add_f16 v16, v16, v20
	v_pk_add_f16 v12, v12, v20
	;; [unrolled: 1-line block ×3, first 2 shown]
	v_pk_min_f16 v117, v74, v117
	v_pk_max_f16 v74, v109, v109
	v_pk_min_f16 v68, v68, v88
	v_pk_min_f16 v28, v17, v18
	;; [unrolled: 1-line block ×5, first 2 shown]
	ds_read2_b64 v[77:80], v111 offset0:32 offset1:40
	ds_read2_b64 v[133:136], v111 offset0:48 offset1:56
	;; [unrolled: 1-line block ×5, first 2 shown]
	v_pk_add_f16 v85, v2, v70
	v_pk_add_f16 v89, v6, v70
	;; [unrolled: 1-line block ×3, first 2 shown]
	v_pk_min_f16 v74, v74, v84
	v_pk_min_f16 v106, v68, v155
	v_pk_max_f16 v68, v146, v146
	v_pk_add_f16 v91, v4, v72
	v_pk_add_f16 v154, v3, v71
	;; [unrolled: 1-line block ×4, first 2 shown]
	v_pk_min_f16 v109, v74, v153
	v_pk_max_f16 v74, v107, v107
	v_pk_min_f16 v68, v68, v70
	v_pk_max_f16 v88, v102, v102
	v_pk_add_f16 v66, v8, v66
	v_pk_add_f16 v100, v5, v73
	v_pk_min_f16 v74, v74, v85
	v_pk_max_f16 v85, v105, v105
	v_pk_min_f16 v104, v68, v71
	v_pk_min_f16 v71, v88, v91
	v_pk_add_f16 v90, v2, v72
	v_pk_add_f16 v92, v6, v72
	;; [unrolled: 1-line block ×3, first 2 shown]
	s_waitcnt lgkmcnt(4)
	v_pk_add_f16 v93, v2, v77
	v_pk_add_f16 v67, v9, v67
	v_pk_min_f16 v66, v141, v66
	v_pk_min_f16 v85, v85, v89
	;; [unrolled: 1-line block ×3, first 2 shown]
	v_pk_max_f16 v71, v147, v147
	v_pk_max_f16 v88, v99, v99
	v_pk_add_f16 v149, v2, v79
	v_pk_add_f16 v151, v6, v79
	;; [unrolled: 1-line block ×3, first 2 shown]
	v_pk_min_f16 v127, v66, v67
	v_pk_max_f16 v66, v110, v110
	v_pk_min_f16 v105, v85, v156
	v_pk_max_f16 v85, v103, v103
	v_pk_min_f16 v71, v71, v72
	v_pk_min_f16 v72, v88, v93
	v_pk_max_f16 v63, v63, v63
	v_pk_max_f16 v64, v64, v64
	v_pk_add_f16 v95, v6, v77
	v_pk_add_f16 v150, v4, v79
	;; [unrolled: 1-line block ×6, first 2 shown]
	s_waitcnt lgkmcnt(3)
	v_pk_add_f16 v82, v2, v133
	v_pk_add_f16 v67, v4, v133
	v_pk_min_f16 v66, v66, v83
	v_pk_min_f16 v85, v85, v90
	;; [unrolled: 1-line block ×3, first 2 shown]
	v_pk_max_f16 v72, v97, v97
	v_pk_min_f16 v63, v63, v149
	v_pk_min_f16 v64, v64, v151
	v_pk_max_f16 v62, v62, v62
	v_pk_max_f16 v61, v61, v61
	;; [unrolled: 1-line block ×3, first 2 shown]
	v_pk_add_f16 v158, v7, v73
	v_pk_add_f16 v73, v9, v73
	;; [unrolled: 1-line block ×7, first 2 shown]
	v_pk_min_f16 v110, v66, v152
	v_pk_add_f16 v66, v4, v135
	v_pk_add_f16 v133, v6, v135
	v_pk_min_f16 v103, v85, v157
	v_pk_max_f16 v85, v101, v101
	v_pk_min_f16 v72, v72, v95
	v_pk_min_f16 v95, v63, v159
	;; [unrolled: 1-line block ×5, first 2 shown]
	v_pk_add_f16 v63, v3, v134
	v_pk_min_f16 v60, v60, v67
	v_pk_add_f16 v64, v5, v134
	v_pk_max_f16 v56, v56, v56
	v_pk_max_f16 v57, v57, v57
	;; [unrolled: 1-line block ×3, first 2 shown]
	v_pk_add_f16 v94, v4, v77
	v_pk_add_f16 v135, v8, v135
	s_waitcnt lgkmcnt(2)
	v_pk_add_f16 v69, v2, v137
	v_pk_add_f16 v145, v4, v137
	v_pk_min_f16 v85, v85, v92
	v_pk_min_f16 v100, v71, v73
	v_pk_max_f16 v71, v98, v98
	v_pk_min_f16 v92, v62, v80
	v_pk_min_f16 v91, v61, v63
	v_pk_max_f16 v58, v58, v58
	v_pk_min_f16 v90, v60, v64
	v_pk_add_f16 v60, v3, v136
	v_pk_min_f16 v56, v56, v84
	v_pk_add_f16 v61, v5, v136
	;; [unrolled: 2-line block ×3, first 2 shown]
	v_pk_min_f16 v55, v55, v133
	v_pk_max_f16 v54, v54, v54
	v_pk_max_f16 v51, v51, v51
	;; [unrolled: 1-line block ×3, first 2 shown]
	v_pk_add_f16 v77, v8, v77
	v_pk_add_f16 v81, v5, v78
	;; [unrolled: 1-line block ×3, first 2 shown]
	v_pk_min_f16 v107, v74, v154
	v_pk_add_f16 v74, v8, v137
	v_pk_add_f16 v137, v2, v139
	v_pk_add_f16 v153, v6, v139
	v_pk_min_f16 v101, v85, v158
	v_pk_min_f16 v71, v71, v94
	v_pk_max_f16 v73, v148, v148
	v_pk_min_f16 v58, v58, v83
	v_pk_min_f16 v85, v56, v60
	v_pk_min_f16 v84, v57, v61
	v_pk_min_f16 v83, v55, v62
	v_pk_add_f16 v55, v9, v136
	v_pk_min_f16 v54, v54, v135
	v_pk_add_f16 v56, v3, v138
	v_pk_min_f16 v51, v51, v69
	;; [unrolled: 2-line block ×3, first 2 shown]
	v_pk_max_f16 v50, v50, v50
	v_pk_max_f16 v49, v49, v49
	;; [unrolled: 1-line block ×3, first 2 shown]
	v_pk_add_f16 v96, v7, v78
	v_pk_add_f16 v78, v9, v78
	;; [unrolled: 1-line block ×4, first 2 shown]
	s_waitcnt lgkmcnt(1)
	v_pk_add_f16 v139, v2, v14
	v_pk_add_f16 v68, v4, v14
	;; [unrolled: 1-line block ×4, first 2 shown]
	v_pk_min_f16 v98, v71, v81
	v_pk_min_f16 v71, v73, v77
	;; [unrolled: 1-line block ×5, first 2 shown]
	v_pk_add_f16 v51, v9, v138
	v_pk_min_f16 v50, v50, v74
	v_pk_add_f16 v52, v3, v140
	v_pk_min_f16 v49, v49, v137
	;; [unrolled: 2-line block ×3, first 2 shown]
	v_pk_max_f16 v38, v38, v38
	v_pk_min_f16 v97, v72, v96
	v_pk_min_f16 v96, v71, v78
	v_pk_max_f16 v65, v65, v65
	v_pk_min_f16 v78, v50, v51
	v_pk_min_f16 v77, v49, v52
	;; [unrolled: 1-line block ×3, first 2 shown]
	v_pk_add_f16 v44, v3, v15
	v_pk_add_f16 v49, v5, v15
	;; [unrolled: 1-line block ×4, first 2 shown]
	v_pk_min_f16 v14, v38, v14
	v_pk_add_f16 v147, v2, v16
	v_pk_add_f16 v155, v4, v16
	;; [unrolled: 1-line block ×4, first 2 shown]
	v_pk_min_f16 v65, v65, v150
	v_pk_max_f16 v59, v59, v59
	v_pk_min_f16 v69, v14, v15
	v_pk_max_f16 v14, v34, v34
	ds_read2_b64 v[141:144], v111 offset0:112 offset1:120
	v_pk_min_f16 v94, v65, v160
	v_pk_min_f16 v59, v59, v162
	v_pk_add_f16 v65, v7, v134
	v_pk_max_f16 v40, v40, v40
	v_pk_max_f16 v39, v39, v39
	v_pk_add_f16 v15, v9, v17
	v_pk_min_f16 v14, v14, v16
	s_waitcnt lgkmcnt(1)
	v_pk_add_f16 v157, v2, v10
	v_pk_add_f16 v158, v4, v10
	;; [unrolled: 1-line block ×4, first 2 shown]
	v_pk_min_f16 v89, v59, v65
	v_pk_max_f16 v42, v42, v42
	v_pk_min_f16 v40, v40, v68
	v_pk_min_f16 v39, v39, v154
	;; [unrolled: 1-line block ×3, first 2 shown]
	v_pk_max_f16 v14, v30, v30
	v_pk_min_f16 v42, v42, v70
	v_pk_min_f16 v71, v40, v49
	;; [unrolled: 1-line block ×3, first 2 shown]
	v_pk_add_f16 v38, v3, v17
	v_pk_add_f16 v39, v5, v17
	;; [unrolled: 1-line block ×3, first 2 shown]
	v_pk_max_f16 v17, v32, v32
	v_pk_max_f16 v16, v33, v33
	v_pk_add_f16 v32, v3, v11
	v_pk_add_f16 v33, v5, v11
	;; [unrolled: 1-line block ×4, first 2 shown]
	v_pk_min_f16 v10, v14, v10
	v_pk_add_f16 v148, v2, v12
	v_pk_add_f16 v164, v4, v12
	;; [unrolled: 1-line block ×5, first 2 shown]
	v_pk_max_f16 v53, v53, v53
	v_pk_min_f16 v16, v16, v158
	v_pk_max_f16 v14, v25, v25
	v_pk_min_f16 v61, v10, v11
	v_pk_max_f16 v10, v22, v22
	s_waitcnt lgkmcnt(0)
	v_pk_add_f16 v166, v2, v141
	v_pk_min_f16 v88, v58, v59
	v_pk_add_f16 v58, v7, v138
	v_pk_min_f16 v53, v53, v152
	v_pk_min_f16 v17, v17, v157
	;; [unrolled: 1-line block ×3, first 2 shown]
	v_pk_max_f16 v15, v24, v24
	v_pk_add_f16 v16, v3, v13
	v_pk_add_f16 v24, v5, v13
	v_pk_min_f16 v14, v14, v164
	v_pk_add_f16 v25, v7, v13
	v_pk_add_f16 v11, v9, v13
	v_pk_max_f16 v13, v21, v21
	v_pk_min_f16 v10, v10, v12
	v_pk_add_f16 v149, v4, v141
	v_pk_add_f16 v2, v2, v143
	v_pk_min_f16 v79, v53, v58
	v_pk_max_f16 v43, v43, v43
	v_pk_min_f16 v64, v17, v32
	v_pk_max_f16 v17, v26, v26
	v_pk_min_f16 v15, v15, v148
	v_pk_min_f16 v59, v14, v24
	v_pk_max_f16 v12, v29, v29
	v_pk_add_f16 v14, v3, v142
	v_pk_min_f16 v13, v13, v166
	v_pk_min_f16 v58, v10, v11
	v_pk_max_f16 v11, v23, v23
	v_pk_add_f16 v150, v6, v141
	v_pk_add_f16 v141, v8, v141
	;; [unrolled: 1-line block ×6, first 2 shown]
	v_pk_min_f16 v43, v43, v146
	v_pk_max_f16 v41, v41, v41
	v_pk_max_f16 v37, v37, v37
	;; [unrolled: 1-line block ×5, first 2 shown]
	v_pk_min_f16 v17, v17, v165
	v_pk_min_f16 v60, v15, v16
	v_pk_max_f16 v15, v27, v27
	v_pk_add_f16 v16, v5, v142
	v_pk_min_f16 v12, v12, v149
	v_pk_min_f16 v56, v13, v14
	v_pk_max_f16 v10, v28, v28
	v_pk_max_f16 v13, v20, v20
	v_pk_min_f16 v2, v11, v2
	v_pk_max_f16 v11, v19, v19
	v_pk_max_f16 v14, v18, v18
	v_add_co_u32 v118, vcc_lo, v118, 16
	v_add_co_ci_u32_e64 v119, null, 0, v119, vcc_lo
	v_add_co_u32 v120, vcc_lo, v120, 16
	v_pk_min_f16 v75, v43, v53
	v_pk_add_f16 v43, v9, v140
	v_pk_min_f16 v41, v41, v139
	v_pk_min_f16 v37, v37, v147
	;; [unrolled: 1-line block ×6, first 2 shown]
	v_pk_add_f16 v17, v7, v142
	v_pk_min_f16 v15, v15, v150
	v_pk_min_f16 v55, v12, v16
	v_pk_add_f16 v12, v9, v142
	v_pk_min_f16 v10, v10, v141
	v_pk_add_f16 v3, v3, v144
	v_pk_add_f16 v5, v5, v144
	v_pk_min_f16 v4, v13, v4
	v_pk_add_f16 v7, v7, v144
	v_pk_min_f16 v6, v11, v6
	;; [unrolled: 2-line block ×3, first 2 shown]
	v_add_co_ci_u32_e64 v121, null, 0, v121, vcc_lo
	v_add_co_u32 v122, vcc_lo, v122, 16
	v_add_co_ci_u32_e64 v123, null, 0, v123, vcc_lo
	v_add_co_u32 v124, vcc_lo, v124, 16
	v_pk_min_f16 v73, v42, v43
	v_pk_min_f16 v72, v41, v44
	;; [unrolled: 1-line block ×12, first 2 shown]
	v_add_co_ci_u32_e64 v125, null, 0, v125, vcc_lo
	s_add_i32 s3, s3, 8
	ds_write_b16 v112, v129
	ds_write_b16 v112, v130 offset:512
	ds_write_b16 v113, v131
	ds_write_b16 v113, v132 offset:512
	s_cmp_ge_i32 s3, s2
	s_waitcnt lgkmcnt(0)
	s_barrier
	buffer_gl0_inv
	s_cbranch_scc1 .LBB213_27
.LBB213_19:                             ; =>This Inner Loop Header: Depth=1
	v_mov_b32_e32 v6, 0
	s_and_b32 vcc_lo, exec_lo, s1
	s_cbranch_vccnz .LBB213_21
; %bb.20:                               ;   in Loop: Header=BB213_19 Depth=1
	v_add_co_u32 v2, vcc_lo, v124, v46
	v_add_co_ci_u32_e64 v3, null, 0, v125, vcc_lo
	flat_load_ushort v2, v[2:3] offset:16
	s_waitcnt vmcnt(0) lgkmcnt(0)
	v_mul_f16_e32 v6, v45, v2
.LBB213_21:                             ;   in Loop: Header=BB213_19 Depth=1
	v_mov_b32_e32 v129, 0
	v_mov_b32_e32 v7, 0
	v_mov_b32_e32 v8, 0
	v_mov_b32_e32 v130, 0
	s_and_b32 vcc_lo, exec_lo, s1
	s_cbranch_vccnz .LBB213_23
; %bb.22:                               ;   in Loop: Header=BB213_19 Depth=1
	v_add_co_u32 v2, vcc_lo, v122, v46
	v_add_co_ci_u32_e64 v3, null, 0, v123, vcc_lo
	v_add_co_u32 v4, vcc_lo, v120, v46
	v_add_co_ci_u32_e64 v5, null, 0, v121, vcc_lo
	;; [unrolled: 2-line block ×3, first 2 shown]
	flat_load_ushort v2, v[2:3] offset:16
	flat_load_ushort v3, v[4:5] offset:16
	;; [unrolled: 1-line block ×3, first 2 shown]
	s_waitcnt vmcnt(2) lgkmcnt(2)
	v_mul_f16_e32 v7, v45, v2
	s_waitcnt vmcnt(1) lgkmcnt(1)
	v_mul_f16_e32 v8, v45, v3
	s_waitcnt vmcnt(0) lgkmcnt(0)
	v_mul_f16_e32 v130, v45, v4
.LBB213_23:                             ;   in Loop: Header=BB213_19 Depth=1
	ds_read2_b64 v[13:16], v114 offset1:32
	ds_read2_b64 v[9:12], v114 offset0:64 offset1:96
	ds_read2_b64 v[41:44], v115 offset1:8
	ds_read2_b64 v[37:40], v115 offset0:16 offset1:24
	ds_read2_b64 v[33:36], v115 offset0:32 offset1:40
	;; [unrolled: 1-line block ×7, first 2 shown]
	s_and_b32 vcc_lo, exec_lo, s1
	ds_write_b16 v47, v6
	ds_write_b16 v47, v7 offset:512
	ds_write_b16 v76, v8
	ds_write_b16 v76, v130 offset:512
	s_waitcnt lgkmcnt(0)
	s_barrier
	buffer_gl0_inv
	s_cbranch_vccnz .LBB213_25
; %bb.24:                               ;   in Loop: Header=BB213_19 Depth=1
	v_add_co_u32 v6, vcc_lo, v124, v46
	v_add_co_ci_u32_e64 v7, null, 0, v125, vcc_lo
	flat_load_ushort v6, v[6:7] offset:24
	s_waitcnt vmcnt(0) lgkmcnt(0)
	v_mul_f16_e32 v129, v45, v6
.LBB213_25:                             ;   in Loop: Header=BB213_19 Depth=1
	s_and_b32 vcc_lo, exec_lo, s1
	s_cbranch_vccz .LBB213_17
; %bb.26:                               ;   in Loop: Header=BB213_19 Depth=1
	v_mov_b32_e32 v130, 0
	v_mov_b32_e32 v131, 0
	v_mov_b32_e32 v132, 0
	s_branch .LBB213_18
.LBB213_27:
	s_load_dword s3, s[4:5], 0x58
	v_add_nc_u32_e32 v76, s11, v1
	ds_read_b64 v[38:39], v87 offset:1024
	ds_read_b64 v[46:47], v86 offset:3072
	v_add_nc_u32_e32 v44, s10, v0
	v_cmp_neq_f16_e64 s2, 0, v48
	v_mov_b32_e32 v40, 0
	v_mov_b32_e32 v41, 0
	v_ashrrev_i32_e32 v45, 31, v44
	s_and_b32 vcc_lo, exec_lo, s2
	v_lshlrev_b64 v[36:37], 1, v[44:45]
	s_waitcnt lgkmcnt(0)
	v_mad_i64_i32 v[1:2], null, v76, s3, 0
	v_lshlrev_b64 v[0:1], 1, v[1:2]
	v_add_co_u32 v111, s1, s8, v0
	v_add_co_ci_u32_e64 v112, null, s9, v1, s1
	s_cbranch_vccz .LBB213_29
; %bb.28:
	v_add_co_u32 v0, vcc_lo, v111, v36
	v_add_co_ci_u32_e64 v1, null, v112, v37, vcc_lo
	flat_load_ushort v0, v[0:1]
	s_waitcnt vmcnt(0) lgkmcnt(0)
	v_mul_f16_e32 v0, v48, v0
	v_cvt_f32_f16_e32 v41, v0
.LBB213_29:
	s_load_dword s10, s[4:5], 0x70
	v_pk_add_f16 v5, v38, v46
	v_pk_add_f16 v6, v39, v47
	s_load_dwordx2 s[4:5], s[4:5], 0x78
	v_max_f16_e32 v7, v128, v128
	v_lshrrev_b32_e32 v8, 16, v128
	v_lshrrev_b32_e32 v9, 16, v5
	;; [unrolled: 1-line block ×3, first 2 shown]
	v_add_nc_u32_e32 v4, 0x800, v86
	v_min_f16_e32 v5, v7, v5
	ds_read2_b64 v[0:3], v87 offset0:160 offset1:192
	ds_read_b64 v[32:33], v87 offset:1792
	v_add_nc_u32_e32 v113, 32, v44
	v_min3_f16 v7, v8, v9, v10
	ds_read2_b64 v[28:31], v4 offset0:136 offset1:144
	ds_read2_b64 v[24:27], v4 offset0:152 offset1:160
	;; [unrolled: 1-line block ×6, first 2 shown]
	v_ashrrev_i32_e32 v114, 31, v113
	v_min3_f16 v45, v5, v6, v7
	ds_read2_b64 v[4:7], v4 offset0:232 offset1:240
	ds_read_b64 v[34:35], v86 offset:4032
	v_max_f32_e32 v86, v41, v41
	s_waitcnt lgkmcnt(0)
	v_mad_i64_i32 v[42:43], null, v76, s10, 0
	v_cvt_f32_f16_e32 v45, v45
	s_lshl_b64 s[4:5], s[4:5], 1
	s_add_u32 s4, s6, s4
	s_addc_u32 s5, s7, s5
	v_lshlrev_b64 v[41:42], 1, v[42:43]
	v_min_f32_e32 v43, v86, v45
	v_cndmask_b32_e64 v45, 0, 1, s2
	v_add_co_u32 v86, vcc_lo, s4, v41
	v_add_co_ci_u32_e64 v87, null, s5, v42, vcc_lo
	v_cvt_f16_f32_e32 v41, v43
	v_add_co_u32 v118, vcc_lo, v86, v36
	v_lshlrev_b64 v[42:43], 1, v[113:114]
	v_cmp_ne_u32_e64 s1, 1, v45
	v_add_co_ci_u32_e64 v119, null, v87, v37, vcc_lo
	s_andn2_b32 vcc_lo, exec_lo, s2
	flat_store_short v[118:119], v41
	s_cbranch_vccnz .LBB213_31
; %bb.30:
	v_add_co_u32 v40, vcc_lo, v111, v42
	v_add_co_ci_u32_e64 v41, null, v112, v43, vcc_lo
	flat_load_ushort v40, v[40:41]
	s_waitcnt vmcnt(0) lgkmcnt(0)
	v_mul_f16_e32 v40, v48, v40
	v_cvt_f32_f16_e32 v40, v40
.LBB213_31:
	v_pk_add_f16 v41, v0, v46
	v_pk_add_f16 v45, v1, v47
	v_max_f16_e32 v113, v126, v126
	v_lshrrev_b32_e32 v114, 16, v126
	v_max_f32_e32 v40, v40, v40
	v_lshrrev_b32_e32 v115, 16, v41
	v_lshrrev_b32_e32 v118, 16, v45
	v_min_f16_e32 v41, v113, v41
	v_min3_f16 v113, v114, v115, v118
	v_add_nc_u32_e32 v114, 64, v44
	v_add_co_u32 v118, vcc_lo, v86, v42
	v_add_co_ci_u32_e64 v119, null, v87, v43, vcc_lo
	v_min3_f16 v41, v41, v45, v113
	v_ashrrev_i32_e32 v115, 31, v114
	v_mov_b32_e32 v113, 0
	v_mov_b32_e32 v45, 0
	s_and_b32 vcc_lo, exec_lo, s1
	v_cvt_f32_f16_e32 v41, v41
	v_min_f32_e32 v40, v40, v41
	v_cvt_f16_f32_e32 v120, v40
	v_lshlrev_b64 v[40:41], 1, v[114:115]
	flat_store_short v[118:119], v120
	s_cbranch_vccnz .LBB213_33
; %bb.32:
	v_add_co_u32 v114, vcc_lo, v111, v40
	v_add_co_ci_u32_e64 v115, null, v112, v41, vcc_lo
	flat_load_ushort v45, v[114:115]
	s_waitcnt vmcnt(0) lgkmcnt(0)
	v_mul_f16_e32 v45, v48, v45
	v_cvt_f32_f16_e32 v45, v45
.LBB213_33:
	v_pk_add_f16 v114, v2, v46
	v_pk_add_f16 v115, v3, v47
	v_max_f16_e32 v118, v116, v116
	v_lshrrev_b32_e32 v116, 16, v116
	v_add_nc_u32_e32 v44, 0x60, v44
	v_lshrrev_b32_e32 v119, 16, v114
	v_lshrrev_b32_e32 v120, 16, v115
	v_min_f16_e32 v114, v118, v114
	v_min3_f16 v116, v116, v119, v120
	v_min3_f16 v114, v114, v115, v116
	v_max_f32_e32 v115, v45, v45
	v_ashrrev_i32_e32 v45, 31, v44
	v_cvt_f32_f16_e32 v114, v114
	v_lshlrev_b64 v[44:45], 1, v[44:45]
	v_min_f32_e32 v116, v115, v114
	v_add_co_u32 v114, vcc_lo, v86, v40
	v_add_co_ci_u32_e64 v115, null, v87, v41, vcc_lo
	v_cvt_f16_f32_e32 v116, v116
	s_and_b32 vcc_lo, exec_lo, s1
	flat_store_short v[114:115], v116
	s_cbranch_vccnz .LBB213_35
; %bb.34:
	v_add_co_u32 v111, vcc_lo, v111, v44
	v_add_co_ci_u32_e64 v112, null, v112, v45, vcc_lo
	flat_load_ushort v111, v[111:112]
	s_waitcnt vmcnt(0) lgkmcnt(0)
	v_mul_f16_e32 v111, v48, v111
	v_cvt_f32_f16_e32 v113, v111
.LBB213_35:
	v_pk_add_f16 v46, v32, v46
	v_pk_add_f16 v111, v33, v47
	v_max_f16_e32 v47, v127, v127
	v_lshrrev_b32_e32 v114, 16, v127
	v_add_nc_u32_e32 v112, 8, v76
	v_lshrrev_b32_e32 v115, 16, v46
	v_lshrrev_b32_e32 v116, 16, v111
	v_min_f16_e32 v118, v47, v46
	v_mad_i64_i32 v[46:47], null, v112, s3, 0
	v_min3_f16 v114, v114, v115, v116
	v_max_f32_e32 v115, v113, v113
	v_add_co_u32 v113, vcc_lo, v86, v44
	v_min3_f16 v111, v118, v111, v114
	v_lshlrev_b64 v[46:47], 1, v[46:47]
	v_add_co_ci_u32_e64 v114, null, v87, v45, vcc_lo
	v_cvt_f32_f16_e32 v111, v111
	v_add_co_u32 v46, vcc_lo, s8, v46
	v_add_co_ci_u32_e64 v47, null, s9, v47, vcc_lo
	v_min_f32_e32 v86, v115, v111
	v_mov_b32_e32 v111, 0
	s_and_b32 vcc_lo, exec_lo, s1
	v_cvt_f16_f32_e32 v87, v86
	v_mov_b32_e32 v86, 0
	flat_store_short v[113:114], v87
	s_cbranch_vccnz .LBB213_37
; %bb.36:
	v_add_co_u32 v86, vcc_lo, v46, v36
	v_add_co_ci_u32_e64 v87, null, v47, v37, vcc_lo
	flat_load_ushort v86, v[86:87]
	s_waitcnt vmcnt(0) lgkmcnt(0)
	v_mul_f16_e32 v86, v48, v86
	v_cvt_f32_f16_e32 v86, v86
.LBB213_37:
	v_pk_add_f16 v87, v38, v28
	v_pk_add_f16 v114, v39, v29
	v_max_f16_e32 v113, v117, v117
	v_lshrrev_b32_e32 v115, 16, v117
	v_lshrrev_b32_e32 v116, 16, v87
	;; [unrolled: 1-line block ×3, first 2 shown]
	v_min_f16_e32 v87, v113, v87
	v_mad_i64_i32 v[112:113], null, v112, s10, 0
	v_min3_f16 v115, v115, v116, v117
	v_min3_f16 v87, v87, v114, v115
	v_max_f32_e32 v114, v86, v86
	v_cvt_f32_f16_e32 v115, v87
	v_lshlrev_b64 v[86:87], 1, v[112:113]
	v_min_f32_e32 v112, v114, v115
	v_add_co_u32 v86, vcc_lo, s4, v86
	v_add_co_ci_u32_e64 v87, null, s5, v87, vcc_lo
	v_cvt_f16_f32_e32 v114, v112
	v_add_co_u32 v112, vcc_lo, v86, v36
	v_add_co_ci_u32_e64 v113, null, v87, v37, vcc_lo
	s_and_b32 vcc_lo, exec_lo, s1
	flat_store_short v[112:113], v114
	s_cbranch_vccnz .LBB213_39
; %bb.38:
	v_add_co_u32 v111, vcc_lo, v46, v42
	v_add_co_ci_u32_e64 v112, null, v47, v43, vcc_lo
	flat_load_ushort v111, v[111:112]
	s_waitcnt vmcnt(0) lgkmcnt(0)
	v_mul_f16_e32 v111, v48, v111
	v_cvt_f32_f16_e32 v111, v111
.LBB213_39:
	v_pk_add_f16 v112, v0, v28
	v_pk_add_f16 v113, v1, v29
	v_max_f16_e32 v114, v110, v110
	v_lshrrev_b32_e32 v110, 16, v110
	v_max_f32_e32 v111, v111, v111
	v_lshrrev_b32_e32 v115, 16, v112
	v_lshrrev_b32_e32 v116, 16, v113
	v_min_f16_e32 v112, v114, v112
	v_min3_f16 v110, v110, v115, v116
	v_min3_f16 v110, v112, v113, v110
	v_add_co_u32 v112, vcc_lo, v86, v42
	v_add_co_ci_u32_e64 v113, null, v87, v43, vcc_lo
	v_cvt_f32_f16_e32 v110, v110
	s_and_b32 vcc_lo, exec_lo, s1
	v_min_f32_e32 v110, v111, v110
	v_mov_b32_e32 v111, 0
	v_cvt_f16_f32_e32 v114, v110
	v_mov_b32_e32 v110, 0
	flat_store_short v[112:113], v114
	s_cbranch_vccnz .LBB213_41
; %bb.40:
	v_add_co_u32 v111, vcc_lo, v46, v40
	v_add_co_ci_u32_e64 v112, null, v47, v41, vcc_lo
	flat_load_ushort v111, v[111:112]
	s_waitcnt vmcnt(0) lgkmcnt(0)
	v_mul_f16_e32 v111, v48, v111
	v_cvt_f32_f16_e32 v111, v111
.LBB213_41:
	v_pk_add_f16 v112, v2, v28
	v_pk_add_f16 v113, v3, v29
	v_max_f16_e32 v114, v109, v109
	v_lshrrev_b32_e32 v109, 16, v109
	v_max_f32_e32 v111, v111, v111
	v_lshrrev_b32_e32 v115, 16, v112
	v_lshrrev_b32_e32 v116, 16, v113
	v_min_f16_e32 v112, v114, v112
	v_min3_f16 v109, v109, v115, v116
	v_min3_f16 v109, v112, v113, v109
	v_cvt_f32_f16_e32 v109, v109
	v_min_f32_e32 v109, v111, v109
	v_add_co_u32 v111, vcc_lo, v86, v40
	v_add_co_ci_u32_e64 v112, null, v87, v41, vcc_lo
	v_cvt_f16_f32_e32 v109, v109
	s_and_b32 vcc_lo, exec_lo, s1
	flat_store_short v[111:112], v109
	s_cbranch_vccnz .LBB213_43
; %bb.42:
	v_add_co_u32 v46, vcc_lo, v46, v44
	v_add_co_ci_u32_e64 v47, null, v47, v45, vcc_lo
	flat_load_ushort v46, v[46:47]
	s_waitcnt vmcnt(0) lgkmcnt(0)
	v_mul_f16_e32 v46, v48, v46
	v_cvt_f32_f16_e32 v110, v46
.LBB213_43:
	v_pk_add_f16 v28, v32, v28
	v_pk_add_f16 v47, v33, v29
	v_max_f16_e32 v29, v108, v108
	v_lshrrev_b32_e32 v108, 16, v108
	v_add_nc_u32_e32 v46, 16, v76
	v_lshrrev_b32_e32 v109, 16, v28
	v_lshrrev_b32_e32 v111, 16, v47
	v_min_f16_e32 v112, v29, v28
	v_max_f32_e32 v110, v110, v110
	v_mad_i64_i32 v[28:29], null, v46, s3, 0
	v_min3_f16 v108, v108, v109, v111
	v_min3_f16 v47, v112, v47, v108
	v_lshlrev_b64 v[28:29], 1, v[28:29]
	v_add_co_u32 v108, vcc_lo, v86, v44
	v_add_co_ci_u32_e64 v109, null, v87, v45, vcc_lo
	v_cvt_f32_f16_e32 v47, v47
	v_add_co_u32 v28, vcc_lo, s8, v28
	v_add_co_ci_u32_e64 v29, null, s9, v29, vcc_lo
	v_min_f32_e32 v47, v110, v47
	v_mov_b32_e32 v86, 0
	s_and_b32 vcc_lo, exec_lo, s1
	v_cvt_f16_f32_e32 v87, v47
	v_mov_b32_e32 v47, 0
	flat_store_short v[108:109], v87
	s_cbranch_vccnz .LBB213_45
; %bb.44:
	v_add_co_u32 v108, vcc_lo, v28, v36
	v_add_co_ci_u32_e64 v109, null, v29, v37, vcc_lo
	flat_load_ushort v47, v[108:109]
	s_waitcnt vmcnt(0) lgkmcnt(0)
	v_mul_f16_e32 v47, v48, v47
	v_cvt_f32_f16_e32 v47, v47
.LBB213_45:
	v_pk_add_f16 v87, v38, v30
	v_pk_add_f16 v109, v39, v31
	v_max_f16_e32 v108, v107, v107
	v_lshrrev_b32_e32 v107, 16, v107
	v_lshrrev_b32_e32 v110, 16, v87
	v_lshrrev_b32_e32 v111, 16, v109
	v_min_f16_e32 v87, v108, v87
	v_min3_f16 v110, v107, v110, v111
	v_mad_i64_i32 v[107:108], null, v46, s10, 0
	v_min3_f16 v46, v87, v109, v110
	v_max_f32_e32 v87, v47, v47
	v_cvt_f32_f16_e32 v109, v46
	v_lshlrev_b64 v[46:47], 1, v[107:108]
	v_min_f32_e32 v87, v87, v109
	v_add_co_u32 v46, vcc_lo, s4, v46
	v_add_co_ci_u32_e64 v47, null, s5, v47, vcc_lo
	v_cvt_f16_f32_e32 v87, v87
	v_add_co_u32 v107, vcc_lo, v46, v36
	v_add_co_ci_u32_e64 v108, null, v47, v37, vcc_lo
	s_and_b32 vcc_lo, exec_lo, s1
	flat_store_short v[107:108], v87
	s_cbranch_vccnz .LBB213_47
; %bb.46:
	v_add_co_u32 v86, vcc_lo, v28, v42
	v_add_co_ci_u32_e64 v87, null, v29, v43, vcc_lo
	flat_load_ushort v86, v[86:87]
	s_waitcnt vmcnt(0) lgkmcnt(0)
	v_mul_f16_e32 v86, v48, v86
	v_cvt_f32_f16_e32 v86, v86
.LBB213_47:
	v_pk_add_f16 v87, v0, v30
	v_pk_add_f16 v107, v1, v31
	v_max_f16_e32 v108, v106, v106
	v_lshrrev_b32_e32 v106, 16, v106
	v_max_f32_e32 v86, v86, v86
	v_lshrrev_b32_e32 v109, 16, v87
	v_lshrrev_b32_e32 v110, 16, v107
	v_min_f16_e32 v87, v108, v87
	v_min3_f16 v106, v106, v109, v110
	v_min3_f16 v87, v87, v107, v106
	v_add_co_u32 v106, vcc_lo, v46, v42
	v_add_co_ci_u32_e64 v107, null, v47, v43, vcc_lo
	v_cvt_f32_f16_e32 v87, v87
	s_and_b32 vcc_lo, exec_lo, s1
	v_min_f32_e32 v86, v86, v87
	v_mov_b32_e32 v87, 0
	v_cvt_f16_f32_e32 v108, v86
	v_mov_b32_e32 v86, 0
	flat_store_short v[106:107], v108
	s_cbranch_vccnz .LBB213_49
; %bb.48:
	v_add_co_u32 v106, vcc_lo, v28, v40
	v_add_co_ci_u32_e64 v107, null, v29, v41, vcc_lo
	flat_load_ushort v87, v[106:107]
	s_waitcnt vmcnt(0) lgkmcnt(0)
	v_mul_f16_e32 v87, v48, v87
	v_cvt_f32_f16_e32 v87, v87
.LBB213_49:
	v_pk_add_f16 v106, v2, v30
	v_pk_add_f16 v107, v3, v31
	v_max_f16_e32 v108, v105, v105
	v_lshrrev_b32_e32 v105, 16, v105
	v_max_f32_e32 v87, v87, v87
	v_lshrrev_b32_e32 v109, 16, v106
	v_lshrrev_b32_e32 v110, 16, v107
	v_min_f16_e32 v106, v108, v106
	v_min3_f16 v105, v105, v109, v110
	v_min3_f16 v105, v106, v107, v105
	v_cvt_f32_f16_e32 v105, v105
	v_min_f32_e32 v87, v87, v105
	v_add_co_u32 v105, vcc_lo, v46, v40
	v_add_co_ci_u32_e64 v106, null, v47, v41, vcc_lo
	v_cvt_f16_f32_e32 v87, v87
	s_and_b32 vcc_lo, exec_lo, s1
	flat_store_short v[105:106], v87
	s_cbranch_vccnz .LBB213_51
; %bb.50:
	v_add_co_u32 v28, vcc_lo, v28, v44
	v_add_co_ci_u32_e64 v29, null, v29, v45, vcc_lo
	flat_load_ushort v28, v[28:29]
	s_waitcnt vmcnt(0) lgkmcnt(0)
	v_mul_f16_e32 v28, v48, v28
	v_cvt_f32_f16_e32 v86, v28
.LBB213_51:
	v_pk_add_f16 v28, v32, v30
	v_pk_add_f16 v31, v33, v31
	v_max_f16_e32 v29, v104, v104
	v_lshrrev_b32_e32 v87, 16, v104
	v_add_nc_u32_e32 v30, 24, v76
	v_lshrrev_b32_e32 v104, 16, v28
	v_lshrrev_b32_e32 v105, 16, v31
	v_min_f16_e32 v106, v29, v28
	v_mad_i64_i32 v[28:29], null, v30, s3, 0
	v_min3_f16 v87, v87, v104, v105
	v_max_f32_e32 v104, v86, v86
	v_add_co_u32 v86, vcc_lo, v46, v44
	v_mov_b32_e32 v46, 0
	v_min3_f16 v31, v106, v31, v87
	v_lshlrev_b64 v[28:29], 1, v[28:29]
	v_add_co_ci_u32_e64 v87, null, v47, v45, vcc_lo
	v_cvt_f32_f16_e32 v31, v31
	v_add_co_u32 v28, vcc_lo, s8, v28
	v_add_co_ci_u32_e64 v29, null, s9, v29, vcc_lo
	v_min_f32_e32 v31, v104, v31
	s_and_b32 vcc_lo, exec_lo, s1
	v_cvt_f16_f32_e32 v47, v31
	v_mov_b32_e32 v31, 0
	flat_store_short v[86:87], v47
	s_cbranch_vccnz .LBB213_53
; %bb.52:
	v_add_co_u32 v86, vcc_lo, v28, v36
	v_add_co_ci_u32_e64 v87, null, v29, v37, vcc_lo
	flat_load_ushort v31, v[86:87]
	s_waitcnt vmcnt(0) lgkmcnt(0)
	v_mul_f16_e32 v31, v48, v31
	v_cvt_f32_f16_e32 v31, v31
.LBB213_53:
	v_pk_add_f16 v47, v38, v24
	v_pk_add_f16 v104, v39, v25
	v_max_f16_e32 v86, v103, v103
	v_lshrrev_b32_e32 v87, 16, v103
	v_lshrrev_b32_e32 v103, 16, v47
	;; [unrolled: 1-line block ×3, first 2 shown]
	v_min_f16_e32 v47, v86, v47
	v_min3_f16 v103, v87, v103, v105
	v_mad_i64_i32 v[86:87], null, v30, s10, 0
	v_min3_f16 v30, v47, v104, v103
	v_max_f32_e32 v47, v31, v31
	v_cvt_f32_f16_e32 v103, v30
	v_lshlrev_b64 v[30:31], 1, v[86:87]
	v_min_f32_e32 v47, v47, v103
	v_add_co_u32 v30, vcc_lo, s4, v30
	v_add_co_ci_u32_e64 v31, null, s5, v31, vcc_lo
	v_cvt_f16_f32_e32 v47, v47
	v_add_co_u32 v86, vcc_lo, v30, v36
	v_add_co_ci_u32_e64 v87, null, v31, v37, vcc_lo
	s_and_b32 vcc_lo, exec_lo, s1
	flat_store_short v[86:87], v47
	s_cbranch_vccnz .LBB213_55
; %bb.54:
	v_add_co_u32 v46, vcc_lo, v28, v42
	v_add_co_ci_u32_e64 v47, null, v29, v43, vcc_lo
	flat_load_ushort v46, v[46:47]
	s_waitcnt vmcnt(0) lgkmcnt(0)
	v_mul_f16_e32 v46, v48, v46
	v_cvt_f32_f16_e32 v46, v46
.LBB213_55:
	v_pk_add_f16 v47, v0, v24
	v_pk_add_f16 v86, v1, v25
	v_max_f16_e32 v87, v102, v102
	v_lshrrev_b32_e32 v102, 16, v102
	v_max_f32_e32 v46, v46, v46
	v_lshrrev_b32_e32 v103, 16, v47
	v_lshrrev_b32_e32 v104, 16, v86
	v_min_f16_e32 v47, v87, v47
	v_min3_f16 v87, v102, v103, v104
	v_min3_f16 v47, v47, v86, v87
	v_add_co_u32 v86, vcc_lo, v30, v42
	v_add_co_ci_u32_e64 v87, null, v31, v43, vcc_lo
	v_cvt_f32_f16_e32 v47, v47
	s_and_b32 vcc_lo, exec_lo, s1
	v_min_f32_e32 v46, v46, v47
	v_mov_b32_e32 v47, 0
	v_cvt_f16_f32_e32 v102, v46
	v_mov_b32_e32 v46, 0
	flat_store_short v[86:87], v102
	s_cbranch_vccnz .LBB213_57
; %bb.56:
	v_add_co_u32 v86, vcc_lo, v28, v40
	v_add_co_ci_u32_e64 v87, null, v29, v41, vcc_lo
	flat_load_ushort v47, v[86:87]
	s_waitcnt vmcnt(0) lgkmcnt(0)
	v_mul_f16_e32 v47, v48, v47
	v_cvt_f32_f16_e32 v47, v47
.LBB213_57:
	v_pk_add_f16 v86, v2, v24
	v_pk_add_f16 v87, v3, v25
	v_max_f16_e32 v102, v101, v101
	v_lshrrev_b32_e32 v101, 16, v101
	v_max_f32_e32 v47, v47, v47
	v_lshrrev_b32_e32 v103, 16, v86
	v_lshrrev_b32_e32 v104, 16, v87
	v_min_f16_e32 v86, v102, v86
	v_min3_f16 v101, v101, v103, v104
	v_min3_f16 v86, v86, v87, v101
	v_cvt_f32_f16_e32 v86, v86
	v_min_f32_e32 v47, v47, v86
	v_add_co_u32 v86, vcc_lo, v30, v40
	v_add_co_ci_u32_e64 v87, null, v31, v41, vcc_lo
	v_cvt_f16_f32_e32 v47, v47
	s_and_b32 vcc_lo, exec_lo, s1
	flat_store_short v[86:87], v47
	s_cbranch_vccnz .LBB213_59
; %bb.58:
	v_add_co_u32 v28, vcc_lo, v28, v44
	v_add_co_ci_u32_e64 v29, null, v29, v45, vcc_lo
	flat_load_ushort v28, v[28:29]
	s_waitcnt vmcnt(0) lgkmcnt(0)
	v_mul_f16_e32 v28, v48, v28
	v_cvt_f32_f16_e32 v46, v28
.LBB213_59:
	v_pk_add_f16 v24, v32, v24
	v_pk_add_f16 v29, v33, v25
	v_max_f16_e32 v25, v100, v100
	v_lshrrev_b32_e32 v47, 16, v100
	v_add_nc_u32_e32 v28, 32, v76
	v_lshrrev_b32_e32 v86, 16, v24
	v_lshrrev_b32_e32 v87, 16, v29
	v_min_f16_e32 v100, v25, v24
	v_mad_i64_i32 v[24:25], null, v28, s3, 0
	v_min3_f16 v47, v47, v86, v87
	v_max_f32_e32 v86, v46, v46
	v_add_co_u32 v46, vcc_lo, v30, v44
	v_mov_b32_e32 v30, 0
	v_min3_f16 v29, v100, v29, v47
	v_lshlrev_b64 v[24:25], 1, v[24:25]
	v_add_co_ci_u32_e64 v47, null, v31, v45, vcc_lo
	v_cvt_f32_f16_e32 v29, v29
	v_add_co_u32 v24, vcc_lo, s8, v24
	v_add_co_ci_u32_e64 v25, null, s9, v25, vcc_lo
	v_min_f32_e32 v29, v86, v29
	s_and_b32 vcc_lo, exec_lo, s1
	v_cvt_f16_f32_e32 v31, v29
	v_mov_b32_e32 v29, 0
	flat_store_short v[46:47], v31
	s_cbranch_vccnz .LBB213_61
; %bb.60:
	v_add_co_u32 v46, vcc_lo, v24, v36
	v_add_co_ci_u32_e64 v47, null, v25, v37, vcc_lo
	flat_load_ushort v29, v[46:47]
	s_waitcnt vmcnt(0) lgkmcnt(0)
	v_mul_f16_e32 v29, v48, v29
	v_cvt_f32_f16_e32 v29, v29
.LBB213_61:
	v_pk_add_f16 v31, v38, v26
	v_pk_add_f16 v86, v39, v27
	v_max_f16_e32 v46, v99, v99
	v_lshrrev_b32_e32 v47, 16, v99
	v_lshrrev_b32_e32 v87, 16, v31
	;; [unrolled: 1-line block ×3, first 2 shown]
	v_min_f16_e32 v31, v46, v31
	v_min3_f16 v87, v47, v87, v99
	v_mad_i64_i32 v[46:47], null, v28, s10, 0
	v_min3_f16 v28, v31, v86, v87
	v_max_f32_e32 v31, v29, v29
	v_cvt_f32_f16_e32 v86, v28
	v_lshlrev_b64 v[28:29], 1, v[46:47]
	v_min_f32_e32 v31, v31, v86
	v_add_co_u32 v28, vcc_lo, s4, v28
	v_add_co_ci_u32_e64 v29, null, s5, v29, vcc_lo
	v_cvt_f16_f32_e32 v31, v31
	v_add_co_u32 v46, vcc_lo, v28, v36
	v_add_co_ci_u32_e64 v47, null, v29, v37, vcc_lo
	s_and_b32 vcc_lo, exec_lo, s1
	flat_store_short v[46:47], v31
	s_cbranch_vccnz .LBB213_63
; %bb.62:
	v_add_co_u32 v30, vcc_lo, v24, v42
	v_add_co_ci_u32_e64 v31, null, v25, v43, vcc_lo
	flat_load_ushort v30, v[30:31]
	s_waitcnt vmcnt(0) lgkmcnt(0)
	v_mul_f16_e32 v30, v48, v30
	v_cvt_f32_f16_e32 v30, v30
.LBB213_63:
	v_pk_add_f16 v31, v0, v26
	v_pk_add_f16 v46, v1, v27
	v_max_f16_e32 v47, v98, v98
	v_lshrrev_b32_e32 v86, 16, v98
	v_max_f32_e32 v30, v30, v30
	v_lshrrev_b32_e32 v87, 16, v31
	v_lshrrev_b32_e32 v98, 16, v46
	v_min_f16_e32 v31, v47, v31
	v_min3_f16 v47, v86, v87, v98
	v_min3_f16 v31, v31, v46, v47
	v_add_co_u32 v46, vcc_lo, v28, v42
	v_add_co_ci_u32_e64 v47, null, v29, v43, vcc_lo
	v_cvt_f32_f16_e32 v31, v31
	s_and_b32 vcc_lo, exec_lo, s1
	v_min_f32_e32 v30, v30, v31
	v_mov_b32_e32 v31, 0
	v_cvt_f16_f32_e32 v86, v30
	v_mov_b32_e32 v30, 0
	flat_store_short v[46:47], v86
	s_cbranch_vccnz .LBB213_65
; %bb.64:
	v_add_co_u32 v46, vcc_lo, v24, v40
	v_add_co_ci_u32_e64 v47, null, v25, v41, vcc_lo
	flat_load_ushort v31, v[46:47]
	s_waitcnt vmcnt(0) lgkmcnt(0)
	v_mul_f16_e32 v31, v48, v31
	v_cvt_f32_f16_e32 v31, v31
.LBB213_65:
	v_pk_add_f16 v46, v2, v26
	v_pk_add_f16 v47, v3, v27
	v_max_f16_e32 v86, v97, v97
	v_lshrrev_b32_e32 v87, 16, v97
	v_max_f32_e32 v31, v31, v31
	v_lshrrev_b32_e32 v97, 16, v46
	v_lshrrev_b32_e32 v98, 16, v47
	v_min_f16_e32 v46, v86, v46
	v_min3_f16 v86, v87, v97, v98
	v_min3_f16 v46, v46, v47, v86
	v_cvt_f32_f16_e32 v46, v46
	v_min_f32_e32 v31, v31, v46
	v_add_co_u32 v46, vcc_lo, v28, v40
	v_add_co_ci_u32_e64 v47, null, v29, v41, vcc_lo
	v_cvt_f16_f32_e32 v31, v31
	s_and_b32 vcc_lo, exec_lo, s1
	flat_store_short v[46:47], v31
	s_cbranch_vccnz .LBB213_67
; %bb.66:
	v_add_co_u32 v24, vcc_lo, v24, v44
	v_add_co_ci_u32_e64 v25, null, v25, v45, vcc_lo
	flat_load_ushort v24, v[24:25]
	s_waitcnt vmcnt(0) lgkmcnt(0)
	v_mul_f16_e32 v24, v48, v24
	v_cvt_f32_f16_e32 v30, v24
.LBB213_67:
	v_pk_add_f16 v24, v32, v26
	v_pk_add_f16 v27, v33, v27
	v_max_f16_e32 v25, v96, v96
	v_lshrrev_b32_e32 v31, 16, v96
	v_add_nc_u32_e32 v26, 40, v76
	v_lshrrev_b32_e32 v46, 16, v24
	v_lshrrev_b32_e32 v47, 16, v27
	v_min_f16_e32 v86, v25, v24
	v_mad_i64_i32 v[24:25], null, v26, s3, 0
	v_min3_f16 v31, v31, v46, v47
	v_max_f32_e32 v46, v30, v30
	v_add_co_u32 v30, vcc_lo, v28, v44
	v_mov_b32_e32 v28, 0
	v_min3_f16 v27, v86, v27, v31
	v_lshlrev_b64 v[24:25], 1, v[24:25]
	v_add_co_ci_u32_e64 v31, null, v29, v45, vcc_lo
	v_cvt_f32_f16_e32 v27, v27
	v_add_co_u32 v24, vcc_lo, s8, v24
	v_add_co_ci_u32_e64 v25, null, s9, v25, vcc_lo
	v_min_f32_e32 v27, v46, v27
	s_and_b32 vcc_lo, exec_lo, s1
	v_cvt_f16_f32_e32 v29, v27
	v_mov_b32_e32 v27, 0
	flat_store_short v[30:31], v29
	s_cbranch_vccnz .LBB213_69
; %bb.68:
	v_add_co_u32 v29, vcc_lo, v24, v36
	v_add_co_ci_u32_e64 v30, null, v25, v37, vcc_lo
	flat_load_ushort v27, v[29:30]
	s_waitcnt vmcnt(0) lgkmcnt(0)
	v_mul_f16_e32 v27, v48, v27
	v_cvt_f32_f16_e32 v27, v27
.LBB213_69:
	v_pk_add_f16 v29, v38, v20
	v_pk_add_f16 v31, v39, v21
	v_max_f16_e32 v30, v95, v95
	v_lshrrev_b32_e32 v46, 16, v95
	v_lshrrev_b32_e32 v47, 16, v29
	v_lshrrev_b32_e32 v86, 16, v31
	v_min_f16_e32 v87, v30, v29
	v_mad_i64_i32 v[29:30], null, v26, s10, 0
	v_min3_f16 v46, v46, v47, v86
	v_min3_f16 v26, v87, v31, v46
	v_max_f32_e32 v31, v27, v27
	v_cvt_f32_f16_e32 v46, v26
	v_lshlrev_b64 v[26:27], 1, v[29:30]
	v_min_f32_e32 v29, v31, v46
	v_add_co_u32 v26, vcc_lo, s4, v26
	v_add_co_ci_u32_e64 v27, null, s5, v27, vcc_lo
	v_cvt_f16_f32_e32 v31, v29
	v_add_co_u32 v29, vcc_lo, v26, v36
	v_add_co_ci_u32_e64 v30, null, v27, v37, vcc_lo
	s_and_b32 vcc_lo, exec_lo, s1
	flat_store_short v[29:30], v31
	s_cbranch_vccnz .LBB213_71
; %bb.70:
	v_add_co_u32 v28, vcc_lo, v24, v42
	v_add_co_ci_u32_e64 v29, null, v25, v43, vcc_lo
	flat_load_ushort v28, v[28:29]
	s_waitcnt vmcnt(0) lgkmcnt(0)
	v_mul_f16_e32 v28, v48, v28
	v_cvt_f32_f16_e32 v28, v28
.LBB213_71:
	v_pk_add_f16 v29, v0, v20
	v_pk_add_f16 v30, v1, v21
	v_max_f16_e32 v31, v94, v94
	v_lshrrev_b32_e32 v46, 16, v94
	v_max_f32_e32 v28, v28, v28
	v_lshrrev_b32_e32 v47, 16, v29
	v_lshrrev_b32_e32 v86, 16, v30
	v_min_f16_e32 v29, v31, v29
	v_min3_f16 v31, v46, v47, v86
	v_min3_f16 v29, v29, v30, v31
	v_add_co_u32 v30, vcc_lo, v26, v42
	v_add_co_ci_u32_e64 v31, null, v27, v43, vcc_lo
	v_cvt_f32_f16_e32 v29, v29
	s_and_b32 vcc_lo, exec_lo, s1
	v_min_f32_e32 v28, v28, v29
	v_mov_b32_e32 v29, 0
	v_cvt_f16_f32_e32 v46, v28
	v_mov_b32_e32 v28, 0
	flat_store_short v[30:31], v46
	s_cbranch_vccnz .LBB213_73
; %bb.72:
	v_add_co_u32 v29, vcc_lo, v24, v40
	v_add_co_ci_u32_e64 v30, null, v25, v41, vcc_lo
	flat_load_ushort v29, v[29:30]
	s_waitcnt vmcnt(0) lgkmcnt(0)
	v_mul_f16_e32 v29, v48, v29
	v_cvt_f32_f16_e32 v29, v29
.LBB213_73:
	v_pk_add_f16 v30, v2, v20
	v_pk_add_f16 v31, v3, v21
	v_max_f16_e32 v46, v93, v93
	v_lshrrev_b32_e32 v47, 16, v93
	v_max_f32_e32 v29, v29, v29
	v_lshrrev_b32_e32 v86, 16, v30
	v_lshrrev_b32_e32 v87, 16, v31
	v_min_f16_e32 v30, v46, v30
	v_min3_f16 v46, v47, v86, v87
	v_min3_f16 v30, v30, v31, v46
	v_cvt_f32_f16_e32 v30, v30
	v_min_f32_e32 v29, v29, v30
	v_cvt_f16_f32_e32 v31, v29
	v_add_co_u32 v29, vcc_lo, v26, v40
	v_add_co_ci_u32_e64 v30, null, v27, v41, vcc_lo
	s_and_b32 vcc_lo, exec_lo, s1
	flat_store_short v[29:30], v31
	s_cbranch_vccnz .LBB213_75
; %bb.74:
	v_add_co_u32 v24, vcc_lo, v24, v44
	v_add_co_ci_u32_e64 v25, null, v25, v45, vcc_lo
	flat_load_ushort v24, v[24:25]
	s_waitcnt vmcnt(0) lgkmcnt(0)
	v_mul_f16_e32 v24, v48, v24
	v_cvt_f32_f16_e32 v28, v24
.LBB213_75:
	v_pk_add_f16 v20, v32, v20
	v_pk_add_f16 v25, v33, v21
	v_max_f16_e32 v21, v92, v92
	v_lshrrev_b32_e32 v29, 16, v92
	v_add_nc_u32_e32 v24, 48, v76
	v_lshrrev_b32_e32 v30, 16, v20
	v_lshrrev_b32_e32 v31, 16, v25
	v_min_f16_e32 v46, v21, v20
	v_mad_i64_i32 v[20:21], null, v24, s3, 0
	v_min3_f16 v29, v29, v30, v31
	v_max_f32_e32 v30, v28, v28
	v_add_co_u32 v28, vcc_lo, v26, v44
	v_mov_b32_e32 v26, 0
	v_min3_f16 v25, v46, v25, v29
	v_lshlrev_b64 v[20:21], 1, v[20:21]
	v_add_co_ci_u32_e64 v29, null, v27, v45, vcc_lo
	v_cvt_f32_f16_e32 v25, v25
	v_add_co_u32 v20, vcc_lo, s8, v20
	v_add_co_ci_u32_e64 v21, null, s9, v21, vcc_lo
	v_min_f32_e32 v25, v30, v25
	s_and_b32 vcc_lo, exec_lo, s1
	v_cvt_f16_f32_e32 v27, v25
	v_mov_b32_e32 v25, 0
	flat_store_short v[28:29], v27
	s_cbranch_vccnz .LBB213_77
; %bb.76:
	v_add_co_u32 v27, vcc_lo, v20, v36
	v_add_co_ci_u32_e64 v28, null, v21, v37, vcc_lo
	flat_load_ushort v25, v[27:28]
	s_waitcnt vmcnt(0) lgkmcnt(0)
	v_mul_f16_e32 v25, v48, v25
	v_cvt_f32_f16_e32 v25, v25
.LBB213_77:
	v_pk_add_f16 v27, v38, v22
	v_pk_add_f16 v29, v39, v23
	v_max_f16_e32 v28, v91, v91
	v_lshrrev_b32_e32 v30, 16, v91
	v_lshrrev_b32_e32 v31, 16, v27
	;; [unrolled: 1-line block ×3, first 2 shown]
	v_min_f16_e32 v47, v28, v27
	v_mad_i64_i32 v[27:28], null, v24, s10, 0
	v_min3_f16 v30, v30, v31, v46
	v_min3_f16 v24, v47, v29, v30
	v_max_f32_e32 v29, v25, v25
	v_cvt_f32_f16_e32 v30, v24
	v_lshlrev_b64 v[24:25], 1, v[27:28]
	v_min_f32_e32 v27, v29, v30
	v_add_co_u32 v24, vcc_lo, s4, v24
	v_add_co_ci_u32_e64 v25, null, s5, v25, vcc_lo
	v_cvt_f16_f32_e32 v29, v27
	v_add_co_u32 v27, vcc_lo, v24, v36
	v_add_co_ci_u32_e64 v28, null, v25, v37, vcc_lo
	s_and_b32 vcc_lo, exec_lo, s1
	flat_store_short v[27:28], v29
	s_cbranch_vccnz .LBB213_79
; %bb.78:
	v_add_co_u32 v26, vcc_lo, v20, v42
	v_add_co_ci_u32_e64 v27, null, v21, v43, vcc_lo
	flat_load_ushort v26, v[26:27]
	s_waitcnt vmcnt(0) lgkmcnt(0)
	v_mul_f16_e32 v26, v48, v26
	v_cvt_f32_f16_e32 v26, v26
.LBB213_79:
	v_pk_add_f16 v27, v0, v22
	v_pk_add_f16 v28, v1, v23
	v_max_f16_e32 v29, v90, v90
	v_lshrrev_b32_e32 v30, 16, v90
	v_max_f32_e32 v26, v26, v26
	v_lshrrev_b32_e32 v31, 16, v27
	v_lshrrev_b32_e32 v46, 16, v28
	v_min_f16_e32 v27, v29, v27
	v_min3_f16 v29, v30, v31, v46
	v_min3_f16 v27, v27, v28, v29
	v_add_co_u32 v28, vcc_lo, v24, v42
	v_add_co_ci_u32_e64 v29, null, v25, v43, vcc_lo
	v_cvt_f32_f16_e32 v27, v27
	s_and_b32 vcc_lo, exec_lo, s1
	v_min_f32_e32 v26, v26, v27
	v_mov_b32_e32 v27, 0
	v_cvt_f16_f32_e32 v30, v26
	v_mov_b32_e32 v26, 0
	flat_store_short v[28:29], v30
	s_cbranch_vccnz .LBB213_81
; %bb.80:
	v_add_co_u32 v27, vcc_lo, v20, v40
	v_add_co_ci_u32_e64 v28, null, v21, v41, vcc_lo
	flat_load_ushort v27, v[27:28]
	s_waitcnt vmcnt(0) lgkmcnt(0)
	v_mul_f16_e32 v27, v48, v27
	v_cvt_f32_f16_e32 v27, v27
.LBB213_81:
	v_pk_add_f16 v28, v2, v22
	v_pk_add_f16 v29, v3, v23
	v_max_f16_e32 v30, v89, v89
	v_lshrrev_b32_e32 v31, 16, v89
	v_max_f32_e32 v27, v27, v27
	v_lshrrev_b32_e32 v46, 16, v28
	v_lshrrev_b32_e32 v47, 16, v29
	v_min_f16_e32 v28, v30, v28
	v_min3_f16 v30, v31, v46, v47
	v_min3_f16 v28, v28, v29, v30
	v_cvt_f32_f16_e32 v28, v28
	v_min_f32_e32 v27, v27, v28
	v_cvt_f16_f32_e32 v29, v27
	v_add_co_u32 v27, vcc_lo, v24, v40
	v_add_co_ci_u32_e64 v28, null, v25, v41, vcc_lo
	s_and_b32 vcc_lo, exec_lo, s1
	flat_store_short v[27:28], v29
	s_cbranch_vccnz .LBB213_83
; %bb.82:
	v_add_co_u32 v20, vcc_lo, v20, v44
	v_add_co_ci_u32_e64 v21, null, v21, v45, vcc_lo
	flat_load_ushort v20, v[20:21]
	s_waitcnt vmcnt(0) lgkmcnt(0)
	v_mul_f16_e32 v20, v48, v20
	v_cvt_f32_f16_e32 v26, v20
.LBB213_83:
	v_pk_add_f16 v20, v32, v22
	v_pk_add_f16 v23, v33, v23
	v_max_f16_e32 v21, v88, v88
	v_lshrrev_b32_e32 v27, 16, v88
	v_add_nc_u32_e32 v22, 56, v76
	v_lshrrev_b32_e32 v28, 16, v20
	v_lshrrev_b32_e32 v29, 16, v23
	v_min_f16_e32 v30, v21, v20
	v_mad_i64_i32 v[20:21], null, v22, s3, 0
	v_min3_f16 v27, v27, v28, v29
	v_max_f32_e32 v28, v26, v26
	v_add_co_u32 v26, vcc_lo, v24, v44
	v_mov_b32_e32 v24, 0
	v_min3_f16 v23, v30, v23, v27
	v_lshlrev_b64 v[20:21], 1, v[20:21]
	v_add_co_ci_u32_e64 v27, null, v25, v45, vcc_lo
	v_cvt_f32_f16_e32 v23, v23
	v_add_co_u32 v20, vcc_lo, s8, v20
	v_add_co_ci_u32_e64 v21, null, s9, v21, vcc_lo
	v_min_f32_e32 v23, v28, v23
	s_and_b32 vcc_lo, exec_lo, s1
	v_cvt_f16_f32_e32 v25, v23
	v_mov_b32_e32 v23, 0
	flat_store_short v[26:27], v25
	s_cbranch_vccnz .LBB213_85
; %bb.84:
	v_add_co_u32 v25, vcc_lo, v20, v36
	v_add_co_ci_u32_e64 v26, null, v21, v37, vcc_lo
	flat_load_ushort v23, v[25:26]
	s_waitcnt vmcnt(0) lgkmcnt(0)
	v_mul_f16_e32 v23, v48, v23
	v_cvt_f32_f16_e32 v23, v23
.LBB213_85:
	v_pk_add_f16 v25, v38, v16
	v_pk_add_f16 v27, v39, v17
	v_max_f16_e32 v26, v85, v85
	v_lshrrev_b32_e32 v28, 16, v85
	v_lshrrev_b32_e32 v29, 16, v25
	v_lshrrev_b32_e32 v30, 16, v27
	v_min_f16_e32 v31, v26, v25
	v_mad_i64_i32 v[25:26], null, v22, s10, 0
	v_min3_f16 v28, v28, v29, v30
	v_min3_f16 v22, v31, v27, v28
	v_max_f32_e32 v27, v23, v23
	v_cvt_f32_f16_e32 v28, v22
	v_lshlrev_b64 v[22:23], 1, v[25:26]
	v_min_f32_e32 v25, v27, v28
	v_add_co_u32 v22, vcc_lo, s4, v22
	v_add_co_ci_u32_e64 v23, null, s5, v23, vcc_lo
	v_cvt_f16_f32_e32 v27, v25
	v_add_co_u32 v25, vcc_lo, v22, v36
	v_add_co_ci_u32_e64 v26, null, v23, v37, vcc_lo
	s_and_b32 vcc_lo, exec_lo, s1
	flat_store_short v[25:26], v27
	s_cbranch_vccnz .LBB213_87
; %bb.86:
	v_add_co_u32 v24, vcc_lo, v20, v42
	v_add_co_ci_u32_e64 v25, null, v21, v43, vcc_lo
	flat_load_ushort v24, v[24:25]
	s_waitcnt vmcnt(0) lgkmcnt(0)
	v_mul_f16_e32 v24, v48, v24
	v_cvt_f32_f16_e32 v24, v24
.LBB213_87:
	v_pk_add_f16 v25, v0, v16
	v_pk_add_f16 v26, v1, v17
	v_max_f16_e32 v27, v84, v84
	v_lshrrev_b32_e32 v28, 16, v84
	v_max_f32_e32 v24, v24, v24
	v_lshrrev_b32_e32 v29, 16, v25
	v_lshrrev_b32_e32 v30, 16, v26
	v_min_f16_e32 v25, v27, v25
	v_min3_f16 v27, v28, v29, v30
	v_min3_f16 v25, v25, v26, v27
	v_add_co_u32 v26, vcc_lo, v22, v42
	v_add_co_ci_u32_e64 v27, null, v23, v43, vcc_lo
	v_cvt_f32_f16_e32 v25, v25
	s_and_b32 vcc_lo, exec_lo, s1
	v_min_f32_e32 v24, v24, v25
	v_mov_b32_e32 v25, 0
	v_cvt_f16_f32_e32 v28, v24
	v_mov_b32_e32 v24, 0
	flat_store_short v[26:27], v28
	s_cbranch_vccnz .LBB213_89
; %bb.88:
	v_add_co_u32 v25, vcc_lo, v20, v40
	v_add_co_ci_u32_e64 v26, null, v21, v41, vcc_lo
	flat_load_ushort v25, v[25:26]
	s_waitcnt vmcnt(0) lgkmcnt(0)
	v_mul_f16_e32 v25, v48, v25
	v_cvt_f32_f16_e32 v25, v25
.LBB213_89:
	v_pk_add_f16 v26, v2, v16
	v_pk_add_f16 v27, v3, v17
	v_max_f16_e32 v28, v83, v83
	v_lshrrev_b32_e32 v29, 16, v83
	v_max_f32_e32 v25, v25, v25
	v_lshrrev_b32_e32 v30, 16, v26
	v_lshrrev_b32_e32 v31, 16, v27
	v_min_f16_e32 v26, v28, v26
	v_min3_f16 v28, v29, v30, v31
	v_min3_f16 v26, v26, v27, v28
	v_cvt_f32_f16_e32 v26, v26
	v_min_f32_e32 v25, v25, v26
	v_cvt_f16_f32_e32 v27, v25
	v_add_co_u32 v25, vcc_lo, v22, v40
	v_add_co_ci_u32_e64 v26, null, v23, v41, vcc_lo
	s_and_b32 vcc_lo, exec_lo, s1
	flat_store_short v[25:26], v27
	s_cbranch_vccnz .LBB213_91
; %bb.90:
	v_add_co_u32 v20, vcc_lo, v20, v44
	v_add_co_ci_u32_e64 v21, null, v21, v45, vcc_lo
	flat_load_ushort v20, v[20:21]
	s_waitcnt vmcnt(0) lgkmcnt(0)
	v_mul_f16_e32 v20, v48, v20
	v_cvt_f32_f16_e32 v24, v20
.LBB213_91:
	v_pk_add_f16 v16, v32, v16
	v_pk_add_f16 v21, v33, v17
	v_max_f16_e32 v17, v82, v82
	v_lshrrev_b32_e32 v25, 16, v82
	v_add_nc_u32_e32 v20, 64, v76
	v_lshrrev_b32_e32 v26, 16, v16
	v_lshrrev_b32_e32 v27, 16, v21
	v_min_f16_e32 v28, v17, v16
	v_mad_i64_i32 v[16:17], null, v20, s3, 0
	v_min3_f16 v25, v25, v26, v27
	v_max_f32_e32 v26, v24, v24
	v_add_co_u32 v24, vcc_lo, v22, v44
	v_mov_b32_e32 v22, 0
	v_min3_f16 v21, v28, v21, v25
	v_lshlrev_b64 v[16:17], 1, v[16:17]
	v_add_co_ci_u32_e64 v25, null, v23, v45, vcc_lo
	v_cvt_f32_f16_e32 v21, v21
	v_add_co_u32 v16, vcc_lo, s8, v16
	v_add_co_ci_u32_e64 v17, null, s9, v17, vcc_lo
	v_min_f32_e32 v21, v26, v21
	s_and_b32 vcc_lo, exec_lo, s1
	v_cvt_f16_f32_e32 v23, v21
	v_mov_b32_e32 v21, 0
	flat_store_short v[24:25], v23
	s_cbranch_vccnz .LBB213_93
; %bb.92:
	v_add_co_u32 v23, vcc_lo, v16, v36
	v_add_co_ci_u32_e64 v24, null, v17, v37, vcc_lo
	flat_load_ushort v21, v[23:24]
	s_waitcnt vmcnt(0) lgkmcnt(0)
	v_mul_f16_e32 v21, v48, v21
	v_cvt_f32_f16_e32 v21, v21
.LBB213_93:
	v_pk_add_f16 v23, v38, v18
	v_pk_add_f16 v25, v39, v19
	v_max_f16_e32 v24, v81, v81
	v_lshrrev_b32_e32 v26, 16, v81
	v_lshrrev_b32_e32 v27, 16, v23
	;; [unrolled: 1-line block ×3, first 2 shown]
	v_min_f16_e32 v29, v24, v23
	v_mad_i64_i32 v[23:24], null, v20, s10, 0
	v_min3_f16 v26, v26, v27, v28
	v_min3_f16 v20, v29, v25, v26
	v_max_f32_e32 v25, v21, v21
	v_cvt_f32_f16_e32 v26, v20
	v_lshlrev_b64 v[20:21], 1, v[23:24]
	v_min_f32_e32 v23, v25, v26
	v_add_co_u32 v20, vcc_lo, s4, v20
	v_add_co_ci_u32_e64 v21, null, s5, v21, vcc_lo
	v_cvt_f16_f32_e32 v25, v23
	v_add_co_u32 v23, vcc_lo, v20, v36
	v_add_co_ci_u32_e64 v24, null, v21, v37, vcc_lo
	s_and_b32 vcc_lo, exec_lo, s1
	flat_store_short v[23:24], v25
	s_cbranch_vccnz .LBB213_95
; %bb.94:
	v_add_co_u32 v22, vcc_lo, v16, v42
	v_add_co_ci_u32_e64 v23, null, v17, v43, vcc_lo
	flat_load_ushort v22, v[22:23]
	s_waitcnt vmcnt(0) lgkmcnt(0)
	v_mul_f16_e32 v22, v48, v22
	v_cvt_f32_f16_e32 v22, v22
.LBB213_95:
	v_pk_add_f16 v23, v0, v18
	v_pk_add_f16 v24, v1, v19
	v_max_f16_e32 v25, v80, v80
	v_lshrrev_b32_e32 v26, 16, v80
	v_max_f32_e32 v22, v22, v22
	v_lshrrev_b32_e32 v27, 16, v23
	v_lshrrev_b32_e32 v28, 16, v24
	v_min_f16_e32 v23, v25, v23
	v_min3_f16 v25, v26, v27, v28
	v_min3_f16 v23, v23, v24, v25
	v_add_co_u32 v24, vcc_lo, v20, v42
	v_add_co_ci_u32_e64 v25, null, v21, v43, vcc_lo
	v_cvt_f32_f16_e32 v23, v23
	s_and_b32 vcc_lo, exec_lo, s1
	v_min_f32_e32 v22, v22, v23
	v_mov_b32_e32 v23, 0
	v_cvt_f16_f32_e32 v26, v22
	v_mov_b32_e32 v22, 0
	flat_store_short v[24:25], v26
	s_cbranch_vccnz .LBB213_97
; %bb.96:
	v_add_co_u32 v23, vcc_lo, v16, v40
	v_add_co_ci_u32_e64 v24, null, v17, v41, vcc_lo
	flat_load_ushort v23, v[23:24]
	s_waitcnt vmcnt(0) lgkmcnt(0)
	v_mul_f16_e32 v23, v48, v23
	v_cvt_f32_f16_e32 v23, v23
.LBB213_97:
	v_pk_add_f16 v24, v2, v18
	v_pk_add_f16 v25, v3, v19
	v_max_f16_e32 v26, v79, v79
	v_lshrrev_b32_e32 v27, 16, v79
	v_max_f32_e32 v23, v23, v23
	v_lshrrev_b32_e32 v28, 16, v24
	v_lshrrev_b32_e32 v29, 16, v25
	v_min_f16_e32 v24, v26, v24
	v_min3_f16 v26, v27, v28, v29
	v_min3_f16 v24, v24, v25, v26
	v_cvt_f32_f16_e32 v24, v24
	v_min_f32_e32 v23, v23, v24
	v_cvt_f16_f32_e32 v25, v23
	v_add_co_u32 v23, vcc_lo, v20, v40
	v_add_co_ci_u32_e64 v24, null, v21, v41, vcc_lo
	s_and_b32 vcc_lo, exec_lo, s1
	flat_store_short v[23:24], v25
	s_cbranch_vccnz .LBB213_99
; %bb.98:
	v_add_co_u32 v16, vcc_lo, v16, v44
	v_add_co_ci_u32_e64 v17, null, v17, v45, vcc_lo
	flat_load_ushort v16, v[16:17]
	s_waitcnt vmcnt(0) lgkmcnt(0)
	v_mul_f16_e32 v16, v48, v16
	v_cvt_f32_f16_e32 v22, v16
.LBB213_99:
	v_pk_add_f16 v16, v32, v18
	v_pk_add_f16 v19, v33, v19
	v_max_f16_e32 v17, v78, v78
	v_lshrrev_b32_e32 v23, 16, v78
	v_add_nc_u32_e32 v18, 0x48, v76
	v_lshrrev_b32_e32 v24, 16, v16
	v_lshrrev_b32_e32 v25, 16, v19
	v_min_f16_e32 v26, v17, v16
	v_mad_i64_i32 v[16:17], null, v18, s3, 0
	v_min3_f16 v23, v23, v24, v25
	v_max_f32_e32 v24, v22, v22
	v_add_co_u32 v22, vcc_lo, v20, v44
	v_mov_b32_e32 v20, 0
	v_min3_f16 v19, v26, v19, v23
	v_lshlrev_b64 v[16:17], 1, v[16:17]
	v_add_co_ci_u32_e64 v23, null, v21, v45, vcc_lo
	v_cvt_f32_f16_e32 v19, v19
	v_add_co_u32 v16, vcc_lo, s8, v16
	v_add_co_ci_u32_e64 v17, null, s9, v17, vcc_lo
	v_min_f32_e32 v19, v24, v19
	s_and_b32 vcc_lo, exec_lo, s1
	v_cvt_f16_f32_e32 v21, v19
	v_mov_b32_e32 v19, 0
	flat_store_short v[22:23], v21
	s_cbranch_vccnz .LBB213_101
; %bb.100:
	v_add_co_u32 v21, vcc_lo, v16, v36
	v_add_co_ci_u32_e64 v22, null, v17, v37, vcc_lo
	flat_load_ushort v19, v[21:22]
	s_waitcnt vmcnt(0) lgkmcnt(0)
	v_mul_f16_e32 v19, v48, v19
	v_cvt_f32_f16_e32 v19, v19
.LBB213_101:
	v_pk_add_f16 v21, v38, v12
	v_pk_add_f16 v23, v39, v13
	v_max_f16_e32 v22, v77, v77
	v_lshrrev_b32_e32 v24, 16, v77
	v_lshrrev_b32_e32 v25, 16, v21
	;; [unrolled: 1-line block ×3, first 2 shown]
	v_min_f16_e32 v27, v22, v21
	v_mad_i64_i32 v[21:22], null, v18, s10, 0
	v_min3_f16 v24, v24, v25, v26
	v_min3_f16 v18, v27, v23, v24
	v_max_f32_e32 v23, v19, v19
	v_cvt_f32_f16_e32 v24, v18
	v_lshlrev_b64 v[18:19], 1, v[21:22]
	v_min_f32_e32 v21, v23, v24
	v_add_co_u32 v18, vcc_lo, s4, v18
	v_add_co_ci_u32_e64 v19, null, s5, v19, vcc_lo
	v_cvt_f16_f32_e32 v23, v21
	v_add_co_u32 v21, vcc_lo, v18, v36
	v_add_co_ci_u32_e64 v22, null, v19, v37, vcc_lo
	s_and_b32 vcc_lo, exec_lo, s1
	flat_store_short v[21:22], v23
	s_cbranch_vccnz .LBB213_103
; %bb.102:
	v_add_co_u32 v20, vcc_lo, v16, v42
	v_add_co_ci_u32_e64 v21, null, v17, v43, vcc_lo
	flat_load_ushort v20, v[20:21]
	s_waitcnt vmcnt(0) lgkmcnt(0)
	v_mul_f16_e32 v20, v48, v20
	v_cvt_f32_f16_e32 v20, v20
.LBB213_103:
	v_pk_add_f16 v21, v0, v12
	v_pk_add_f16 v22, v1, v13
	v_max_f16_e32 v23, v75, v75
	v_lshrrev_b32_e32 v24, 16, v75
	v_max_f32_e32 v20, v20, v20
	v_lshrrev_b32_e32 v25, 16, v21
	v_lshrrev_b32_e32 v26, 16, v22
	v_min_f16_e32 v21, v23, v21
	v_min3_f16 v23, v24, v25, v26
	v_min3_f16 v21, v21, v22, v23
	v_add_co_u32 v22, vcc_lo, v18, v42
	v_add_co_ci_u32_e64 v23, null, v19, v43, vcc_lo
	v_cvt_f32_f16_e32 v21, v21
	s_and_b32 vcc_lo, exec_lo, s1
	v_min_f32_e32 v20, v20, v21
	v_mov_b32_e32 v21, 0
	v_cvt_f16_f32_e32 v24, v20
	v_mov_b32_e32 v20, 0
	flat_store_short v[22:23], v24
	s_cbranch_vccnz .LBB213_105
; %bb.104:
	v_add_co_u32 v21, vcc_lo, v16, v40
	v_add_co_ci_u32_e64 v22, null, v17, v41, vcc_lo
	flat_load_ushort v21, v[21:22]
	s_waitcnt vmcnt(0) lgkmcnt(0)
	v_mul_f16_e32 v21, v48, v21
	v_cvt_f32_f16_e32 v21, v21
.LBB213_105:
	v_pk_add_f16 v22, v2, v12
	v_pk_add_f16 v23, v3, v13
	v_max_f16_e32 v24, v74, v74
	v_lshrrev_b32_e32 v25, 16, v74
	v_max_f32_e32 v21, v21, v21
	v_lshrrev_b32_e32 v26, 16, v22
	v_lshrrev_b32_e32 v27, 16, v23
	v_min_f16_e32 v22, v24, v22
	v_min3_f16 v24, v25, v26, v27
	v_min3_f16 v22, v22, v23, v24
	v_cvt_f32_f16_e32 v22, v22
	v_min_f32_e32 v21, v21, v22
	v_cvt_f16_f32_e32 v23, v21
	v_add_co_u32 v21, vcc_lo, v18, v40
	v_add_co_ci_u32_e64 v22, null, v19, v41, vcc_lo
	s_and_b32 vcc_lo, exec_lo, s1
	flat_store_short v[21:22], v23
	s_cbranch_vccnz .LBB213_107
; %bb.106:
	v_add_co_u32 v16, vcc_lo, v16, v44
	v_add_co_ci_u32_e64 v17, null, v17, v45, vcc_lo
	flat_load_ushort v16, v[16:17]
	s_waitcnt vmcnt(0) lgkmcnt(0)
	v_mul_f16_e32 v16, v48, v16
	v_cvt_f32_f16_e32 v20, v16
.LBB213_107:
	v_pk_add_f16 v12, v32, v12
	v_pk_add_f16 v17, v33, v13
	v_max_f16_e32 v13, v73, v73
	v_lshrrev_b32_e32 v21, 16, v73
	v_add_nc_u32_e32 v16, 0x50, v76
	v_lshrrev_b32_e32 v22, 16, v12
	v_lshrrev_b32_e32 v23, 16, v17
	v_min_f16_e32 v24, v13, v12
	v_mad_i64_i32 v[12:13], null, v16, s3, 0
	v_min3_f16 v21, v21, v22, v23
	v_max_f32_e32 v22, v20, v20
	v_add_co_u32 v20, vcc_lo, v18, v44
	v_mov_b32_e32 v18, 0
	v_min3_f16 v17, v24, v17, v21
	v_lshlrev_b64 v[12:13], 1, v[12:13]
	v_add_co_ci_u32_e64 v21, null, v19, v45, vcc_lo
	v_cvt_f32_f16_e32 v17, v17
	v_add_co_u32 v12, vcc_lo, s8, v12
	v_add_co_ci_u32_e64 v13, null, s9, v13, vcc_lo
	v_min_f32_e32 v17, v22, v17
	s_and_b32 vcc_lo, exec_lo, s1
	v_cvt_f16_f32_e32 v19, v17
	v_mov_b32_e32 v17, 0
	flat_store_short v[20:21], v19
	s_cbranch_vccnz .LBB213_109
; %bb.108:
	v_add_co_u32 v19, vcc_lo, v12, v36
	v_add_co_ci_u32_e64 v20, null, v13, v37, vcc_lo
	flat_load_ushort v17, v[19:20]
	s_waitcnt vmcnt(0) lgkmcnt(0)
	v_mul_f16_e32 v17, v48, v17
	v_cvt_f32_f16_e32 v17, v17
.LBB213_109:
	v_pk_add_f16 v19, v38, v14
	v_pk_add_f16 v21, v39, v15
	v_max_f16_e32 v20, v72, v72
	v_lshrrev_b32_e32 v22, 16, v72
	v_lshrrev_b32_e32 v23, 16, v19
	v_lshrrev_b32_e32 v24, 16, v21
	v_min_f16_e32 v25, v20, v19
	v_mad_i64_i32 v[19:20], null, v16, s10, 0
	v_min3_f16 v22, v22, v23, v24
	v_min3_f16 v16, v25, v21, v22
	v_max_f32_e32 v21, v17, v17
	v_cvt_f32_f16_e32 v22, v16
	v_lshlrev_b64 v[16:17], 1, v[19:20]
	v_min_f32_e32 v19, v21, v22
	v_add_co_u32 v16, vcc_lo, s4, v16
	v_add_co_ci_u32_e64 v17, null, s5, v17, vcc_lo
	v_cvt_f16_f32_e32 v21, v19
	v_add_co_u32 v19, vcc_lo, v16, v36
	v_add_co_ci_u32_e64 v20, null, v17, v37, vcc_lo
	s_and_b32 vcc_lo, exec_lo, s1
	flat_store_short v[19:20], v21
	s_cbranch_vccnz .LBB213_111
; %bb.110:
	v_add_co_u32 v18, vcc_lo, v12, v42
	v_add_co_ci_u32_e64 v19, null, v13, v43, vcc_lo
	flat_load_ushort v18, v[18:19]
	s_waitcnt vmcnt(0) lgkmcnt(0)
	v_mul_f16_e32 v18, v48, v18
	v_cvt_f32_f16_e32 v18, v18
.LBB213_111:
	v_pk_add_f16 v19, v0, v14
	v_pk_add_f16 v20, v1, v15
	v_max_f16_e32 v21, v71, v71
	v_lshrrev_b32_e32 v22, 16, v71
	v_max_f32_e32 v18, v18, v18
	v_lshrrev_b32_e32 v23, 16, v19
	v_lshrrev_b32_e32 v24, 16, v20
	v_min_f16_e32 v19, v21, v19
	v_min3_f16 v21, v22, v23, v24
	v_min3_f16 v19, v19, v20, v21
	v_add_co_u32 v20, vcc_lo, v16, v42
	v_add_co_ci_u32_e64 v21, null, v17, v43, vcc_lo
	v_cvt_f32_f16_e32 v19, v19
	s_and_b32 vcc_lo, exec_lo, s1
	v_min_f32_e32 v18, v18, v19
	v_mov_b32_e32 v19, 0
	v_cvt_f16_f32_e32 v22, v18
	v_mov_b32_e32 v18, 0
	flat_store_short v[20:21], v22
	s_cbranch_vccnz .LBB213_113
; %bb.112:
	v_add_co_u32 v19, vcc_lo, v12, v40
	v_add_co_ci_u32_e64 v20, null, v13, v41, vcc_lo
	flat_load_ushort v19, v[19:20]
	s_waitcnt vmcnt(0) lgkmcnt(0)
	v_mul_f16_e32 v19, v48, v19
	v_cvt_f32_f16_e32 v19, v19
.LBB213_113:
	v_pk_add_f16 v20, v2, v14
	v_pk_add_f16 v21, v3, v15
	v_max_f16_e32 v22, v70, v70
	v_lshrrev_b32_e32 v23, 16, v70
	v_max_f32_e32 v19, v19, v19
	v_lshrrev_b32_e32 v24, 16, v20
	v_lshrrev_b32_e32 v25, 16, v21
	v_min_f16_e32 v20, v22, v20
	v_min3_f16 v22, v23, v24, v25
	v_min3_f16 v20, v20, v21, v22
	v_cvt_f32_f16_e32 v20, v20
	v_min_f32_e32 v19, v19, v20
	v_cvt_f16_f32_e32 v21, v19
	v_add_co_u32 v19, vcc_lo, v16, v40
	v_add_co_ci_u32_e64 v20, null, v17, v41, vcc_lo
	s_and_b32 vcc_lo, exec_lo, s1
	flat_store_short v[19:20], v21
	s_cbranch_vccnz .LBB213_115
; %bb.114:
	v_add_co_u32 v12, vcc_lo, v12, v44
	v_add_co_ci_u32_e64 v13, null, v13, v45, vcc_lo
	flat_load_ushort v12, v[12:13]
	s_waitcnt vmcnt(0) lgkmcnt(0)
	v_mul_f16_e32 v12, v48, v12
	v_cvt_f32_f16_e32 v18, v12
.LBB213_115:
	v_pk_add_f16 v12, v32, v14
	v_pk_add_f16 v15, v33, v15
	v_max_f16_e32 v13, v69, v69
	v_lshrrev_b32_e32 v19, 16, v69
	v_add_nc_u32_e32 v14, 0x58, v76
	v_lshrrev_b32_e32 v20, 16, v12
	v_lshrrev_b32_e32 v21, 16, v15
	v_min_f16_e32 v22, v13, v12
	v_mad_i64_i32 v[12:13], null, v14, s3, 0
	v_min3_f16 v19, v19, v20, v21
	v_max_f32_e32 v20, v18, v18
	v_add_co_u32 v18, vcc_lo, v16, v44
	v_mov_b32_e32 v16, 0
	v_min3_f16 v15, v22, v15, v19
	v_lshlrev_b64 v[12:13], 1, v[12:13]
	v_add_co_ci_u32_e64 v19, null, v17, v45, vcc_lo
	v_cvt_f32_f16_e32 v15, v15
	v_add_co_u32 v12, vcc_lo, s8, v12
	v_add_co_ci_u32_e64 v13, null, s9, v13, vcc_lo
	v_min_f32_e32 v15, v20, v15
	s_and_b32 vcc_lo, exec_lo, s1
	v_cvt_f16_f32_e32 v17, v15
	v_mov_b32_e32 v15, 0
	flat_store_short v[18:19], v17
	s_cbranch_vccnz .LBB213_117
; %bb.116:
	v_add_co_u32 v17, vcc_lo, v12, v36
	v_add_co_ci_u32_e64 v18, null, v13, v37, vcc_lo
	flat_load_ushort v15, v[17:18]
	s_waitcnt vmcnt(0) lgkmcnt(0)
	v_mul_f16_e32 v15, v48, v15
	v_cvt_f32_f16_e32 v15, v15
.LBB213_117:
	v_pk_add_f16 v17, v38, v8
	v_pk_add_f16 v19, v39, v9
	v_max_f16_e32 v18, v68, v68
	v_lshrrev_b32_e32 v20, 16, v68
	v_lshrrev_b32_e32 v21, 16, v17
	;; [unrolled: 1-line block ×3, first 2 shown]
	v_min_f16_e32 v23, v18, v17
	v_mad_i64_i32 v[17:18], null, v14, s10, 0
	v_min3_f16 v20, v20, v21, v22
	v_min3_f16 v14, v23, v19, v20
	v_max_f32_e32 v19, v15, v15
	v_cvt_f32_f16_e32 v20, v14
	v_lshlrev_b64 v[14:15], 1, v[17:18]
	v_min_f32_e32 v17, v19, v20
	v_add_co_u32 v14, vcc_lo, s4, v14
	v_add_co_ci_u32_e64 v15, null, s5, v15, vcc_lo
	v_cvt_f16_f32_e32 v19, v17
	v_add_co_u32 v17, vcc_lo, v14, v36
	v_add_co_ci_u32_e64 v18, null, v15, v37, vcc_lo
	s_and_b32 vcc_lo, exec_lo, s1
	flat_store_short v[17:18], v19
	s_cbranch_vccnz .LBB213_119
; %bb.118:
	v_add_co_u32 v16, vcc_lo, v12, v42
	v_add_co_ci_u32_e64 v17, null, v13, v43, vcc_lo
	flat_load_ushort v16, v[16:17]
	s_waitcnt vmcnt(0) lgkmcnt(0)
	v_mul_f16_e32 v16, v48, v16
	v_cvt_f32_f16_e32 v16, v16
.LBB213_119:
	v_pk_add_f16 v17, v0, v8
	v_pk_add_f16 v18, v1, v9
	v_max_f16_e32 v19, v67, v67
	v_lshrrev_b32_e32 v20, 16, v67
	v_max_f32_e32 v16, v16, v16
	v_lshrrev_b32_e32 v21, 16, v17
	v_lshrrev_b32_e32 v22, 16, v18
	v_min_f16_e32 v17, v19, v17
	v_min3_f16 v19, v20, v21, v22
	v_min3_f16 v17, v17, v18, v19
	v_add_co_u32 v18, vcc_lo, v14, v42
	v_add_co_ci_u32_e64 v19, null, v15, v43, vcc_lo
	v_cvt_f32_f16_e32 v17, v17
	s_and_b32 vcc_lo, exec_lo, s1
	v_min_f32_e32 v16, v16, v17
	v_mov_b32_e32 v17, 0
	v_cvt_f16_f32_e32 v20, v16
	v_mov_b32_e32 v16, 0
	flat_store_short v[18:19], v20
	s_cbranch_vccnz .LBB213_121
; %bb.120:
	v_add_co_u32 v17, vcc_lo, v12, v40
	v_add_co_ci_u32_e64 v18, null, v13, v41, vcc_lo
	flat_load_ushort v17, v[17:18]
	s_waitcnt vmcnt(0) lgkmcnt(0)
	v_mul_f16_e32 v17, v48, v17
	v_cvt_f32_f16_e32 v17, v17
.LBB213_121:
	v_pk_add_f16 v18, v2, v8
	v_pk_add_f16 v19, v3, v9
	v_max_f16_e32 v20, v66, v66
	v_lshrrev_b32_e32 v21, 16, v66
	v_max_f32_e32 v17, v17, v17
	v_lshrrev_b32_e32 v22, 16, v18
	v_lshrrev_b32_e32 v23, 16, v19
	v_min_f16_e32 v18, v20, v18
	v_min3_f16 v20, v21, v22, v23
	v_min3_f16 v18, v18, v19, v20
	v_cvt_f32_f16_e32 v18, v18
	v_min_f32_e32 v17, v17, v18
	v_cvt_f16_f32_e32 v19, v17
	v_add_co_u32 v17, vcc_lo, v14, v40
	v_add_co_ci_u32_e64 v18, null, v15, v41, vcc_lo
	s_and_b32 vcc_lo, exec_lo, s1
	flat_store_short v[17:18], v19
	s_cbranch_vccnz .LBB213_123
; %bb.122:
	v_add_co_u32 v12, vcc_lo, v12, v44
	v_add_co_ci_u32_e64 v13, null, v13, v45, vcc_lo
	flat_load_ushort v12, v[12:13]
	s_waitcnt vmcnt(0) lgkmcnt(0)
	v_mul_f16_e32 v12, v48, v12
	v_cvt_f32_f16_e32 v16, v12
.LBB213_123:
	v_pk_add_f16 v8, v32, v8
	v_pk_add_f16 v13, v33, v9
	v_max_f16_e32 v9, v65, v65
	v_lshrrev_b32_e32 v17, 16, v65
	v_add_nc_u32_e32 v12, 0x60, v76
	v_lshrrev_b32_e32 v18, 16, v8
	v_lshrrev_b32_e32 v19, 16, v13
	v_min_f16_e32 v20, v9, v8
	v_mad_i64_i32 v[8:9], null, v12, s3, 0
	v_min3_f16 v17, v17, v18, v19
	v_max_f32_e32 v18, v16, v16
	v_add_co_u32 v16, vcc_lo, v14, v44
	v_mov_b32_e32 v14, 0
	v_min3_f16 v13, v20, v13, v17
	v_lshlrev_b64 v[8:9], 1, v[8:9]
	v_add_co_ci_u32_e64 v17, null, v15, v45, vcc_lo
	v_cvt_f32_f16_e32 v13, v13
	v_add_co_u32 v8, vcc_lo, s8, v8
	v_add_co_ci_u32_e64 v9, null, s9, v9, vcc_lo
	v_min_f32_e32 v13, v18, v13
	s_and_b32 vcc_lo, exec_lo, s1
	v_cvt_f16_f32_e32 v15, v13
	v_mov_b32_e32 v13, 0
	flat_store_short v[16:17], v15
	s_cbranch_vccnz .LBB213_125
; %bb.124:
	v_add_co_u32 v15, vcc_lo, v8, v36
	v_add_co_ci_u32_e64 v16, null, v9, v37, vcc_lo
	flat_load_ushort v13, v[15:16]
	s_waitcnt vmcnt(0) lgkmcnt(0)
	v_mul_f16_e32 v13, v48, v13
	v_cvt_f32_f16_e32 v13, v13
.LBB213_125:
	v_pk_add_f16 v15, v38, v10
	v_pk_add_f16 v17, v39, v11
	v_max_f16_e32 v16, v64, v64
	v_lshrrev_b32_e32 v18, 16, v64
	v_lshrrev_b32_e32 v19, 16, v15
	;; [unrolled: 1-line block ×3, first 2 shown]
	v_min_f16_e32 v21, v16, v15
	v_mad_i64_i32 v[15:16], null, v12, s10, 0
	v_min3_f16 v18, v18, v19, v20
	v_min3_f16 v12, v21, v17, v18
	v_max_f32_e32 v17, v13, v13
	v_cvt_f32_f16_e32 v18, v12
	v_lshlrev_b64 v[12:13], 1, v[15:16]
	v_min_f32_e32 v15, v17, v18
	v_add_co_u32 v12, vcc_lo, s4, v12
	v_add_co_ci_u32_e64 v13, null, s5, v13, vcc_lo
	v_cvt_f16_f32_e32 v17, v15
	v_add_co_u32 v15, vcc_lo, v12, v36
	v_add_co_ci_u32_e64 v16, null, v13, v37, vcc_lo
	s_and_b32 vcc_lo, exec_lo, s1
	flat_store_short v[15:16], v17
	s_cbranch_vccnz .LBB213_127
; %bb.126:
	v_add_co_u32 v14, vcc_lo, v8, v42
	v_add_co_ci_u32_e64 v15, null, v9, v43, vcc_lo
	flat_load_ushort v14, v[14:15]
	s_waitcnt vmcnt(0) lgkmcnt(0)
	v_mul_f16_e32 v14, v48, v14
	v_cvt_f32_f16_e32 v14, v14
.LBB213_127:
	v_pk_add_f16 v15, v0, v10
	v_pk_add_f16 v16, v1, v11
	v_max_f16_e32 v17, v63, v63
	v_lshrrev_b32_e32 v18, 16, v63
	v_max_f32_e32 v14, v14, v14
	v_lshrrev_b32_e32 v19, 16, v15
	v_lshrrev_b32_e32 v20, 16, v16
	v_min_f16_e32 v15, v17, v15
	v_min3_f16 v17, v18, v19, v20
	v_min3_f16 v15, v15, v16, v17
	v_add_co_u32 v16, vcc_lo, v12, v42
	v_add_co_ci_u32_e64 v17, null, v13, v43, vcc_lo
	v_cvt_f32_f16_e32 v15, v15
	s_and_b32 vcc_lo, exec_lo, s1
	v_min_f32_e32 v14, v14, v15
	v_mov_b32_e32 v15, 0
	v_cvt_f16_f32_e32 v18, v14
	v_mov_b32_e32 v14, 0
	flat_store_short v[16:17], v18
	s_cbranch_vccnz .LBB213_129
; %bb.128:
	v_add_co_u32 v15, vcc_lo, v8, v40
	v_add_co_ci_u32_e64 v16, null, v9, v41, vcc_lo
	flat_load_ushort v15, v[15:16]
	s_waitcnt vmcnt(0) lgkmcnt(0)
	v_mul_f16_e32 v15, v48, v15
	v_cvt_f32_f16_e32 v15, v15
.LBB213_129:
	v_pk_add_f16 v16, v2, v10
	v_pk_add_f16 v17, v3, v11
	v_max_f16_e32 v18, v62, v62
	v_lshrrev_b32_e32 v19, 16, v62
	v_max_f32_e32 v15, v15, v15
	v_lshrrev_b32_e32 v20, 16, v16
	v_lshrrev_b32_e32 v21, 16, v17
	v_min_f16_e32 v16, v18, v16
	v_min3_f16 v18, v19, v20, v21
	v_min3_f16 v16, v16, v17, v18
	v_cvt_f32_f16_e32 v16, v16
	v_min_f32_e32 v15, v15, v16
	v_cvt_f16_f32_e32 v17, v15
	v_add_co_u32 v15, vcc_lo, v12, v40
	v_add_co_ci_u32_e64 v16, null, v13, v41, vcc_lo
	s_and_b32 vcc_lo, exec_lo, s1
	flat_store_short v[15:16], v17
	s_cbranch_vccnz .LBB213_131
; %bb.130:
	v_add_co_u32 v8, vcc_lo, v8, v44
	v_add_co_ci_u32_e64 v9, null, v9, v45, vcc_lo
	flat_load_ushort v8, v[8:9]
	s_waitcnt vmcnt(0) lgkmcnt(0)
	v_mul_f16_e32 v8, v48, v8
	v_cvt_f32_f16_e32 v14, v8
.LBB213_131:
	v_pk_add_f16 v8, v32, v10
	v_pk_add_f16 v11, v33, v11
	v_max_f16_e32 v9, v61, v61
	v_lshrrev_b32_e32 v15, 16, v61
	v_add_nc_u32_e32 v10, 0x68, v76
	v_lshrrev_b32_e32 v16, 16, v8
	v_lshrrev_b32_e32 v17, 16, v11
	v_min_f16_e32 v18, v9, v8
	v_mad_i64_i32 v[8:9], null, v10, s3, 0
	v_min3_f16 v15, v15, v16, v17
	v_max_f32_e32 v16, v14, v14
	v_add_co_u32 v14, vcc_lo, v12, v44
	v_mov_b32_e32 v12, 0
	v_min3_f16 v11, v18, v11, v15
	v_lshlrev_b64 v[8:9], 1, v[8:9]
	v_add_co_ci_u32_e64 v15, null, v13, v45, vcc_lo
	v_cvt_f32_f16_e32 v11, v11
	v_add_co_u32 v8, vcc_lo, s8, v8
	v_add_co_ci_u32_e64 v9, null, s9, v9, vcc_lo
	v_min_f32_e32 v11, v16, v11
	s_and_b32 vcc_lo, exec_lo, s1
	v_cvt_f16_f32_e32 v13, v11
	v_mov_b32_e32 v11, 0
	flat_store_short v[14:15], v13
	s_cbranch_vccnz .LBB213_133
; %bb.132:
	v_add_co_u32 v13, vcc_lo, v8, v36
	v_add_co_ci_u32_e64 v14, null, v9, v37, vcc_lo
	flat_load_ushort v11, v[13:14]
	s_waitcnt vmcnt(0) lgkmcnt(0)
	v_mul_f16_e32 v11, v48, v11
	v_cvt_f32_f16_e32 v11, v11
.LBB213_133:
	v_pk_add_f16 v13, v38, v4
	v_pk_add_f16 v15, v39, v5
	v_max_f16_e32 v14, v60, v60
	v_lshrrev_b32_e32 v16, 16, v60
	v_lshrrev_b32_e32 v17, 16, v13
	;; [unrolled: 1-line block ×3, first 2 shown]
	v_min_f16_e32 v19, v14, v13
	v_mad_i64_i32 v[13:14], null, v10, s10, 0
	v_min3_f16 v16, v16, v17, v18
	v_min3_f16 v10, v19, v15, v16
	v_max_f32_e32 v15, v11, v11
	v_cvt_f32_f16_e32 v16, v10
	v_lshlrev_b64 v[10:11], 1, v[13:14]
	v_min_f32_e32 v13, v15, v16
	v_add_co_u32 v10, vcc_lo, s4, v10
	v_add_co_ci_u32_e64 v11, null, s5, v11, vcc_lo
	v_cvt_f16_f32_e32 v15, v13
	v_add_co_u32 v13, vcc_lo, v10, v36
	v_add_co_ci_u32_e64 v14, null, v11, v37, vcc_lo
	s_and_b32 vcc_lo, exec_lo, s1
	flat_store_short v[13:14], v15
	s_cbranch_vccnz .LBB213_135
; %bb.134:
	v_add_co_u32 v12, vcc_lo, v8, v42
	v_add_co_ci_u32_e64 v13, null, v9, v43, vcc_lo
	flat_load_ushort v12, v[12:13]
	s_waitcnt vmcnt(0) lgkmcnt(0)
	v_mul_f16_e32 v12, v48, v12
	v_cvt_f32_f16_e32 v12, v12
.LBB213_135:
	v_pk_add_f16 v13, v0, v4
	v_pk_add_f16 v14, v1, v5
	v_max_f16_e32 v15, v59, v59
	v_lshrrev_b32_e32 v16, 16, v59
	v_max_f32_e32 v12, v12, v12
	v_lshrrev_b32_e32 v17, 16, v13
	v_lshrrev_b32_e32 v18, 16, v14
	v_min_f16_e32 v13, v15, v13
	v_min3_f16 v15, v16, v17, v18
	v_min3_f16 v13, v13, v14, v15
	v_add_co_u32 v14, vcc_lo, v10, v42
	v_add_co_ci_u32_e64 v15, null, v11, v43, vcc_lo
	v_cvt_f32_f16_e32 v13, v13
	s_and_b32 vcc_lo, exec_lo, s1
	v_min_f32_e32 v12, v12, v13
	v_mov_b32_e32 v13, 0
	v_cvt_f16_f32_e32 v16, v12
	v_mov_b32_e32 v12, 0
	flat_store_short v[14:15], v16
	s_cbranch_vccnz .LBB213_137
; %bb.136:
	v_add_co_u32 v13, vcc_lo, v8, v40
	v_add_co_ci_u32_e64 v14, null, v9, v41, vcc_lo
	flat_load_ushort v13, v[13:14]
	s_waitcnt vmcnt(0) lgkmcnt(0)
	v_mul_f16_e32 v13, v48, v13
	v_cvt_f32_f16_e32 v13, v13
.LBB213_137:
	v_pk_add_f16 v14, v2, v4
	v_pk_add_f16 v15, v3, v5
	v_max_f16_e32 v16, v57, v57
	v_lshrrev_b32_e32 v17, 16, v57
	v_max_f32_e32 v13, v13, v13
	v_lshrrev_b32_e32 v18, 16, v14
	v_lshrrev_b32_e32 v19, 16, v15
	v_min_f16_e32 v14, v16, v14
	v_min3_f16 v16, v17, v18, v19
	v_min3_f16 v14, v14, v15, v16
	v_cvt_f32_f16_e32 v14, v14
	v_min_f32_e32 v13, v13, v14
	v_cvt_f16_f32_e32 v15, v13
	v_add_co_u32 v13, vcc_lo, v10, v40
	v_add_co_ci_u32_e64 v14, null, v11, v41, vcc_lo
	s_and_b32 vcc_lo, exec_lo, s1
	flat_store_short v[13:14], v15
	s_cbranch_vccnz .LBB213_139
; %bb.138:
	v_add_co_u32 v8, vcc_lo, v8, v44
	v_add_co_ci_u32_e64 v9, null, v9, v45, vcc_lo
	flat_load_ushort v8, v[8:9]
	s_waitcnt vmcnt(0) lgkmcnt(0)
	v_mul_f16_e32 v8, v48, v8
	v_cvt_f32_f16_e32 v12, v8
.LBB213_139:
	v_pk_add_f16 v4, v32, v4
	v_pk_add_f16 v9, v33, v5
	v_max_f16_e32 v5, v58, v58
	v_lshrrev_b32_e32 v13, 16, v58
	v_add_nc_u32_e32 v8, 0x70, v76
	v_lshrrev_b32_e32 v14, 16, v4
	v_lshrrev_b32_e32 v15, 16, v9
	v_min_f16_e32 v16, v5, v4
	v_mad_i64_i32 v[4:5], null, v8, s3, 0
	v_min3_f16 v13, v13, v14, v15
	v_max_f32_e32 v14, v12, v12
	v_add_co_u32 v12, vcc_lo, v10, v44
	v_mov_b32_e32 v10, 0
	v_min3_f16 v9, v16, v9, v13
	v_lshlrev_b64 v[4:5], 1, v[4:5]
	v_add_co_ci_u32_e64 v13, null, v11, v45, vcc_lo
	v_cvt_f32_f16_e32 v9, v9
	v_add_co_u32 v4, vcc_lo, s8, v4
	v_add_co_ci_u32_e64 v5, null, s9, v5, vcc_lo
	v_min_f32_e32 v9, v14, v9
	s_and_b32 vcc_lo, exec_lo, s1
	v_cvt_f16_f32_e32 v11, v9
	v_mov_b32_e32 v9, 0
	flat_store_short v[12:13], v11
	s_cbranch_vccnz .LBB213_141
; %bb.140:
	v_add_co_u32 v11, vcc_lo, v4, v36
	v_add_co_ci_u32_e64 v12, null, v5, v37, vcc_lo
	flat_load_ushort v9, v[11:12]
	s_waitcnt vmcnt(0) lgkmcnt(0)
	v_mul_f16_e32 v9, v48, v9
	v_cvt_f32_f16_e32 v9, v9
.LBB213_141:
	v_pk_add_f16 v11, v38, v6
	v_pk_add_f16 v13, v39, v7
	v_max_f16_e32 v12, v56, v56
	v_lshrrev_b32_e32 v14, 16, v56
	v_lshrrev_b32_e32 v15, 16, v11
	;; [unrolled: 1-line block ×3, first 2 shown]
	v_min_f16_e32 v17, v12, v11
	v_mad_i64_i32 v[11:12], null, v8, s10, 0
	v_min3_f16 v14, v14, v15, v16
	v_min3_f16 v8, v17, v13, v14
	v_max_f32_e32 v13, v9, v9
	v_cvt_f32_f16_e32 v14, v8
	v_lshlrev_b64 v[8:9], 1, v[11:12]
	v_min_f32_e32 v11, v13, v14
	v_add_co_u32 v8, vcc_lo, s4, v8
	v_add_co_ci_u32_e64 v9, null, s5, v9, vcc_lo
	v_cvt_f16_f32_e32 v13, v11
	v_add_co_u32 v11, vcc_lo, v8, v36
	v_add_co_ci_u32_e64 v12, null, v9, v37, vcc_lo
	s_and_b32 vcc_lo, exec_lo, s1
	flat_store_short v[11:12], v13
	s_cbranch_vccnz .LBB213_143
; %bb.142:
	v_add_co_u32 v10, vcc_lo, v4, v42
	v_add_co_ci_u32_e64 v11, null, v5, v43, vcc_lo
	flat_load_ushort v10, v[10:11]
	s_waitcnt vmcnt(0) lgkmcnt(0)
	v_mul_f16_e32 v10, v48, v10
	v_cvt_f32_f16_e32 v10, v10
.LBB213_143:
	v_pk_add_f16 v11, v0, v6
	v_pk_add_f16 v12, v1, v7
	v_max_f16_e32 v13, v55, v55
	v_lshrrev_b32_e32 v14, 16, v55
	v_max_f32_e32 v10, v10, v10
	v_lshrrev_b32_e32 v15, 16, v11
	v_lshrrev_b32_e32 v16, 16, v12
	v_min_f16_e32 v11, v13, v11
	v_min3_f16 v13, v14, v15, v16
	v_min3_f16 v11, v11, v12, v13
	v_add_co_u32 v12, vcc_lo, v8, v42
	v_add_co_ci_u32_e64 v13, null, v9, v43, vcc_lo
	v_cvt_f32_f16_e32 v11, v11
	s_and_b32 vcc_lo, exec_lo, s1
	v_min_f32_e32 v10, v10, v11
	v_mov_b32_e32 v11, 0
	v_cvt_f16_f32_e32 v14, v10
	v_mov_b32_e32 v10, 0
	flat_store_short v[12:13], v14
	s_cbranch_vccnz .LBB213_145
; %bb.144:
	v_add_co_u32 v11, vcc_lo, v4, v40
	v_add_co_ci_u32_e64 v12, null, v5, v41, vcc_lo
	flat_load_ushort v11, v[11:12]
	s_waitcnt vmcnt(0) lgkmcnt(0)
	v_mul_f16_e32 v11, v48, v11
	v_cvt_f32_f16_e32 v11, v11
.LBB213_145:
	v_pk_add_f16 v12, v2, v6
	v_pk_add_f16 v13, v3, v7
	v_max_f16_e32 v14, v54, v54
	v_lshrrev_b32_e32 v15, 16, v54
	v_max_f32_e32 v11, v11, v11
	v_lshrrev_b32_e32 v16, 16, v12
	v_lshrrev_b32_e32 v17, 16, v13
	v_min_f16_e32 v12, v14, v12
	v_min3_f16 v14, v15, v16, v17
	v_min3_f16 v12, v12, v13, v14
	v_cvt_f32_f16_e32 v12, v12
	v_min_f32_e32 v11, v11, v12
	v_cvt_f16_f32_e32 v13, v11
	v_add_co_u32 v11, vcc_lo, v8, v40
	v_add_co_ci_u32_e64 v12, null, v9, v41, vcc_lo
	s_and_b32 vcc_lo, exec_lo, s1
	flat_store_short v[11:12], v13
	s_cbranch_vccnz .LBB213_147
; %bb.146:
	v_add_co_u32 v4, vcc_lo, v4, v44
	v_add_co_ci_u32_e64 v5, null, v5, v45, vcc_lo
	flat_load_ushort v4, v[4:5]
	s_waitcnt vmcnt(0) lgkmcnt(0)
	v_mul_f16_e32 v4, v48, v4
	v_cvt_f32_f16_e32 v10, v4
.LBB213_147:
	v_pk_add_f16 v4, v32, v6
	v_pk_add_f16 v7, v33, v7
	v_max_f16_e32 v5, v53, v53
	v_lshrrev_b32_e32 v11, 16, v53
	v_add_nc_u32_e32 v6, 0x78, v76
	v_lshrrev_b32_e32 v12, 16, v4
	v_lshrrev_b32_e32 v13, 16, v7
	v_min_f16_e32 v14, v5, v4
	v_mad_i64_i32 v[4:5], null, v6, s3, 0
	v_min3_f16 v11, v11, v12, v13
	v_max_f32_e32 v12, v10, v10
	v_add_co_u32 v10, vcc_lo, v8, v44
	v_mov_b32_e32 v8, 0
	v_min3_f16 v7, v14, v7, v11
	v_lshlrev_b64 v[4:5], 1, v[4:5]
	v_add_co_ci_u32_e64 v11, null, v9, v45, vcc_lo
	v_cvt_f32_f16_e32 v7, v7
	v_add_co_u32 v4, vcc_lo, s8, v4
	v_add_co_ci_u32_e64 v5, null, s9, v5, vcc_lo
	v_min_f32_e32 v7, v12, v7
	s_and_b32 vcc_lo, exec_lo, s1
	v_cvt_f16_f32_e32 v9, v7
	v_mov_b32_e32 v7, 0
	flat_store_short v[10:11], v9
	s_cbranch_vccnz .LBB213_149
; %bb.148:
	v_add_co_u32 v9, vcc_lo, v4, v36
	v_add_co_ci_u32_e64 v10, null, v5, v37, vcc_lo
	flat_load_ushort v7, v[9:10]
	s_waitcnt vmcnt(0) lgkmcnt(0)
	v_mul_f16_e32 v7, v48, v7
	v_cvt_f32_f16_e32 v7, v7
.LBB213_149:
	v_pk_add_f16 v9, v38, v34
	v_pk_add_f16 v11, v39, v35
	v_max_f16_e32 v10, v52, v52
	v_lshrrev_b32_e32 v12, 16, v52
	v_lshrrev_b32_e32 v13, 16, v9
	;; [unrolled: 1-line block ×3, first 2 shown]
	v_min_f16_e32 v15, v10, v9
	v_mad_i64_i32 v[9:10], null, v6, s10, 0
	v_min3_f16 v12, v12, v13, v14
	v_min3_f16 v6, v15, v11, v12
	v_max_f32_e32 v11, v7, v7
	v_cvt_f32_f16_e32 v12, v6
	v_lshlrev_b64 v[6:7], 1, v[9:10]
	v_min_f32_e32 v9, v11, v12
	v_add_co_u32 v6, vcc_lo, s4, v6
	v_add_co_ci_u32_e64 v7, null, s5, v7, vcc_lo
	v_cvt_f16_f32_e32 v11, v9
	v_add_co_u32 v9, vcc_lo, v6, v36
	v_add_co_ci_u32_e64 v10, null, v7, v37, vcc_lo
	s_and_b32 vcc_lo, exec_lo, s1
	flat_store_short v[9:10], v11
	s_cbranch_vccnz .LBB213_151
; %bb.150:
	v_add_co_u32 v8, vcc_lo, v4, v42
	v_add_co_ci_u32_e64 v9, null, v5, v43, vcc_lo
	flat_load_ushort v8, v[8:9]
	s_waitcnt vmcnt(0) lgkmcnt(0)
	v_mul_f16_e32 v8, v48, v8
	v_cvt_f32_f16_e32 v8, v8
.LBB213_151:
	v_pk_add_f16 v0, v0, v34
	v_pk_add_f16 v1, v1, v35
	v_max_f16_e32 v9, v51, v51
	v_lshrrev_b32_e32 v10, 16, v51
	v_pk_add_f16 v3, v3, v35
	v_lshrrev_b32_e32 v11, 16, v0
	v_lshrrev_b32_e32 v12, 16, v1
	v_min_f16_e32 v0, v9, v0
	s_mov_b32 s1, -1
	v_min3_f16 v9, v10, v11, v12
	v_lshrrev_b32_e32 v10, 16, v50
	v_lshrrev_b32_e32 v12, 16, v3
	v_min3_f16 v0, v0, v1, v9
	v_pk_add_f16 v9, v2, v34
	v_max_f32_e32 v1, v8, v8
	v_max_f16_e32 v8, v50, v50
	v_cvt_f32_f16_e32 v0, v0
	v_lshrrev_b32_e32 v11, 16, v9
	v_min_f16_e32 v8, v8, v9
	v_min_f32_e32 v0, v1, v0
	v_min3_f16 v9, v10, v11, v12
	v_add_co_u32 v1, vcc_lo, v6, v42
	v_add_co_ci_u32_e64 v2, null, v7, v43, vcc_lo
	v_cvt_f16_f32_e32 v10, v0
	v_min3_f16 v0, v8, v3, v9
	s_mov_b32 vcc_lo, s0
	flat_store_short v[1:2], v10
	s_cbranch_vccz .LBB213_153
; %bb.152:
	v_cvt_f32_f16_e32 v1, v0
	s_mov_b32 s1, 0
	v_min_f32_e32 v1, 0, v1
	v_cvt_f16_f32_e32 v3, v1
	v_add_co_u32 v1, vcc_lo, v6, v40
	v_add_co_ci_u32_e64 v2, null, v7, v41, vcc_lo
	flat_store_short v[1:2], v3
.LBB213_153:
	v_mov_b32_e32 v1, 0
	s_andn2_b32 vcc_lo, exec_lo, s1
	s_cbranch_vccnz .LBB213_155
; %bb.154:
	v_add_co_u32 v1, vcc_lo, v4, v40
	v_add_co_ci_u32_e64 v2, null, v5, v41, vcc_lo
	flat_load_ushort v1, v[1:2]
	v_max_f16_e32 v2, v0, v0
	v_add_co_u32 v0, vcc_lo, v6, v40
	s_waitcnt vmcnt(0) lgkmcnt(0)
	v_mul_f16_e32 v3, v48, v1
	v_add_co_ci_u32_e64 v1, null, v7, v41, vcc_lo
	v_min_f16_e32 v8, v3, v2
	v_add_co_u32 v2, vcc_lo, v4, v44
	v_add_co_ci_u32_e64 v3, null, v5, v45, vcc_lo
	flat_store_short v[0:1], v8
	flat_load_ushort v0, v[2:3]
	s_waitcnt vmcnt(0) lgkmcnt(0)
	v_mul_f16_e32 v0, v48, v0
	v_cvt_f32_f16_e32 v1, v0
.LBB213_155:
	v_pk_add_f16 v0, v32, v34
	v_pk_add_f16 v2, v33, v35
	v_max_f16_e32 v3, v49, v49
	v_lshrrev_b32_e32 v4, 16, v49
	v_max_f32_e32 v1, v1, v1
	v_lshrrev_b32_e32 v5, 16, v0
	v_lshrrev_b32_e32 v8, 16, v2
	v_min_f16_e32 v0, v3, v0
	v_min3_f16 v3, v4, v5, v8
	v_min3_f16 v0, v0, v2, v3
	v_cvt_f32_f16_e32 v0, v0
	v_min_f32_e32 v0, v1, v0
	v_cvt_f16_f32_e32 v2, v0
	v_add_co_u32 v0, vcc_lo, v6, v44
	v_add_co_ci_u32_e64 v1, null, v7, v45, vcc_lo
	flat_store_short v[0:1], v2
	s_endpgm
	.section	.rodata,"a",@progbits
	.p2align	6, 0x0
	.amdhsa_kernel _ZN12_GLOBAL__N_120geam_min_plus_kernelIDF16_Dv2_DF16_S1_Li32ELi8ELi128ELi128ELi4ELi4ELi64ELi4ELi64ELc84ELc78ELb0ELb0ELb1EPKDF16_KS3_KPDF16_EEviiiT16_PT17_ilS9_ilS7_S9_ilPT18_ili26rocblas_geam_ex_operation_
		.amdhsa_group_segment_fixed_size 4096
		.amdhsa_private_segment_fixed_size 0
		.amdhsa_kernarg_size 136
		.amdhsa_user_sgpr_count 6
		.amdhsa_user_sgpr_private_segment_buffer 1
		.amdhsa_user_sgpr_dispatch_ptr 0
		.amdhsa_user_sgpr_queue_ptr 0
		.amdhsa_user_sgpr_kernarg_segment_ptr 1
		.amdhsa_user_sgpr_dispatch_id 0
		.amdhsa_user_sgpr_flat_scratch_init 0
		.amdhsa_user_sgpr_private_segment_size 0
		.amdhsa_wavefront_size32 1
		.amdhsa_uses_dynamic_stack 0
		.amdhsa_system_sgpr_private_segment_wavefront_offset 0
		.amdhsa_system_sgpr_workgroup_id_x 1
		.amdhsa_system_sgpr_workgroup_id_y 0
		.amdhsa_system_sgpr_workgroup_id_z 1
		.amdhsa_system_sgpr_workgroup_info 0
		.amdhsa_system_vgpr_workitem_id 1
		.amdhsa_next_free_vgpr 169
		.amdhsa_next_free_sgpr 24
		.amdhsa_reserve_vcc 1
		.amdhsa_reserve_flat_scratch 1
		.amdhsa_float_round_mode_32 0
		.amdhsa_float_round_mode_16_64 0
		.amdhsa_float_denorm_mode_32 3
		.amdhsa_float_denorm_mode_16_64 3
		.amdhsa_dx10_clamp 1
		.amdhsa_ieee_mode 1
		.amdhsa_fp16_overflow 0
		.amdhsa_workgroup_processor_mode 1
		.amdhsa_memory_ordered 1
		.amdhsa_forward_progress 1
		.amdhsa_shared_vgpr_count 0
		.amdhsa_exception_fp_ieee_invalid_op 0
		.amdhsa_exception_fp_denorm_src 0
		.amdhsa_exception_fp_ieee_div_zero 0
		.amdhsa_exception_fp_ieee_overflow 0
		.amdhsa_exception_fp_ieee_underflow 0
		.amdhsa_exception_fp_ieee_inexact 0
		.amdhsa_exception_int_div_zero 0
	.end_amdhsa_kernel
	.section	.text._ZN12_GLOBAL__N_120geam_min_plus_kernelIDF16_Dv2_DF16_S1_Li32ELi8ELi128ELi128ELi4ELi4ELi64ELi4ELi64ELc84ELc78ELb0ELb0ELb1EPKDF16_KS3_KPDF16_EEviiiT16_PT17_ilS9_ilS7_S9_ilPT18_ili26rocblas_geam_ex_operation_,"axG",@progbits,_ZN12_GLOBAL__N_120geam_min_plus_kernelIDF16_Dv2_DF16_S1_Li32ELi8ELi128ELi128ELi4ELi4ELi64ELi4ELi64ELc84ELc78ELb0ELb0ELb1EPKDF16_KS3_KPDF16_EEviiiT16_PT17_ilS9_ilS7_S9_ilPT18_ili26rocblas_geam_ex_operation_,comdat
.Lfunc_end213:
	.size	_ZN12_GLOBAL__N_120geam_min_plus_kernelIDF16_Dv2_DF16_S1_Li32ELi8ELi128ELi128ELi4ELi4ELi64ELi4ELi64ELc84ELc78ELb0ELb0ELb1EPKDF16_KS3_KPDF16_EEviiiT16_PT17_ilS9_ilS7_S9_ilPT18_ili26rocblas_geam_ex_operation_, .Lfunc_end213-_ZN12_GLOBAL__N_120geam_min_plus_kernelIDF16_Dv2_DF16_S1_Li32ELi8ELi128ELi128ELi4ELi4ELi64ELi4ELi64ELc84ELc78ELb0ELb0ELb1EPKDF16_KS3_KPDF16_EEviiiT16_PT17_ilS9_ilS7_S9_ilPT18_ili26rocblas_geam_ex_operation_
                                        ; -- End function
	.set _ZN12_GLOBAL__N_120geam_min_plus_kernelIDF16_Dv2_DF16_S1_Li32ELi8ELi128ELi128ELi4ELi4ELi64ELi4ELi64ELc84ELc78ELb0ELb0ELb1EPKDF16_KS3_KPDF16_EEviiiT16_PT17_ilS9_ilS7_S9_ilPT18_ili26rocblas_geam_ex_operation_.num_vgpr, 169
	.set _ZN12_GLOBAL__N_120geam_min_plus_kernelIDF16_Dv2_DF16_S1_Li32ELi8ELi128ELi128ELi4ELi4ELi64ELi4ELi64ELc84ELc78ELb0ELb0ELb1EPKDF16_KS3_KPDF16_EEviiiT16_PT17_ilS9_ilS7_S9_ilPT18_ili26rocblas_geam_ex_operation_.num_agpr, 0
	.set _ZN12_GLOBAL__N_120geam_min_plus_kernelIDF16_Dv2_DF16_S1_Li32ELi8ELi128ELi128ELi4ELi4ELi64ELi4ELi64ELc84ELc78ELb0ELb0ELb1EPKDF16_KS3_KPDF16_EEviiiT16_PT17_ilS9_ilS7_S9_ilPT18_ili26rocblas_geam_ex_operation_.numbered_sgpr, 24
	.set _ZN12_GLOBAL__N_120geam_min_plus_kernelIDF16_Dv2_DF16_S1_Li32ELi8ELi128ELi128ELi4ELi4ELi64ELi4ELi64ELc84ELc78ELb0ELb0ELb1EPKDF16_KS3_KPDF16_EEviiiT16_PT17_ilS9_ilS7_S9_ilPT18_ili26rocblas_geam_ex_operation_.num_named_barrier, 0
	.set _ZN12_GLOBAL__N_120geam_min_plus_kernelIDF16_Dv2_DF16_S1_Li32ELi8ELi128ELi128ELi4ELi4ELi64ELi4ELi64ELc84ELc78ELb0ELb0ELb1EPKDF16_KS3_KPDF16_EEviiiT16_PT17_ilS9_ilS7_S9_ilPT18_ili26rocblas_geam_ex_operation_.private_seg_size, 0
	.set _ZN12_GLOBAL__N_120geam_min_plus_kernelIDF16_Dv2_DF16_S1_Li32ELi8ELi128ELi128ELi4ELi4ELi64ELi4ELi64ELc84ELc78ELb0ELb0ELb1EPKDF16_KS3_KPDF16_EEviiiT16_PT17_ilS9_ilS7_S9_ilPT18_ili26rocblas_geam_ex_operation_.uses_vcc, 1
	.set _ZN12_GLOBAL__N_120geam_min_plus_kernelIDF16_Dv2_DF16_S1_Li32ELi8ELi128ELi128ELi4ELi4ELi64ELi4ELi64ELc84ELc78ELb0ELb0ELb1EPKDF16_KS3_KPDF16_EEviiiT16_PT17_ilS9_ilS7_S9_ilPT18_ili26rocblas_geam_ex_operation_.uses_flat_scratch, 1
	.set _ZN12_GLOBAL__N_120geam_min_plus_kernelIDF16_Dv2_DF16_S1_Li32ELi8ELi128ELi128ELi4ELi4ELi64ELi4ELi64ELc84ELc78ELb0ELb0ELb1EPKDF16_KS3_KPDF16_EEviiiT16_PT17_ilS9_ilS7_S9_ilPT18_ili26rocblas_geam_ex_operation_.has_dyn_sized_stack, 0
	.set _ZN12_GLOBAL__N_120geam_min_plus_kernelIDF16_Dv2_DF16_S1_Li32ELi8ELi128ELi128ELi4ELi4ELi64ELi4ELi64ELc84ELc78ELb0ELb0ELb1EPKDF16_KS3_KPDF16_EEviiiT16_PT17_ilS9_ilS7_S9_ilPT18_ili26rocblas_geam_ex_operation_.has_recursion, 0
	.set _ZN12_GLOBAL__N_120geam_min_plus_kernelIDF16_Dv2_DF16_S1_Li32ELi8ELi128ELi128ELi4ELi4ELi64ELi4ELi64ELc84ELc78ELb0ELb0ELb1EPKDF16_KS3_KPDF16_EEviiiT16_PT17_ilS9_ilS7_S9_ilPT18_ili26rocblas_geam_ex_operation_.has_indirect_call, 0
	.section	.AMDGPU.csdata,"",@progbits
; Kernel info:
; codeLenInByte = 19940
; TotalNumSgprs: 26
; NumVgprs: 169
; ScratchSize: 0
; MemoryBound: 0
; FloatMode: 240
; IeeeMode: 1
; LDSByteSize: 4096 bytes/workgroup (compile time only)
; SGPRBlocks: 0
; VGPRBlocks: 21
; NumSGPRsForWavesPerEU: 26
; NumVGPRsForWavesPerEU: 169
; Occupancy: 5
; WaveLimiterHint : 1
; COMPUTE_PGM_RSRC2:SCRATCH_EN: 0
; COMPUTE_PGM_RSRC2:USER_SGPR: 6
; COMPUTE_PGM_RSRC2:TRAP_HANDLER: 0
; COMPUTE_PGM_RSRC2:TGID_X_EN: 1
; COMPUTE_PGM_RSRC2:TGID_Y_EN: 0
; COMPUTE_PGM_RSRC2:TGID_Z_EN: 1
; COMPUTE_PGM_RSRC2:TIDIG_COMP_CNT: 1
	.section	.text._ZN12_GLOBAL__N_120geam_min_plus_kernelIDF16_Dv2_DF16_S1_Li32ELi8ELi128ELi128ELi4ELi4ELi64ELi4ELi64ELc84ELc78ELb1ELb0ELb1EDF16_KPKDF16_KPDF16_EEviiiT16_PT17_ilS9_ilS7_S9_ilPT18_ili26rocblas_geam_ex_operation_,"axG",@progbits,_ZN12_GLOBAL__N_120geam_min_plus_kernelIDF16_Dv2_DF16_S1_Li32ELi8ELi128ELi128ELi4ELi4ELi64ELi4ELi64ELc84ELc78ELb1ELb0ELb1EDF16_KPKDF16_KPDF16_EEviiiT16_PT17_ilS9_ilS7_S9_ilPT18_ili26rocblas_geam_ex_operation_,comdat
	.globl	_ZN12_GLOBAL__N_120geam_min_plus_kernelIDF16_Dv2_DF16_S1_Li32ELi8ELi128ELi128ELi4ELi4ELi64ELi4ELi64ELc84ELc78ELb1ELb0ELb1EDF16_KPKDF16_KPDF16_EEviiiT16_PT17_ilS9_ilS7_S9_ilPT18_ili26rocblas_geam_ex_operation_ ; -- Begin function _ZN12_GLOBAL__N_120geam_min_plus_kernelIDF16_Dv2_DF16_S1_Li32ELi8ELi128ELi128ELi4ELi4ELi64ELi4ELi64ELc84ELc78ELb1ELb0ELb1EDF16_KPKDF16_KPDF16_EEviiiT16_PT17_ilS9_ilS7_S9_ilPT18_ili26rocblas_geam_ex_operation_
	.p2align	8
	.type	_ZN12_GLOBAL__N_120geam_min_plus_kernelIDF16_Dv2_DF16_S1_Li32ELi8ELi128ELi128ELi4ELi4ELi64ELi4ELi64ELc84ELc78ELb1ELb0ELb1EDF16_KPKDF16_KPDF16_EEviiiT16_PT17_ilS9_ilS7_S9_ilPT18_ili26rocblas_geam_ex_operation_,@function
_ZN12_GLOBAL__N_120geam_min_plus_kernelIDF16_Dv2_DF16_S1_Li32ELi8ELi128ELi128ELi4ELi4ELi64ELi4ELi64ELc84ELc78ELb1ELb0ELb1EDF16_KPKDF16_KPDF16_EEviiiT16_PT17_ilS9_ilS7_S9_ilPT18_ili26rocblas_geam_ex_operation_: ; @_ZN12_GLOBAL__N_120geam_min_plus_kernelIDF16_Dv2_DF16_S1_Li32ELi8ELi128ELi128ELi4ELi4ELi64ELi4ELi64ELc84ELc78ELb1ELb0ELb1EDF16_KPKDF16_KPDF16_EEviiiT16_PT17_ilS9_ilS7_S9_ilPT18_ili26rocblas_geam_ex_operation_
; %bb.0:
	s_mov_b64 s[26:27], s[2:3]
	s_mov_b64 s[24:25], s[0:1]
	s_clause 0x1
	s_load_dwordx2 s[14:15], s[4:5], 0x8
	s_load_dwordx4 s[0:3], s[4:5], 0x20
	s_add_u32 s24, s24, s8
	s_mov_b32 s8, s7
	v_mov_b32_e32 v133, v0
	s_addc_u32 s25, s25, 0
	s_mov_b32 s9, 0
	s_waitcnt lgkmcnt(0)
	v_cmp_eq_f16_e64 s7, s15, 0
	s_and_b32 vcc_lo, exec_lo, s7
	s_cbranch_vccnz .LBB214_3
; %bb.1:
	s_load_dwordx2 s[10:11], s[4:5], 0x10
	s_lshl_b64 s[12:13], s[8:9], 3
	s_waitcnt lgkmcnt(0)
	s_add_u32 s10, s10, s12
	s_addc_u32 s11, s11, s13
	s_lshl_b64 s[0:1], s[0:1], 1
	s_load_dwordx2 s[10:11], s[10:11], 0x0
	s_waitcnt lgkmcnt(0)
	s_add_u32 s16, s10, s0
	s_addc_u32 s17, s11, s1
	s_andn2_b32 vcc_lo, exec_lo, s7
	s_cbranch_vccnz .LBB214_4
.LBB214_2:
	s_mov_b32 s21, 0
	s_mov_b32 s20, s8
	s_mov_b32 s0, s21
	s_mov_b64 s[12:13], 0
	s_andn2_b32 vcc_lo, exec_lo, s0
	s_mov_b64 s[18:19], 0
	s_cbranch_vccz .LBB214_5
	s_branch .LBB214_6
.LBB214_3:
	s_mov_b64 s[16:17], 0
	s_andn2_b32 vcc_lo, exec_lo, s7
	s_cbranch_vccz .LBB214_2
.LBB214_4:
	s_mov_b64 s[20:21], s[8:9]
	s_mov_b64 s[12:13], 0
	;; [unrolled: 1-line block ×3, first 2 shown]
.LBB214_5:
	s_lshl_b64 s[0:1], s[8:9], 3
	s_load_dwordx2 s[8:9], s[4:5], 0x38
	s_add_u32 s0, s2, s0
	s_addc_u32 s1, s3, s1
	s_load_dwordx2 s[0:1], s[0:1], 0x0
	s_waitcnt lgkmcnt(0)
	s_lshl_b64 s[2:3], s[8:9], 1
	s_add_u32 s18, s0, s2
	s_addc_u32 s19, s1, s3
.LBB214_6:
	s_clause 0x1
	s_load_dword s7, s[4:5], 0x40
	s_load_dwordx4 s[8:11], s[4:5], 0x58
	s_waitcnt lgkmcnt(0)
	v_cmp_eq_f16_e64 s0, s7, 0
	s_and_b32 s0, exec_lo, s0
	s_mov_b32 vcc_lo, s0
	s_cbranch_vccnz .LBB214_8
; %bb.7:
	s_load_dwordx2 s[2:3], s[4:5], 0x48
	s_lshl_b64 s[12:13], s[20:21], 3
	s_waitcnt lgkmcnt(0)
	s_add_u32 s2, s2, s12
	s_addc_u32 s3, s3, s13
	s_lshl_b64 s[8:9], s[8:9], 1
	s_load_dwordx2 s[2:3], s[2:3], 0x0
	s_waitcnt lgkmcnt(0)
	s_add_u32 s12, s2, s8
	s_addc_u32 s13, s3, s9
.LBB214_8:
	s_load_dword s1, s[4:5], 0x0
	s_lshl_b64 s[2:3], s[20:21], 3
	s_clause 0x1
	s_load_dword s8, s[4:5], 0x18
	s_load_dword s9, s[4:5], 0x30
	s_add_u32 s2, s10, s2
	s_addc_u32 s3, s11, s3
	v_lshlrev_b32_e32 v136, 3, v1
	v_lshlrev_b32_e32 v189, 3, v133
	v_add_nc_u32_e32 v47, 0x800, v136
	s_waitcnt lgkmcnt(0)
	s_add_i32 s1, s1, -1
	s_ashr_i32 s10, s1, 31
	s_lshr_b32 s10, s10, 25
	s_add_i32 s1, s1, s10
	s_ashr_i32 s1, s1, 7
	s_add_i32 s10, s1, 1
	s_not_b32 s1, s1
	v_cvt_f32_u32_e32 v0, s10
	v_rcp_iflag_f32_e32 v0, v0
	v_mul_f32_e32 v0, 0x4f7ffffe, v0
	v_cvt_u32_f32_e32 v0, v0
	v_readfirstlane_b32 s11, v0
	v_lshl_add_u32 v0, v1, 5, v133
	s_mul_i32 s1, s1, s11
	v_lshrrev_b32_e32 v16, 2, v0
	s_mul_hi_u32 s1, s11, s1
	v_and_b32_e32 v0, 3, v133
	s_add_i32 s11, s11, s1
	s_mul_hi_u32 s1, s6, s11
	v_lshlrev_b32_e32 v137, 1, v0
	s_mul_i32 s11, s1, s10
	s_add_i32 s15, s1, 1
	s_sub_i32 s11, s6, s11
	s_sub_i32 s20, s11, s10
	s_cmp_ge_u32 s11, s10
	v_lshl_or_b32 v139, v16, 3, v137
	s_cselect_b32 s1, s15, s1
	s_cselect_b32 s11, s20, s11
	s_add_i32 s15, s1, 1
	s_cmp_ge_u32 s11, s10
	s_cselect_b32 s1, s15, s1
	s_mul_i32 s10, s1, s10
	s_lshl_b32 s1, s1, 7
	s_sub_i32 s6, s6, s10
	v_add_nc_u32_e32 v2, s1, v16
	s_lshl_b32 s6, s6, 7
	v_add_co_u32 v14, s10, s16, v137
	v_add_nc_u32_e32 v4, s6, v16
	v_add_nc_u32_e32 v5, 64, v2
	v_mad_i64_i32 v[9:10], null, v2, s9, 0
	v_add_co_ci_u32_e64 v15, null, s17, 0, s10
	v_add_nc_u32_e32 v8, 64, v4
	v_mad_i64_i32 v[2:3], null, v4, s8, 0
	v_mad_i64_i32 v[6:7], null, v5, s9, 0
	;; [unrolled: 1-line block ×3, first 2 shown]
	v_lshlrev_b64 v[4:5], 1, v[9:10]
	v_add_co_u32 v12, s8, s18, v137
	v_lshlrev_b64 v[2:3], 1, v[2:3]
	v_add_co_ci_u32_e64 v13, null, s19, 0, s8
	v_lshlrev_b64 v[8:9], 1, v[6:7]
	v_add_co_u32 v10, vcc_lo, v12, v4
	v_lshlrev_b64 v[6:7], 1, v[17:18]
	v_add_co_ci_u32_e64 v11, null, v13, v5, vcc_lo
	v_add_co_u32 v21, vcc_lo, v14, v2
	v_add_co_ci_u32_e64 v22, null, v15, v3, vcc_lo
	v_add_co_u32 v12, vcc_lo, v12, v8
	;; [unrolled: 2-line block ×3, first 2 shown]
	v_add_co_ci_u32_e64 v15, null, v15, v7, vcc_lo
	flat_load_ushort v17, v[10:11]
	flat_load_ushort v18, v[21:22]
	;; [unrolled: 1-line block ×3, first 2 shown]
	s_clause 0x2
	flat_load_ushort v20, v[14:15]
	flat_load_ushort v51, v[14:15] offset:8
	flat_load_ushort v38, v[21:22] offset:8
	s_clause 0x1
	flat_load_ushort v0, v[12:13] offset:8
	flat_load_ushort v52, v[10:11] offset:8
	s_load_dwordx2 s[2:3], s[2:3], 0x0
	s_cmp_lt_i32 s14, 9
	s_waitcnt vmcnt(7) lgkmcnt(0)
	ds_write_b16 v139, v17 offset:2048
	s_waitcnt vmcnt(6)
	ds_write_b16 v139, v18
	s_waitcnt vmcnt(5)
	ds_write_b16 v139, v19 offset:2560
	s_waitcnt vmcnt(4)
	ds_write_b16 v139, v20 offset:512
	s_waitcnt vmcnt(0) lgkmcnt(0)
	s_barrier
	buffer_gl0_inv
	ds_read2_b64 v[10:13], v189 offset1:32
	ds_read2_b64 v[14:17], v47 offset1:8
	ds_read2_b64 v[18:21], v189 offset0:64 offset1:96
	ds_read2_b64 v[22:25], v47 offset0:16 offset1:24
	;; [unrolled: 1-line block ×8, first 2 shown]
	ds_write_b16 v139, v38 offset:1024
	ds_write_b16 v139, v51 offset:1536
	;; [unrolled: 1-line block ×3, first 2 shown]
	buffer_store_dword v139, off, s[24:27], 0 offset:148 ; 4-byte Folded Spill
	ds_write_b16 v139, v0 offset:3584
	s_waitcnt lgkmcnt(0)
	s_waitcnt_vscnt null, 0x0
	s_barrier
	buffer_gl0_inv
	v_pk_add_f16 v134, v10, v14
	v_pk_add_f16 v51, v12, v14
	;; [unrolled: 1-line block ×128, first 2 shown]
	v_pk_min_f16 v134, 0x7c00, v134 op_sel_hi:[0,1]
	v_pk_min_f16 v50, 0x7c00, v51 op_sel_hi:[0,1]
	;; [unrolled: 1-line block ×64, first 2 shown]
	v_pk_min_f16 v42, v134, v62
	v_pk_min_f16 v94, v50, v63
	v_pk_min_f16 v93, v51, v64
	v_pk_min_f16 v92, v14, v15
	v_pk_min_f16 v91, v52, v65
	v_pk_min_f16 v90, v53, v66
	v_pk_min_f16 v89, v54, v67
	v_pk_min_f16 v254, v16, v17
	v_pk_min_f16 v140, v55, v68
	v_pk_min_f16 v248, v56, v69
	v_pk_min_f16 v245, v57, v70
	v_pk_min_f16 v241, v22, v23
	v_pk_min_f16 v110, v58, v71
	v_pk_min_f16 v109, v59, v72
	v_pk_min_f16 v232, v60, v73
	v_pk_min_f16 v229, v24, v25
	v_pk_min_f16 v108, v61, v80
	v_pk_min_f16 v134, v74, v81
	v_pk_min_f16 v107, v75, v125
	v_pk_min_f16 v216, v26, v27
	v_pk_min_f16 v213, v76, v82
	v_pk_min_f16 v106, v77, v127
	v_pk_min_f16 v207, v78, v84
	v_pk_min_f16 v105, v28, v29
	v_pk_min_f16 v201, v79, v111
	v_pk_min_f16 v198, v87, v112
	v_pk_min_f16 v195, v86, v113
	v_pk_min_f16 v104, v30, v31
	v_pk_min_f16 v88, v88, v114
	v_pk_min_f16 v185, v141, v115
	v_pk_min_f16 v183, v142, v116
	v_pk_min_f16 v181, v32, v33
	v_pk_min_f16 v103, v143, v117
	v_pk_min_f16 v102, v144, v118
	v_pk_min_f16 v101, v145, v119
	v_pk_min_f16 v172, v34, v35
	v_pk_min_f16 v170, v146, v163
	v_pk_min_f16 v100, v147, v120
	v_pk_min_f16 v84, v148, v121
	v_pk_min_f16 v127, v36, v37
	v_pk_min_f16 v99, v149, v122
	v_pk_min_f16 v98, v150, v123
	v_pk_min_f16 v80, v151, v124
	v_pk_min_f16 v97, v39, v40
	v_pk_min_f16 v83, v152, v83
	v_pk_min_f16 v96, v153, v126
	v_pk_min_f16 v95, v154, v85
	v_pk_min_f16 v81, v41, v128
	v_pk_min_f16 v73, v155, v129
	v_pk_min_f16 v72, v156, v130
	v_pk_min_f16 v71, v157, v131
	v_pk_min_f16 v70, v43, v44
	v_pk_min_f16 v69, v158, v38
	v_pk_min_f16 v68, v159, v132
	v_pk_min_f16 v67, v160, v165
	v_pk_min_f16 v66, v45, v46
	v_pk_min_f16 v87, v161, v135
	v_pk_min_f16 v64, v162, v167
	v_pk_min_f16 v63, v138, v49
	v_pk_min_f16 v62, v47, v48
	v_pk_min_f16 v61, v10, v11
	v_pk_min_f16 v60, v12, v13
	v_pk_min_f16 v59, v18, v19
	v_pk_min_f16 v82, v20, v21
	s_cbranch_scc1 .LBB214_12
; %bb.9:
	buffer_load_dword v0, off, s[24:27], 0 offset:148 ; 4-byte Folded Reload
	v_add_co_u32 v112, vcc_lo, s18, v8
	v_add_co_ci_u32_e64 v113, null, s19, v9, vcc_lo
	v_add_co_u32 v114, vcc_lo, s18, v4
	v_add_co_ci_u32_e64 v115, null, s19, v5, vcc_lo
	;; [unrolled: 2-line block ×4, first 2 shown]
	v_mov_b32_e32 v141, v89
	v_mov_b32_e32 v142, v90
	;; [unrolled: 1-line block ×7, first 2 shown]
	s_add_i32 s8, s14, -8
	s_mov_b32 s9, 0
	s_waitcnt vmcnt(0)
	v_add_nc_u32_e32 v10, 0x800, v0
	buffer_store_dword v10, off, s[24:27], 0 offset:152 ; 4-byte Folded Spill
	buffer_store_dword v136, off, s[24:27], 0 offset:184 ; 4-byte Folded Spill
	v_or_b32_e32 v10, 0x800, v136
	buffer_store_dword v10, off, s[24:27], 0 offset:156 ; 4-byte Folded Spill
	v_add_nc_u32_e32 v10, 0x400, v0
	v_add_nc_u32_e32 v0, 0xc00, v0
	buffer_store_dword v10, off, s[24:27], 0 offset:160 ; 4-byte Folded Spill
	buffer_store_dword v0, off, s[24:27], 0 offset:164 ; 4-byte Folded Spill
	;; [unrolled: 1-line block ×3, first 2 shown]
	v_lshl_add_u32 v0, v133, 3, 0x400
	buffer_store_dword v0, off, s[24:27], 0 offset:172 ; 4-byte Folded Spill
	buffer_store_dword v1, off, s[24:27], 0 offset:180 ; 4-byte Folded Spill
	v_lshl_add_u32 v0, v1, 3, 0xc00
	buffer_store_dword v0, off, s[24:27], 0 offset:168 ; 4-byte Folded Spill
.LBB214_10:                             ; =>This Inner Loop Header: Depth=1
	buffer_store_dword v66, off, s[24:27], 0 offset:124 ; 4-byte Folded Spill
	buffer_store_dword v64, off, s[24:27], 0 offset:108 ; 4-byte Folded Spill
	;; [unrolled: 1-line block ×11, first 2 shown]
	buffer_load_dword v1, off, s[24:27], 0 offset:172 ; 4-byte Folded Reload
	v_add_co_u32 v2, vcc_lo, v118, v137
	v_add_co_ci_u32_e64 v3, null, 0, v119, vcc_lo
	v_add_co_u32 v4, vcc_lo, v116, v137
	v_add_co_ci_u32_e64 v5, null, 0, v117, vcc_lo
	;; [unrolled: 2-line block ×4, first 2 shown]
	flat_load_ushort v0, v[2:3] offset:16
	flat_load_ushort v10, v[4:5] offset:16
	;; [unrolled: 1-line block ×4, first 2 shown]
	v_mov_b32_e32 v138, v254
	v_mov_b32_e32 v42, v241
	;; [unrolled: 1-line block ×21, first 2 shown]
	v_add_co_u32 v112, vcc_lo, v112, 16
	v_add_co_ci_u32_e64 v113, null, 0, v113, vcc_lo
	v_add_co_u32 v114, vcc_lo, v114, 16
	v_add_co_ci_u32_e64 v115, null, 0, v115, vcc_lo
	;; [unrolled: 2-line block ×4, first 2 shown]
	s_add_i32 s9, s9, 8
	s_waitcnt vmcnt(4)
	ds_read2_b64 v[13:16], v1 offset1:32
	ds_read2_b64 v[17:20], v1 offset0:64 offset1:96
	buffer_load_dword v1, off, s[24:27], 0 offset:168 ; 4-byte Folded Reload
	s_cmp_ge_i32 s9, s8
	s_waitcnt vmcnt(0)
	ds_read2_b64 v[21:24], v1 offset1:8
	ds_read2_b64 v[25:28], v1 offset0:16 offset1:24
	ds_read2_b64 v[29:32], v1 offset0:32 offset1:40
	;; [unrolled: 1-line block ×7, first 2 shown]
	s_waitcnt lgkmcnt(7)
	v_pk_add_f16 v39, v13, v21
	v_pk_add_f16 v254, v13, v23
	s_waitcnt lgkmcnt(6)
	v_pk_add_f16 v241, v13, v25
	v_pk_add_f16 v229, v13, v27
	s_waitcnt lgkmcnt(5)
	v_pk_add_f16 v216, v13, v29
	s_waitcnt lgkmcnt(2)
	v_pk_add_f16 v1, v15, v58
	v_pk_add_f16 v204, v13, v31
	v_pk_add_f16 v190, v13, v33
	v_pk_add_f16 v181, v13, v35
	v_pk_add_f16 v172, v13, v52
	buffer_store_dword v1, off, s[24:27], 0 offset:144 ; 4-byte Folded Spill
	v_pk_add_f16 v1, v17, v58
	v_pk_add_f16 v164, v13, v54
	v_pk_add_f16 v155, v13, v56
	v_pk_add_f16 v147, v13, v58
	v_pk_add_f16 v46, v15, v21
	buffer_store_dword v1, off, s[24:27], 0 offset:136 ; 4-byte Folded Spill
	;; [unrolled: 6-line block ×3, first 2 shown]
	s_waitcnt lgkmcnt(1)
	v_pk_add_f16 v1, v13, v60
	v_pk_add_f16 v245, v19, v23
	v_pk_add_f16 v238, v15, v25
	v_pk_add_f16 v235, v17, v25
	v_pk_add_f16 v232, v19, v25
	buffer_store_dword v1, off, s[24:27], 0 offset:120 ; 4-byte Folded Spill
	v_pk_add_f16 v1, v15, v60
	v_pk_add_f16 v226, v15, v27
	v_pk_add_f16 v223, v17, v27
	v_pk_add_f16 v220, v19, v27
	v_pk_add_f16 v213, v15, v29
	buffer_store_dword v1, off, s[24:27], 0 offset:116 ; 4-byte Folded Spill
	;; [unrolled: 6-line block ×8, first 2 shown]
	s_waitcnt lgkmcnt(0)
	v_pk_add_f16 v1, v13, v67
	v_pk_add_f16 v58, v16, v24
	v_pk_add_f16 v56, v18, v24
	v_pk_add_f16 v54, v20, v24
	v_pk_add_f16 v51, v14, v26
	buffer_store_dword v1, off, s[24:27], 0 offset:76 ; 4-byte Folded Spill
	v_pk_add_f16 v1, v15, v67
	v_pk_add_f16 v50, v16, v26
	v_pk_add_f16 v48, v18, v26
	v_pk_add_f16 v47, v20, v26
	v_pk_add_f16 v255, v16, v28
	buffer_store_dword v1, off, s[24:27], 0 offset:68 ; 4-byte Folded Spill
	;; [unrolled: 6-line block ×5, first 2 shown]
	buffer_store_dword v13, off, s[24:27], 0 offset:140 ; 4-byte Folded Spill
	v_pk_add_f16 v13, v18, v70
	v_pk_add_f16 v1, v15, v69
	;; [unrolled: 1-line block ×5, first 2 shown]
	buffer_store_dword v13, off, s[24:27], 0 offset:132 ; 4-byte Folded Spill
	v_pk_add_f16 v13, v20, v70
	buffer_store_dword v1, off, s[24:27], 0 offset:48 ; 4-byte Folded Spill
	v_pk_add_f16 v1, v17, v69
	v_pk_add_f16 v217, v20, v34
	;; [unrolled: 1-line block ×3, first 2 shown]
	buffer_store_dword v13, off, s[24:27], 0 offset:20 ; 4-byte Folded Spill
	buffer_load_dword v13, off, s[24:27], 0 offset:148 ; 4-byte Folded Reload
	buffer_store_dword v1, off, s[24:27], 0 offset:36 ; 4-byte Folded Spill
	v_pk_add_f16 v1, v19, v69
	v_pk_add_f16 v211, v16, v36
	v_pk_add_f16 v208, v18, v36
	v_pk_add_f16 v205, v20, v36
	v_pk_add_f16 v202, v14, v53
	buffer_store_dword v1, off, s[24:27], 0 offset:16 ; 4-byte Folded Spill
	v_pk_add_f16 v1, v14, v28
	v_pk_add_f16 v199, v16, v53
	;; [unrolled: 1-line block ×29, first 2 shown]
	s_waitcnt vmcnt(0)
	ds_write_b16 v13, v0
	ds_write_b16 v13, v10 offset:512
	buffer_load_dword v0, off, s[24:27], 0 offset:152 ; 4-byte Folded Reload
	s_waitcnt vmcnt(0)
	ds_write_b16 v0, v11
	ds_write_b16 v0, v12 offset:512
	s_waitcnt lgkmcnt(0)
	s_waitcnt_vscnt null, 0x0
	s_barrier
	buffer_gl0_inv
	flat_load_ushort v0, v[2:3] offset:24
	s_waitcnt vmcnt(0) lgkmcnt(0)
	buffer_store_dword v0, off, s[24:27], 0 ; 4-byte Folded Spill
	flat_load_ushort v0, v[4:5] offset:24
	s_waitcnt vmcnt(0) lgkmcnt(0)
	buffer_store_dword v0, off, s[24:27], 0 offset:4 ; 4-byte Folded Spill
	flat_load_ushort v0, v[6:7] offset:24
	s_waitcnt vmcnt(0) lgkmcnt(0)
	buffer_store_dword v0, off, s[24:27], 0 offset:8 ; 4-byte Folded Spill
	;; [unrolled: 3-line block ×3, first 2 shown]
	ds_read2_b64 v[10:13], v189 offset1:32
	ds_read2_b64 v[2:5], v189 offset0:64 offset1:96
	buffer_load_dword v0, off, s[24:27], 0 offset:156 ; 4-byte Folded Reload
	s_waitcnt vmcnt(0)
	ds_read2_b64 v[71:74], v0 offset1:8
	ds_read2_b64 v[34:37], v0 offset0:16 offset1:24
	ds_read2_b64 v[30:33], v0 offset0:32 offset1:40
	;; [unrolled: 1-line block ×7, first 2 shown]
	s_waitcnt lgkmcnt(7)
	v_pk_add_f16 v75, v10, v71
	v_pk_add_f16 v77, v2, v71
	v_pk_add_f16 v120, v10, v73
	v_pk_add_f16 v122, v2, v73
	s_waitcnt lgkmcnt(6)
	v_pk_add_f16 v123, v10, v34
	v_pk_add_f16 v78, v12, v34
	v_pk_add_f16 v124, v2, v34
	v_pk_add_f16 v79, v4, v34
	v_pk_add_f16 v80, v10, v36
	v_pk_add_f16 v70, v12, v36
	v_pk_add_f16 v69, v2, v36
	v_pk_add_f16 v68, v4, v36
	s_waitcnt lgkmcnt(5)
	v_pk_add_f16 v65, v10, v30
	v_pk_add_f16 v63, v12, v30
	v_pk_add_f16 v61, v2, v30
	v_pk_add_f16 v59, v4, v30
	;; [unrolled: 9-line block ×7, first 2 shown]
	v_pk_add_f16 v14, v10, v8
	v_pk_add_f16 v10, v12, v8
	;; [unrolled: 1-line block ×4, first 2 shown]
	v_pk_max_f16 v8, v111, v111
	v_pk_add_f16 v76, v12, v71
	v_pk_add_f16 v71, v4, v71
	;; [unrolled: 1-line block ×4, first 2 shown]
	v_pk_min_f16 v8, v8, v39
	v_pk_add_f16 v4, v11, v72
	v_pk_min_f16 v8, v8, v67
	v_pk_min_f16 v8, v8, v75
	v_pk_min_f16 v111, v8, v4
	v_pk_max_f16 v8, v125, v125
	v_pk_add_f16 v4, v13, v72
	v_pk_min_f16 v8, v8, v46
	v_pk_min_f16 v8, v8, v66
	v_pk_min_f16 v8, v8, v76
	v_pk_min_f16 v125, v8, v4
	v_pk_max_f16 v8, v145, v145
	v_pk_add_f16 v4, v3, v72
	v_pk_min_f16 v8, v8, v45
	;; [unrolled: 6-line block ×26, first 2 shown]
	v_pk_min_f16 v4, v4, v218
	v_pk_min_f16 v0, v4, v0
	buffer_load_dword v4, off, s[24:27], 0 offset:144 ; 4-byte Folded Reload
	v_pk_min_f16 v195, v0, v1
	v_pk_max_f16 v1, v104, v104
	v_pk_add_f16 v0, v5, v27
	v_pk_min_f16 v1, v1, v183
	v_pk_min_f16 v1, v1, v217
	v_pk_min_f16 v1, v1, v40
	v_pk_min_f16 v104, v1, v0
	v_pk_max_f16 v1, v88, v88
	v_pk_add_f16 v0, v11, v29
	v_pk_min_f16 v1, v1, v181
	v_pk_min_f16 v1, v1, v214
	v_pk_min_f16 v1, v1, v253
	;; [unrolled: 6-line block ×18, first 2 shown]
	v_pk_min_f16 v83, v1, v0
	v_pk_max_f16 v1, v96, v96
	v_pk_add_f16 v0, v13, v21
	s_waitcnt vmcnt(0)
	v_pk_min_f16 v1, v1, v4
	buffer_load_dword v4, off, s[24:27], 0 offset:136 ; 4-byte Folded Reload
	v_pk_min_f16 v1, v1, v174
	v_pk_min_f16 v1, v1, v200
	v_pk_min_f16 v96, v1, v0
	v_pk_max_f16 v1, v95, v95
	v_pk_add_f16 v0, v3, v21
	s_waitcnt vmcnt(0)
	v_pk_min_f16 v1, v1, v4
	buffer_load_dword v4, off, s[24:27], 0 offset:128 ; 4-byte Folded Reload
	v_pk_min_f16 v1, v1, v173
	v_pk_min_f16 v1, v1, v197
	;; [unrolled: 8-line block ×6, first 2 shown]
	v_pk_min_f16 v71, v1, v0
	buffer_load_dword v1, off, s[24:27], 0 offset:84 ; 4-byte Folded Reload
	v_pk_add_f16 v0, v5, v15
	s_waitcnt vmcnt(0)
	v_pk_max_f16 v1, v1, v1
	v_pk_min_f16 v1, v1, v4
	buffer_load_dword v4, off, s[24:27], 0 offset:100 ; 4-byte Folded Reload
	v_pk_min_f16 v1, v1, v163
	v_pk_min_f16 v1, v1, v32
	v_pk_min_f16 v70, v1, v0
	buffer_load_dword v1, off, s[24:27], 0 offset:80 ; 4-byte Folded Reload
	v_pk_add_f16 v0, v11, v17
	s_waitcnt vmcnt(0)
	v_pk_max_f16 v1, v1, v1
	v_pk_min_f16 v1, v1, v4
	buffer_load_dword v4, off, s[24:27], 0 offset:96 ; 4-byte Folded Reload
	v_pk_min_f16 v1, v1, v161
	v_pk_min_f16 v1, v1, v30
	;; [unrolled: 9-line block ×5, first 2 shown]
	v_pk_min_f16 v66, v1, v0
	v_pk_max_f16 v1, v87, v87
	v_pk_add_f16 v0, v11, v7
	s_waitcnt vmcnt(0)
	v_pk_min_f16 v1, v1, v4
	buffer_load_dword v4, off, s[24:27], 0 offset:68 ; 4-byte Folded Reload
	v_pk_min_f16 v1, v1, v154
	v_pk_min_f16 v1, v1, v22
	v_pk_min_f16 v87, v1, v0
	buffer_load_dword v1, off, s[24:27], 0 offset:108 ; 4-byte Folded Reload
	v_pk_add_f16 v0, v13, v7
	s_waitcnt vmcnt(0)
	v_pk_max_f16 v1, v1, v1
	v_pk_min_f16 v1, v1, v4
	buffer_load_dword v4, off, s[24:27], 0 offset:64 ; 4-byte Folded Reload
	v_pk_min_f16 v1, v1, v152
	v_pk_min_f16 v1, v1, v20
	v_pk_min_f16 v64, v1, v0
	buffer_load_dword v1, off, s[24:27], 0 offset:44 ; 4-byte Folded Reload
	v_pk_add_f16 v0, v3, v7
	s_waitcnt vmcnt(0)
	v_pk_max_f16 v1, v1, v1
	v_pk_min_f16 v1, v1, v4
	buffer_load_dword v4, off, s[24:27], 0 offset:60 ; 4-byte Folded Reload
	v_pk_min_f16 v1, v1, v151
	v_pk_min_f16 v1, v1, v18
	v_pk_min_f16 v63, v1, v0
	buffer_load_dword v1, off, s[24:27], 0 offset:40 ; 4-byte Folded Reload
	v_pk_add_f16 v0, v5, v7
	s_waitcnt vmcnt(0)
	v_pk_max_f16 v1, v1, v1
	v_pk_min_f16 v1, v1, v4
	buffer_load_dword v4, off, s[24:27], 0 offset:52 ; 4-byte Folded Reload
	v_pk_min_f16 v1, v1, v150
	v_pk_min_f16 v1, v1, v16
	v_pk_min_f16 v62, v1, v0
	buffer_load_dword v1, off, s[24:27], 0 offset:32 ; 4-byte Folded Reload
	v_pk_add_f16 v0, v11, v9
	s_waitcnt vmcnt(0)
	v_pk_max_f16 v1, v1, v1
	v_pk_min_f16 v1, v1, v4
	buffer_load_dword v4, off, s[24:27], 0 offset:48 ; 4-byte Folded Reload
	v_pk_min_f16 v1, v1, v146
	v_pk_min_f16 v1, v1, v14
	v_pk_min_f16 v61, v1, v0
	buffer_load_dword v1, off, s[24:27], 0 offset:28 ; 4-byte Folded Reload
	v_pk_add_f16 v0, v13, v9
	s_waitcnt vmcnt(0)
	v_pk_max_f16 v1, v1, v1
	v_pk_min_f16 v1, v1, v4
	buffer_load_dword v4, off, s[24:27], 0 offset:140 ; 4-byte Folded Reload
	s_waitcnt vmcnt(0)
	v_pk_min_f16 v1, v1, v4
	v_pk_min_f16 v1, v1, v10
	;; [unrolled: 1-line block ×3, first 2 shown]
	buffer_load_dword v1, off, s[24:27], 0 offset:24 ; 4-byte Folded Reload
	v_pk_add_f16 v0, v3, v9
	buffer_load_dword v3, off, s[24:27], 0 offset:36 ; 4-byte Folded Reload
	s_waitcnt vmcnt(1)
	v_pk_max_f16 v1, v1, v1
	s_waitcnt vmcnt(0)
	v_pk_min_f16 v1, v1, v3
	buffer_load_dword v3, off, s[24:27], 0 offset:132 ; 4-byte Folded Reload
	s_waitcnt vmcnt(0)
	v_pk_min_f16 v1, v1, v3
	buffer_load_dword v3, off, s[24:27], 0 offset:16 ; 4-byte Folded Reload
	v_pk_min_f16 v1, v1, v6
	v_pk_min_f16 v59, v1, v0
	v_pk_max_f16 v1, v82, v82
	v_pk_add_f16 v0, v5, v9
	s_waitcnt vmcnt(0)
	v_pk_min_f16 v1, v1, v3
	buffer_load_dword v3, off, s[24:27], 0 offset:20 ; 4-byte Folded Reload
	s_waitcnt vmcnt(0)
	v_pk_min_f16 v1, v1, v3
	v_pk_min_f16 v1, v1, v2
	;; [unrolled: 1-line block ×3, first 2 shown]
	s_clause 0x1
	buffer_load_dword v0, off, s[24:27], 0 offset:160
	buffer_load_dword v1, off, s[24:27], 0
	s_waitcnt vmcnt(0)
	ds_write_b16 v0, v1
	buffer_load_dword v1, off, s[24:27], 0 offset:4 ; 4-byte Folded Reload
	s_waitcnt vmcnt(0)
	ds_write_b16 v0, v1 offset:512
	s_clause 0x1
	buffer_load_dword v0, off, s[24:27], 0 offset:164
	buffer_load_dword v1, off, s[24:27], 0 offset:8
	s_waitcnt vmcnt(0)
	ds_write_b16 v0, v1
	buffer_load_dword v1, off, s[24:27], 0 offset:12 ; 4-byte Folded Reload
	s_waitcnt vmcnt(0)
	ds_write_b16 v0, v1 offset:512
	s_waitcnt lgkmcnt(0)
	s_waitcnt_vscnt null, 0x0
	s_barrier
	buffer_gl0_inv
	s_cbranch_scc0 .LBB214_10
; %bb.11:
	s_clause 0x2
	buffer_load_dword v133, off, s[24:27], 0 offset:176
	buffer_load_dword v1, off, s[24:27], 0 offset:180
	;; [unrolled: 1-line block ×3, first 2 shown]
	v_mov_b32_e32 v89, v141
	v_mov_b32_e32 v90, v142
	;; [unrolled: 1-line block ×7, first 2 shown]
.LBB214_12:
	s_load_dword s8, s[4:5], 0x50
	s_waitcnt vmcnt(1)
	v_add_nc_u32_e32 v111, s1, v1
	ds_read_b64 v[38:39], v189 offset:1024
	s_waitcnt vmcnt(0)
	ds_read_b64 v[46:47], v136 offset:3072
	v_add_nc_u32_e32 v44, s6, v133
	v_cmp_neq_f16_e64 s9, s7, 0
	v_mov_b32_e32 v40, 0
	v_mov_b32_e32 v41, 0
	v_ashrrev_i32_e32 v45, 31, v44
	s_and_b32 vcc_lo, exec_lo, s9
	v_lshlrev_b64 v[36:37], 1, v[44:45]
	s_waitcnt lgkmcnt(0)
	v_mad_i64_i32 v[0:1], null, v111, s8, 0
	v_lshlrev_b64 v[0:1], 1, v[0:1]
	v_add_co_u32 v48, s1, s12, v0
	v_add_co_ci_u32_e64 v49, null, s13, v1, s1
	s_cbranch_vccz .LBB214_14
; %bb.13:
	v_add_co_u32 v0, vcc_lo, v48, v36
	v_add_co_ci_u32_e64 v1, null, v49, v37, vcc_lo
	flat_load_ushort v0, v[0:1]
	s_waitcnt vmcnt(0) lgkmcnt(0)
	v_mul_f16_e32 v0, s7, v0
	v_cvt_f32_f16_e32 v41, v0
.LBB214_14:
	s_load_dword s6, s[4:5], 0x68
	v_pk_add_f16 v5, v38, v46
	v_pk_add_f16 v6, v39, v47
	s_load_dwordx2 s[4:5], s[4:5], 0x70
	v_max_f16_e32 v7, v42, v42
	v_lshrrev_b32_e32 v8, 16, v42
	v_lshrrev_b32_e32 v9, 16, v5
	;; [unrolled: 1-line block ×3, first 2 shown]
	v_add_nc_u32_e32 v4, 0x800, v136
	v_min_f16_e32 v5, v7, v5
	ds_read2_b64 v[0:3], v189 offset0:160 offset1:192
	ds_read_b64 v[32:33], v189 offset:1792
	v_max_f32_e32 v50, v41, v41
	v_min3_f16 v7, v8, v9, v10
	ds_read2_b64 v[28:31], v4 offset0:136 offset1:144
	ds_read2_b64 v[24:27], v4 offset0:152 offset1:160
	;; [unrolled: 1-line block ×6, first 2 shown]
	v_add_nc_u32_e32 v52, 32, v44
	v_min3_f16 v45, v5, v6, v7
	ds_read2_b64 v[4:7], v4 offset0:232 offset1:240
	ds_read_b64 v[34:35], v136 offset:4032
	s_waitcnt lgkmcnt(0)
	v_mad_i64_i32 v[42:43], null, v111, s6, 0
	v_cvt_f32_f16_e32 v45, v45
	s_lshl_b64 s[4:5], s[4:5], 1
	v_ashrrev_i32_e32 v53, 31, v52
	s_add_u32 s2, s2, s4
	s_addc_u32 s3, s3, s5
	v_lshlrev_b64 v[41:42], 1, v[42:43]
	v_min_f32_e32 v43, v50, v45
	v_cndmask_b32_e64 v45, 0, 1, s9
	v_add_co_u32 v50, vcc_lo, s2, v41
	v_add_co_ci_u32_e64 v51, null, s3, v42, vcc_lo
	v_cvt_f16_f32_e32 v41, v43
	v_add_co_u32 v54, vcc_lo, v50, v36
	v_lshlrev_b64 v[42:43], 1, v[52:53]
	v_cmp_ne_u32_e64 s1, 1, v45
	v_add_co_ci_u32_e64 v55, null, v51, v37, vcc_lo
	s_andn2_b32 vcc_lo, exec_lo, s9
	flat_store_short v[54:55], v41
	s_cbranch_vccnz .LBB214_16
; %bb.15:
	v_add_co_u32 v40, vcc_lo, v48, v42
	v_add_co_ci_u32_e64 v41, null, v49, v43, vcc_lo
	flat_load_ushort v40, v[40:41]
	s_waitcnt vmcnt(0) lgkmcnt(0)
	v_mul_f16_e32 v40, s7, v40
	v_cvt_f32_f16_e32 v40, v40
.LBB214_16:
	v_pk_add_f16 v41, v0, v46
	v_pk_add_f16 v45, v1, v47
	v_max_f16_e32 v52, v94, v94
	v_lshrrev_b32_e32 v53, 16, v94
	v_max_f32_e32 v40, v40, v40
	v_lshrrev_b32_e32 v54, 16, v41
	v_lshrrev_b32_e32 v55, 16, v45
	v_min_f16_e32 v41, v52, v41
	v_min3_f16 v52, v53, v54, v55
	v_add_nc_u32_e32 v53, 64, v44
	v_add_co_u32 v55, vcc_lo, v50, v42
	v_add_co_ci_u32_e64 v56, null, v51, v43, vcc_lo
	v_min3_f16 v41, v41, v45, v52
	v_ashrrev_i32_e32 v54, 31, v53
	v_mov_b32_e32 v52, 0
	v_mov_b32_e32 v45, 0
	s_and_b32 vcc_lo, exec_lo, s1
	v_cvt_f32_f16_e32 v41, v41
	v_min_f32_e32 v40, v40, v41
	v_cvt_f16_f32_e32 v57, v40
	v_lshlrev_b64 v[40:41], 1, v[53:54]
	flat_store_short v[55:56], v57
	s_cbranch_vccnz .LBB214_18
; %bb.17:
	v_add_co_u32 v53, vcc_lo, v48, v40
	v_add_co_ci_u32_e64 v54, null, v49, v41, vcc_lo
	flat_load_ushort v45, v[53:54]
	s_waitcnt vmcnt(0) lgkmcnt(0)
	v_mul_f16_e32 v45, s7, v45
	v_cvt_f32_f16_e32 v45, v45
.LBB214_18:
	v_pk_add_f16 v53, v2, v46
	v_pk_add_f16 v54, v3, v47
	v_max_f16_e32 v55, v93, v93
	v_lshrrev_b32_e32 v56, 16, v93
	v_add_nc_u32_e32 v44, 0x60, v44
	v_lshrrev_b32_e32 v57, 16, v53
	v_lshrrev_b32_e32 v58, 16, v54
	v_min_f16_e32 v53, v55, v53
	v_min3_f16 v55, v56, v57, v58
	v_min3_f16 v53, v53, v54, v55
	v_max_f32_e32 v54, v45, v45
	v_ashrrev_i32_e32 v45, 31, v44
	v_cvt_f32_f16_e32 v53, v53
	v_lshlrev_b64 v[44:45], 1, v[44:45]
	v_min_f32_e32 v55, v54, v53
	v_add_co_u32 v53, vcc_lo, v50, v40
	v_add_co_ci_u32_e64 v54, null, v51, v41, vcc_lo
	v_cvt_f16_f32_e32 v55, v55
	s_and_b32 vcc_lo, exec_lo, s1
	flat_store_short v[53:54], v55
	s_cbranch_vccnz .LBB214_20
; %bb.19:
	v_add_co_u32 v48, vcc_lo, v48, v44
	v_add_co_ci_u32_e64 v49, null, v49, v45, vcc_lo
	flat_load_ushort v48, v[48:49]
	s_waitcnt vmcnt(0) lgkmcnt(0)
	v_mul_f16_e32 v48, s7, v48
	v_cvt_f32_f16_e32 v52, v48
.LBB214_20:
	v_pk_add_f16 v46, v32, v46
	v_pk_add_f16 v49, v33, v47
	v_max_f16_e32 v47, v92, v92
	v_lshrrev_b32_e32 v53, 16, v92
	v_add_nc_u32_e32 v48, 8, v111
	v_lshrrev_b32_e32 v54, 16, v46
	v_lshrrev_b32_e32 v55, 16, v49
	v_min_f16_e32 v56, v47, v46
	v_mad_i64_i32 v[46:47], null, v48, s8, 0
	v_min3_f16 v53, v53, v54, v55
	v_max_f32_e32 v54, v52, v52
	v_add_co_u32 v52, vcc_lo, v50, v44
	v_mov_b32_e32 v50, 0
	v_min3_f16 v49, v56, v49, v53
	v_lshlrev_b64 v[46:47], 1, v[46:47]
	v_add_co_ci_u32_e64 v53, null, v51, v45, vcc_lo
	v_cvt_f32_f16_e32 v49, v49
	v_add_co_u32 v46, vcc_lo, s12, v46
	v_add_co_ci_u32_e64 v47, null, s13, v47, vcc_lo
	v_min_f32_e32 v49, v54, v49
	s_and_b32 vcc_lo, exec_lo, s1
	v_cvt_f16_f32_e32 v51, v49
	v_mov_b32_e32 v49, 0
	flat_store_short v[52:53], v51
	s_cbranch_vccnz .LBB214_22
; %bb.21:
	v_add_co_u32 v51, vcc_lo, v46, v36
	v_add_co_ci_u32_e64 v52, null, v47, v37, vcc_lo
	flat_load_ushort v49, v[51:52]
	s_waitcnt vmcnt(0) lgkmcnt(0)
	v_mul_f16_e32 v49, s7, v49
	v_cvt_f32_f16_e32 v49, v49
.LBB214_22:
	v_pk_add_f16 v51, v38, v28
	v_pk_add_f16 v53, v39, v29
	v_max_f16_e32 v52, v91, v91
	v_lshrrev_b32_e32 v54, 16, v91
	v_lshrrev_b32_e32 v55, 16, v51
	;; [unrolled: 1-line block ×3, first 2 shown]
	v_min_f16_e32 v57, v52, v51
	v_mad_i64_i32 v[51:52], null, v48, s6, 0
	v_min3_f16 v54, v54, v55, v56
	v_min3_f16 v48, v57, v53, v54
	v_max_f32_e32 v53, v49, v49
	v_cvt_f32_f16_e32 v54, v48
	v_lshlrev_b64 v[48:49], 1, v[51:52]
	v_min_f32_e32 v51, v53, v54
	v_add_co_u32 v48, vcc_lo, s2, v48
	v_add_co_ci_u32_e64 v49, null, s3, v49, vcc_lo
	v_cvt_f16_f32_e32 v53, v51
	v_add_co_u32 v51, vcc_lo, v48, v36
	v_add_co_ci_u32_e64 v52, null, v49, v37, vcc_lo
	s_and_b32 vcc_lo, exec_lo, s1
	flat_store_short v[51:52], v53
	s_cbranch_vccnz .LBB214_24
; %bb.23:
	v_add_co_u32 v50, vcc_lo, v46, v42
	v_add_co_ci_u32_e64 v51, null, v47, v43, vcc_lo
	flat_load_ushort v50, v[50:51]
	s_waitcnt vmcnt(0) lgkmcnt(0)
	v_mul_f16_e32 v50, s7, v50
	v_cvt_f32_f16_e32 v50, v50
.LBB214_24:
	v_pk_add_f16 v51, v0, v28
	v_pk_add_f16 v52, v1, v29
	v_max_f16_e32 v53, v90, v90
	v_lshrrev_b32_e32 v54, 16, v90
	v_max_f32_e32 v50, v50, v50
	v_lshrrev_b32_e32 v55, 16, v51
	v_lshrrev_b32_e32 v56, 16, v52
	v_min_f16_e32 v51, v53, v51
	v_min3_f16 v53, v54, v55, v56
	v_min3_f16 v51, v51, v52, v53
	v_add_co_u32 v52, vcc_lo, v48, v42
	v_add_co_ci_u32_e64 v53, null, v49, v43, vcc_lo
	v_cvt_f32_f16_e32 v51, v51
	s_and_b32 vcc_lo, exec_lo, s1
	v_min_f32_e32 v50, v50, v51
	v_mov_b32_e32 v51, 0
	v_cvt_f16_f32_e32 v54, v50
	v_mov_b32_e32 v50, 0
	flat_store_short v[52:53], v54
	s_cbranch_vccnz .LBB214_26
; %bb.25:
	v_add_co_u32 v51, vcc_lo, v46, v40
	v_add_co_ci_u32_e64 v52, null, v47, v41, vcc_lo
	flat_load_ushort v51, v[51:52]
	s_waitcnt vmcnt(0) lgkmcnt(0)
	v_mul_f16_e32 v51, s7, v51
	v_cvt_f32_f16_e32 v51, v51
.LBB214_26:
	v_pk_add_f16 v52, v2, v28
	v_pk_add_f16 v53, v3, v29
	v_max_f16_e32 v54, v89, v89
	v_lshrrev_b32_e32 v55, 16, v89
	v_max_f32_e32 v51, v51, v51
	v_lshrrev_b32_e32 v56, 16, v52
	v_lshrrev_b32_e32 v57, 16, v53
	v_min_f16_e32 v52, v54, v52
	v_min3_f16 v54, v55, v56, v57
	v_min3_f16 v52, v52, v53, v54
	v_cvt_f32_f16_e32 v52, v52
	v_min_f32_e32 v51, v51, v52
	v_cvt_f16_f32_e32 v53, v51
	v_add_co_u32 v51, vcc_lo, v48, v40
	v_add_co_ci_u32_e64 v52, null, v49, v41, vcc_lo
	s_and_b32 vcc_lo, exec_lo, s1
	flat_store_short v[51:52], v53
	s_cbranch_vccnz .LBB214_28
; %bb.27:
	v_add_co_u32 v46, vcc_lo, v46, v44
	v_add_co_ci_u32_e64 v47, null, v47, v45, vcc_lo
	flat_load_ushort v46, v[46:47]
	s_waitcnt vmcnt(0) lgkmcnt(0)
	v_mul_f16_e32 v46, s7, v46
	v_cvt_f32_f16_e32 v50, v46
.LBB214_28:
	v_pk_add_f16 v28, v32, v28
	v_pk_add_f16 v47, v33, v29
	v_max_f16_e32 v29, v254, v254
	v_lshrrev_b32_e32 v51, 16, v254
	v_add_nc_u32_e32 v46, 16, v111
	v_lshrrev_b32_e32 v52, 16, v28
	v_lshrrev_b32_e32 v53, 16, v47
	v_min_f16_e32 v54, v29, v28
	v_mad_i64_i32 v[28:29], null, v46, s8, 0
	v_min3_f16 v51, v51, v52, v53
	v_max_f32_e32 v52, v50, v50
	v_add_co_u32 v50, vcc_lo, v48, v44
	v_mov_b32_e32 v48, 0
	v_min3_f16 v47, v54, v47, v51
	v_lshlrev_b64 v[28:29], 1, v[28:29]
	v_add_co_ci_u32_e64 v51, null, v49, v45, vcc_lo
	v_cvt_f32_f16_e32 v47, v47
	v_add_co_u32 v28, vcc_lo, s12, v28
	v_add_co_ci_u32_e64 v29, null, s13, v29, vcc_lo
	v_min_f32_e32 v47, v52, v47
	s_and_b32 vcc_lo, exec_lo, s1
	v_cvt_f16_f32_e32 v49, v47
	v_mov_b32_e32 v47, 0
	flat_store_short v[50:51], v49
	s_cbranch_vccnz .LBB214_30
; %bb.29:
	v_add_co_u32 v49, vcc_lo, v28, v36
	v_add_co_ci_u32_e64 v50, null, v29, v37, vcc_lo
	flat_load_ushort v47, v[49:50]
	s_waitcnt vmcnt(0) lgkmcnt(0)
	v_mul_f16_e32 v47, s7, v47
	v_cvt_f32_f16_e32 v47, v47
.LBB214_30:
	v_pk_add_f16 v49, v38, v30
	v_pk_add_f16 v51, v39, v31
	v_max_f16_e32 v50, v140, v140
	v_lshrrev_b32_e32 v52, 16, v140
	v_lshrrev_b32_e32 v53, 16, v49
	;; [unrolled: 1-line block ×3, first 2 shown]
	v_min_f16_e32 v55, v50, v49
	v_mad_i64_i32 v[49:50], null, v46, s6, 0
	v_min3_f16 v52, v52, v53, v54
	v_min3_f16 v46, v55, v51, v52
	v_max_f32_e32 v51, v47, v47
	v_cvt_f32_f16_e32 v52, v46
	v_lshlrev_b64 v[46:47], 1, v[49:50]
	v_min_f32_e32 v49, v51, v52
	v_add_co_u32 v46, vcc_lo, s2, v46
	v_add_co_ci_u32_e64 v47, null, s3, v47, vcc_lo
	v_cvt_f16_f32_e32 v51, v49
	v_add_co_u32 v49, vcc_lo, v46, v36
	v_add_co_ci_u32_e64 v50, null, v47, v37, vcc_lo
	s_and_b32 vcc_lo, exec_lo, s1
	flat_store_short v[49:50], v51
	s_cbranch_vccnz .LBB214_32
; %bb.31:
	v_add_co_u32 v48, vcc_lo, v28, v42
	v_add_co_ci_u32_e64 v49, null, v29, v43, vcc_lo
	flat_load_ushort v48, v[48:49]
	s_waitcnt vmcnt(0) lgkmcnt(0)
	v_mul_f16_e32 v48, s7, v48
	v_cvt_f32_f16_e32 v48, v48
.LBB214_32:
	v_pk_add_f16 v49, v0, v30
	v_pk_add_f16 v50, v1, v31
	v_max_f16_e32 v51, v248, v248
	v_lshrrev_b32_e32 v52, 16, v248
	v_max_f32_e32 v48, v48, v48
	v_lshrrev_b32_e32 v53, 16, v49
	v_lshrrev_b32_e32 v54, 16, v50
	v_min_f16_e32 v49, v51, v49
	v_min3_f16 v51, v52, v53, v54
	v_min3_f16 v49, v49, v50, v51
	v_add_co_u32 v50, vcc_lo, v46, v42
	v_add_co_ci_u32_e64 v51, null, v47, v43, vcc_lo
	v_cvt_f32_f16_e32 v49, v49
	s_and_b32 vcc_lo, exec_lo, s1
	v_min_f32_e32 v48, v48, v49
	v_mov_b32_e32 v49, 0
	v_cvt_f16_f32_e32 v52, v48
	v_mov_b32_e32 v48, 0
	flat_store_short v[50:51], v52
	s_cbranch_vccnz .LBB214_34
; %bb.33:
	v_add_co_u32 v49, vcc_lo, v28, v40
	v_add_co_ci_u32_e64 v50, null, v29, v41, vcc_lo
	flat_load_ushort v49, v[49:50]
	s_waitcnt vmcnt(0) lgkmcnt(0)
	v_mul_f16_e32 v49, s7, v49
	v_cvt_f32_f16_e32 v49, v49
.LBB214_34:
	v_pk_add_f16 v50, v2, v30
	v_pk_add_f16 v51, v3, v31
	v_max_f16_e32 v52, v245, v245
	v_lshrrev_b32_e32 v53, 16, v245
	v_max_f32_e32 v49, v49, v49
	v_lshrrev_b32_e32 v54, 16, v50
	v_lshrrev_b32_e32 v55, 16, v51
	v_min_f16_e32 v50, v52, v50
	v_min3_f16 v52, v53, v54, v55
	v_min3_f16 v50, v50, v51, v52
	v_cvt_f32_f16_e32 v50, v50
	v_min_f32_e32 v49, v49, v50
	v_cvt_f16_f32_e32 v51, v49
	v_add_co_u32 v49, vcc_lo, v46, v40
	v_add_co_ci_u32_e64 v50, null, v47, v41, vcc_lo
	s_and_b32 vcc_lo, exec_lo, s1
	flat_store_short v[49:50], v51
	s_cbranch_vccnz .LBB214_36
; %bb.35:
	v_add_co_u32 v28, vcc_lo, v28, v44
	v_add_co_ci_u32_e64 v29, null, v29, v45, vcc_lo
	flat_load_ushort v28, v[28:29]
	s_waitcnt vmcnt(0) lgkmcnt(0)
	v_mul_f16_e32 v28, s7, v28
	v_cvt_f32_f16_e32 v48, v28
.LBB214_36:
	v_pk_add_f16 v28, v32, v30
	v_pk_add_f16 v31, v33, v31
	v_max_f16_e32 v29, v241, v241
	v_lshrrev_b32_e32 v49, 16, v241
	v_add_nc_u32_e32 v30, 24, v111
	v_lshrrev_b32_e32 v50, 16, v28
	v_lshrrev_b32_e32 v51, 16, v31
	v_min_f16_e32 v52, v29, v28
	v_mad_i64_i32 v[28:29], null, v30, s8, 0
	v_min3_f16 v49, v49, v50, v51
	v_max_f32_e32 v50, v48, v48
	v_add_co_u32 v48, vcc_lo, v46, v44
	v_mov_b32_e32 v46, 0
	v_min3_f16 v31, v52, v31, v49
	v_lshlrev_b64 v[28:29], 1, v[28:29]
	v_add_co_ci_u32_e64 v49, null, v47, v45, vcc_lo
	v_cvt_f32_f16_e32 v31, v31
	v_add_co_u32 v28, vcc_lo, s12, v28
	v_add_co_ci_u32_e64 v29, null, s13, v29, vcc_lo
	v_min_f32_e32 v31, v50, v31
	s_and_b32 vcc_lo, exec_lo, s1
	v_cvt_f16_f32_e32 v47, v31
	v_mov_b32_e32 v31, 0
	flat_store_short v[48:49], v47
	s_cbranch_vccnz .LBB214_38
; %bb.37:
	v_add_co_u32 v47, vcc_lo, v28, v36
	v_add_co_ci_u32_e64 v48, null, v29, v37, vcc_lo
	flat_load_ushort v31, v[47:48]
	s_waitcnt vmcnt(0) lgkmcnt(0)
	v_mul_f16_e32 v31, s7, v31
	v_cvt_f32_f16_e32 v31, v31
.LBB214_38:
	v_pk_add_f16 v47, v38, v24
	v_pk_add_f16 v49, v39, v25
	v_max_f16_e32 v48, v110, v110
	v_lshrrev_b32_e32 v50, 16, v110
	v_lshrrev_b32_e32 v51, 16, v47
	;; [unrolled: 1-line block ×3, first 2 shown]
	v_min_f16_e32 v53, v48, v47
	v_mad_i64_i32 v[47:48], null, v30, s6, 0
	v_min3_f16 v50, v50, v51, v52
	v_min3_f16 v30, v53, v49, v50
	v_max_f32_e32 v49, v31, v31
	v_cvt_f32_f16_e32 v50, v30
	v_lshlrev_b64 v[30:31], 1, v[47:48]
	v_min_f32_e32 v47, v49, v50
	v_add_co_u32 v30, vcc_lo, s2, v30
	v_add_co_ci_u32_e64 v31, null, s3, v31, vcc_lo
	v_cvt_f16_f32_e32 v49, v47
	v_add_co_u32 v47, vcc_lo, v30, v36
	v_add_co_ci_u32_e64 v48, null, v31, v37, vcc_lo
	s_and_b32 vcc_lo, exec_lo, s1
	flat_store_short v[47:48], v49
	s_cbranch_vccnz .LBB214_40
; %bb.39:
	v_add_co_u32 v46, vcc_lo, v28, v42
	v_add_co_ci_u32_e64 v47, null, v29, v43, vcc_lo
	flat_load_ushort v46, v[46:47]
	s_waitcnt vmcnt(0) lgkmcnt(0)
	v_mul_f16_e32 v46, s7, v46
	v_cvt_f32_f16_e32 v46, v46
.LBB214_40:
	v_pk_add_f16 v47, v0, v24
	v_pk_add_f16 v48, v1, v25
	v_max_f16_e32 v49, v109, v109
	v_lshrrev_b32_e32 v50, 16, v109
	v_max_f32_e32 v46, v46, v46
	v_lshrrev_b32_e32 v51, 16, v47
	v_lshrrev_b32_e32 v52, 16, v48
	v_min_f16_e32 v47, v49, v47
	v_min3_f16 v49, v50, v51, v52
	v_min3_f16 v47, v47, v48, v49
	v_add_co_u32 v48, vcc_lo, v30, v42
	v_add_co_ci_u32_e64 v49, null, v31, v43, vcc_lo
	v_cvt_f32_f16_e32 v47, v47
	s_and_b32 vcc_lo, exec_lo, s1
	v_min_f32_e32 v46, v46, v47
	v_mov_b32_e32 v47, 0
	v_cvt_f16_f32_e32 v50, v46
	v_mov_b32_e32 v46, 0
	flat_store_short v[48:49], v50
	s_cbranch_vccnz .LBB214_42
; %bb.41:
	v_add_co_u32 v47, vcc_lo, v28, v40
	v_add_co_ci_u32_e64 v48, null, v29, v41, vcc_lo
	flat_load_ushort v47, v[47:48]
	s_waitcnt vmcnt(0) lgkmcnt(0)
	v_mul_f16_e32 v47, s7, v47
	v_cvt_f32_f16_e32 v47, v47
.LBB214_42:
	v_pk_add_f16 v48, v2, v24
	v_pk_add_f16 v49, v3, v25
	v_max_f16_e32 v50, v232, v232
	v_lshrrev_b32_e32 v51, 16, v232
	v_max_f32_e32 v47, v47, v47
	v_lshrrev_b32_e32 v52, 16, v48
	v_lshrrev_b32_e32 v53, 16, v49
	v_min_f16_e32 v48, v50, v48
	v_min3_f16 v50, v51, v52, v53
	v_min3_f16 v48, v48, v49, v50
	v_cvt_f32_f16_e32 v48, v48
	v_min_f32_e32 v47, v47, v48
	v_cvt_f16_f32_e32 v49, v47
	v_add_co_u32 v47, vcc_lo, v30, v40
	v_add_co_ci_u32_e64 v48, null, v31, v41, vcc_lo
	s_and_b32 vcc_lo, exec_lo, s1
	flat_store_short v[47:48], v49
	s_cbranch_vccnz .LBB214_44
; %bb.43:
	v_add_co_u32 v28, vcc_lo, v28, v44
	v_add_co_ci_u32_e64 v29, null, v29, v45, vcc_lo
	flat_load_ushort v28, v[28:29]
	s_waitcnt vmcnt(0) lgkmcnt(0)
	v_mul_f16_e32 v28, s7, v28
	v_cvt_f32_f16_e32 v46, v28
.LBB214_44:
	v_pk_add_f16 v24, v32, v24
	v_pk_add_f16 v29, v33, v25
	v_max_f16_e32 v25, v229, v229
	v_lshrrev_b32_e32 v47, 16, v229
	v_add_nc_u32_e32 v28, 32, v111
	v_lshrrev_b32_e32 v48, 16, v24
	v_lshrrev_b32_e32 v49, 16, v29
	v_min_f16_e32 v50, v25, v24
	v_mad_i64_i32 v[24:25], null, v28, s8, 0
	v_min3_f16 v47, v47, v48, v49
	v_max_f32_e32 v48, v46, v46
	v_add_co_u32 v46, vcc_lo, v30, v44
	v_mov_b32_e32 v30, 0
	v_min3_f16 v29, v50, v29, v47
	v_lshlrev_b64 v[24:25], 1, v[24:25]
	v_add_co_ci_u32_e64 v47, null, v31, v45, vcc_lo
	v_cvt_f32_f16_e32 v29, v29
	v_add_co_u32 v24, vcc_lo, s12, v24
	v_add_co_ci_u32_e64 v25, null, s13, v25, vcc_lo
	v_min_f32_e32 v29, v48, v29
	s_and_b32 vcc_lo, exec_lo, s1
	v_cvt_f16_f32_e32 v31, v29
	v_mov_b32_e32 v29, 0
	flat_store_short v[46:47], v31
	s_cbranch_vccnz .LBB214_46
; %bb.45:
	v_add_co_u32 v46, vcc_lo, v24, v36
	v_add_co_ci_u32_e64 v47, null, v25, v37, vcc_lo
	flat_load_ushort v29, v[46:47]
	s_waitcnt vmcnt(0) lgkmcnt(0)
	v_mul_f16_e32 v29, s7, v29
	v_cvt_f32_f16_e32 v29, v29
.LBB214_46:
	v_pk_add_f16 v31, v38, v26
	v_pk_add_f16 v48, v39, v27
	v_max_f16_e32 v46, v108, v108
	v_lshrrev_b32_e32 v47, 16, v108
	v_lshrrev_b32_e32 v49, 16, v31
	;; [unrolled: 1-line block ×3, first 2 shown]
	v_min_f16_e32 v31, v46, v31
	v_min3_f16 v49, v47, v49, v50
	v_mad_i64_i32 v[46:47], null, v28, s6, 0
	v_min3_f16 v28, v31, v48, v49
	v_max_f32_e32 v31, v29, v29
	v_cvt_f32_f16_e32 v48, v28
	v_lshlrev_b64 v[28:29], 1, v[46:47]
	v_min_f32_e32 v31, v31, v48
	v_add_co_u32 v28, vcc_lo, s2, v28
	v_add_co_ci_u32_e64 v29, null, s3, v29, vcc_lo
	v_cvt_f16_f32_e32 v31, v31
	v_add_co_u32 v46, vcc_lo, v28, v36
	v_add_co_ci_u32_e64 v47, null, v29, v37, vcc_lo
	s_and_b32 vcc_lo, exec_lo, s1
	flat_store_short v[46:47], v31
	s_cbranch_vccnz .LBB214_48
; %bb.47:
	v_add_co_u32 v30, vcc_lo, v24, v42
	v_add_co_ci_u32_e64 v31, null, v25, v43, vcc_lo
	flat_load_ushort v30, v[30:31]
	s_waitcnt vmcnt(0) lgkmcnt(0)
	v_mul_f16_e32 v30, s7, v30
	v_cvt_f32_f16_e32 v30, v30
.LBB214_48:
	v_pk_add_f16 v31, v0, v26
	v_pk_add_f16 v46, v1, v27
	v_max_f16_e32 v47, v134, v134
	v_lshrrev_b32_e32 v48, 16, v134
	v_max_f32_e32 v30, v30, v30
	v_lshrrev_b32_e32 v49, 16, v31
	v_lshrrev_b32_e32 v50, 16, v46
	v_min_f16_e32 v31, v47, v31
	v_min3_f16 v47, v48, v49, v50
	v_min3_f16 v31, v31, v46, v47
	v_add_co_u32 v46, vcc_lo, v28, v42
	v_add_co_ci_u32_e64 v47, null, v29, v43, vcc_lo
	v_cvt_f32_f16_e32 v31, v31
	s_and_b32 vcc_lo, exec_lo, s1
	v_min_f32_e32 v30, v30, v31
	v_mov_b32_e32 v31, 0
	v_cvt_f16_f32_e32 v48, v30
	v_mov_b32_e32 v30, 0
	flat_store_short v[46:47], v48
	s_cbranch_vccnz .LBB214_50
; %bb.49:
	v_add_co_u32 v46, vcc_lo, v24, v40
	v_add_co_ci_u32_e64 v47, null, v25, v41, vcc_lo
	flat_load_ushort v31, v[46:47]
	s_waitcnt vmcnt(0) lgkmcnt(0)
	v_mul_f16_e32 v31, s7, v31
	v_cvt_f32_f16_e32 v31, v31
.LBB214_50:
	v_pk_add_f16 v46, v2, v26
	v_pk_add_f16 v47, v3, v27
	v_max_f16_e32 v48, v107, v107
	v_lshrrev_b32_e32 v49, 16, v107
	v_max_f32_e32 v31, v31, v31
	v_lshrrev_b32_e32 v50, 16, v46
	v_lshrrev_b32_e32 v51, 16, v47
	v_min_f16_e32 v46, v48, v46
	v_min3_f16 v48, v49, v50, v51
	v_min3_f16 v46, v46, v47, v48
	v_cvt_f32_f16_e32 v46, v46
	v_min_f32_e32 v31, v31, v46
	v_add_co_u32 v46, vcc_lo, v28, v40
	v_add_co_ci_u32_e64 v47, null, v29, v41, vcc_lo
	v_cvt_f16_f32_e32 v31, v31
	s_and_b32 vcc_lo, exec_lo, s1
	flat_store_short v[46:47], v31
	s_cbranch_vccnz .LBB214_52
; %bb.51:
	v_add_co_u32 v24, vcc_lo, v24, v44
	v_add_co_ci_u32_e64 v25, null, v25, v45, vcc_lo
	flat_load_ushort v24, v[24:25]
	s_waitcnt vmcnt(0) lgkmcnt(0)
	v_mul_f16_e32 v24, s7, v24
	v_cvt_f32_f16_e32 v30, v24
.LBB214_52:
	v_pk_add_f16 v24, v32, v26
	v_pk_add_f16 v27, v33, v27
	v_max_f16_e32 v25, v216, v216
	v_lshrrev_b32_e32 v31, 16, v216
	v_add_nc_u32_e32 v26, 40, v111
	v_lshrrev_b32_e32 v46, 16, v24
	v_lshrrev_b32_e32 v47, 16, v27
	v_min_f16_e32 v48, v25, v24
	v_mad_i64_i32 v[24:25], null, v26, s8, 0
	v_min3_f16 v31, v31, v46, v47
	v_max_f32_e32 v46, v30, v30
	v_add_co_u32 v30, vcc_lo, v28, v44
	v_mov_b32_e32 v28, 0
	v_min3_f16 v27, v48, v27, v31
	v_lshlrev_b64 v[24:25], 1, v[24:25]
	v_add_co_ci_u32_e64 v31, null, v29, v45, vcc_lo
	v_cvt_f32_f16_e32 v27, v27
	v_add_co_u32 v24, vcc_lo, s12, v24
	v_add_co_ci_u32_e64 v25, null, s13, v25, vcc_lo
	v_min_f32_e32 v27, v46, v27
	s_and_b32 vcc_lo, exec_lo, s1
	v_cvt_f16_f32_e32 v29, v27
	v_mov_b32_e32 v27, 0
	flat_store_short v[30:31], v29
	s_cbranch_vccnz .LBB214_54
; %bb.53:
	v_add_co_u32 v29, vcc_lo, v24, v36
	v_add_co_ci_u32_e64 v30, null, v25, v37, vcc_lo
	flat_load_ushort v27, v[29:30]
	s_waitcnt vmcnt(0) lgkmcnt(0)
	v_mul_f16_e32 v27, s7, v27
	v_cvt_f32_f16_e32 v27, v27
.LBB214_54:
	v_pk_add_f16 v29, v38, v20
	v_pk_add_f16 v31, v39, v21
	v_max_f16_e32 v30, v213, v213
	v_lshrrev_b32_e32 v46, 16, v213
	v_lshrrev_b32_e32 v47, 16, v29
	;; [unrolled: 1-line block ×3, first 2 shown]
	v_min_f16_e32 v49, v30, v29
	v_mad_i64_i32 v[29:30], null, v26, s6, 0
	v_min3_f16 v46, v46, v47, v48
	v_min3_f16 v26, v49, v31, v46
	v_max_f32_e32 v31, v27, v27
	v_cvt_f32_f16_e32 v46, v26
	v_lshlrev_b64 v[26:27], 1, v[29:30]
	v_min_f32_e32 v29, v31, v46
	v_add_co_u32 v26, vcc_lo, s2, v26
	v_add_co_ci_u32_e64 v27, null, s3, v27, vcc_lo
	v_cvt_f16_f32_e32 v31, v29
	v_add_co_u32 v29, vcc_lo, v26, v36
	v_add_co_ci_u32_e64 v30, null, v27, v37, vcc_lo
	s_and_b32 vcc_lo, exec_lo, s1
	flat_store_short v[29:30], v31
	s_cbranch_vccnz .LBB214_56
; %bb.55:
	v_add_co_u32 v28, vcc_lo, v24, v42
	v_add_co_ci_u32_e64 v29, null, v25, v43, vcc_lo
	flat_load_ushort v28, v[28:29]
	s_waitcnt vmcnt(0) lgkmcnt(0)
	v_mul_f16_e32 v28, s7, v28
	v_cvt_f32_f16_e32 v28, v28
.LBB214_56:
	v_pk_add_f16 v29, v0, v20
	v_pk_add_f16 v30, v1, v21
	v_max_f16_e32 v31, v106, v106
	v_lshrrev_b32_e32 v46, 16, v106
	v_max_f32_e32 v28, v28, v28
	v_lshrrev_b32_e32 v47, 16, v29
	v_lshrrev_b32_e32 v48, 16, v30
	v_min_f16_e32 v29, v31, v29
	v_min3_f16 v31, v46, v47, v48
	v_min3_f16 v29, v29, v30, v31
	v_add_co_u32 v30, vcc_lo, v26, v42
	v_add_co_ci_u32_e64 v31, null, v27, v43, vcc_lo
	v_cvt_f32_f16_e32 v29, v29
	s_and_b32 vcc_lo, exec_lo, s1
	v_min_f32_e32 v28, v28, v29
	v_mov_b32_e32 v29, 0
	v_cvt_f16_f32_e32 v46, v28
	v_mov_b32_e32 v28, 0
	flat_store_short v[30:31], v46
	s_cbranch_vccnz .LBB214_58
; %bb.57:
	v_add_co_u32 v29, vcc_lo, v24, v40
	v_add_co_ci_u32_e64 v30, null, v25, v41, vcc_lo
	flat_load_ushort v29, v[29:30]
	s_waitcnt vmcnt(0) lgkmcnt(0)
	v_mul_f16_e32 v29, s7, v29
	v_cvt_f32_f16_e32 v29, v29
.LBB214_58:
	v_pk_add_f16 v30, v2, v20
	v_pk_add_f16 v31, v3, v21
	v_max_f16_e32 v46, v207, v207
	v_lshrrev_b32_e32 v47, 16, v207
	v_max_f32_e32 v29, v29, v29
	v_lshrrev_b32_e32 v48, 16, v30
	v_lshrrev_b32_e32 v49, 16, v31
	v_min_f16_e32 v30, v46, v30
	v_min3_f16 v46, v47, v48, v49
	v_min3_f16 v30, v30, v31, v46
	v_cvt_f32_f16_e32 v30, v30
	v_min_f32_e32 v29, v29, v30
	v_cvt_f16_f32_e32 v31, v29
	v_add_co_u32 v29, vcc_lo, v26, v40
	v_add_co_ci_u32_e64 v30, null, v27, v41, vcc_lo
	s_and_b32 vcc_lo, exec_lo, s1
	flat_store_short v[29:30], v31
	s_cbranch_vccnz .LBB214_60
; %bb.59:
	v_add_co_u32 v24, vcc_lo, v24, v44
	v_add_co_ci_u32_e64 v25, null, v25, v45, vcc_lo
	flat_load_ushort v24, v[24:25]
	s_waitcnt vmcnt(0) lgkmcnt(0)
	v_mul_f16_e32 v24, s7, v24
	v_cvt_f32_f16_e32 v28, v24
.LBB214_60:
	v_pk_add_f16 v20, v32, v20
	v_pk_add_f16 v25, v33, v21
	v_max_f16_e32 v21, v105, v105
	v_lshrrev_b32_e32 v29, 16, v105
	v_add_nc_u32_e32 v24, 48, v111
	v_lshrrev_b32_e32 v30, 16, v20
	v_lshrrev_b32_e32 v31, 16, v25
	v_min_f16_e32 v46, v21, v20
	v_mad_i64_i32 v[20:21], null, v24, s8, 0
	v_min3_f16 v29, v29, v30, v31
	v_max_f32_e32 v30, v28, v28
	v_add_co_u32 v28, vcc_lo, v26, v44
	v_mov_b32_e32 v26, 0
	v_min3_f16 v25, v46, v25, v29
	v_lshlrev_b64 v[20:21], 1, v[20:21]
	v_add_co_ci_u32_e64 v29, null, v27, v45, vcc_lo
	v_cvt_f32_f16_e32 v25, v25
	v_add_co_u32 v20, vcc_lo, s12, v20
	v_add_co_ci_u32_e64 v21, null, s13, v21, vcc_lo
	v_min_f32_e32 v25, v30, v25
	s_and_b32 vcc_lo, exec_lo, s1
	v_cvt_f16_f32_e32 v27, v25
	v_mov_b32_e32 v25, 0
	flat_store_short v[28:29], v27
	s_cbranch_vccnz .LBB214_62
; %bb.61:
	v_add_co_u32 v27, vcc_lo, v20, v36
	v_add_co_ci_u32_e64 v28, null, v21, v37, vcc_lo
	flat_load_ushort v25, v[27:28]
	s_waitcnt vmcnt(0) lgkmcnt(0)
	v_mul_f16_e32 v25, s7, v25
	v_cvt_f32_f16_e32 v25, v25
.LBB214_62:
	v_pk_add_f16 v27, v38, v22
	v_pk_add_f16 v29, v39, v23
	v_max_f16_e32 v28, v201, v201
	v_lshrrev_b32_e32 v30, 16, v201
	v_lshrrev_b32_e32 v31, 16, v27
	;; [unrolled: 1-line block ×3, first 2 shown]
	v_min_f16_e32 v47, v28, v27
	v_mad_i64_i32 v[27:28], null, v24, s6, 0
	v_min3_f16 v30, v30, v31, v46
	v_min3_f16 v24, v47, v29, v30
	v_max_f32_e32 v29, v25, v25
	v_cvt_f32_f16_e32 v30, v24
	v_lshlrev_b64 v[24:25], 1, v[27:28]
	v_min_f32_e32 v27, v29, v30
	v_add_co_u32 v24, vcc_lo, s2, v24
	v_add_co_ci_u32_e64 v25, null, s3, v25, vcc_lo
	v_cvt_f16_f32_e32 v29, v27
	v_add_co_u32 v27, vcc_lo, v24, v36
	v_add_co_ci_u32_e64 v28, null, v25, v37, vcc_lo
	s_and_b32 vcc_lo, exec_lo, s1
	flat_store_short v[27:28], v29
	s_cbranch_vccnz .LBB214_64
; %bb.63:
	v_add_co_u32 v26, vcc_lo, v20, v42
	v_add_co_ci_u32_e64 v27, null, v21, v43, vcc_lo
	flat_load_ushort v26, v[26:27]
	s_waitcnt vmcnt(0) lgkmcnt(0)
	v_mul_f16_e32 v26, s7, v26
	v_cvt_f32_f16_e32 v26, v26
.LBB214_64:
	v_pk_add_f16 v27, v0, v22
	v_pk_add_f16 v28, v1, v23
	v_max_f16_e32 v29, v198, v198
	v_lshrrev_b32_e32 v30, 16, v198
	v_max_f32_e32 v26, v26, v26
	v_lshrrev_b32_e32 v31, 16, v27
	v_lshrrev_b32_e32 v46, 16, v28
	v_min_f16_e32 v27, v29, v27
	v_min3_f16 v29, v30, v31, v46
	v_min3_f16 v27, v27, v28, v29
	v_add_co_u32 v28, vcc_lo, v24, v42
	v_add_co_ci_u32_e64 v29, null, v25, v43, vcc_lo
	v_cvt_f32_f16_e32 v27, v27
	s_and_b32 vcc_lo, exec_lo, s1
	v_min_f32_e32 v26, v26, v27
	v_mov_b32_e32 v27, 0
	v_cvt_f16_f32_e32 v30, v26
	v_mov_b32_e32 v26, 0
	flat_store_short v[28:29], v30
	s_cbranch_vccnz .LBB214_66
; %bb.65:
	v_add_co_u32 v27, vcc_lo, v20, v40
	v_add_co_ci_u32_e64 v28, null, v21, v41, vcc_lo
	flat_load_ushort v27, v[27:28]
	s_waitcnt vmcnt(0) lgkmcnt(0)
	v_mul_f16_e32 v27, s7, v27
	v_cvt_f32_f16_e32 v27, v27
.LBB214_66:
	v_pk_add_f16 v28, v2, v22
	v_pk_add_f16 v29, v3, v23
	v_max_f16_e32 v30, v195, v195
	v_lshrrev_b32_e32 v31, 16, v195
	v_max_f32_e32 v27, v27, v27
	v_lshrrev_b32_e32 v46, 16, v28
	v_lshrrev_b32_e32 v47, 16, v29
	v_min_f16_e32 v28, v30, v28
	v_min3_f16 v30, v31, v46, v47
	v_min3_f16 v28, v28, v29, v30
	v_cvt_f32_f16_e32 v28, v28
	v_min_f32_e32 v27, v27, v28
	v_cvt_f16_f32_e32 v29, v27
	v_add_co_u32 v27, vcc_lo, v24, v40
	v_add_co_ci_u32_e64 v28, null, v25, v41, vcc_lo
	s_and_b32 vcc_lo, exec_lo, s1
	flat_store_short v[27:28], v29
	s_cbranch_vccnz .LBB214_68
; %bb.67:
	v_add_co_u32 v20, vcc_lo, v20, v44
	v_add_co_ci_u32_e64 v21, null, v21, v45, vcc_lo
	flat_load_ushort v20, v[20:21]
	s_waitcnt vmcnt(0) lgkmcnt(0)
	v_mul_f16_e32 v20, s7, v20
	v_cvt_f32_f16_e32 v26, v20
.LBB214_68:
	v_pk_add_f16 v20, v32, v22
	v_pk_add_f16 v23, v33, v23
	v_max_f16_e32 v21, v104, v104
	v_lshrrev_b32_e32 v27, 16, v104
	v_add_nc_u32_e32 v22, 56, v111
	v_lshrrev_b32_e32 v28, 16, v20
	v_lshrrev_b32_e32 v29, 16, v23
	v_min_f16_e32 v30, v21, v20
	v_mad_i64_i32 v[20:21], null, v22, s8, 0
	v_min3_f16 v27, v27, v28, v29
	v_max_f32_e32 v28, v26, v26
	v_add_co_u32 v26, vcc_lo, v24, v44
	v_mov_b32_e32 v24, 0
	v_min3_f16 v23, v30, v23, v27
	v_lshlrev_b64 v[20:21], 1, v[20:21]
	v_add_co_ci_u32_e64 v27, null, v25, v45, vcc_lo
	v_cvt_f32_f16_e32 v23, v23
	v_add_co_u32 v20, vcc_lo, s12, v20
	v_add_co_ci_u32_e64 v21, null, s13, v21, vcc_lo
	v_min_f32_e32 v23, v28, v23
	s_and_b32 vcc_lo, exec_lo, s1
	v_cvt_f16_f32_e32 v25, v23
	v_mov_b32_e32 v23, 0
	flat_store_short v[26:27], v25
	s_cbranch_vccnz .LBB214_70
; %bb.69:
	v_add_co_u32 v25, vcc_lo, v20, v36
	v_add_co_ci_u32_e64 v26, null, v21, v37, vcc_lo
	flat_load_ushort v23, v[25:26]
	s_waitcnt vmcnt(0) lgkmcnt(0)
	v_mul_f16_e32 v23, s7, v23
	v_cvt_f32_f16_e32 v23, v23
.LBB214_70:
	v_pk_add_f16 v25, v38, v16
	v_pk_add_f16 v27, v39, v17
	v_max_f16_e32 v26, v88, v88
	v_lshrrev_b32_e32 v28, 16, v88
	v_lshrrev_b32_e32 v29, 16, v25
	;; [unrolled: 1-line block ×3, first 2 shown]
	v_min_f16_e32 v31, v26, v25
	v_mad_i64_i32 v[25:26], null, v22, s6, 0
	v_min3_f16 v28, v28, v29, v30
	v_min3_f16 v22, v31, v27, v28
	v_max_f32_e32 v27, v23, v23
	v_cvt_f32_f16_e32 v28, v22
	v_lshlrev_b64 v[22:23], 1, v[25:26]
	v_min_f32_e32 v25, v27, v28
	v_add_co_u32 v22, vcc_lo, s2, v22
	v_add_co_ci_u32_e64 v23, null, s3, v23, vcc_lo
	v_cvt_f16_f32_e32 v27, v25
	v_add_co_u32 v25, vcc_lo, v22, v36
	v_add_co_ci_u32_e64 v26, null, v23, v37, vcc_lo
	s_and_b32 vcc_lo, exec_lo, s1
	flat_store_short v[25:26], v27
	s_cbranch_vccnz .LBB214_72
; %bb.71:
	v_add_co_u32 v24, vcc_lo, v20, v42
	v_add_co_ci_u32_e64 v25, null, v21, v43, vcc_lo
	flat_load_ushort v24, v[24:25]
	s_waitcnt vmcnt(0) lgkmcnt(0)
	v_mul_f16_e32 v24, s7, v24
	v_cvt_f32_f16_e32 v24, v24
.LBB214_72:
	v_pk_add_f16 v25, v0, v16
	v_pk_add_f16 v26, v1, v17
	v_max_f16_e32 v27, v185, v185
	v_lshrrev_b32_e32 v28, 16, v185
	v_max_f32_e32 v24, v24, v24
	v_lshrrev_b32_e32 v29, 16, v25
	v_lshrrev_b32_e32 v30, 16, v26
	v_min_f16_e32 v25, v27, v25
	v_min3_f16 v27, v28, v29, v30
	v_min3_f16 v25, v25, v26, v27
	v_add_co_u32 v26, vcc_lo, v22, v42
	v_add_co_ci_u32_e64 v27, null, v23, v43, vcc_lo
	v_cvt_f32_f16_e32 v25, v25
	s_and_b32 vcc_lo, exec_lo, s1
	v_min_f32_e32 v24, v24, v25
	v_mov_b32_e32 v25, 0
	v_cvt_f16_f32_e32 v28, v24
	v_mov_b32_e32 v24, 0
	flat_store_short v[26:27], v28
	s_cbranch_vccnz .LBB214_74
; %bb.73:
	v_add_co_u32 v25, vcc_lo, v20, v40
	v_add_co_ci_u32_e64 v26, null, v21, v41, vcc_lo
	flat_load_ushort v25, v[25:26]
	s_waitcnt vmcnt(0) lgkmcnt(0)
	v_mul_f16_e32 v25, s7, v25
	v_cvt_f32_f16_e32 v25, v25
.LBB214_74:
	v_pk_add_f16 v26, v2, v16
	v_pk_add_f16 v27, v3, v17
	v_max_f16_e32 v28, v183, v183
	v_lshrrev_b32_e32 v29, 16, v183
	v_max_f32_e32 v25, v25, v25
	v_lshrrev_b32_e32 v30, 16, v26
	v_lshrrev_b32_e32 v31, 16, v27
	v_min_f16_e32 v26, v28, v26
	v_min3_f16 v28, v29, v30, v31
	v_min3_f16 v26, v26, v27, v28
	v_cvt_f32_f16_e32 v26, v26
	v_min_f32_e32 v25, v25, v26
	v_cvt_f16_f32_e32 v27, v25
	v_add_co_u32 v25, vcc_lo, v22, v40
	v_add_co_ci_u32_e64 v26, null, v23, v41, vcc_lo
	s_and_b32 vcc_lo, exec_lo, s1
	flat_store_short v[25:26], v27
	s_cbranch_vccnz .LBB214_76
; %bb.75:
	v_add_co_u32 v20, vcc_lo, v20, v44
	v_add_co_ci_u32_e64 v21, null, v21, v45, vcc_lo
	flat_load_ushort v20, v[20:21]
	s_waitcnt vmcnt(0) lgkmcnt(0)
	v_mul_f16_e32 v20, s7, v20
	v_cvt_f32_f16_e32 v24, v20
.LBB214_76:
	v_pk_add_f16 v16, v32, v16
	v_pk_add_f16 v21, v33, v17
	v_max_f16_e32 v17, v181, v181
	v_lshrrev_b32_e32 v25, 16, v181
	v_add_nc_u32_e32 v20, 64, v111
	v_lshrrev_b32_e32 v26, 16, v16
	v_lshrrev_b32_e32 v27, 16, v21
	v_min_f16_e32 v28, v17, v16
	v_mad_i64_i32 v[16:17], null, v20, s8, 0
	v_min3_f16 v25, v25, v26, v27
	v_max_f32_e32 v26, v24, v24
	v_add_co_u32 v24, vcc_lo, v22, v44
	v_mov_b32_e32 v22, 0
	v_min3_f16 v21, v28, v21, v25
	v_lshlrev_b64 v[16:17], 1, v[16:17]
	v_add_co_ci_u32_e64 v25, null, v23, v45, vcc_lo
	v_cvt_f32_f16_e32 v21, v21
	v_add_co_u32 v16, vcc_lo, s12, v16
	v_add_co_ci_u32_e64 v17, null, s13, v17, vcc_lo
	v_min_f32_e32 v21, v26, v21
	s_and_b32 vcc_lo, exec_lo, s1
	v_cvt_f16_f32_e32 v23, v21
	v_mov_b32_e32 v21, 0
	flat_store_short v[24:25], v23
	s_cbranch_vccnz .LBB214_78
; %bb.77:
	v_add_co_u32 v23, vcc_lo, v16, v36
	v_add_co_ci_u32_e64 v24, null, v17, v37, vcc_lo
	flat_load_ushort v21, v[23:24]
	s_waitcnt vmcnt(0) lgkmcnt(0)
	v_mul_f16_e32 v21, s7, v21
	v_cvt_f32_f16_e32 v21, v21
.LBB214_78:
	v_pk_add_f16 v23, v38, v18
	v_pk_add_f16 v25, v39, v19
	v_max_f16_e32 v24, v103, v103
	v_lshrrev_b32_e32 v26, 16, v103
	v_lshrrev_b32_e32 v27, 16, v23
	;; [unrolled: 1-line block ×3, first 2 shown]
	v_min_f16_e32 v29, v24, v23
	v_mad_i64_i32 v[23:24], null, v20, s6, 0
	v_min3_f16 v26, v26, v27, v28
	v_min3_f16 v20, v29, v25, v26
	v_max_f32_e32 v25, v21, v21
	v_cvt_f32_f16_e32 v26, v20
	v_lshlrev_b64 v[20:21], 1, v[23:24]
	v_min_f32_e32 v23, v25, v26
	v_add_co_u32 v20, vcc_lo, s2, v20
	v_add_co_ci_u32_e64 v21, null, s3, v21, vcc_lo
	v_cvt_f16_f32_e32 v25, v23
	v_add_co_u32 v23, vcc_lo, v20, v36
	v_add_co_ci_u32_e64 v24, null, v21, v37, vcc_lo
	s_and_b32 vcc_lo, exec_lo, s1
	flat_store_short v[23:24], v25
	s_cbranch_vccnz .LBB214_80
; %bb.79:
	v_add_co_u32 v22, vcc_lo, v16, v42
	v_add_co_ci_u32_e64 v23, null, v17, v43, vcc_lo
	flat_load_ushort v22, v[22:23]
	s_waitcnt vmcnt(0) lgkmcnt(0)
	v_mul_f16_e32 v22, s7, v22
	v_cvt_f32_f16_e32 v22, v22
.LBB214_80:
	v_pk_add_f16 v23, v0, v18
	v_pk_add_f16 v24, v1, v19
	v_max_f16_e32 v25, v102, v102
	v_lshrrev_b32_e32 v26, 16, v102
	v_max_f32_e32 v22, v22, v22
	v_lshrrev_b32_e32 v27, 16, v23
	v_lshrrev_b32_e32 v28, 16, v24
	v_min_f16_e32 v23, v25, v23
	v_min3_f16 v25, v26, v27, v28
	v_min3_f16 v23, v23, v24, v25
	v_add_co_u32 v24, vcc_lo, v20, v42
	v_add_co_ci_u32_e64 v25, null, v21, v43, vcc_lo
	v_cvt_f32_f16_e32 v23, v23
	s_and_b32 vcc_lo, exec_lo, s1
	v_min_f32_e32 v22, v22, v23
	v_mov_b32_e32 v23, 0
	v_cvt_f16_f32_e32 v26, v22
	v_mov_b32_e32 v22, 0
	flat_store_short v[24:25], v26
	s_cbranch_vccnz .LBB214_82
; %bb.81:
	v_add_co_u32 v23, vcc_lo, v16, v40
	v_add_co_ci_u32_e64 v24, null, v17, v41, vcc_lo
	flat_load_ushort v23, v[23:24]
	s_waitcnt vmcnt(0) lgkmcnt(0)
	v_mul_f16_e32 v23, s7, v23
	v_cvt_f32_f16_e32 v23, v23
.LBB214_82:
	v_pk_add_f16 v24, v2, v18
	v_pk_add_f16 v25, v3, v19
	v_max_f16_e32 v26, v101, v101
	v_lshrrev_b32_e32 v27, 16, v101
	v_max_f32_e32 v23, v23, v23
	v_lshrrev_b32_e32 v28, 16, v24
	v_lshrrev_b32_e32 v29, 16, v25
	v_min_f16_e32 v24, v26, v24
	v_min3_f16 v26, v27, v28, v29
	v_min3_f16 v24, v24, v25, v26
	v_cvt_f32_f16_e32 v24, v24
	v_min_f32_e32 v23, v23, v24
	v_cvt_f16_f32_e32 v25, v23
	v_add_co_u32 v23, vcc_lo, v20, v40
	v_add_co_ci_u32_e64 v24, null, v21, v41, vcc_lo
	s_and_b32 vcc_lo, exec_lo, s1
	flat_store_short v[23:24], v25
	s_cbranch_vccnz .LBB214_84
; %bb.83:
	v_add_co_u32 v16, vcc_lo, v16, v44
	v_add_co_ci_u32_e64 v17, null, v17, v45, vcc_lo
	flat_load_ushort v16, v[16:17]
	s_waitcnt vmcnt(0) lgkmcnt(0)
	v_mul_f16_e32 v16, s7, v16
	v_cvt_f32_f16_e32 v22, v16
.LBB214_84:
	v_pk_add_f16 v16, v32, v18
	v_pk_add_f16 v19, v33, v19
	v_max_f16_e32 v17, v172, v172
	v_lshrrev_b32_e32 v23, 16, v172
	v_add_nc_u32_e32 v18, 0x48, v111
	v_lshrrev_b32_e32 v24, 16, v16
	v_lshrrev_b32_e32 v25, 16, v19
	v_min_f16_e32 v26, v17, v16
	v_mad_i64_i32 v[16:17], null, v18, s8, 0
	v_min3_f16 v23, v23, v24, v25
	v_max_f32_e32 v24, v22, v22
	v_add_co_u32 v22, vcc_lo, v20, v44
	v_mov_b32_e32 v20, 0
	v_min3_f16 v19, v26, v19, v23
	v_lshlrev_b64 v[16:17], 1, v[16:17]
	v_add_co_ci_u32_e64 v23, null, v21, v45, vcc_lo
	v_cvt_f32_f16_e32 v19, v19
	v_add_co_u32 v16, vcc_lo, s12, v16
	v_add_co_ci_u32_e64 v17, null, s13, v17, vcc_lo
	v_min_f32_e32 v19, v24, v19
	s_and_b32 vcc_lo, exec_lo, s1
	v_cvt_f16_f32_e32 v21, v19
	v_mov_b32_e32 v19, 0
	flat_store_short v[22:23], v21
	s_cbranch_vccnz .LBB214_86
; %bb.85:
	v_add_co_u32 v21, vcc_lo, v16, v36
	v_add_co_ci_u32_e64 v22, null, v17, v37, vcc_lo
	flat_load_ushort v19, v[21:22]
	s_waitcnt vmcnt(0) lgkmcnt(0)
	v_mul_f16_e32 v19, s7, v19
	v_cvt_f32_f16_e32 v19, v19
.LBB214_86:
	v_pk_add_f16 v21, v38, v12
	v_pk_add_f16 v23, v39, v13
	v_max_f16_e32 v22, v170, v170
	v_lshrrev_b32_e32 v24, 16, v170
	v_lshrrev_b32_e32 v25, 16, v21
	;; [unrolled: 1-line block ×3, first 2 shown]
	v_min_f16_e32 v27, v22, v21
	v_mad_i64_i32 v[21:22], null, v18, s6, 0
	v_min3_f16 v24, v24, v25, v26
	v_min3_f16 v18, v27, v23, v24
	v_max_f32_e32 v23, v19, v19
	v_cvt_f32_f16_e32 v24, v18
	v_lshlrev_b64 v[18:19], 1, v[21:22]
	v_min_f32_e32 v21, v23, v24
	v_add_co_u32 v18, vcc_lo, s2, v18
	v_add_co_ci_u32_e64 v19, null, s3, v19, vcc_lo
	v_cvt_f16_f32_e32 v23, v21
	v_add_co_u32 v21, vcc_lo, v18, v36
	v_add_co_ci_u32_e64 v22, null, v19, v37, vcc_lo
	s_and_b32 vcc_lo, exec_lo, s1
	flat_store_short v[21:22], v23
	s_cbranch_vccnz .LBB214_88
; %bb.87:
	v_add_co_u32 v20, vcc_lo, v16, v42
	v_add_co_ci_u32_e64 v21, null, v17, v43, vcc_lo
	flat_load_ushort v20, v[20:21]
	s_waitcnt vmcnt(0) lgkmcnt(0)
	v_mul_f16_e32 v20, s7, v20
	v_cvt_f32_f16_e32 v20, v20
.LBB214_88:
	v_pk_add_f16 v21, v0, v12
	v_pk_add_f16 v22, v1, v13
	v_max_f16_e32 v23, v100, v100
	v_lshrrev_b32_e32 v24, 16, v100
	v_max_f32_e32 v20, v20, v20
	v_lshrrev_b32_e32 v25, 16, v21
	v_lshrrev_b32_e32 v26, 16, v22
	v_min_f16_e32 v21, v23, v21
	v_min3_f16 v23, v24, v25, v26
	v_min3_f16 v21, v21, v22, v23
	v_add_co_u32 v22, vcc_lo, v18, v42
	v_add_co_ci_u32_e64 v23, null, v19, v43, vcc_lo
	v_cvt_f32_f16_e32 v21, v21
	s_and_b32 vcc_lo, exec_lo, s1
	v_min_f32_e32 v20, v20, v21
	v_mov_b32_e32 v21, 0
	v_cvt_f16_f32_e32 v24, v20
	v_mov_b32_e32 v20, 0
	flat_store_short v[22:23], v24
	s_cbranch_vccnz .LBB214_90
; %bb.89:
	v_add_co_u32 v21, vcc_lo, v16, v40
	v_add_co_ci_u32_e64 v22, null, v17, v41, vcc_lo
	flat_load_ushort v21, v[21:22]
	s_waitcnt vmcnt(0) lgkmcnt(0)
	v_mul_f16_e32 v21, s7, v21
	v_cvt_f32_f16_e32 v21, v21
.LBB214_90:
	v_pk_add_f16 v22, v2, v12
	v_pk_add_f16 v23, v3, v13
	v_max_f16_e32 v24, v84, v84
	v_lshrrev_b32_e32 v25, 16, v84
	v_max_f32_e32 v21, v21, v21
	v_lshrrev_b32_e32 v26, 16, v22
	v_lshrrev_b32_e32 v27, 16, v23
	v_min_f16_e32 v22, v24, v22
	v_min3_f16 v24, v25, v26, v27
	v_min3_f16 v22, v22, v23, v24
	v_cvt_f32_f16_e32 v22, v22
	v_min_f32_e32 v21, v21, v22
	v_cvt_f16_f32_e32 v23, v21
	v_add_co_u32 v21, vcc_lo, v18, v40
	v_add_co_ci_u32_e64 v22, null, v19, v41, vcc_lo
	s_and_b32 vcc_lo, exec_lo, s1
	flat_store_short v[21:22], v23
	s_cbranch_vccnz .LBB214_92
; %bb.91:
	v_add_co_u32 v16, vcc_lo, v16, v44
	v_add_co_ci_u32_e64 v17, null, v17, v45, vcc_lo
	flat_load_ushort v16, v[16:17]
	s_waitcnt vmcnt(0) lgkmcnt(0)
	v_mul_f16_e32 v16, s7, v16
	v_cvt_f32_f16_e32 v20, v16
.LBB214_92:
	v_pk_add_f16 v12, v32, v12
	v_pk_add_f16 v17, v33, v13
	v_max_f16_e32 v13, v127, v127
	v_lshrrev_b32_e32 v21, 16, v127
	v_add_nc_u32_e32 v16, 0x50, v111
	v_lshrrev_b32_e32 v22, 16, v12
	v_lshrrev_b32_e32 v23, 16, v17
	v_min_f16_e32 v24, v13, v12
	v_mad_i64_i32 v[12:13], null, v16, s8, 0
	v_min3_f16 v21, v21, v22, v23
	v_max_f32_e32 v22, v20, v20
	v_add_co_u32 v20, vcc_lo, v18, v44
	v_mov_b32_e32 v18, 0
	v_min3_f16 v17, v24, v17, v21
	v_lshlrev_b64 v[12:13], 1, v[12:13]
	v_add_co_ci_u32_e64 v21, null, v19, v45, vcc_lo
	v_cvt_f32_f16_e32 v17, v17
	v_add_co_u32 v12, vcc_lo, s12, v12
	v_add_co_ci_u32_e64 v13, null, s13, v13, vcc_lo
	v_min_f32_e32 v17, v22, v17
	s_and_b32 vcc_lo, exec_lo, s1
	v_cvt_f16_f32_e32 v19, v17
	v_mov_b32_e32 v17, 0
	flat_store_short v[20:21], v19
	s_cbranch_vccnz .LBB214_94
; %bb.93:
	v_add_co_u32 v19, vcc_lo, v12, v36
	v_add_co_ci_u32_e64 v20, null, v13, v37, vcc_lo
	flat_load_ushort v17, v[19:20]
	s_waitcnt vmcnt(0) lgkmcnt(0)
	v_mul_f16_e32 v17, s7, v17
	v_cvt_f32_f16_e32 v17, v17
.LBB214_94:
	v_pk_add_f16 v19, v38, v14
	v_pk_add_f16 v21, v39, v15
	v_max_f16_e32 v20, v99, v99
	v_lshrrev_b32_e32 v22, 16, v99
	v_lshrrev_b32_e32 v23, 16, v19
	;; [unrolled: 1-line block ×3, first 2 shown]
	v_min_f16_e32 v25, v20, v19
	v_mad_i64_i32 v[19:20], null, v16, s6, 0
	v_min3_f16 v22, v22, v23, v24
	v_min3_f16 v16, v25, v21, v22
	v_max_f32_e32 v21, v17, v17
	v_cvt_f32_f16_e32 v22, v16
	v_lshlrev_b64 v[16:17], 1, v[19:20]
	v_min_f32_e32 v19, v21, v22
	v_add_co_u32 v16, vcc_lo, s2, v16
	v_add_co_ci_u32_e64 v17, null, s3, v17, vcc_lo
	v_cvt_f16_f32_e32 v21, v19
	v_add_co_u32 v19, vcc_lo, v16, v36
	v_add_co_ci_u32_e64 v20, null, v17, v37, vcc_lo
	s_and_b32 vcc_lo, exec_lo, s1
	flat_store_short v[19:20], v21
	s_cbranch_vccnz .LBB214_96
; %bb.95:
	v_add_co_u32 v18, vcc_lo, v12, v42
	v_add_co_ci_u32_e64 v19, null, v13, v43, vcc_lo
	flat_load_ushort v18, v[18:19]
	s_waitcnt vmcnt(0) lgkmcnt(0)
	v_mul_f16_e32 v18, s7, v18
	v_cvt_f32_f16_e32 v18, v18
.LBB214_96:
	v_pk_add_f16 v19, v0, v14
	v_pk_add_f16 v20, v1, v15
	v_max_f16_e32 v21, v98, v98
	v_lshrrev_b32_e32 v22, 16, v98
	v_max_f32_e32 v18, v18, v18
	v_lshrrev_b32_e32 v23, 16, v19
	v_lshrrev_b32_e32 v24, 16, v20
	v_min_f16_e32 v19, v21, v19
	v_min3_f16 v21, v22, v23, v24
	v_min3_f16 v19, v19, v20, v21
	v_add_co_u32 v20, vcc_lo, v16, v42
	v_add_co_ci_u32_e64 v21, null, v17, v43, vcc_lo
	v_cvt_f32_f16_e32 v19, v19
	s_and_b32 vcc_lo, exec_lo, s1
	v_min_f32_e32 v18, v18, v19
	v_mov_b32_e32 v19, 0
	v_cvt_f16_f32_e32 v22, v18
	v_mov_b32_e32 v18, 0
	flat_store_short v[20:21], v22
	s_cbranch_vccnz .LBB214_98
; %bb.97:
	v_add_co_u32 v19, vcc_lo, v12, v40
	v_add_co_ci_u32_e64 v20, null, v13, v41, vcc_lo
	flat_load_ushort v19, v[19:20]
	s_waitcnt vmcnt(0) lgkmcnt(0)
	v_mul_f16_e32 v19, s7, v19
	v_cvt_f32_f16_e32 v19, v19
.LBB214_98:
	v_pk_add_f16 v20, v2, v14
	v_pk_add_f16 v21, v3, v15
	v_max_f16_e32 v22, v80, v80
	v_lshrrev_b32_e32 v23, 16, v80
	v_max_f32_e32 v19, v19, v19
	v_lshrrev_b32_e32 v24, 16, v20
	v_lshrrev_b32_e32 v25, 16, v21
	v_min_f16_e32 v20, v22, v20
	v_min3_f16 v22, v23, v24, v25
	v_min3_f16 v20, v20, v21, v22
	v_cvt_f32_f16_e32 v20, v20
	v_min_f32_e32 v19, v19, v20
	v_cvt_f16_f32_e32 v21, v19
	v_add_co_u32 v19, vcc_lo, v16, v40
	v_add_co_ci_u32_e64 v20, null, v17, v41, vcc_lo
	s_and_b32 vcc_lo, exec_lo, s1
	flat_store_short v[19:20], v21
	s_cbranch_vccnz .LBB214_100
; %bb.99:
	v_add_co_u32 v12, vcc_lo, v12, v44
	v_add_co_ci_u32_e64 v13, null, v13, v45, vcc_lo
	flat_load_ushort v12, v[12:13]
	s_waitcnt vmcnt(0) lgkmcnt(0)
	v_mul_f16_e32 v12, s7, v12
	v_cvt_f32_f16_e32 v18, v12
.LBB214_100:
	v_pk_add_f16 v12, v32, v14
	v_pk_add_f16 v15, v33, v15
	v_max_f16_e32 v13, v97, v97
	v_lshrrev_b32_e32 v19, 16, v97
	v_add_nc_u32_e32 v14, 0x58, v111
	v_lshrrev_b32_e32 v20, 16, v12
	v_lshrrev_b32_e32 v21, 16, v15
	v_min_f16_e32 v22, v13, v12
	v_mad_i64_i32 v[12:13], null, v14, s8, 0
	v_min3_f16 v19, v19, v20, v21
	v_max_f32_e32 v20, v18, v18
	v_add_co_u32 v18, vcc_lo, v16, v44
	v_mov_b32_e32 v16, 0
	v_min3_f16 v15, v22, v15, v19
	v_lshlrev_b64 v[12:13], 1, v[12:13]
	v_add_co_ci_u32_e64 v19, null, v17, v45, vcc_lo
	v_cvt_f32_f16_e32 v15, v15
	v_add_co_u32 v12, vcc_lo, s12, v12
	v_add_co_ci_u32_e64 v13, null, s13, v13, vcc_lo
	v_min_f32_e32 v15, v20, v15
	s_and_b32 vcc_lo, exec_lo, s1
	v_cvt_f16_f32_e32 v17, v15
	v_mov_b32_e32 v15, 0
	flat_store_short v[18:19], v17
	s_cbranch_vccnz .LBB214_102
; %bb.101:
	v_add_co_u32 v17, vcc_lo, v12, v36
	v_add_co_ci_u32_e64 v18, null, v13, v37, vcc_lo
	flat_load_ushort v15, v[17:18]
	s_waitcnt vmcnt(0) lgkmcnt(0)
	v_mul_f16_e32 v15, s7, v15
	v_cvt_f32_f16_e32 v15, v15
.LBB214_102:
	v_pk_add_f16 v17, v38, v8
	v_pk_add_f16 v19, v39, v9
	v_max_f16_e32 v18, v83, v83
	v_lshrrev_b32_e32 v20, 16, v83
	v_lshrrev_b32_e32 v21, 16, v17
	;; [unrolled: 1-line block ×3, first 2 shown]
	v_min_f16_e32 v23, v18, v17
	v_mad_i64_i32 v[17:18], null, v14, s6, 0
	v_min3_f16 v20, v20, v21, v22
	v_min3_f16 v14, v23, v19, v20
	v_max_f32_e32 v19, v15, v15
	v_cvt_f32_f16_e32 v20, v14
	v_lshlrev_b64 v[14:15], 1, v[17:18]
	v_min_f32_e32 v17, v19, v20
	v_add_co_u32 v14, vcc_lo, s2, v14
	v_add_co_ci_u32_e64 v15, null, s3, v15, vcc_lo
	v_cvt_f16_f32_e32 v19, v17
	v_add_co_u32 v17, vcc_lo, v14, v36
	v_add_co_ci_u32_e64 v18, null, v15, v37, vcc_lo
	s_and_b32 vcc_lo, exec_lo, s1
	flat_store_short v[17:18], v19
	s_cbranch_vccnz .LBB214_104
; %bb.103:
	v_add_co_u32 v16, vcc_lo, v12, v42
	v_add_co_ci_u32_e64 v17, null, v13, v43, vcc_lo
	flat_load_ushort v16, v[16:17]
	s_waitcnt vmcnt(0) lgkmcnt(0)
	v_mul_f16_e32 v16, s7, v16
	v_cvt_f32_f16_e32 v16, v16
.LBB214_104:
	v_pk_add_f16 v17, v0, v8
	v_pk_add_f16 v18, v1, v9
	v_max_f16_e32 v19, v96, v96
	v_lshrrev_b32_e32 v20, 16, v96
	v_max_f32_e32 v16, v16, v16
	v_lshrrev_b32_e32 v21, 16, v17
	v_lshrrev_b32_e32 v22, 16, v18
	v_min_f16_e32 v17, v19, v17
	v_min3_f16 v19, v20, v21, v22
	v_min3_f16 v17, v17, v18, v19
	v_add_co_u32 v18, vcc_lo, v14, v42
	v_add_co_ci_u32_e64 v19, null, v15, v43, vcc_lo
	v_cvt_f32_f16_e32 v17, v17
	s_and_b32 vcc_lo, exec_lo, s1
	v_min_f32_e32 v16, v16, v17
	v_mov_b32_e32 v17, 0
	v_cvt_f16_f32_e32 v20, v16
	v_mov_b32_e32 v16, 0
	flat_store_short v[18:19], v20
	s_cbranch_vccnz .LBB214_106
; %bb.105:
	v_add_co_u32 v17, vcc_lo, v12, v40
	v_add_co_ci_u32_e64 v18, null, v13, v41, vcc_lo
	flat_load_ushort v17, v[17:18]
	s_waitcnt vmcnt(0) lgkmcnt(0)
	v_mul_f16_e32 v17, s7, v17
	v_cvt_f32_f16_e32 v17, v17
.LBB214_106:
	v_pk_add_f16 v18, v2, v8
	v_pk_add_f16 v19, v3, v9
	v_max_f16_e32 v20, v95, v95
	v_lshrrev_b32_e32 v21, 16, v95
	v_max_f32_e32 v17, v17, v17
	v_lshrrev_b32_e32 v22, 16, v18
	v_lshrrev_b32_e32 v23, 16, v19
	v_min_f16_e32 v18, v20, v18
	v_min3_f16 v20, v21, v22, v23
	v_min3_f16 v18, v18, v19, v20
	v_cvt_f32_f16_e32 v18, v18
	v_min_f32_e32 v17, v17, v18
	v_cvt_f16_f32_e32 v19, v17
	v_add_co_u32 v17, vcc_lo, v14, v40
	v_add_co_ci_u32_e64 v18, null, v15, v41, vcc_lo
	s_and_b32 vcc_lo, exec_lo, s1
	flat_store_short v[17:18], v19
	s_cbranch_vccnz .LBB214_108
; %bb.107:
	v_add_co_u32 v12, vcc_lo, v12, v44
	v_add_co_ci_u32_e64 v13, null, v13, v45, vcc_lo
	flat_load_ushort v12, v[12:13]
	s_waitcnt vmcnt(0) lgkmcnt(0)
	v_mul_f16_e32 v12, s7, v12
	v_cvt_f32_f16_e32 v16, v12
.LBB214_108:
	v_pk_add_f16 v8, v32, v8
	v_pk_add_f16 v13, v33, v9
	v_max_f16_e32 v9, v81, v81
	v_lshrrev_b32_e32 v17, 16, v81
	v_add_nc_u32_e32 v12, 0x60, v111
	v_lshrrev_b32_e32 v18, 16, v8
	v_lshrrev_b32_e32 v19, 16, v13
	v_min_f16_e32 v20, v9, v8
	v_mad_i64_i32 v[8:9], null, v12, s8, 0
	v_min3_f16 v17, v17, v18, v19
	v_max_f32_e32 v18, v16, v16
	v_add_co_u32 v16, vcc_lo, v14, v44
	v_mov_b32_e32 v14, 0
	v_min3_f16 v13, v20, v13, v17
	v_lshlrev_b64 v[8:9], 1, v[8:9]
	v_add_co_ci_u32_e64 v17, null, v15, v45, vcc_lo
	v_cvt_f32_f16_e32 v13, v13
	v_add_co_u32 v8, vcc_lo, s12, v8
	v_add_co_ci_u32_e64 v9, null, s13, v9, vcc_lo
	v_min_f32_e32 v13, v18, v13
	s_and_b32 vcc_lo, exec_lo, s1
	v_cvt_f16_f32_e32 v15, v13
	v_mov_b32_e32 v13, 0
	flat_store_short v[16:17], v15
	s_cbranch_vccnz .LBB214_110
; %bb.109:
	v_add_co_u32 v15, vcc_lo, v8, v36
	v_add_co_ci_u32_e64 v16, null, v9, v37, vcc_lo
	flat_load_ushort v13, v[15:16]
	s_waitcnt vmcnt(0) lgkmcnt(0)
	v_mul_f16_e32 v13, s7, v13
	v_cvt_f32_f16_e32 v13, v13
.LBB214_110:
	v_pk_add_f16 v15, v38, v10
	v_pk_add_f16 v17, v39, v11
	v_max_f16_e32 v16, v73, v73
	v_lshrrev_b32_e32 v18, 16, v73
	v_lshrrev_b32_e32 v19, 16, v15
	;; [unrolled: 1-line block ×3, first 2 shown]
	v_min_f16_e32 v21, v16, v15
	v_mad_i64_i32 v[15:16], null, v12, s6, 0
	v_min3_f16 v18, v18, v19, v20
	v_min3_f16 v12, v21, v17, v18
	v_max_f32_e32 v17, v13, v13
	v_cvt_f32_f16_e32 v18, v12
	v_lshlrev_b64 v[12:13], 1, v[15:16]
	v_min_f32_e32 v15, v17, v18
	v_add_co_u32 v12, vcc_lo, s2, v12
	v_add_co_ci_u32_e64 v13, null, s3, v13, vcc_lo
	v_cvt_f16_f32_e32 v17, v15
	v_add_co_u32 v15, vcc_lo, v12, v36
	v_add_co_ci_u32_e64 v16, null, v13, v37, vcc_lo
	s_and_b32 vcc_lo, exec_lo, s1
	flat_store_short v[15:16], v17
	s_cbranch_vccnz .LBB214_112
; %bb.111:
	v_add_co_u32 v14, vcc_lo, v8, v42
	v_add_co_ci_u32_e64 v15, null, v9, v43, vcc_lo
	flat_load_ushort v14, v[14:15]
	s_waitcnt vmcnt(0) lgkmcnt(0)
	v_mul_f16_e32 v14, s7, v14
	v_cvt_f32_f16_e32 v14, v14
.LBB214_112:
	v_pk_add_f16 v15, v0, v10
	v_pk_add_f16 v16, v1, v11
	v_max_f16_e32 v17, v72, v72
	v_lshrrev_b32_e32 v18, 16, v72
	v_max_f32_e32 v14, v14, v14
	v_lshrrev_b32_e32 v19, 16, v15
	v_lshrrev_b32_e32 v20, 16, v16
	v_min_f16_e32 v15, v17, v15
	v_min3_f16 v17, v18, v19, v20
	v_min3_f16 v15, v15, v16, v17
	v_add_co_u32 v16, vcc_lo, v12, v42
	v_add_co_ci_u32_e64 v17, null, v13, v43, vcc_lo
	v_cvt_f32_f16_e32 v15, v15
	s_and_b32 vcc_lo, exec_lo, s1
	v_min_f32_e32 v14, v14, v15
	v_mov_b32_e32 v15, 0
	v_cvt_f16_f32_e32 v18, v14
	v_mov_b32_e32 v14, 0
	flat_store_short v[16:17], v18
	s_cbranch_vccnz .LBB214_114
; %bb.113:
	v_add_co_u32 v15, vcc_lo, v8, v40
	v_add_co_ci_u32_e64 v16, null, v9, v41, vcc_lo
	flat_load_ushort v15, v[15:16]
	s_waitcnt vmcnt(0) lgkmcnt(0)
	v_mul_f16_e32 v15, s7, v15
	v_cvt_f32_f16_e32 v15, v15
.LBB214_114:
	v_pk_add_f16 v16, v2, v10
	v_pk_add_f16 v17, v3, v11
	v_max_f16_e32 v18, v71, v71
	v_lshrrev_b32_e32 v19, 16, v71
	v_max_f32_e32 v15, v15, v15
	v_lshrrev_b32_e32 v20, 16, v16
	v_lshrrev_b32_e32 v21, 16, v17
	v_min_f16_e32 v16, v18, v16
	v_min3_f16 v18, v19, v20, v21
	v_min3_f16 v16, v16, v17, v18
	v_cvt_f32_f16_e32 v16, v16
	v_min_f32_e32 v15, v15, v16
	v_cvt_f16_f32_e32 v17, v15
	v_add_co_u32 v15, vcc_lo, v12, v40
	v_add_co_ci_u32_e64 v16, null, v13, v41, vcc_lo
	s_and_b32 vcc_lo, exec_lo, s1
	flat_store_short v[15:16], v17
	s_cbranch_vccnz .LBB214_116
; %bb.115:
	v_add_co_u32 v8, vcc_lo, v8, v44
	v_add_co_ci_u32_e64 v9, null, v9, v45, vcc_lo
	flat_load_ushort v8, v[8:9]
	s_waitcnt vmcnt(0) lgkmcnt(0)
	v_mul_f16_e32 v8, s7, v8
	v_cvt_f32_f16_e32 v14, v8
.LBB214_116:
	v_pk_add_f16 v8, v32, v10
	v_pk_add_f16 v11, v33, v11
	v_max_f16_e32 v9, v70, v70
	v_lshrrev_b32_e32 v15, 16, v70
	v_add_nc_u32_e32 v10, 0x68, v111
	v_lshrrev_b32_e32 v16, 16, v8
	v_lshrrev_b32_e32 v17, 16, v11
	v_min_f16_e32 v18, v9, v8
	v_mad_i64_i32 v[8:9], null, v10, s8, 0
	v_min3_f16 v15, v15, v16, v17
	v_max_f32_e32 v16, v14, v14
	v_add_co_u32 v14, vcc_lo, v12, v44
	v_mov_b32_e32 v12, 0
	v_min3_f16 v11, v18, v11, v15
	v_lshlrev_b64 v[8:9], 1, v[8:9]
	v_add_co_ci_u32_e64 v15, null, v13, v45, vcc_lo
	v_cvt_f32_f16_e32 v11, v11
	v_add_co_u32 v8, vcc_lo, s12, v8
	v_add_co_ci_u32_e64 v9, null, s13, v9, vcc_lo
	v_min_f32_e32 v11, v16, v11
	s_and_b32 vcc_lo, exec_lo, s1
	v_cvt_f16_f32_e32 v13, v11
	v_mov_b32_e32 v11, 0
	flat_store_short v[14:15], v13
	s_cbranch_vccnz .LBB214_118
; %bb.117:
	v_add_co_u32 v13, vcc_lo, v8, v36
	v_add_co_ci_u32_e64 v14, null, v9, v37, vcc_lo
	flat_load_ushort v11, v[13:14]
	s_waitcnt vmcnt(0) lgkmcnt(0)
	v_mul_f16_e32 v11, s7, v11
	v_cvt_f32_f16_e32 v11, v11
.LBB214_118:
	v_pk_add_f16 v13, v38, v4
	v_pk_add_f16 v15, v39, v5
	v_max_f16_e32 v14, v69, v69
	v_lshrrev_b32_e32 v16, 16, v69
	v_lshrrev_b32_e32 v17, 16, v13
	;; [unrolled: 1-line block ×3, first 2 shown]
	v_min_f16_e32 v19, v14, v13
	v_mad_i64_i32 v[13:14], null, v10, s6, 0
	v_min3_f16 v16, v16, v17, v18
	v_min3_f16 v10, v19, v15, v16
	v_max_f32_e32 v15, v11, v11
	v_cvt_f32_f16_e32 v16, v10
	v_lshlrev_b64 v[10:11], 1, v[13:14]
	v_min_f32_e32 v13, v15, v16
	v_add_co_u32 v10, vcc_lo, s2, v10
	v_add_co_ci_u32_e64 v11, null, s3, v11, vcc_lo
	v_cvt_f16_f32_e32 v15, v13
	v_add_co_u32 v13, vcc_lo, v10, v36
	v_add_co_ci_u32_e64 v14, null, v11, v37, vcc_lo
	s_and_b32 vcc_lo, exec_lo, s1
	flat_store_short v[13:14], v15
	s_cbranch_vccnz .LBB214_120
; %bb.119:
	v_add_co_u32 v12, vcc_lo, v8, v42
	v_add_co_ci_u32_e64 v13, null, v9, v43, vcc_lo
	flat_load_ushort v12, v[12:13]
	s_waitcnt vmcnt(0) lgkmcnt(0)
	v_mul_f16_e32 v12, s7, v12
	v_cvt_f32_f16_e32 v12, v12
.LBB214_120:
	v_pk_add_f16 v13, v0, v4
	v_pk_add_f16 v14, v1, v5
	v_max_f16_e32 v15, v68, v68
	v_lshrrev_b32_e32 v16, 16, v68
	v_max_f32_e32 v12, v12, v12
	v_lshrrev_b32_e32 v17, 16, v13
	v_lshrrev_b32_e32 v18, 16, v14
	v_min_f16_e32 v13, v15, v13
	v_min3_f16 v15, v16, v17, v18
	v_min3_f16 v13, v13, v14, v15
	v_add_co_u32 v14, vcc_lo, v10, v42
	v_add_co_ci_u32_e64 v15, null, v11, v43, vcc_lo
	v_cvt_f32_f16_e32 v13, v13
	s_and_b32 vcc_lo, exec_lo, s1
	v_min_f32_e32 v12, v12, v13
	v_mov_b32_e32 v13, 0
	v_cvt_f16_f32_e32 v16, v12
	v_mov_b32_e32 v12, 0
	flat_store_short v[14:15], v16
	s_cbranch_vccnz .LBB214_122
; %bb.121:
	v_add_co_u32 v13, vcc_lo, v8, v40
	v_add_co_ci_u32_e64 v14, null, v9, v41, vcc_lo
	flat_load_ushort v13, v[13:14]
	s_waitcnt vmcnt(0) lgkmcnt(0)
	v_mul_f16_e32 v13, s7, v13
	v_cvt_f32_f16_e32 v13, v13
.LBB214_122:
	v_pk_add_f16 v14, v2, v4
	v_pk_add_f16 v15, v3, v5
	v_max_f16_e32 v16, v67, v67
	v_lshrrev_b32_e32 v17, 16, v67
	v_max_f32_e32 v13, v13, v13
	v_lshrrev_b32_e32 v18, 16, v14
	v_lshrrev_b32_e32 v19, 16, v15
	v_min_f16_e32 v14, v16, v14
	v_min3_f16 v16, v17, v18, v19
	v_min3_f16 v14, v14, v15, v16
	v_cvt_f32_f16_e32 v14, v14
	v_min_f32_e32 v13, v13, v14
	v_cvt_f16_f32_e32 v15, v13
	v_add_co_u32 v13, vcc_lo, v10, v40
	v_add_co_ci_u32_e64 v14, null, v11, v41, vcc_lo
	s_and_b32 vcc_lo, exec_lo, s1
	flat_store_short v[13:14], v15
	s_cbranch_vccnz .LBB214_124
; %bb.123:
	v_add_co_u32 v8, vcc_lo, v8, v44
	v_add_co_ci_u32_e64 v9, null, v9, v45, vcc_lo
	flat_load_ushort v8, v[8:9]
	s_waitcnt vmcnt(0) lgkmcnt(0)
	v_mul_f16_e32 v8, s7, v8
	v_cvt_f32_f16_e32 v12, v8
.LBB214_124:
	v_pk_add_f16 v4, v32, v4
	v_pk_add_f16 v9, v33, v5
	v_max_f16_e32 v5, v66, v66
	v_lshrrev_b32_e32 v13, 16, v66
	v_add_nc_u32_e32 v8, 0x70, v111
	v_lshrrev_b32_e32 v14, 16, v4
	v_lshrrev_b32_e32 v15, 16, v9
	v_min_f16_e32 v16, v5, v4
	v_mad_i64_i32 v[4:5], null, v8, s8, 0
	v_min3_f16 v13, v13, v14, v15
	v_max_f32_e32 v14, v12, v12
	v_add_co_u32 v12, vcc_lo, v10, v44
	v_mov_b32_e32 v10, 0
	v_min3_f16 v9, v16, v9, v13
	v_lshlrev_b64 v[4:5], 1, v[4:5]
	v_add_co_ci_u32_e64 v13, null, v11, v45, vcc_lo
	v_cvt_f32_f16_e32 v9, v9
	v_add_co_u32 v4, vcc_lo, s12, v4
	v_add_co_ci_u32_e64 v5, null, s13, v5, vcc_lo
	v_min_f32_e32 v9, v14, v9
	s_and_b32 vcc_lo, exec_lo, s1
	v_cvt_f16_f32_e32 v11, v9
	v_mov_b32_e32 v9, 0
	flat_store_short v[12:13], v11
	s_cbranch_vccnz .LBB214_126
; %bb.125:
	v_add_co_u32 v11, vcc_lo, v4, v36
	v_add_co_ci_u32_e64 v12, null, v5, v37, vcc_lo
	flat_load_ushort v9, v[11:12]
	s_waitcnt vmcnt(0) lgkmcnt(0)
	v_mul_f16_e32 v9, s7, v9
	v_cvt_f32_f16_e32 v9, v9
.LBB214_126:
	v_pk_add_f16 v11, v38, v6
	v_pk_add_f16 v13, v39, v7
	v_max_f16_e32 v12, v87, v87
	v_lshrrev_b32_e32 v14, 16, v87
	v_lshrrev_b32_e32 v15, 16, v11
	;; [unrolled: 1-line block ×3, first 2 shown]
	v_min_f16_e32 v17, v12, v11
	v_mad_i64_i32 v[11:12], null, v8, s6, 0
	v_min3_f16 v14, v14, v15, v16
	v_min3_f16 v8, v17, v13, v14
	v_max_f32_e32 v13, v9, v9
	v_cvt_f32_f16_e32 v14, v8
	v_lshlrev_b64 v[8:9], 1, v[11:12]
	v_min_f32_e32 v11, v13, v14
	v_add_co_u32 v8, vcc_lo, s2, v8
	v_add_co_ci_u32_e64 v9, null, s3, v9, vcc_lo
	v_cvt_f16_f32_e32 v13, v11
	v_add_co_u32 v11, vcc_lo, v8, v36
	v_add_co_ci_u32_e64 v12, null, v9, v37, vcc_lo
	s_and_b32 vcc_lo, exec_lo, s1
	flat_store_short v[11:12], v13
	s_cbranch_vccnz .LBB214_128
; %bb.127:
	v_add_co_u32 v10, vcc_lo, v4, v42
	v_add_co_ci_u32_e64 v11, null, v5, v43, vcc_lo
	flat_load_ushort v10, v[10:11]
	s_waitcnt vmcnt(0) lgkmcnt(0)
	v_mul_f16_e32 v10, s7, v10
	v_cvt_f32_f16_e32 v10, v10
.LBB214_128:
	v_pk_add_f16 v11, v0, v6
	v_pk_add_f16 v12, v1, v7
	v_max_f16_e32 v13, v64, v64
	v_lshrrev_b32_e32 v14, 16, v64
	v_max_f32_e32 v10, v10, v10
	v_lshrrev_b32_e32 v15, 16, v11
	v_lshrrev_b32_e32 v16, 16, v12
	v_min_f16_e32 v11, v13, v11
	v_min3_f16 v13, v14, v15, v16
	v_min3_f16 v11, v11, v12, v13
	v_add_co_u32 v12, vcc_lo, v8, v42
	v_add_co_ci_u32_e64 v13, null, v9, v43, vcc_lo
	v_cvt_f32_f16_e32 v11, v11
	s_and_b32 vcc_lo, exec_lo, s1
	v_min_f32_e32 v10, v10, v11
	v_mov_b32_e32 v11, 0
	v_cvt_f16_f32_e32 v14, v10
	v_mov_b32_e32 v10, 0
	flat_store_short v[12:13], v14
	s_cbranch_vccnz .LBB214_130
; %bb.129:
	v_add_co_u32 v11, vcc_lo, v4, v40
	v_add_co_ci_u32_e64 v12, null, v5, v41, vcc_lo
	flat_load_ushort v11, v[11:12]
	s_waitcnt vmcnt(0) lgkmcnt(0)
	v_mul_f16_e32 v11, s7, v11
	v_cvt_f32_f16_e32 v11, v11
.LBB214_130:
	v_pk_add_f16 v12, v2, v6
	v_pk_add_f16 v13, v3, v7
	v_max_f16_e32 v14, v63, v63
	v_lshrrev_b32_e32 v15, 16, v63
	v_max_f32_e32 v11, v11, v11
	v_lshrrev_b32_e32 v16, 16, v12
	v_lshrrev_b32_e32 v17, 16, v13
	v_min_f16_e32 v12, v14, v12
	v_min3_f16 v14, v15, v16, v17
	v_min3_f16 v12, v12, v13, v14
	v_cvt_f32_f16_e32 v12, v12
	v_min_f32_e32 v11, v11, v12
	v_cvt_f16_f32_e32 v13, v11
	v_add_co_u32 v11, vcc_lo, v8, v40
	v_add_co_ci_u32_e64 v12, null, v9, v41, vcc_lo
	s_and_b32 vcc_lo, exec_lo, s1
	flat_store_short v[11:12], v13
	s_cbranch_vccnz .LBB214_132
; %bb.131:
	v_add_co_u32 v4, vcc_lo, v4, v44
	v_add_co_ci_u32_e64 v5, null, v5, v45, vcc_lo
	flat_load_ushort v4, v[4:5]
	s_waitcnt vmcnt(0) lgkmcnt(0)
	v_mul_f16_e32 v4, s7, v4
	v_cvt_f32_f16_e32 v10, v4
.LBB214_132:
	v_pk_add_f16 v4, v32, v6
	v_pk_add_f16 v7, v33, v7
	v_max_f16_e32 v5, v62, v62
	v_lshrrev_b32_e32 v11, 16, v62
	v_add_nc_u32_e32 v6, 0x78, v111
	v_lshrrev_b32_e32 v12, 16, v4
	v_lshrrev_b32_e32 v13, 16, v7
	v_min_f16_e32 v14, v5, v4
	v_mad_i64_i32 v[4:5], null, v6, s8, 0
	v_min3_f16 v11, v11, v12, v13
	v_max_f32_e32 v12, v10, v10
	v_add_co_u32 v10, vcc_lo, v8, v44
	v_mov_b32_e32 v8, 0
	v_min3_f16 v7, v14, v7, v11
	v_lshlrev_b64 v[4:5], 1, v[4:5]
	v_add_co_ci_u32_e64 v11, null, v9, v45, vcc_lo
	v_cvt_f32_f16_e32 v7, v7
	v_add_co_u32 v4, vcc_lo, s12, v4
	v_add_co_ci_u32_e64 v5, null, s13, v5, vcc_lo
	v_min_f32_e32 v7, v12, v7
	s_and_b32 vcc_lo, exec_lo, s1
	v_cvt_f16_f32_e32 v9, v7
	v_mov_b32_e32 v7, 0
	flat_store_short v[10:11], v9
	s_cbranch_vccnz .LBB214_134
; %bb.133:
	v_add_co_u32 v9, vcc_lo, v4, v36
	v_add_co_ci_u32_e64 v10, null, v5, v37, vcc_lo
	flat_load_ushort v7, v[9:10]
	s_waitcnt vmcnt(0) lgkmcnt(0)
	v_mul_f16_e32 v7, s7, v7
	v_cvt_f32_f16_e32 v7, v7
.LBB214_134:
	v_pk_add_f16 v9, v38, v34
	v_pk_add_f16 v11, v39, v35
	v_max_f16_e32 v10, v61, v61
	v_lshrrev_b32_e32 v12, 16, v61
	v_lshrrev_b32_e32 v13, 16, v9
	;; [unrolled: 1-line block ×3, first 2 shown]
	v_min_f16_e32 v15, v10, v9
	v_mad_i64_i32 v[9:10], null, v6, s6, 0
	v_min3_f16 v12, v12, v13, v14
	v_min3_f16 v6, v15, v11, v12
	v_max_f32_e32 v11, v7, v7
	v_cvt_f32_f16_e32 v12, v6
	v_lshlrev_b64 v[6:7], 1, v[9:10]
	v_min_f32_e32 v9, v11, v12
	v_add_co_u32 v6, vcc_lo, s2, v6
	v_add_co_ci_u32_e64 v7, null, s3, v7, vcc_lo
	v_cvt_f16_f32_e32 v11, v9
	v_add_co_u32 v9, vcc_lo, v6, v36
	v_add_co_ci_u32_e64 v10, null, v7, v37, vcc_lo
	s_and_b32 vcc_lo, exec_lo, s1
	flat_store_short v[9:10], v11
	s_cbranch_vccnz .LBB214_136
; %bb.135:
	v_add_co_u32 v8, vcc_lo, v4, v42
	v_add_co_ci_u32_e64 v9, null, v5, v43, vcc_lo
	flat_load_ushort v8, v[8:9]
	s_waitcnt vmcnt(0) lgkmcnt(0)
	v_mul_f16_e32 v8, s7, v8
	v_cvt_f32_f16_e32 v8, v8
.LBB214_136:
	v_pk_add_f16 v0, v0, v34
	v_pk_add_f16 v1, v1, v35
	v_max_f16_e32 v9, v60, v60
	v_lshrrev_b32_e32 v10, 16, v60
	v_pk_add_f16 v3, v3, v35
	v_lshrrev_b32_e32 v11, 16, v0
	v_lshrrev_b32_e32 v12, 16, v1
	v_min_f16_e32 v0, v9, v0
	s_mov_b32 s1, -1
	v_min3_f16 v9, v10, v11, v12
	v_lshrrev_b32_e32 v10, 16, v59
	v_lshrrev_b32_e32 v12, 16, v3
	v_min3_f16 v0, v0, v1, v9
	v_pk_add_f16 v9, v2, v34
	v_max_f32_e32 v1, v8, v8
	v_max_f16_e32 v8, v59, v59
	v_cvt_f32_f16_e32 v0, v0
	v_lshrrev_b32_e32 v11, 16, v9
	v_min_f16_e32 v8, v8, v9
	v_min_f32_e32 v0, v1, v0
	v_min3_f16 v9, v10, v11, v12
	v_add_co_u32 v1, vcc_lo, v6, v42
	v_add_co_ci_u32_e64 v2, null, v7, v43, vcc_lo
	v_cvt_f16_f32_e32 v10, v0
	v_min3_f16 v0, v8, v3, v9
	s_mov_b32 vcc_lo, s0
	flat_store_short v[1:2], v10
	s_cbranch_vccz .LBB214_138
; %bb.137:
	v_cvt_f32_f16_e32 v1, v0
	s_mov_b32 s1, 0
	v_min_f32_e32 v1, 0, v1
	v_cvt_f16_f32_e32 v3, v1
	v_add_co_u32 v1, vcc_lo, v6, v40
	v_add_co_ci_u32_e64 v2, null, v7, v41, vcc_lo
	flat_store_short v[1:2], v3
.LBB214_138:
	v_mov_b32_e32 v1, 0
	s_andn2_b32 vcc_lo, exec_lo, s1
	s_cbranch_vccnz .LBB214_140
; %bb.139:
	v_add_co_u32 v1, vcc_lo, v4, v40
	v_add_co_ci_u32_e64 v2, null, v5, v41, vcc_lo
	flat_load_ushort v1, v[1:2]
	v_max_f16_e32 v2, v0, v0
	v_add_co_u32 v0, vcc_lo, v6, v40
	s_waitcnt vmcnt(0) lgkmcnt(0)
	v_mul_f16_e32 v3, s7, v1
	v_add_co_ci_u32_e64 v1, null, v7, v41, vcc_lo
	v_min_f16_e32 v8, v3, v2
	v_add_co_u32 v2, vcc_lo, v4, v44
	v_add_co_ci_u32_e64 v3, null, v5, v45, vcc_lo
	flat_store_short v[0:1], v8
	flat_load_ushort v0, v[2:3]
	s_waitcnt vmcnt(0) lgkmcnt(0)
	v_mul_f16_e32 v0, s7, v0
	v_cvt_f32_f16_e32 v1, v0
.LBB214_140:
	v_pk_add_f16 v0, v32, v34
	v_pk_add_f16 v2, v33, v35
	v_max_f16_e32 v3, v82, v82
	v_lshrrev_b32_e32 v4, 16, v82
	v_max_f32_e32 v1, v1, v1
	v_lshrrev_b32_e32 v5, 16, v0
	v_lshrrev_b32_e32 v8, 16, v2
	v_min_f16_e32 v0, v3, v0
	v_min3_f16 v3, v4, v5, v8
	v_min3_f16 v0, v0, v2, v3
	v_cvt_f32_f16_e32 v0, v0
	v_min_f32_e32 v0, v1, v0
	v_cvt_f16_f32_e32 v2, v0
	v_add_co_u32 v0, vcc_lo, v6, v44
	v_add_co_ci_u32_e64 v1, null, v7, v45, vcc_lo
	flat_store_short v[0:1], v2
	s_endpgm
	.section	.rodata,"a",@progbits
	.p2align	6, 0x0
	.amdhsa_kernel _ZN12_GLOBAL__N_120geam_min_plus_kernelIDF16_Dv2_DF16_S1_Li32ELi8ELi128ELi128ELi4ELi4ELi64ELi4ELi64ELc84ELc78ELb1ELb0ELb1EDF16_KPKDF16_KPDF16_EEviiiT16_PT17_ilS9_ilS7_S9_ilPT18_ili26rocblas_geam_ex_operation_
		.amdhsa_group_segment_fixed_size 4096
		.amdhsa_private_segment_fixed_size 192
		.amdhsa_kernarg_size 128
		.amdhsa_user_sgpr_count 6
		.amdhsa_user_sgpr_private_segment_buffer 1
		.amdhsa_user_sgpr_dispatch_ptr 0
		.amdhsa_user_sgpr_queue_ptr 0
		.amdhsa_user_sgpr_kernarg_segment_ptr 1
		.amdhsa_user_sgpr_dispatch_id 0
		.amdhsa_user_sgpr_flat_scratch_init 0
		.amdhsa_user_sgpr_private_segment_size 0
		.amdhsa_wavefront_size32 1
		.amdhsa_uses_dynamic_stack 0
		.amdhsa_system_sgpr_private_segment_wavefront_offset 1
		.amdhsa_system_sgpr_workgroup_id_x 1
		.amdhsa_system_sgpr_workgroup_id_y 0
		.amdhsa_system_sgpr_workgroup_id_z 1
		.amdhsa_system_sgpr_workgroup_info 0
		.amdhsa_system_vgpr_workitem_id 1
		.amdhsa_next_free_vgpr 256
		.amdhsa_next_free_sgpr 28
		.amdhsa_reserve_vcc 1
		.amdhsa_reserve_flat_scratch 1
		.amdhsa_float_round_mode_32 0
		.amdhsa_float_round_mode_16_64 0
		.amdhsa_float_denorm_mode_32 3
		.amdhsa_float_denorm_mode_16_64 3
		.amdhsa_dx10_clamp 1
		.amdhsa_ieee_mode 1
		.amdhsa_fp16_overflow 0
		.amdhsa_workgroup_processor_mode 1
		.amdhsa_memory_ordered 1
		.amdhsa_forward_progress 1
		.amdhsa_shared_vgpr_count 0
		.amdhsa_exception_fp_ieee_invalid_op 0
		.amdhsa_exception_fp_denorm_src 0
		.amdhsa_exception_fp_ieee_div_zero 0
		.amdhsa_exception_fp_ieee_overflow 0
		.amdhsa_exception_fp_ieee_underflow 0
		.amdhsa_exception_fp_ieee_inexact 0
		.amdhsa_exception_int_div_zero 0
	.end_amdhsa_kernel
	.section	.text._ZN12_GLOBAL__N_120geam_min_plus_kernelIDF16_Dv2_DF16_S1_Li32ELi8ELi128ELi128ELi4ELi4ELi64ELi4ELi64ELc84ELc78ELb1ELb0ELb1EDF16_KPKDF16_KPDF16_EEviiiT16_PT17_ilS9_ilS7_S9_ilPT18_ili26rocblas_geam_ex_operation_,"axG",@progbits,_ZN12_GLOBAL__N_120geam_min_plus_kernelIDF16_Dv2_DF16_S1_Li32ELi8ELi128ELi128ELi4ELi4ELi64ELi4ELi64ELc84ELc78ELb1ELb0ELb1EDF16_KPKDF16_KPDF16_EEviiiT16_PT17_ilS9_ilS7_S9_ilPT18_ili26rocblas_geam_ex_operation_,comdat
.Lfunc_end214:
	.size	_ZN12_GLOBAL__N_120geam_min_plus_kernelIDF16_Dv2_DF16_S1_Li32ELi8ELi128ELi128ELi4ELi4ELi64ELi4ELi64ELc84ELc78ELb1ELb0ELb1EDF16_KPKDF16_KPDF16_EEviiiT16_PT17_ilS9_ilS7_S9_ilPT18_ili26rocblas_geam_ex_operation_, .Lfunc_end214-_ZN12_GLOBAL__N_120geam_min_plus_kernelIDF16_Dv2_DF16_S1_Li32ELi8ELi128ELi128ELi4ELi4ELi64ELi4ELi64ELc84ELc78ELb1ELb0ELb1EDF16_KPKDF16_KPDF16_EEviiiT16_PT17_ilS9_ilS7_S9_ilPT18_ili26rocblas_geam_ex_operation_
                                        ; -- End function
	.set _ZN12_GLOBAL__N_120geam_min_plus_kernelIDF16_Dv2_DF16_S1_Li32ELi8ELi128ELi128ELi4ELi4ELi64ELi4ELi64ELc84ELc78ELb1ELb0ELb1EDF16_KPKDF16_KPDF16_EEviiiT16_PT17_ilS9_ilS7_S9_ilPT18_ili26rocblas_geam_ex_operation_.num_vgpr, 256
	.set _ZN12_GLOBAL__N_120geam_min_plus_kernelIDF16_Dv2_DF16_S1_Li32ELi8ELi128ELi128ELi4ELi4ELi64ELi4ELi64ELc84ELc78ELb1ELb0ELb1EDF16_KPKDF16_KPDF16_EEviiiT16_PT17_ilS9_ilS7_S9_ilPT18_ili26rocblas_geam_ex_operation_.num_agpr, 0
	.set _ZN12_GLOBAL__N_120geam_min_plus_kernelIDF16_Dv2_DF16_S1_Li32ELi8ELi128ELi128ELi4ELi4ELi64ELi4ELi64ELc84ELc78ELb1ELb0ELb1EDF16_KPKDF16_KPDF16_EEviiiT16_PT17_ilS9_ilS7_S9_ilPT18_ili26rocblas_geam_ex_operation_.numbered_sgpr, 28
	.set _ZN12_GLOBAL__N_120geam_min_plus_kernelIDF16_Dv2_DF16_S1_Li32ELi8ELi128ELi128ELi4ELi4ELi64ELi4ELi64ELc84ELc78ELb1ELb0ELb1EDF16_KPKDF16_KPDF16_EEviiiT16_PT17_ilS9_ilS7_S9_ilPT18_ili26rocblas_geam_ex_operation_.num_named_barrier, 0
	.set _ZN12_GLOBAL__N_120geam_min_plus_kernelIDF16_Dv2_DF16_S1_Li32ELi8ELi128ELi128ELi4ELi4ELi64ELi4ELi64ELc84ELc78ELb1ELb0ELb1EDF16_KPKDF16_KPDF16_EEviiiT16_PT17_ilS9_ilS7_S9_ilPT18_ili26rocblas_geam_ex_operation_.private_seg_size, 192
	.set _ZN12_GLOBAL__N_120geam_min_plus_kernelIDF16_Dv2_DF16_S1_Li32ELi8ELi128ELi128ELi4ELi4ELi64ELi4ELi64ELc84ELc78ELb1ELb0ELb1EDF16_KPKDF16_KPDF16_EEviiiT16_PT17_ilS9_ilS7_S9_ilPT18_ili26rocblas_geam_ex_operation_.uses_vcc, 1
	.set _ZN12_GLOBAL__N_120geam_min_plus_kernelIDF16_Dv2_DF16_S1_Li32ELi8ELi128ELi128ELi4ELi4ELi64ELi4ELi64ELc84ELc78ELb1ELb0ELb1EDF16_KPKDF16_KPDF16_EEviiiT16_PT17_ilS9_ilS7_S9_ilPT18_ili26rocblas_geam_ex_operation_.uses_flat_scratch, 1
	.set _ZN12_GLOBAL__N_120geam_min_plus_kernelIDF16_Dv2_DF16_S1_Li32ELi8ELi128ELi128ELi4ELi4ELi64ELi4ELi64ELc84ELc78ELb1ELb0ELb1EDF16_KPKDF16_KPDF16_EEviiiT16_PT17_ilS9_ilS7_S9_ilPT18_ili26rocblas_geam_ex_operation_.has_dyn_sized_stack, 0
	.set _ZN12_GLOBAL__N_120geam_min_plus_kernelIDF16_Dv2_DF16_S1_Li32ELi8ELi128ELi128ELi4ELi4ELi64ELi4ELi64ELc84ELc78ELb1ELb0ELb1EDF16_KPKDF16_KPDF16_EEviiiT16_PT17_ilS9_ilS7_S9_ilPT18_ili26rocblas_geam_ex_operation_.has_recursion, 0
	.set _ZN12_GLOBAL__N_120geam_min_plus_kernelIDF16_Dv2_DF16_S1_Li32ELi8ELi128ELi128ELi4ELi4ELi64ELi4ELi64ELc84ELc78ELb1ELb0ELb1EDF16_KPKDF16_KPDF16_EEviiiT16_PT17_ilS9_ilS7_S9_ilPT18_ili26rocblas_geam_ex_operation_.has_indirect_call, 0
	.section	.AMDGPU.csdata,"",@progbits
; Kernel info:
; codeLenInByte = 19968
; TotalNumSgprs: 30
; NumVgprs: 256
; ScratchSize: 192
; MemoryBound: 0
; FloatMode: 240
; IeeeMode: 1
; LDSByteSize: 4096 bytes/workgroup (compile time only)
; SGPRBlocks: 0
; VGPRBlocks: 31
; NumSGPRsForWavesPerEU: 30
; NumVGPRsForWavesPerEU: 256
; Occupancy: 4
; WaveLimiterHint : 1
; COMPUTE_PGM_RSRC2:SCRATCH_EN: 1
; COMPUTE_PGM_RSRC2:USER_SGPR: 6
; COMPUTE_PGM_RSRC2:TRAP_HANDLER: 0
; COMPUTE_PGM_RSRC2:TGID_X_EN: 1
; COMPUTE_PGM_RSRC2:TGID_Y_EN: 0
; COMPUTE_PGM_RSRC2:TGID_Z_EN: 1
; COMPUTE_PGM_RSRC2:TIDIG_COMP_CNT: 1
	.section	.text._ZN12_GLOBAL__N_120geam_min_plus_kernelIDF16_Dv2_DF16_S1_Li32ELi8ELi128ELi128ELi4ELi4ELi64ELi4ELi64ELc84ELc78ELb0ELb0ELb1EDF16_KPKDF16_KPDF16_EEviiiT16_PT17_ilS9_ilS7_S9_ilPT18_ili26rocblas_geam_ex_operation_,"axG",@progbits,_ZN12_GLOBAL__N_120geam_min_plus_kernelIDF16_Dv2_DF16_S1_Li32ELi8ELi128ELi128ELi4ELi4ELi64ELi4ELi64ELc84ELc78ELb0ELb0ELb1EDF16_KPKDF16_KPDF16_EEviiiT16_PT17_ilS9_ilS7_S9_ilPT18_ili26rocblas_geam_ex_operation_,comdat
	.globl	_ZN12_GLOBAL__N_120geam_min_plus_kernelIDF16_Dv2_DF16_S1_Li32ELi8ELi128ELi128ELi4ELi4ELi64ELi4ELi64ELc84ELc78ELb0ELb0ELb1EDF16_KPKDF16_KPDF16_EEviiiT16_PT17_ilS9_ilS7_S9_ilPT18_ili26rocblas_geam_ex_operation_ ; -- Begin function _ZN12_GLOBAL__N_120geam_min_plus_kernelIDF16_Dv2_DF16_S1_Li32ELi8ELi128ELi128ELi4ELi4ELi64ELi4ELi64ELc84ELc78ELb0ELb0ELb1EDF16_KPKDF16_KPDF16_EEviiiT16_PT17_ilS9_ilS7_S9_ilPT18_ili26rocblas_geam_ex_operation_
	.p2align	8
	.type	_ZN12_GLOBAL__N_120geam_min_plus_kernelIDF16_Dv2_DF16_S1_Li32ELi8ELi128ELi128ELi4ELi4ELi64ELi4ELi64ELc84ELc78ELb0ELb0ELb1EDF16_KPKDF16_KPDF16_EEviiiT16_PT17_ilS9_ilS7_S9_ilPT18_ili26rocblas_geam_ex_operation_,@function
_ZN12_GLOBAL__N_120geam_min_plus_kernelIDF16_Dv2_DF16_S1_Li32ELi8ELi128ELi128ELi4ELi4ELi64ELi4ELi64ELc84ELc78ELb0ELb0ELb1EDF16_KPKDF16_KPDF16_EEviiiT16_PT17_ilS9_ilS7_S9_ilPT18_ili26rocblas_geam_ex_operation_: ; @_ZN12_GLOBAL__N_120geam_min_plus_kernelIDF16_Dv2_DF16_S1_Li32ELi8ELi128ELi128ELi4ELi4ELi64ELi4ELi64ELc84ELc78ELb0ELb0ELb1EDF16_KPKDF16_KPDF16_EEviiiT16_PT17_ilS9_ilS7_S9_ilPT18_ili26rocblas_geam_ex_operation_
; %bb.0:
	s_clause 0x1
	s_load_dwordx2 s[14:15], s[4:5], 0x8
	s_load_dwordx4 s[0:3], s[4:5], 0x20
	s_mov_b32 s8, s7
	s_mov_b32 s9, 0
	s_waitcnt lgkmcnt(0)
	v_cmp_eq_f16_e64 s7, s15, 0
	s_and_b32 vcc_lo, exec_lo, s7
	s_cbranch_vccnz .LBB215_3
; %bb.1:
	s_load_dwordx2 s[10:11], s[4:5], 0x10
	s_lshl_b64 s[12:13], s[8:9], 3
	s_waitcnt lgkmcnt(0)
	s_add_u32 s10, s10, s12
	s_addc_u32 s11, s11, s13
	s_lshl_b64 s[0:1], s[0:1], 1
	s_load_dwordx2 s[10:11], s[10:11], 0x0
	s_waitcnt lgkmcnt(0)
	s_add_u32 s16, s10, s0
	s_addc_u32 s17, s11, s1
	s_andn2_b32 vcc_lo, exec_lo, s7
	s_cbranch_vccnz .LBB215_4
.LBB215_2:
	s_mov_b32 s21, 0
	s_mov_b32 s20, s8
	;; [unrolled: 1-line block ×3, first 2 shown]
	s_mov_b64 s[12:13], 0
	s_andn2_b32 vcc_lo, exec_lo, s0
	s_mov_b64 s[18:19], 0
	s_cbranch_vccz .LBB215_5
	s_branch .LBB215_6
.LBB215_3:
	s_mov_b64 s[16:17], 0
	s_andn2_b32 vcc_lo, exec_lo, s7
	s_cbranch_vccz .LBB215_2
.LBB215_4:
	s_mov_b64 s[20:21], s[8:9]
	s_mov_b64 s[12:13], 0
	;; [unrolled: 1-line block ×3, first 2 shown]
.LBB215_5:
	s_lshl_b64 s[0:1], s[8:9], 3
	s_load_dwordx2 s[8:9], s[4:5], 0x38
	s_add_u32 s0, s2, s0
	s_addc_u32 s1, s3, s1
	s_load_dwordx2 s[0:1], s[0:1], 0x0
	s_waitcnt lgkmcnt(0)
	s_lshl_b64 s[2:3], s[8:9], 1
	s_add_u32 s18, s0, s2
	s_addc_u32 s19, s1, s3
.LBB215_6:
	s_clause 0x1
	s_load_dword s7, s[4:5], 0x40
	s_load_dwordx4 s[8:11], s[4:5], 0x58
	v_cmp_neq_f16_e64 s22, s15, 0
	s_waitcnt lgkmcnt(0)
	v_cmp_eq_f16_e64 s0, s7, 0
	s_and_b32 s0, exec_lo, s0
	s_mov_b32 vcc_lo, s0
	s_cbranch_vccnz .LBB215_8
; %bb.7:
	s_load_dwordx2 s[2:3], s[4:5], 0x48
	s_lshl_b64 s[12:13], s[20:21], 3
	s_waitcnt lgkmcnt(0)
	s_add_u32 s2, s2, s12
	s_addc_u32 s3, s3, s13
	s_lshl_b64 s[8:9], s[8:9], 1
	s_load_dwordx2 s[2:3], s[2:3], 0x0
	s_waitcnt lgkmcnt(0)
	s_add_u32 s12, s2, s8
	s_addc_u32 s13, s3, s9
.LBB215_8:
	s_load_dword s1, s[4:5], 0x0
	s_lshl_b64 s[2:3], s[20:21], 3
	s_load_dword s20, s[4:5], 0x18
	s_add_u32 s2, s10, s2
	s_addc_u32 s3, s11, s3
	v_and_b32_e32 v10, 3, v0
	v_cndmask_b32_e64 v3, 0, 1, s22
	v_mov_b32_e32 v13, 0
	v_mov_b32_e32 v11, 0
	v_lshlrev_b32_e32 v45, 1, v10
	s_waitcnt lgkmcnt(0)
	s_add_i32 s1, s1, -1
	s_ashr_i32 s8, s1, 31
	s_lshr_b32 s8, s8, 25
	s_add_i32 s1, s1, s8
	s_ashr_i32 s1, s1, 7
	s_add_i32 s8, s1, 1
	s_not_b32 s1, s1
	v_cvt_f32_u32_e32 v2, s8
	v_rcp_iflag_f32_e32 v2, v2
	v_mul_f32_e32 v2, 0x4f7ffffe, v2
	v_cvt_u32_f32_e32 v2, v2
	v_readfirstlane_b32 s9, v2
	v_lshl_add_u32 v2, v1, 5, v0
	s_mul_i32 s1, s1, s9
	v_lshrrev_b32_e32 v12, 2, v2
	s_mul_hi_u32 s1, s9, s1
	s_add_i32 s9, s9, s1
	s_mul_hi_u32 s1, s6, s9
	s_mul_i32 s9, s1, s8
	s_add_i32 s10, s1, 1
	s_sub_i32 s9, s6, s9
	s_sub_i32 s11, s9, s8
	s_cmp_ge_u32 s9, s8
	s_cselect_b32 s1, s10, s1
	s_cselect_b32 s9, s11, s9
	s_add_i32 s10, s1, 1
	s_cmp_ge_u32 s9, s8
	s_cselect_b32 s9, s10, s1
	s_andn2_b32 vcc_lo, exec_lo, s22
	s_mul_i32 s1, s9, s8
	s_sub_i32 s6, s6, s1
	v_cmp_ne_u32_e64 s1, 1, v3
	s_lshl_b32 s8, s6, 7
	v_add_co_u32 v14, s6, s16, v45
	v_add_co_ci_u32_e64 v15, null, s17, 0, s6
	v_add_nc_u32_e32 v2, s8, v12
	s_cbranch_vccnz .LBB215_10
; %bb.9:
	v_mad_i64_i32 v[3:4], null, v2, s20, 0
	v_lshlrev_b64 v[3:4], 1, v[3:4]
	v_add_co_u32 v3, vcc_lo, v14, v3
	v_add_co_ci_u32_e64 v4, null, v15, v4, vcc_lo
	flat_load_ushort v3, v[3:4]
	s_waitcnt vmcnt(0) lgkmcnt(0)
	v_mul_f16_e32 v11, s15, v3
.LBB215_10:
	s_load_dword s6, s[4:5], 0x30
	s_lshl_b32 s9, s9, 7
	v_add_nc_u32_e32 v3, 64, v2
	v_add_nc_u32_e32 v4, s9, v12
	v_mov_b32_e32 v16, 0
	v_mov_b32_e32 v17, 0
	s_and_b32 vcc_lo, exec_lo, s1
	v_add_nc_u32_e32 v5, 64, v4
	s_cbranch_vccnz .LBB215_12
; %bb.11:
	v_mad_i64_i32 v[6:7], null, v3, s20, 0
	s_waitcnt lgkmcnt(0)
	v_mad_i64_i32 v[8:9], null, v4, s6, 0
	v_mad_i64_i32 v[16:17], null, v5, s6, 0
	v_add_co_u32 v13, s10, s18, v45
	v_lshlrev_b64 v[6:7], 1, v[6:7]
	v_add_co_ci_u32_e64 v18, null, s19, 0, s10
	v_lshlrev_b64 v[8:9], 1, v[8:9]
	v_lshlrev_b64 v[16:17], 1, v[16:17]
	v_add_co_u32 v6, vcc_lo, v14, v6
	v_add_co_ci_u32_e64 v7, null, v15, v7, vcc_lo
	v_add_co_u32 v8, vcc_lo, v13, v8
	v_add_co_ci_u32_e64 v9, null, v18, v9, vcc_lo
	;; [unrolled: 2-line block ×3, first 2 shown]
	flat_load_ushort v6, v[6:7]
	s_clause 0x1
	flat_load_ushort v7, v[8:9]
	flat_load_ushort v8, v[16:17]
	s_waitcnt vmcnt(2) lgkmcnt(2)
	v_mul_f16_e32 v13, s15, v6
	s_waitcnt vmcnt(1) lgkmcnt(1)
	v_mul_f16_e32 v16, s15, v7
	;; [unrolled: 2-line block ×3, first 2 shown]
.LBB215_12:
	v_mov_b32_e32 v7, 0
	v_mov_b32_e32 v6, 0
	s_and_b32 vcc_lo, exec_lo, s1
	s_cbranch_vccnz .LBB215_14
; %bb.13:
	v_mad_i64_i32 v[8:9], null, v2, s20, 0
	v_lshlrev_b64 v[8:9], 1, v[8:9]
	v_add_co_u32 v8, vcc_lo, v14, v8
	v_add_co_ci_u32_e64 v9, null, v15, v9, vcc_lo
	flat_load_ushort v6, v[8:9] offset:8
	s_waitcnt vmcnt(0) lgkmcnt(0)
	v_mul_f16_e32 v6, s15, v6
.LBB215_14:
	v_mov_b32_e32 v8, 0
	v_mov_b32_e32 v9, 0
	s_and_b32 vcc_lo, exec_lo, s1
	s_cbranch_vccnz .LBB215_16
; %bb.15:
	v_mad_i64_i32 v[7:8], null, v3, s20, 0
	s_waitcnt lgkmcnt(0)
	v_mad_i64_i32 v[18:19], null, v4, s6, 0
	v_mad_i64_i32 v[20:21], null, v5, s6, 0
	v_add_co_u32 v9, s10, s18, v45
	v_lshlrev_b64 v[7:8], 1, v[7:8]
	v_add_co_ci_u32_e64 v22, null, s19, 0, s10
	v_lshlrev_b64 v[18:19], 1, v[18:19]
	v_add_co_u32 v7, vcc_lo, v14, v7
	v_add_co_ci_u32_e64 v8, null, v15, v8, vcc_lo
	v_lshlrev_b64 v[14:15], 1, v[20:21]
	v_add_co_u32 v18, vcc_lo, v9, v18
	v_add_co_ci_u32_e64 v19, null, v22, v19, vcc_lo
	v_add_co_u32 v14, vcc_lo, v9, v14
	v_add_co_ci_u32_e64 v15, null, v22, v15, vcc_lo
	flat_load_ushort v7, v[7:8] offset:8
	s_clause 0x1
	flat_load_ushort v8, v[18:19] offset:8
	flat_load_ushort v9, v[14:15] offset:8
	s_waitcnt vmcnt(2) lgkmcnt(2)
	v_mul_f16_e32 v7, s15, v7
	s_waitcnt vmcnt(1) lgkmcnt(1)
	v_mul_f16_e32 v8, s15, v8
	;; [unrolled: 2-line block ×3, first 2 shown]
.LBB215_16:
	v_lshlrev_b32_e32 v12, 3, v12
	v_lshlrev_b32_e32 v86, 3, v1
	;; [unrolled: 1-line block ×3, first 2 shown]
	s_load_dwordx2 s[2:3], s[2:3], 0x0
	s_cmp_lt_i32 s14, 9
	v_lshl_or_b32 v46, v10, 1, v12
	v_add_nc_u32_e32 v30, 0x800, v86
	ds_write_b16 v46, v11
	ds_write_b16 v46, v13 offset:512
	ds_write_b16 v46, v16 offset:2048
	;; [unrolled: 1-line block ×3, first 2 shown]
	s_waitcnt lgkmcnt(0)
	s_barrier
	buffer_gl0_inv
	ds_read2_b64 v[10:13], v88 offset1:32
	ds_read2_b64 v[14:17], v30 offset1:8
	ds_read2_b64 v[18:21], v88 offset0:64 offset1:96
	ds_read2_b64 v[22:25], v30 offset0:16 offset1:24
	;; [unrolled: 1-line block ×3, first 2 shown]
	s_waitcnt lgkmcnt(3)
	v_pk_add_f16 v31, v10, v14
	v_pk_add_f16 v32, v12, v14
	s_waitcnt lgkmcnt(2)
	v_pk_add_f16 v33, v18, v14
	v_pk_add_f16 v34, v20, v14
	;; [unrolled: 1-line block ×6, first 2 shown]
	s_waitcnt lgkmcnt(1)
	v_pk_add_f16 v39, v10, v22
	v_pk_add_f16 v40, v12, v22
	;; [unrolled: 1-line block ×19, first 2 shown]
	ds_read2_b64 v[14:17], v30 offset0:48 offset1:56
	v_pk_add_f16 v63, v21, v23
	v_pk_add_f16 v64, v11, v25
	;; [unrolled: 1-line block ×5, first 2 shown]
	ds_read2_b64 v[22:25], v30 offset0:64 offset1:72
	s_waitcnt lgkmcnt(2)
	v_pk_add_f16 v49, v10, v26
	v_pk_add_f16 v50, v12, v26
	;; [unrolled: 1-line block ×16, first 2 shown]
	s_waitcnt lgkmcnt(1)
	v_pk_add_f16 v81, v10, v14
	v_pk_add_f16 v82, v12, v14
	;; [unrolled: 1-line block ×14, first 2 shown]
	ds_read2_b64 v[26:29], v30 offset0:80 offset1:88
	v_pk_add_f16 v121, v19, v17
	v_pk_add_f16 v122, v21, v17
	s_waitcnt lgkmcnt(1)
	v_pk_add_f16 v123, v10, v22
	v_pk_add_f16 v124, v12, v22
	;; [unrolled: 1-line block ×14, first 2 shown]
	ds_read2_b64 v[14:17], v30 offset0:96 offset1:104
	v_pk_add_f16 v138, v19, v25
	v_pk_add_f16 v139, v21, v25
	ds_read2_b64 v[22:25], v30 offset0:112 offset1:120
	s_waitcnt lgkmcnt(2)
	v_pk_add_f16 v140, v10, v26
	v_pk_add_f16 v141, v12, v26
	v_pk_add_f16 v142, v18, v26
	v_pk_add_f16 v26, v20, v26
	v_pk_add_f16 v143, v10, v28
	v_pk_add_f16 v144, v12, v28
	v_pk_add_f16 v145, v18, v28
	v_pk_add_f16 v28, v20, v28
	v_pk_add_f16 v146, v11, v27
	v_pk_add_f16 v147, v13, v27
	v_pk_add_f16 v148, v19, v27
	v_pk_add_f16 v27, v21, v27
	v_pk_add_f16 v149, v11, v29
	v_pk_add_f16 v30, v13, v29
	v_pk_add_f16 v150, v19, v29
	v_pk_add_f16 v29, v21, v29
	s_waitcnt lgkmcnt(1)
	v_pk_add_f16 v151, v10, v14
	v_pk_add_f16 v152, v12, v14
	v_pk_add_f16 v153, v18, v14
	v_pk_add_f16 v14, v20, v14
	v_pk_add_f16 v154, v10, v16
	v_pk_add_f16 v155, v12, v16
	v_pk_add_f16 v156, v18, v16
	v_pk_add_f16 v16, v20, v16
	v_pk_add_f16 v157, v11, v15
	v_pk_add_f16 v158, v13, v15
	v_pk_add_f16 v159, v19, v15
	v_pk_add_f16 v15, v21, v15
	v_pk_add_f16 v160, v11, v17
	v_pk_add_f16 v161, v13, v17
	v_pk_add_f16 v162, v19, v17
	v_pk_add_f16 v17, v21, v17
	;; [unrolled: 17-line block ×3, first 2 shown]
	v_pk_min_f16 v25, 0x7c00, v31 op_sel_hi:[0,1]
	v_pk_min_f16 v31, 0x7c00, v32 op_sel_hi:[0,1]
	v_pk_min_f16 v32, 0x7c00, v33 op_sel_hi:[0,1]
	v_pk_min_f16 v33, 0x7c00, v34 op_sel_hi:[0,1]
	v_pk_min_f16 v34, 0x7c00, v39 op_sel_hi:[0,1]
	v_pk_min_f16 v126, v25, v52
	v_pk_min_f16 v25, 0x7c00, v35 op_sel_hi:[0,1]
	v_pk_min_f16 v119, v31, v53
	v_pk_min_f16 v112, v32, v54
	v_pk_min_f16 v31, 0x7c00, v36 op_sel_hi:[0,1]
	v_pk_min_f16 v32, 0x7c00, v37 op_sel_hi:[0,1]
	v_pk_min_f16 v110, v25, v56
	v_pk_min_f16 v25, 0x7c00, v40 op_sel_hi:[0,1]
	v_pk_min_f16 v111, v33, v55
	;; [unrolled: 2-line block ×3, first 2 shown]
	v_pk_min_f16 v108, v32, v58
	v_pk_min_f16 v105, v25, v61
	v_pk_min_f16 v25, 0x7c00, v47 op_sel_hi:[0,1]
	v_pk_min_f16 v31, 0x7c00, v41 op_sel_hi:[0,1]
	;; [unrolled: 1-line block ×3, first 2 shown]
	v_pk_min_f16 v107, v33, v59
	v_pk_min_f16 v33, 0x7c00, v43 op_sel_hi:[0,1]
	v_pk_min_f16 v101, v25, v66
	v_pk_min_f16 v25, 0x7c00, v68 op_sel_hi:[0,1]
	v_pk_min_f16 v104, v31, v62
	v_pk_min_f16 v103, v32, v63
	v_pk_min_f16 v31, 0x7c00, v48 op_sel_hi:[0,1]
	v_pk_min_f16 v32, 0x7c00, v49 op_sel_hi:[0,1]
	v_pk_min_f16 v95, v25, v76
	v_pk_min_f16 v25, 0x7c00, v81 op_sel_hi:[0,1]
	v_pk_min_f16 v106, v34, v60
	v_pk_min_f16 v34, 0x7c00, v44 op_sel_hi:[0,1]
	v_pk_min_f16 v100, v33, v64
	v_pk_min_f16 v33, 0x7c00, v50 op_sel_hi:[0,1]
	v_pk_min_f16 v99, v31, v67
	v_pk_min_f16 v98, v32, v73
	v_pk_min_f16 v31, 0x7c00, v69 op_sel_hi:[0,1]
	v_pk_min_f16 v32, 0x7c00, v70 op_sel_hi:[0,1]
	v_pk_min_f16 v90, v25, v87
	v_pk_min_f16 v25, 0x7c00, v113 op_sel_hi:[0,1]
	v_pk_min_f16 v102, v34, v65
	v_pk_min_f16 v34, 0x7c00, v51 op_sel_hi:[0,1]
	v_pk_min_f16 v97, v33, v74
	v_pk_min_f16 v33, 0x7c00, v71 op_sel_hi:[0,1]
	v_pk_min_f16 v94, v31, v77
	v_pk_min_f16 v93, v32, v78
	v_pk_min_f16 v31, 0x7c00, v82 op_sel_hi:[0,1]
	v_pk_min_f16 v32, 0x7c00, v83 op_sel_hi:[0,1]
	v_pk_min_f16 v83, v25, v120
	v_pk_min_f16 v25, 0x7c00, v125 op_sel_hi:[0,1]
	v_pk_min_f16 v96, v34, v75
	v_pk_min_f16 v34, 0x7c00, v72 op_sel_hi:[0,1]
	v_pk_min_f16 v92, v33, v79
	v_pk_min_f16 v33, 0x7c00, v84 op_sel_hi:[0,1]
	;; [unrolled: 2-line block ×4, first 2 shown]
	v_pk_min_f16 v26, 0x7c00, v26 op_sel_hi:[0,1]
	v_pk_min_f16 v91, v34, v80
	v_pk_min_f16 v34, 0x7c00, v85 op_sel_hi:[0,1]
	v_pk_min_f16 v87, v32, v116
	v_pk_min_f16 v85, v33, v117
	v_pk_min_f16 v32, 0x7c00, v115 op_sel_hi:[0,1]
	v_pk_min_f16 v33, 0x7c00, v123 op_sel_hi:[0,1]
	v_pk_min_f16 v82, v31, v121
	v_pk_min_f16 v31, 0x7c00, v127 op_sel_hi:[0,1]
	v_pk_min_f16 v72, v25, v139
	v_pk_min_f16 v68, v26, v27
	v_pk_min_f16 v25, 0x7c00, v143 op_sel_hi:[0,1]
	v_pk_min_f16 v26, 0x7c00, v144 op_sel_hi:[0,1]
	;; [unrolled: 1-line block ×3, first 2 shown]
	v_pk_min_f16 v84, v34, v118
	v_pk_min_f16 v34, 0x7c00, v124 op_sel_hi:[0,1]
	v_pk_min_f16 v81, v32, v122
	v_pk_min_f16 v80, v33, v132
	v_pk_min_f16 v32, 0x7c00, v128 op_sel_hi:[0,1]
	v_pk_min_f16 v33, 0x7c00, v129 op_sel_hi:[0,1]
	v_pk_min_f16 v77, v31, v135
	v_pk_min_f16 v31, 0x7c00, v140 op_sel_hi:[0,1]
	v_pk_min_f16 v27, 0x7c00, v145 op_sel_hi:[0,1]
	;; [unrolled: 1-line block ×3, first 2 shown]
	v_pk_min_f16 v67, v25, v149
	v_pk_min_f16 v66, v26, v30
	v_pk_min_f16 v25, 0x7c00, v152 op_sel_hi:[0,1]
	v_pk_min_f16 v26, 0x7c00, v153 op_sel_hi:[0,1]
	v_pk_min_f16 v60, v14, v15
	v_pk_min_f16 v14, 0x7c00, v156 op_sel_hi:[0,1]
	v_pk_min_f16 v15, 0x7c00, v16 op_sel_hi:[0,1]
	;; [unrolled: 1-line block ×3, first 2 shown]
	v_pk_min_f16 v79, v34, v133
	v_pk_min_f16 v34, 0x7c00, v130 op_sel_hi:[0,1]
	v_pk_min_f16 v76, v32, v136
	v_pk_min_f16 v74, v33, v137
	v_pk_min_f16 v32, 0x7c00, v141 op_sel_hi:[0,1]
	v_pk_min_f16 v33, 0x7c00, v142 op_sel_hi:[0,1]
	v_pk_min_f16 v71, v31, v146
	v_pk_min_f16 v31, 0x7c00, v151 op_sel_hi:[0,1]
	v_pk_min_f16 v65, v27, v150
	v_pk_min_f16 v64, v28, v29
	v_pk_min_f16 v27, 0x7c00, v154 op_sel_hi:[0,1]
	v_pk_min_f16 v28, 0x7c00, v155 op_sel_hi:[0,1]
	v_pk_min_f16 v62, v25, v158
	v_pk_min_f16 v61, v26, v159
	v_pk_min_f16 v25, 0x7c00, v164 op_sel_hi:[0,1]
	v_pk_min_f16 v26, 0x7c00, v167 op_sel_hi:[0,1]
	v_pk_min_f16 v57, v14, v162
	v_pk_min_f16 v56, v15, v17
	;; [unrolled: 1-line block ×3, first 2 shown]
	v_pk_min_f16 v14, 0x7c00, v22 op_sel_hi:[0,1]
	v_pk_min_f16 v10, 0x7c00, v10 op_sel_hi:[0,1]
	;; [unrolled: 1-line block ×5, first 2 shown]
	v_pk_min_f16 v73, v34, v138
	v_pk_min_f16 v70, v32, v147
	;; [unrolled: 1-line block ×13, first 2 shown]
	ds_write_b16 v46, v6 offset:1024
	ds_write_b16 v46, v7 offset:1536
	;; [unrolled: 1-line block ×4, first 2 shown]
	s_waitcnt lgkmcnt(0)
	s_barrier
	buffer_gl0_inv
	s_cbranch_scc1 .LBB215_28
; %bb.17:
	v_mad_i64_i32 v[5:6], null, s6, v5, 0
	v_mad_i64_i32 v[7:8], null, s6, v4, 0
	;; [unrolled: 1-line block ×4, first 2 shown]
	v_lshlrev_b64 v[4:5], 1, v[5:6]
	v_add_nc_u32_e32 v47, 0x800, v46
	v_lshlrev_b64 v[6:7], 1, v[7:8]
	v_or_b32_e32 v75, 0x800, v86
	v_add_nc_u32_e32 v113, 0x400, v46
	v_add_nc_u32_e32 v114, 0xc00, v46
	v_add_co_u32 v117, vcc_lo, s18, v4
	v_add_co_ci_u32_e64 v118, null, s19, v5, vcc_lo
	v_lshlrev_b64 v[4:5], 1, v[9:10]
	v_lshlrev_b64 v[2:3], 1, v[2:3]
	v_add_co_u32 v120, vcc_lo, s18, v6
	v_add_co_ci_u32_e64 v121, null, s19, v7, vcc_lo
	v_add_co_u32 v122, vcc_lo, s16, v4
	v_add_co_ci_u32_e64 v123, null, s17, v5, vcc_lo
	v_add_co_u32 v124, vcc_lo, s16, v2
	v_lshl_add_u32 v115, v0, 3, 0x400
	v_lshl_add_u32 v116, v1, 3, 0xc00
	v_add_co_ci_u32_e64 v125, null, s17, v3, vcc_lo
	s_add_i32 s6, s14, -8
	s_mov_b32 s10, 0
	s_branch .LBB215_20
.LBB215_18:                             ;   in Loop: Header=BB215_20 Depth=1
	v_add_co_u32 v6, vcc_lo, v122, v45
	v_add_co_ci_u32_e64 v7, null, 0, v123, vcc_lo
	v_add_co_u32 v128, vcc_lo, v120, v45
	v_add_co_ci_u32_e64 v129, null, 0, v121, vcc_lo
	;; [unrolled: 2-line block ×3, first 2 shown]
	flat_load_ushort v6, v[6:7] offset:24
	flat_load_ushort v7, v[128:129] offset:24
	;; [unrolled: 1-line block ×3, first 2 shown]
	s_waitcnt vmcnt(2) lgkmcnt(2)
	v_mul_f16_e32 v128, s15, v6
	s_waitcnt vmcnt(1) lgkmcnt(1)
	v_mul_f16_e32 v129, s15, v7
	;; [unrolled: 2-line block ×3, first 2 shown]
.LBB215_19:                             ;   in Loop: Header=BB215_20 Depth=1
	v_pk_add_f16 v6, v9, v41
	v_pk_max_f16 v7, v126, v126
	v_pk_add_f16 v8, v11, v41
	v_pk_add_f16 v126, v13, v41
	;; [unrolled: 1-line block ×3, first 2 shown]
	v_pk_max_f16 v111, v111, v111
	v_pk_min_f16 v6, v7, v6
	v_pk_max_f16 v7, v112, v112
	v_pk_add_f16 v112, v9, v43
	v_pk_max_f16 v110, v110, v110
	v_pk_max_f16 v119, v119, v119
	v_pk_add_f16 v131, v11, v43
	v_pk_min_f16 v41, v111, v41
	v_pk_add_f16 v111, v13, v43
	v_pk_min_f16 v110, v110, v112
	v_pk_max_f16 v108, v108, v108
	v_pk_add_f16 v43, v15, v43
	v_pk_max_f16 v107, v107, v107
	v_pk_add_f16 v112, v9, v37
	v_pk_max_f16 v106, v106, v106
	v_pk_min_f16 v8, v119, v8
	v_pk_min_f16 v7, v7, v126
	v_pk_add_f16 v119, v11, v37
	v_pk_add_f16 v126, v13, v37
	v_pk_min_f16 v108, v108, v111
	v_pk_min_f16 v43, v107, v43
	;; [unrolled: 1-line block ×3, first 2 shown]
	v_pk_add_f16 v37, v15, v37
	v_pk_max_f16 v103, v103, v103
	v_pk_add_f16 v107, v9, v39
	v_pk_max_f16 v100, v100, v100
	v_pk_add_f16 v111, v11, v39
	v_pk_add_f16 v112, v13, v39
	;; [unrolled: 1-line block ×3, first 2 shown]
	v_pk_max_f16 v99, v99, v99
	v_pk_max_f16 v102, v102, v102
	v_pk_min_f16 v37, v103, v37
	v_pk_min_f16 v100, v100, v107
	v_pk_max_f16 v98, v98, v98
	v_pk_min_f16 v39, v99, v39
	v_pk_add_f16 v99, v9, v33
	v_pk_add_f16 v103, v11, v33
	;; [unrolled: 1-line block ×4, first 2 shown]
	v_pk_max_f16 v95, v95, v95
	v_pk_min_f16 v102, v102, v111
	v_pk_max_f16 v97, v97, v97
	v_pk_max_f16 v96, v96, v96
	v_pk_add_f16 v111, v9, v35
	v_pk_min_f16 v98, v98, v99
	v_pk_min_f16 v33, v95, v33
	v_pk_add_f16 v95, v11, v35
	v_pk_max_f16 v93, v93, v93
	v_pk_add_f16 v99, v13, v35
	v_pk_add_f16 v35, v15, v35
	v_pk_max_f16 v91, v91, v91
	v_pk_min_f16 v97, v97, v103
	v_pk_min_f16 v96, v96, v107
	v_pk_max_f16 v92, v92, v92
	v_pk_add_f16 v103, v9, v29
	v_pk_max_f16 v90, v90, v90
	v_pk_add_f16 v107, v11, v29
	v_pk_min_f16 v93, v93, v95
	v_pk_min_f16 v35, v91, v35
	v_pk_add_f16 v91, v13, v29
	v_pk_max_f16 v87, v87, v87
	v_pk_add_f16 v29, v15, v29
	v_pk_max_f16 v85, v85, v85
	v_pk_add_f16 v95, v9, v31
	v_pk_max_f16 v84, v84, v84
	v_pk_min_f16 v92, v92, v99
	v_pk_min_f16 v90, v90, v103
	v_pk_add_f16 v99, v11, v31
	v_pk_add_f16 v103, v13, v31
	v_pk_min_f16 v87, v87, v91
	v_pk_min_f16 v29, v85, v29
	v_pk_min_f16 v84, v84, v95
	v_pk_add_f16 v31, v15, v31
	v_pk_max_f16 v81, v81, v81
	v_pk_add_f16 v85, v9, v25
	v_pk_max_f16 v80, v80, v80
	v_pk_add_f16 v91, v11, v25
	v_pk_add_f16 v95, v13, v25
	;; [unrolled: 1-line block ×3, first 2 shown]
	v_pk_max_f16 v77, v77, v77
	v_pk_max_f16 v79, v79, v79
	v_pk_min_f16 v31, v81, v31
	v_pk_min_f16 v80, v80, v85
	v_pk_max_f16 v76, v76, v76
	v_pk_min_f16 v25, v77, v25
	v_pk_add_f16 v77, v9, v27
	v_pk_add_f16 v81, v11, v27
	v_pk_add_f16 v85, v13, v27
	v_pk_add_f16 v27, v15, v27
	v_pk_max_f16 v72, v72, v72
	v_pk_min_f16 v79, v79, v91
	v_pk_max_f16 v74, v74, v74
	v_pk_max_f16 v73, v73, v73
	v_pk_add_f16 v91, v9, v21
	v_pk_min_f16 v76, v76, v77
	v_pk_min_f16 v27, v72, v27
	v_pk_add_f16 v72, v11, v21
	v_pk_max_f16 v70, v70, v70
	v_pk_add_f16 v77, v13, v21
	v_pk_add_f16 v21, v15, v21
	v_pk_max_f16 v68, v68, v68
	v_pk_min_f16 v74, v74, v81
	v_pk_min_f16 v73, v73, v85
	v_pk_add_f16 v81, v9, v23
	v_pk_add_f16 v85, v11, v23
	v_pk_min_f16 v70, v70, v72
	v_pk_min_f16 v21, v68, v21
	v_pk_add_f16 v68, v13, v23
	v_pk_max_f16 v65, v65, v65
	v_pk_add_f16 v23, v15, v23
	v_pk_max_f16 v64, v64, v64
	;; [unrolled: 2-line block ×3, first 2 shown]
	v_pk_max_f16 v69, v69, v69
	v_pk_max_f16 v67, v67, v67
	v_pk_min_f16 v65, v65, v68
	v_pk_min_f16 v23, v64, v23
	;; [unrolled: 1-line block ×3, first 2 shown]
	v_pk_add_f16 v64, v9, v4
	v_pk_max_f16 v59, v59, v59
	v_pk_add_f16 v68, v11, v4
	v_pk_add_f16 v72, v13, v4
	;; [unrolled: 1-line block ×3, first 2 shown]
	v_pk_max_f16 v56, v56, v56
	v_pk_min_f16 v69, v69, v77
	v_pk_min_f16 v67, v67, v81
	v_pk_add_f16 v77, v11, v2
	v_pk_add_f16 v81, v13, v2
	;; [unrolled: 1-line block ×3, first 2 shown]
	v_pk_max_f16 v60, v60, v60
	v_pk_min_f16 v59, v59, v64
	v_pk_min_f16 v56, v56, v4
	v_pk_add_f16 v4, v9, v17
	v_pk_max_f16 v55, v55, v55
	v_pk_add_f16 v64, v13, v17
	v_pk_max_f16 v53, v53, v53
	;; [unrolled: 2-line block ×3, first 2 shown]
	v_pk_max_f16 v62, v62, v62
	v_pk_max_f16 v58, v58, v58
	v_pk_min_f16 v2, v60, v2
	v_pk_add_f16 v60, v11, v17
	v_pk_add_f16 v17, v15, v17
	v_pk_min_f16 v55, v55, v4
	v_pk_min_f16 v53, v53, v64
	;; [unrolled: 1-line block ×3, first 2 shown]
	v_pk_add_f16 v4, v11, v19
	v_pk_max_f16 v9, v50, v50
	v_pk_add_f16 v11, v13, v19
	v_pk_add_f16 v15, v15, v19
	;; [unrolled: 1-line block ×3, first 2 shown]
	v_pk_max_f16 v61, v61, v61
	v_pk_min_f16 v62, v62, v77
	v_pk_min_f16 v58, v58, v68
	;; [unrolled: 1-line block ×3, first 2 shown]
	v_pk_add_f16 v4, v12, v42
	v_pk_min_f16 v77, v6, v19
	v_pk_add_f16 v6, v14, v42
	v_pk_max_f16 v66, v66, v66
	v_pk_min_f16 v61, v61, v81
	v_pk_min_f16 v81, v8, v4
	v_pk_add_f16 v4, v16, v42
	v_pk_min_f16 v42, v7, v6
	v_pk_add_f16 v6, v14, v44
	v_pk_max_f16 v83, v83, v83
	v_pk_min_f16 v66, v66, v85
	v_pk_add_f16 v8, v10, v44
	v_pk_add_f16 v9, v12, v44
	v_pk_min_f16 v85, v41, v4
	v_pk_add_f16 v4, v16, v44
	v_pk_min_f16 v44, v108, v6
	v_pk_add_f16 v6, v10, v38
	v_pk_max_f16 v109, v109, v109
	v_pk_min_f16 v83, v83, v99
	v_pk_min_f16 v43, v43, v4
	v_pk_add_f16 v4, v16, v38
	v_pk_min_f16 v99, v106, v6
	v_pk_add_f16 v6, v10, v40
	v_pk_min_f16 v109, v109, v131
	v_pk_max_f16 v105, v105, v105
	v_pk_min_f16 v131, v37, v4
	v_pk_add_f16 v4, v12, v40
	v_pk_min_f16 v100, v100, v6
	v_pk_add_f16 v6, v10, v34
	v_pk_max_f16 v104, v104, v104
	v_pk_max_f16 v71, v71, v71
	v_pk_min_f16 v102, v102, v4
	v_pk_add_f16 v4, v12, v34
	v_pk_min_f16 v98, v98, v6
	v_pk_add_f16 v6, v14, v34
	v_pk_min_f16 v105, v105, v119
	v_pk_min_f16 v104, v104, v126
	v_pk_max_f16 v101, v101, v101
	v_pk_max_f16 v82, v82, v82
	v_pk_min_f16 v71, v71, v91
	v_pk_min_f16 v91, v110, v8
	v_pk_add_f16 v7, v12, v38
	v_pk_add_f16 v8, v14, v38
	v_pk_min_f16 v97, v97, v4
	v_pk_add_f16 v4, v12, v36
	v_pk_min_f16 v96, v96, v6
	;; [unrolled: 2-line block ×3, first 2 shown]
	v_pk_max_f16 v94, v94, v94
	v_pk_min_f16 v82, v82, v103
	v_pk_min_f16 v103, v105, v7
	;; [unrolled: 1-line block ×3, first 2 shown]
	v_pk_add_f16 v7, v14, v40
	v_pk_add_f16 v8, v16, v40
	v_pk_min_f16 v93, v93, v4
	v_pk_add_f16 v4, v16, v36
	v_pk_min_f16 v92, v92, v6
	;; [unrolled: 2-line block ×3, first 2 shown]
	v_pk_max_f16 v89, v89, v89
	v_pk_min_f16 v101, v101, v7
	v_pk_min_f16 v132, v39, v8
	v_pk_add_f16 v7, v16, v34
	v_pk_add_f16 v8, v10, v36
	v_pk_min_f16 v136, v35, v4
	v_pk_add_f16 v4, v16, v30
	v_pk_min_f16 v87, v87, v6
	;; [unrolled: 2-line block ×3, first 2 shown]
	v_pk_min_f16 v135, v33, v7
	v_pk_min_f16 v94, v94, v8
	v_pk_add_f16 v7, v10, v30
	v_pk_add_f16 v8, v12, v30
	v_pk_min_f16 v137, v29, v4
	v_pk_add_f16 v4, v16, v32
	v_pk_min_f16 v84, v84, v6
	v_pk_add_f16 v6, v10, v26
	v_pk_max_f16 v78, v78, v78
	v_pk_min_f16 v90, v90, v7
	v_pk_min_f16 v89, v89, v8
	v_pk_add_f16 v7, v12, v32
	v_pk_add_f16 v8, v14, v32
	v_pk_min_f16 v138, v31, v4
	v_pk_add_f16 v4, v12, v26
	v_pk_min_f16 v80, v80, v6
	;; [unrolled: 2-line block ×3, first 2 shown]
	v_pk_min_f16 v83, v83, v7
	v_pk_min_f16 v82, v82, v8
	v_pk_add_f16 v7, v14, v26
	v_pk_add_f16 v8, v16, v26
	v_pk_min_f16 v79, v79, v4
	v_pk_add_f16 v4, v12, v28
	v_pk_min_f16 v39, v76, v6
	;; [unrolled: 2-line block ×3, first 2 shown]
	v_pk_min_f16 v41, v25, v8
	v_pk_add_f16 v7, v16, v28
	v_pk_add_f16 v8, v10, v22
	v_pk_min_f16 v40, v74, v4
	v_pk_add_f16 v4, v12, v22
	v_pk_min_f16 v38, v73, v6
	;; [unrolled: 2-line block ×3, first 2 shown]
	v_pk_min_f16 v35, v71, v8
	v_pk_min_f16 v34, v70, v4
	v_pk_add_f16 v4, v16, v22
	v_pk_add_f16 v7, v10, v24
	v_pk_add_f16 v8, v12, v24
	v_pk_min_f16 v36, v69, v6
	v_pk_add_f16 v6, v14, v24
	v_pk_max_f16 v57, v57, v57
	v_pk_max_f16 v54, v54, v54
	;; [unrolled: 1-line block ×3, first 2 shown]
	v_pk_min_f16 v33, v21, v4
	v_pk_min_f16 v32, v67, v7
	v_pk_min_f16 v31, v66, v8
	v_pk_add_f16 v4, v16, v24
	v_pk_min_f16 v30, v65, v6
	v_pk_add_f16 v6, v10, v3
	v_pk_add_f16 v7, v12, v3
	;; [unrolled: 1-line block ×4, first 2 shown]
	v_pk_min_f16 v57, v57, v72
	v_pk_min_f16 v54, v54, v60
	;; [unrolled: 1-line block ×3, first 2 shown]
	v_pk_max_f16 v17, v48, v48
	v_pk_min_f16 v29, v23, v4
	v_pk_add_f16 v4, v10, v5
	v_pk_min_f16 v21, v2, v3
	v_pk_add_f16 v2, v12, v5
	v_pk_add_f16 v3, v14, v5
	v_pk_max_f16 v13, v49, v49
	v_pk_min_f16 v72, v17, v15
	v_pk_min_f16 v28, v63, v6
	v_pk_add_f16 v6, v16, v5
	v_pk_min_f16 v22, v59, v4
	v_pk_min_f16 v19, v58, v2
	;; [unrolled: 1-line block ×3, first 2 shown]
	ds_read2_b64 v[2:5], v88 offset1:32
	ds_read2_b64 v[48:51], v75 offset1:8
	v_pk_min_f16 v11, v13, v11
	v_pk_min_f16 v95, v109, v9
	;; [unrolled: 1-line block ×4, first 2 shown]
	v_pk_add_f16 v13, v10, v18
	v_pk_min_f16 v26, v56, v6
	ds_read2_b64 v[6:9], v88 offset0:64 offset1:96
	v_pk_add_f16 v17, v12, v18
	v_pk_add_f16 v52, v14, v18
	v_pk_min_f16 v24, v55, v13
	v_pk_add_f16 v13, v16, v18
	v_pk_add_f16 v10, v10, v20
	v_pk_add_f16 v18, v14, v20
	v_pk_max_f16 v81, v81, v81
	v_pk_min_f16 v23, v54, v17
	v_pk_min_f16 v14, v60, v13
	;; [unrolled: 1-line block ×5, first 2 shown]
	s_waitcnt lgkmcnt(1)
	v_pk_add_f16 v18, v4, v48
	ds_read2_b64 v[52:55], v75 offset0:16 offset1:24
	v_pk_add_f16 v16, v16, v20
	v_pk_add_f16 v106, v5, v49
	;; [unrolled: 1-line block ×3, first 2 shown]
	v_pk_min_f16 v18, v81, v18
	v_pk_max_f16 v42, v42, v42
	v_pk_min_f16 v11, v72, v16
	v_pk_add_f16 v16, v2, v48
	s_waitcnt lgkmcnt(1)
	v_pk_add_f16 v20, v6, v48
	v_pk_add_f16 v48, v8, v48
	v_pk_min_f16 v119, v18, v106
	v_pk_max_f16 v18, v85, v85
	v_pk_add_f16 v69, v4, v50
	v_pk_add_f16 v107, v7, v49
	v_pk_min_f16 v20, v42, v20
	v_pk_min_f16 v12, v68, v12
	;; [unrolled: 1-line block ×3, first 2 shown]
	v_pk_max_f16 v48, v95, v95
	v_pk_add_f16 v68, v2, v50
	v_pk_add_f16 v70, v6, v50
	;; [unrolled: 1-line block ×4, first 2 shown]
	v_pk_min_f16 v112, v20, v107
	v_pk_max_f16 v20, v91, v91
	v_pk_min_f16 v48, v48, v69
	v_pk_max_f16 v44, v44, v44
	v_pk_max_f16 v43, v43, v43
	s_waitcnt lgkmcnt(0)
	v_pk_add_f16 v71, v2, v52
	v_pk_add_f16 v108, v3, v51
	v_pk_add_f16 v139, v7, v51
	v_pk_add_f16 v51, v9, v51
	v_pk_min_f16 v20, v20, v68
	v_pk_min_f16 v109, v48, v109
	v_pk_max_f16 v48, v99, v99
	v_pk_min_f16 v44, v44, v70
	v_pk_min_f16 v43, v43, v50
	ds_read2_b64 v[56:59], v75 offset0:32 offset1:40
	v_pk_add_f16 v72, v4, v52
	v_pk_add_f16 v73, v6, v52
	;; [unrolled: 1-line block ×5, first 2 shown]
	v_pk_min_f16 v110, v20, v108
	v_pk_add_f16 v50, v3, v53
	v_pk_min_f16 v48, v48, v71
	v_pk_min_f16 v108, v44, v139
	;; [unrolled: 1-line block ×3, first 2 shown]
	v_pk_max_f16 v43, v104, v104
	v_pk_max_f16 v44, v131, v131
	;; [unrolled: 1-line block ×3, first 2 shown]
	v_pk_min_f16 v111, v18, v49
	v_pk_max_f16 v49, v103, v103
	v_pk_min_f16 v106, v48, v50
	v_pk_add_f16 v48, v7, v53
	v_pk_min_f16 v43, v43, v73
	v_pk_add_f16 v50, v9, v53
	;; [unrolled: 2-line block ×3, first 2 shown]
	v_pk_add_f16 v133, v6, v54
	v_pk_min_f16 v16, v77, v16
	v_pk_add_f16 v69, v5, v53
	v_pk_min_f16 v49, v49, v72
	v_pk_min_f16 v104, v43, v48
	v_pk_max_f16 v43, v102, v102
	v_pk_min_f16 v103, v44, v50
	v_pk_max_f16 v44, v101, v101
	ds_read2_b64 v[60:63], v75 offset0:48 offset1:56
	ds_read2_b64 v[64:67], v75 offset0:64 offset1:72
	v_pk_add_f16 v74, v2, v54
	v_pk_add_f16 v54, v8, v54
	v_pk_min_f16 v126, v16, v105
	v_pk_min_f16 v105, v49, v69
	v_pk_add_f16 v52, v5, v55
	v_pk_min_f16 v43, v43, v76
	v_pk_add_f16 v69, v7, v55
	v_pk_max_f16 v53, v132, v132
	v_pk_min_f16 v44, v44, v133
	s_waitcnt lgkmcnt(2)
	v_pk_add_f16 v134, v2, v56
	v_pk_add_f16 v140, v4, v56
	v_pk_add_f16 v141, v6, v56
	v_pk_max_f16 v49, v100, v100
	v_pk_add_f16 v51, v3, v55
	v_pk_add_f16 v70, v9, v55
	v_pk_max_f16 v55, v98, v98
	v_pk_min_f16 v102, v43, v52
	v_pk_min_f16 v43, v53, v54
	v_pk_max_f16 v95, v97, v97
	v_pk_min_f16 v101, v44, v69
	v_pk_max_f16 v44, v96, v96
	v_pk_min_f16 v49, v49, v74
	v_pk_add_f16 v71, v3, v57
	v_pk_add_f16 v72, v5, v57
	;; [unrolled: 1-line block ×3, first 2 shown]
	v_pk_min_f16 v97, v55, v134
	v_pk_min_f16 v99, v43, v70
	;; [unrolled: 1-line block ×4, first 2 shown]
	v_pk_add_f16 v56, v8, v56
	v_pk_add_f16 v77, v2, v58
	v_pk_min_f16 v100, v49, v51
	ds_read2_b64 v[48:51], v75 offset0:80 offset1:88
	v_pk_min_f16 v98, v97, v71
	v_pk_min_f16 v97, v43, v72
	v_pk_max_f16 v43, v135, v135
	v_pk_min_f16 v96, v44, v73
	v_pk_max_f16 v44, v94, v94
	v_pk_add_f16 v81, v4, v58
	v_pk_add_f16 v57, v9, v57
	v_pk_add_f16 v74, v3, v59
	s_waitcnt lgkmcnt(1)
	v_pk_add_f16 v69, v2, v64
	v_pk_add_f16 v70, v4, v64
	;; [unrolled: 1-line block ×3, first 2 shown]
	v_pk_min_f16 v43, v43, v56
	v_pk_add_f16 v56, v8, v64
	v_pk_max_f16 v64, v93, v93
	v_pk_min_f16 v44, v44, v77
	v_pk_add_f16 v16, v6, v58
	v_pk_add_f16 v76, v5, v59
	v_pk_min_f16 v95, v43, v57
	v_pk_min_f16 v57, v64, v81
	;; [unrolled: 1-line block ×3, first 2 shown]
	v_pk_max_f16 v44, v92, v92
	v_pk_add_f16 v42, v8, v58
	v_pk_add_f16 v58, v2, v60
	;; [unrolled: 1-line block ×3, first 2 shown]
	v_pk_min_f16 v93, v57, v76
	v_pk_max_f16 v57, v136, v136
	v_pk_min_f16 v16, v44, v16
	v_pk_max_f16 v73, v90, v90
	v_pk_add_f16 v85, v4, v60
	v_pk_add_f16 v142, v6, v60
	;; [unrolled: 1-line block ×4, first 2 shown]
	s_waitcnt lgkmcnt(0)
	v_pk_add_f16 v135, v2, v48
	v_pk_add_f16 v44, v4, v48
	v_pk_min_f16 v42, v57, v42
	v_pk_add_f16 v57, v6, v48
	v_pk_min_f16 v92, v16, v91
	;; [unrolled: 2-line block ×3, first 2 shown]
	v_pk_max_f16 v73, v137, v137
	v_pk_add_f16 v139, v3, v61
	v_pk_add_f16 v143, v5, v61
	;; [unrolled: 1-line block ×4, first 2 shown]
	v_pk_min_f16 v91, v42, v59
	v_pk_max_f16 v42, v89, v89
	v_pk_min_f16 v60, v73, v60
	v_pk_add_f16 v20, v6, v62
	v_pk_add_f16 v18, v2, v62
	;; [unrolled: 1-line block ×3, first 2 shown]
	v_pk_min_f16 v42, v42, v85
	v_pk_min_f16 v85, v60, v61
	v_pk_max_f16 v61, v82, v82
	v_pk_add_f16 v62, v8, v62
	v_pk_add_f16 v43, v4, v66
	v_pk_max_f16 v60, v83, v83
	v_pk_max_f16 v40, v40, v40
	v_pk_min_f16 v20, v61, v20
	v_pk_max_f16 v61, v138, v138
	v_pk_add_f16 v146, v5, v63
	v_pk_min_f16 v60, v60, v68
	v_pk_min_f16 v40, v40, v43
	v_pk_add_f16 v43, v5, v67
	v_pk_min_f16 v61, v61, v62
	v_pk_max_f16 v62, v79, v79
	v_pk_max_f16 v34, v34, v34
	v_pk_add_f16 v145, v3, v63
	v_pk_add_f16 v147, v7, v63
	;; [unrolled: 1-line block ×3, first 2 shown]
	ds_read2_b64 v[52:55], v75 offset0:96 offset1:104
	v_pk_min_f16 v83, v60, v146
	v_pk_max_f16 v60, v80, v80
	v_pk_max_f16 v68, v78, v78
	v_pk_min_f16 v62, v62, v70
	v_pk_add_f16 v70, v5, v65
	v_pk_min_f16 v74, v40, v43
	v_pk_add_f16 v40, v5, v49
	v_pk_min_f16 v34, v34, v44
	v_pk_max_f16 v33, v33, v33
	v_pk_add_f16 v72, v2, v66
	v_pk_min_f16 v60, v60, v69
	v_pk_add_f16 v69, v3, v65
	v_pk_min_f16 v68, v68, v71
	v_pk_min_f16 v81, v61, v63
	v_pk_add_f16 v61, v7, v65
	v_pk_max_f16 v41, v41, v41
	v_pk_min_f16 v79, v62, v70
	v_pk_max_f16 v39, v39, v39
	v_pk_min_f16 v70, v34, v40
	v_pk_add_f16 v34, v9, v49
	v_pk_min_f16 v16, v33, v16
	v_pk_add_f16 v58, v2, v50
	v_pk_add_f16 v59, v4, v50
	v_pk_min_f16 v90, v48, v139
	v_pk_max_f16 v48, v87, v87
	v_pk_add_f16 v136, v6, v50
	v_pk_add_f16 v50, v8, v50
	v_pk_min_f16 v80, v60, v69
	v_pk_min_f16 v78, v68, v61
	;; [unrolled: 1-line block ×3, first 2 shown]
	v_pk_add_f16 v56, v9, v65
	v_pk_min_f16 v39, v39, v72
	v_pk_add_f16 v60, v3, v67
	v_pk_max_f16 v35, v35, v35
	v_pk_max_f16 v36, v36, v36
	v_pk_min_f16 v68, v16, v34
	v_pk_max_f16 v16, v29, v29
	ds_read2_b64 v[131:134], v75 offset0:112 offset1:120
	v_pk_add_f16 v64, v6, v66
	v_pk_min_f16 v48, v48, v142
	v_pk_max_f16 v38, v38, v38
	v_pk_min_f16 v77, v41, v56
	v_pk_min_f16 v76, v39, v60
	v_pk_add_f16 v39, v3, v49
	v_pk_min_f16 v35, v35, v135
	v_pk_add_f16 v41, v7, v49
	v_pk_min_f16 v36, v36, v57
	v_pk_max_f16 v31, v31, v31
	v_pk_max_f16 v30, v30, v30
	v_pk_add_f16 v29, v9, v51
	v_pk_min_f16 v16, v16, v50
	v_pk_add_f16 v66, v8, v66
	s_waitcnt lgkmcnt(1)
	v_pk_add_f16 v137, v2, v52
	v_pk_min_f16 v89, v42, v143
	v_pk_add_f16 v42, v4, v52
	v_pk_add_f16 v139, v6, v52
	v_pk_min_f16 v87, v48, v144
	v_pk_add_f16 v48, v8, v52
	v_pk_max_f16 v52, v84, v84
	v_pk_min_f16 v38, v38, v64
	v_pk_max_f16 v37, v37, v37
	v_pk_min_f16 v71, v35, v39
	v_pk_min_f16 v69, v36, v41
	v_pk_max_f16 v32, v32, v32
	v_pk_add_f16 v35, v5, v51
	v_pk_min_f16 v31, v31, v59
	v_pk_add_f16 v36, v7, v51
	v_pk_min_f16 v30, v30, v136
	v_pk_max_f16 v28, v28, v28
	v_pk_max_f16 v27, v27, v27
	v_pk_min_f16 v64, v16, v29
	v_pk_max_f16 v16, v21, v21
	v_pk_min_f16 v18, v52, v18
	v_pk_add_f16 v52, v4, v54
	v_pk_add_f16 v141, v6, v54
	;; [unrolled: 1-line block ×3, first 2 shown]
	v_pk_min_f16 v37, v37, v66
	v_pk_add_f16 v33, v3, v51
	v_pk_min_f16 v32, v32, v58
	v_pk_min_f16 v66, v31, v35
	v_pk_min_f16 v65, v30, v36
	v_pk_add_f16 v30, v3, v53
	v_pk_max_f16 v25, v25, v25
	v_pk_min_f16 v28, v28, v137
	v_pk_add_f16 v31, v5, v53
	v_pk_min_f16 v27, v27, v42
	v_pk_add_f16 v21, v9, v53
	v_pk_min_f16 v16, v16, v48
	v_pk_max_f16 v19, v19, v19
	v_pk_max_f16 v15, v15, v15
	v_pk_add_f16 v140, v2, v54
	v_pk_add_f16 v54, v8, v54
	v_pk_min_f16 v73, v38, v61
	v_pk_add_f16 v38, v9, v67
	v_pk_min_f16 v67, v32, v33
	;; [unrolled: 2-line block ×3, first 2 shown]
	v_pk_min_f16 v63, v28, v30
	v_pk_min_f16 v62, v27, v31
	v_pk_max_f16 v22, v22, v22
	v_pk_add_f16 v27, v5, v55
	v_pk_min_f16 v19, v19, v52
	v_pk_add_f16 v28, v7, v55
	v_pk_min_f16 v15, v15, v141
	v_pk_min_f16 v60, v16, v21
	v_pk_max_f16 v16, v26, v26
	v_pk_min_f16 v84, v18, v145
	s_waitcnt lgkmcnt(0)
	v_pk_add_f16 v18, v2, v131
	v_pk_add_f16 v138, v4, v131
	v_pk_min_f16 v82, v20, v147
	v_pk_add_f16 v20, v6, v131
	v_pk_add_f16 v131, v8, v131
	;; [unrolled: 1-line block ×6, first 2 shown]
	v_pk_min_f16 v61, v25, v32
	v_pk_add_f16 v25, v3, v55
	v_pk_min_f16 v22, v22, v140
	v_pk_min_f16 v58, v19, v27
	;; [unrolled: 1-line block ×3, first 2 shown]
	v_pk_add_f16 v15, v9, v55
	v_pk_max_f16 v19, v24, v24
	v_pk_min_f16 v16, v16, v54
	v_pk_max_f16 v21, v23, v23
	v_pk_max_f16 v17, v17, v17
	;; [unrolled: 1-line block ×7, first 2 shown]
	v_add_co_u32 v117, vcc_lo, v117, 16
	v_add_co_ci_u32_e64 v118, null, 0, v118, vcc_lo
	v_add_co_u32 v120, vcc_lo, v120, 16
	v_pk_min_f16 v59, v22, v25
	v_pk_add_f16 v22, v3, v132
	v_pk_min_f16 v18, v19, v18
	v_pk_add_f16 v19, v5, v132
	;; [unrolled: 2-line block ×3, first 2 shown]
	v_pk_min_f16 v17, v17, v20
	v_pk_min_f16 v56, v16, v15
	v_pk_add_f16 v15, v9, v132
	v_pk_min_f16 v14, v14, v131
	v_pk_add_f16 v3, v3, v134
	;; [unrolled: 2-line block ×5, first 2 shown]
	v_pk_min_f16 v8, v11, v8
	v_add_co_ci_u32_e64 v121, null, 0, v121, vcc_lo
	v_add_co_u32 v122, vcc_lo, v122, 16
	v_add_co_ci_u32_e64 v123, null, 0, v123, vcc_lo
	v_add_co_u32 v124, vcc_lo, v124, 16
	v_pk_min_f16 v72, v37, v38
	v_pk_min_f16 v55, v18, v22
	;; [unrolled: 1-line block ×9, first 2 shown]
	v_add_co_ci_u32_e64 v125, null, 0, v125, vcc_lo
	s_add_i32 s10, s10, 8
	ds_write_b16 v113, v127
	ds_write_b16 v113, v128 offset:512
	ds_write_b16 v114, v129
	ds_write_b16 v114, v130 offset:512
	s_cmp_ge_i32 s10, s6
	s_waitcnt lgkmcnt(0)
	s_barrier
	buffer_gl0_inv
	s_cbranch_scc1 .LBB215_28
.LBB215_20:                             ; =>This Inner Loop Header: Depth=1
	v_mov_b32_e32 v6, 0
	s_and_b32 vcc_lo, exec_lo, s1
	s_cbranch_vccnz .LBB215_22
; %bb.21:                               ;   in Loop: Header=BB215_20 Depth=1
	v_add_co_u32 v2, vcc_lo, v124, v45
	v_add_co_ci_u32_e64 v3, null, 0, v125, vcc_lo
	flat_load_ushort v2, v[2:3] offset:16
	s_waitcnt vmcnt(0) lgkmcnt(0)
	v_mul_f16_e32 v6, s15, v2
.LBB215_22:                             ;   in Loop: Header=BB215_20 Depth=1
	v_mov_b32_e32 v127, 0
	v_mov_b32_e32 v7, 0
	;; [unrolled: 1-line block ×4, first 2 shown]
	s_and_b32 vcc_lo, exec_lo, s1
	s_cbranch_vccnz .LBB215_24
; %bb.23:                               ;   in Loop: Header=BB215_20 Depth=1
	v_add_co_u32 v2, vcc_lo, v122, v45
	v_add_co_ci_u32_e64 v3, null, 0, v123, vcc_lo
	v_add_co_u32 v4, vcc_lo, v120, v45
	v_add_co_ci_u32_e64 v5, null, 0, v121, vcc_lo
	v_add_co_u32 v7, vcc_lo, v117, v45
	v_add_co_ci_u32_e64 v8, null, 0, v118, vcc_lo
	flat_load_ushort v2, v[2:3] offset:16
	flat_load_ushort v3, v[4:5] offset:16
	;; [unrolled: 1-line block ×3, first 2 shown]
	s_waitcnt vmcnt(2) lgkmcnt(2)
	v_mul_f16_e32 v7, s15, v2
	s_waitcnt vmcnt(1) lgkmcnt(1)
	v_mul_f16_e32 v8, s15, v3
	;; [unrolled: 2-line block ×3, first 2 shown]
.LBB215_24:                             ;   in Loop: Header=BB215_20 Depth=1
	ds_read2_b64 v[9:12], v115 offset1:32
	ds_read2_b64 v[13:16], v115 offset0:64 offset1:96
	ds_read2_b64 v[41:44], v116 offset1:8
	ds_read2_b64 v[37:40], v116 offset0:16 offset1:24
	ds_read2_b64 v[33:36], v116 offset0:32 offset1:40
	;; [unrolled: 1-line block ×7, first 2 shown]
	s_and_b32 vcc_lo, exec_lo, s1
	ds_write_b16 v46, v6
	ds_write_b16 v46, v7 offset:512
	ds_write_b16 v47, v8
	ds_write_b16 v47, v128 offset:512
	s_waitcnt lgkmcnt(0)
	s_barrier
	buffer_gl0_inv
	s_cbranch_vccnz .LBB215_26
; %bb.25:                               ;   in Loop: Header=BB215_20 Depth=1
	v_add_co_u32 v6, vcc_lo, v124, v45
	v_add_co_ci_u32_e64 v7, null, 0, v125, vcc_lo
	flat_load_ushort v6, v[6:7] offset:24
	s_waitcnt vmcnt(0) lgkmcnt(0)
	v_mul_f16_e32 v127, s15, v6
.LBB215_26:                             ;   in Loop: Header=BB215_20 Depth=1
	s_and_b32 vcc_lo, exec_lo, s1
	s_cbranch_vccz .LBB215_18
; %bb.27:                               ;   in Loop: Header=BB215_20 Depth=1
	v_mov_b32_e32 v128, 0
	v_mov_b32_e32 v129, 0
	;; [unrolled: 1-line block ×3, first 2 shown]
	s_branch .LBB215_19
.LBB215_28:
	s_load_dword s6, s[4:5], 0x50
	v_add_nc_u32_e32 v75, s9, v1
	ds_read_b64 v[38:39], v88 offset:1024
	ds_read_b64 v[46:47], v86 offset:3072
	v_add_nc_u32_e32 v44, s8, v0
	v_cmp_neq_f16_e64 s10, s7, 0
	v_mov_b32_e32 v40, 0
	v_mov_b32_e32 v41, 0
	v_ashrrev_i32_e32 v45, 31, v44
	s_and_b32 vcc_lo, exec_lo, s10
	v_lshlrev_b64 v[36:37], 1, v[44:45]
	s_waitcnt lgkmcnt(0)
	v_mad_i64_i32 v[1:2], null, v75, s6, 0
	v_lshlrev_b64 v[0:1], 1, v[1:2]
	v_add_co_u32 v113, s1, s12, v0
	v_add_co_ci_u32_e64 v114, null, s13, v1, s1
	s_cbranch_vccz .LBB215_30
; %bb.29:
	v_add_co_u32 v0, vcc_lo, v113, v36
	v_add_co_ci_u32_e64 v1, null, v114, v37, vcc_lo
	flat_load_ushort v0, v[0:1]
	s_waitcnt vmcnt(0) lgkmcnt(0)
	v_mul_f16_e32 v0, s7, v0
	v_cvt_f32_f16_e32 v41, v0
.LBB215_30:
	s_load_dword s8, s[4:5], 0x68
	v_pk_add_f16 v5, v38, v46
	v_pk_add_f16 v6, v39, v47
	s_load_dwordx2 s[4:5], s[4:5], 0x70
	v_max_f16_e32 v7, v126, v126
	v_lshrrev_b32_e32 v8, 16, v126
	v_lshrrev_b32_e32 v9, 16, v5
	;; [unrolled: 1-line block ×3, first 2 shown]
	v_add_nc_u32_e32 v4, 0x800, v86
	v_min_f16_e32 v5, v7, v5
	ds_read2_b64 v[0:3], v88 offset0:160 offset1:192
	ds_read_b64 v[32:33], v88 offset:1792
	v_add_nc_u32_e32 v115, 32, v44
	v_min3_f16 v7, v8, v9, v10
	ds_read2_b64 v[28:31], v4 offset0:136 offset1:144
	ds_read2_b64 v[24:27], v4 offset0:152 offset1:160
	;; [unrolled: 1-line block ×6, first 2 shown]
	v_ashrrev_i32_e32 v116, 31, v115
	v_min3_f16 v45, v5, v6, v7
	ds_read2_b64 v[4:7], v4 offset0:232 offset1:240
	ds_read_b64 v[34:35], v86 offset:4032
	v_max_f32_e32 v86, v41, v41
	s_waitcnt lgkmcnt(0)
	v_mad_i64_i32 v[42:43], null, v75, s8, 0
	v_cvt_f32_f16_e32 v45, v45
	s_lshl_b64 s[4:5], s[4:5], 1
	s_add_u32 s2, s2, s4
	s_addc_u32 s3, s3, s5
	v_lshlrev_b64 v[41:42], 1, v[42:43]
	v_min_f32_e32 v43, v86, v45
	v_cndmask_b32_e64 v45, 0, 1, s10
	v_add_co_u32 v86, vcc_lo, s2, v41
	v_add_co_ci_u32_e64 v88, null, s3, v42, vcc_lo
	v_cvt_f16_f32_e32 v41, v43
	v_add_co_u32 v117, vcc_lo, v86, v36
	v_lshlrev_b64 v[42:43], 1, v[115:116]
	v_cmp_ne_u32_e64 s1, 1, v45
	v_add_co_ci_u32_e64 v118, null, v88, v37, vcc_lo
	s_andn2_b32 vcc_lo, exec_lo, s10
	flat_store_short v[117:118], v41
	s_cbranch_vccnz .LBB215_32
; %bb.31:
	v_add_co_u32 v40, vcc_lo, v113, v42
	v_add_co_ci_u32_e64 v41, null, v114, v43, vcc_lo
	flat_load_ushort v40, v[40:41]
	s_waitcnt vmcnt(0) lgkmcnt(0)
	v_mul_f16_e32 v40, s7, v40
	v_cvt_f32_f16_e32 v40, v40
.LBB215_32:
	v_pk_add_f16 v41, v0, v46
	v_pk_add_f16 v45, v1, v47
	v_max_f16_e32 v115, v119, v119
	v_lshrrev_b32_e32 v116, 16, v119
	v_max_f32_e32 v40, v40, v40
	v_lshrrev_b32_e32 v117, 16, v41
	v_lshrrev_b32_e32 v118, 16, v45
	v_min_f16_e32 v41, v115, v41
	v_min3_f16 v115, v116, v117, v118
	v_add_nc_u32_e32 v116, 64, v44
	v_add_co_u32 v118, vcc_lo, v86, v42
	v_add_co_ci_u32_e64 v119, null, v88, v43, vcc_lo
	v_min3_f16 v41, v41, v45, v115
	v_ashrrev_i32_e32 v117, 31, v116
	v_mov_b32_e32 v115, 0
	v_mov_b32_e32 v45, 0
	s_and_b32 vcc_lo, exec_lo, s1
	v_cvt_f32_f16_e32 v41, v41
	v_min_f32_e32 v40, v40, v41
	v_cvt_f16_f32_e32 v120, v40
	v_lshlrev_b64 v[40:41], 1, v[116:117]
	flat_store_short v[118:119], v120
	s_cbranch_vccnz .LBB215_34
; %bb.33:
	v_add_co_u32 v116, vcc_lo, v113, v40
	v_add_co_ci_u32_e64 v117, null, v114, v41, vcc_lo
	flat_load_ushort v45, v[116:117]
	s_waitcnt vmcnt(0) lgkmcnt(0)
	v_mul_f16_e32 v45, s7, v45
	v_cvt_f32_f16_e32 v45, v45
.LBB215_34:
	v_pk_add_f16 v116, v2, v46
	v_pk_add_f16 v117, v3, v47
	v_max_f16_e32 v118, v112, v112
	v_lshrrev_b32_e32 v112, 16, v112
	v_add_nc_u32_e32 v44, 0x60, v44
	v_lshrrev_b32_e32 v119, 16, v116
	v_lshrrev_b32_e32 v120, 16, v117
	v_min_f16_e32 v116, v118, v116
	v_min3_f16 v112, v112, v119, v120
	v_min3_f16 v112, v116, v117, v112
	v_max_f32_e32 v116, v45, v45
	v_ashrrev_i32_e32 v45, 31, v44
	v_cvt_f32_f16_e32 v112, v112
	v_lshlrev_b64 v[44:45], 1, v[44:45]
	v_min_f32_e32 v112, v116, v112
	v_add_co_u32 v116, vcc_lo, v86, v40
	v_add_co_ci_u32_e64 v117, null, v88, v41, vcc_lo
	v_cvt_f16_f32_e32 v112, v112
	s_and_b32 vcc_lo, exec_lo, s1
	flat_store_short v[116:117], v112
	s_cbranch_vccnz .LBB215_36
; %bb.35:
	v_add_co_u32 v112, vcc_lo, v113, v44
	v_add_co_ci_u32_e64 v113, null, v114, v45, vcc_lo
	flat_load_ushort v112, v[112:113]
	s_waitcnt vmcnt(0) lgkmcnt(0)
	v_mul_f16_e32 v112, s7, v112
	v_cvt_f32_f16_e32 v115, v112
.LBB215_36:
	v_pk_add_f16 v46, v32, v46
	v_pk_add_f16 v113, v33, v47
	v_max_f16_e32 v47, v111, v111
	v_lshrrev_b32_e32 v111, 16, v111
	v_add_nc_u32_e32 v112, 8, v75
	v_lshrrev_b32_e32 v114, 16, v46
	v_lshrrev_b32_e32 v116, 16, v113
	v_min_f16_e32 v117, v47, v46
	v_max_f32_e32 v115, v115, v115
	v_mad_i64_i32 v[46:47], null, v112, s6, 0
	v_min3_f16 v111, v111, v114, v116
	v_min3_f16 v111, v117, v113, v111
	v_lshlrev_b64 v[46:47], 1, v[46:47]
	v_add_co_u32 v113, vcc_lo, v86, v44
	v_add_co_ci_u32_e64 v114, null, v88, v45, vcc_lo
	v_cvt_f32_f16_e32 v111, v111
	v_add_co_u32 v46, vcc_lo, s12, v46
	v_add_co_ci_u32_e64 v47, null, s13, v47, vcc_lo
	v_min_f32_e32 v86, v115, v111
	v_mov_b32_e32 v111, 0
	s_and_b32 vcc_lo, exec_lo, s1
	v_cvt_f16_f32_e32 v88, v86
	v_mov_b32_e32 v86, 0
	flat_store_short v[113:114], v88
	s_cbranch_vccnz .LBB215_38
; %bb.37:
	v_add_co_u32 v113, vcc_lo, v46, v36
	v_add_co_ci_u32_e64 v114, null, v47, v37, vcc_lo
	flat_load_ushort v86, v[113:114]
	s_waitcnt vmcnt(0) lgkmcnt(0)
	v_mul_f16_e32 v86, s7, v86
	v_cvt_f32_f16_e32 v86, v86
.LBB215_38:
	v_pk_add_f16 v88, v38, v28
	v_pk_add_f16 v114, v39, v29
	v_max_f16_e32 v113, v110, v110
	v_lshrrev_b32_e32 v110, 16, v110
	v_max_f32_e32 v86, v86, v86
	v_lshrrev_b32_e32 v115, 16, v88
	v_lshrrev_b32_e32 v116, 16, v114
	v_min_f16_e32 v88, v113, v88
	v_mad_i64_i32 v[112:113], null, v112, s8, 0
	v_min3_f16 v110, v110, v115, v116
	v_lshlrev_b64 v[112:113], 1, v[112:113]
	v_min3_f16 v88, v88, v114, v110
	v_cvt_f32_f16_e32 v88, v88
	v_min_f32_e32 v110, v86, v88
	v_add_co_u32 v86, vcc_lo, s2, v112
	v_add_co_ci_u32_e64 v88, null, s3, v113, vcc_lo
	v_cvt_f16_f32_e32 v110, v110
	v_add_co_u32 v112, vcc_lo, v86, v36
	v_add_co_ci_u32_e64 v113, null, v88, v37, vcc_lo
	s_and_b32 vcc_lo, exec_lo, s1
	flat_store_short v[112:113], v110
	s_cbranch_vccnz .LBB215_40
; %bb.39:
	v_add_co_u32 v110, vcc_lo, v46, v42
	v_add_co_ci_u32_e64 v111, null, v47, v43, vcc_lo
	flat_load_ushort v110, v[110:111]
	s_waitcnt vmcnt(0) lgkmcnt(0)
	v_mul_f16_e32 v110, s7, v110
	v_cvt_f32_f16_e32 v111, v110
.LBB215_40:
	v_pk_add_f16 v110, v0, v28
	v_pk_add_f16 v112, v1, v29
	v_max_f16_e32 v113, v109, v109
	v_lshrrev_b32_e32 v109, 16, v109
	v_lshrrev_b32_e32 v114, 16, v110
	;; [unrolled: 1-line block ×3, first 2 shown]
	v_min_f16_e32 v110, v113, v110
	v_min3_f16 v109, v109, v114, v115
	v_min3_f16 v109, v110, v112, v109
	v_max_f32_e32 v110, v111, v111
	v_add_co_u32 v111, vcc_lo, v86, v42
	v_add_co_ci_u32_e64 v112, null, v88, v43, vcc_lo
	v_cvt_f32_f16_e32 v109, v109
	s_and_b32 vcc_lo, exec_lo, s1
	v_min_f32_e32 v109, v110, v109
	v_mov_b32_e32 v110, 0
	v_cvt_f16_f32_e32 v113, v109
	v_mov_b32_e32 v109, 0
	flat_store_short v[111:112], v113
	s_cbranch_vccnz .LBB215_42
; %bb.41:
	v_add_co_u32 v110, vcc_lo, v46, v40
	v_add_co_ci_u32_e64 v111, null, v47, v41, vcc_lo
	flat_load_ushort v110, v[110:111]
	s_waitcnt vmcnt(0) lgkmcnt(0)
	v_mul_f16_e32 v110, s7, v110
	v_cvt_f32_f16_e32 v110, v110
.LBB215_42:
	v_pk_add_f16 v111, v2, v28
	v_pk_add_f16 v112, v3, v29
	v_max_f16_e32 v113, v108, v108
	v_lshrrev_b32_e32 v108, 16, v108
	v_max_f32_e32 v110, v110, v110
	v_lshrrev_b32_e32 v114, 16, v111
	v_lshrrev_b32_e32 v115, 16, v112
	v_min_f16_e32 v111, v113, v111
	v_min3_f16 v108, v108, v114, v115
	v_min3_f16 v108, v111, v112, v108
	v_cvt_f32_f16_e32 v108, v108
	v_min_f32_e32 v108, v110, v108
	v_add_co_u32 v110, vcc_lo, v86, v40
	v_add_co_ci_u32_e64 v111, null, v88, v41, vcc_lo
	v_cvt_f16_f32_e32 v108, v108
	s_and_b32 vcc_lo, exec_lo, s1
	flat_store_short v[110:111], v108
	s_cbranch_vccnz .LBB215_44
; %bb.43:
	v_add_co_u32 v46, vcc_lo, v46, v44
	v_add_co_ci_u32_e64 v47, null, v47, v45, vcc_lo
	flat_load_ushort v46, v[46:47]
	s_waitcnt vmcnt(0) lgkmcnt(0)
	v_mul_f16_e32 v46, s7, v46
	v_cvt_f32_f16_e32 v109, v46
.LBB215_44:
	v_pk_add_f16 v28, v32, v28
	v_pk_add_f16 v47, v33, v29
	v_max_f16_e32 v29, v107, v107
	v_lshrrev_b32_e32 v107, 16, v107
	v_add_nc_u32_e32 v46, 16, v75
	v_lshrrev_b32_e32 v108, 16, v28
	v_lshrrev_b32_e32 v110, 16, v47
	v_min_f16_e32 v111, v29, v28
	v_max_f32_e32 v109, v109, v109
	v_mad_i64_i32 v[28:29], null, v46, s6, 0
	v_min3_f16 v107, v107, v108, v110
	v_min3_f16 v47, v111, v47, v107
	v_lshlrev_b64 v[28:29], 1, v[28:29]
	v_add_co_u32 v107, vcc_lo, v86, v44
	v_add_co_ci_u32_e64 v108, null, v88, v45, vcc_lo
	v_cvt_f32_f16_e32 v47, v47
	v_add_co_u32 v28, vcc_lo, s12, v28
	v_add_co_ci_u32_e64 v29, null, s13, v29, vcc_lo
	v_min_f32_e32 v47, v109, v47
	v_mov_b32_e32 v86, 0
	s_and_b32 vcc_lo, exec_lo, s1
	v_cvt_f16_f32_e32 v88, v47
	v_mov_b32_e32 v47, 0
	flat_store_short v[107:108], v88
	s_cbranch_vccnz .LBB215_46
; %bb.45:
	v_add_co_u32 v107, vcc_lo, v28, v36
	v_add_co_ci_u32_e64 v108, null, v29, v37, vcc_lo
	flat_load_ushort v47, v[107:108]
	s_waitcnt vmcnt(0) lgkmcnt(0)
	v_mul_f16_e32 v47, s7, v47
	v_cvt_f32_f16_e32 v47, v47
.LBB215_46:
	v_pk_add_f16 v88, v38, v30
	v_pk_add_f16 v108, v39, v31
	v_max_f16_e32 v107, v106, v106
	v_lshrrev_b32_e32 v106, 16, v106
	v_lshrrev_b32_e32 v109, 16, v88
	;; [unrolled: 1-line block ×3, first 2 shown]
	v_min_f16_e32 v88, v107, v88
	v_min3_f16 v109, v106, v109, v110
	v_mad_i64_i32 v[106:107], null, v46, s8, 0
	v_min3_f16 v46, v88, v108, v109
	v_max_f32_e32 v88, v47, v47
	v_cvt_f32_f16_e32 v108, v46
	v_lshlrev_b64 v[46:47], 1, v[106:107]
	v_min_f32_e32 v88, v88, v108
	v_add_co_u32 v46, vcc_lo, s2, v46
	v_add_co_ci_u32_e64 v47, null, s3, v47, vcc_lo
	v_cvt_f16_f32_e32 v88, v88
	v_add_co_u32 v106, vcc_lo, v46, v36
	v_add_co_ci_u32_e64 v107, null, v47, v37, vcc_lo
	s_and_b32 vcc_lo, exec_lo, s1
	flat_store_short v[106:107], v88
	s_cbranch_vccnz .LBB215_48
; %bb.47:
	v_add_co_u32 v106, vcc_lo, v28, v42
	v_add_co_ci_u32_e64 v107, null, v29, v43, vcc_lo
	flat_load_ushort v86, v[106:107]
	s_waitcnt vmcnt(0) lgkmcnt(0)
	v_mul_f16_e32 v86, s7, v86
	v_cvt_f32_f16_e32 v86, v86
.LBB215_48:
	v_pk_add_f16 v88, v0, v30
	v_pk_add_f16 v106, v1, v31
	v_max_f16_e32 v107, v105, v105
	v_lshrrev_b32_e32 v105, 16, v105
	v_max_f32_e32 v86, v86, v86
	v_lshrrev_b32_e32 v108, 16, v88
	v_lshrrev_b32_e32 v109, 16, v106
	v_min_f16_e32 v88, v107, v88
	v_min3_f16 v105, v105, v108, v109
	v_min3_f16 v88, v88, v106, v105
	v_add_co_u32 v105, vcc_lo, v46, v42
	v_add_co_ci_u32_e64 v106, null, v47, v43, vcc_lo
	v_cvt_f32_f16_e32 v88, v88
	s_and_b32 vcc_lo, exec_lo, s1
	v_min_f32_e32 v86, v86, v88
	v_mov_b32_e32 v88, 0
	v_cvt_f16_f32_e32 v107, v86
	v_mov_b32_e32 v86, 0
	flat_store_short v[105:106], v107
	s_cbranch_vccnz .LBB215_50
; %bb.49:
	v_add_co_u32 v105, vcc_lo, v28, v40
	v_add_co_ci_u32_e64 v106, null, v29, v41, vcc_lo
	flat_load_ushort v88, v[105:106]
	s_waitcnt vmcnt(0) lgkmcnt(0)
	v_mul_f16_e32 v88, s7, v88
	v_cvt_f32_f16_e32 v88, v88
.LBB215_50:
	v_pk_add_f16 v105, v2, v30
	v_pk_add_f16 v106, v3, v31
	v_max_f16_e32 v107, v104, v104
	v_lshrrev_b32_e32 v104, 16, v104
	v_max_f32_e32 v88, v88, v88
	v_lshrrev_b32_e32 v108, 16, v105
	v_lshrrev_b32_e32 v109, 16, v106
	v_min_f16_e32 v105, v107, v105
	v_min3_f16 v104, v104, v108, v109
	v_min3_f16 v104, v105, v106, v104
	v_cvt_f32_f16_e32 v104, v104
	v_min_f32_e32 v88, v88, v104
	v_add_co_u32 v104, vcc_lo, v46, v40
	v_add_co_ci_u32_e64 v105, null, v47, v41, vcc_lo
	v_cvt_f16_f32_e32 v88, v88
	s_and_b32 vcc_lo, exec_lo, s1
	flat_store_short v[104:105], v88
	s_cbranch_vccnz .LBB215_52
; %bb.51:
	v_add_co_u32 v28, vcc_lo, v28, v44
	v_add_co_ci_u32_e64 v29, null, v29, v45, vcc_lo
	flat_load_ushort v28, v[28:29]
	s_waitcnt vmcnt(0) lgkmcnt(0)
	v_mul_f16_e32 v28, s7, v28
	v_cvt_f32_f16_e32 v86, v28
.LBB215_52:
	v_pk_add_f16 v28, v32, v30
	v_pk_add_f16 v31, v33, v31
	v_max_f16_e32 v29, v103, v103
	v_lshrrev_b32_e32 v88, 16, v103
	v_add_nc_u32_e32 v30, 24, v75
	v_lshrrev_b32_e32 v103, 16, v28
	v_lshrrev_b32_e32 v104, 16, v31
	v_min_f16_e32 v105, v29, v28
	v_max_f32_e32 v86, v86, v86
	v_mad_i64_i32 v[28:29], null, v30, s6, 0
	v_min3_f16 v88, v88, v103, v104
	v_add_co_u32 v103, vcc_lo, v46, v44
	v_add_co_ci_u32_e64 v104, null, v47, v45, vcc_lo
	v_min3_f16 v31, v105, v31, v88
	v_lshlrev_b64 v[28:29], 1, v[28:29]
	v_mov_b32_e32 v46, 0
	v_cvt_f32_f16_e32 v31, v31
	v_add_co_u32 v28, vcc_lo, s12, v28
	v_add_co_ci_u32_e64 v29, null, s13, v29, vcc_lo
	v_min_f32_e32 v31, v86, v31
	s_and_b32 vcc_lo, exec_lo, s1
	v_cvt_f16_f32_e32 v47, v31
	v_mov_b32_e32 v31, 0
	flat_store_short v[103:104], v47
	s_cbranch_vccnz .LBB215_54
; %bb.53:
	v_add_co_u32 v103, vcc_lo, v28, v36
	v_add_co_ci_u32_e64 v104, null, v29, v37, vcc_lo
	flat_load_ushort v31, v[103:104]
	s_waitcnt vmcnt(0) lgkmcnt(0)
	v_mul_f16_e32 v31, s7, v31
	v_cvt_f32_f16_e32 v31, v31
.LBB215_54:
	v_pk_add_f16 v47, v38, v24
	v_pk_add_f16 v86, v39, v25
	v_max_f16_e32 v88, v100, v100
	v_lshrrev_b32_e32 v100, 16, v100
	v_lshrrev_b32_e32 v103, 16, v47
	;; [unrolled: 1-line block ×3, first 2 shown]
	v_min_f16_e32 v47, v88, v47
	v_min3_f16 v88, v100, v103, v104
	v_mad_i64_i32 v[103:104], null, v30, s8, 0
	v_min3_f16 v30, v47, v86, v88
	v_max_f32_e32 v47, v31, v31
	v_cvt_f32_f16_e32 v86, v30
	v_lshlrev_b64 v[30:31], 1, v[103:104]
	v_min_f32_e32 v47, v47, v86
	v_add_co_u32 v30, vcc_lo, s2, v30
	v_add_co_ci_u32_e64 v31, null, s3, v31, vcc_lo
	v_cvt_f16_f32_e32 v47, v47
	v_add_co_u32 v103, vcc_lo, v30, v36
	v_add_co_ci_u32_e64 v104, null, v31, v37, vcc_lo
	s_and_b32 vcc_lo, exec_lo, s1
	flat_store_short v[103:104], v47
	s_cbranch_vccnz .LBB215_56
; %bb.55:
	v_add_co_u32 v46, vcc_lo, v28, v42
	v_add_co_ci_u32_e64 v47, null, v29, v43, vcc_lo
	flat_load_ushort v46, v[46:47]
	s_waitcnt vmcnt(0) lgkmcnt(0)
	v_mul_f16_e32 v46, s7, v46
	v_cvt_f32_f16_e32 v46, v46
.LBB215_56:
	v_pk_add_f16 v47, v0, v24
	v_pk_add_f16 v86, v1, v25
	v_max_f16_e32 v88, v102, v102
	v_lshrrev_b32_e32 v100, 16, v102
	v_max_f32_e32 v46, v46, v46
	v_lshrrev_b32_e32 v102, 16, v47
	v_lshrrev_b32_e32 v103, 16, v86
	v_min_f16_e32 v47, v88, v47
	v_min3_f16 v88, v100, v102, v103
	v_add_co_u32 v102, vcc_lo, v30, v42
	v_add_co_ci_u32_e64 v103, null, v31, v43, vcc_lo
	v_min3_f16 v47, v47, v86, v88
	s_and_b32 vcc_lo, exec_lo, s1
	v_cvt_f32_f16_e32 v47, v47
	v_min_f32_e32 v46, v46, v47
	v_mov_b32_e32 v47, 0
	v_cvt_f16_f32_e32 v86, v46
	v_mov_b32_e32 v46, 0
	flat_store_short v[102:103], v86
	s_cbranch_vccnz .LBB215_58
; %bb.57:
	v_add_co_u32 v102, vcc_lo, v28, v40
	v_add_co_ci_u32_e64 v103, null, v29, v41, vcc_lo
	flat_load_ushort v47, v[102:103]
	s_waitcnt vmcnt(0) lgkmcnt(0)
	v_mul_f16_e32 v47, s7, v47
	v_cvt_f32_f16_e32 v47, v47
.LBB215_58:
	v_pk_add_f16 v86, v2, v24
	v_pk_add_f16 v88, v3, v25
	v_max_f16_e32 v100, v101, v101
	v_lshrrev_b32_e32 v101, 16, v101
	v_max_f32_e32 v47, v47, v47
	v_lshrrev_b32_e32 v102, 16, v86
	v_lshrrev_b32_e32 v103, 16, v88
	v_min_f16_e32 v86, v100, v86
	v_min3_f16 v100, v101, v102, v103
	v_min3_f16 v86, v86, v88, v100
	v_add_co_u32 v100, vcc_lo, v30, v40
	v_add_co_ci_u32_e64 v101, null, v31, v41, vcc_lo
	v_cvt_f32_f16_e32 v86, v86
	s_and_b32 vcc_lo, exec_lo, s1
	v_min_f32_e32 v47, v47, v86
	v_cvt_f16_f32_e32 v47, v47
	flat_store_short v[100:101], v47
	s_cbranch_vccnz .LBB215_60
; %bb.59:
	v_add_co_u32 v28, vcc_lo, v28, v44
	v_add_co_ci_u32_e64 v29, null, v29, v45, vcc_lo
	flat_load_ushort v28, v[28:29]
	s_waitcnt vmcnt(0) lgkmcnt(0)
	v_mul_f16_e32 v28, s7, v28
	v_cvt_f32_f16_e32 v46, v28
.LBB215_60:
	v_pk_add_f16 v24, v32, v24
	v_pk_add_f16 v29, v33, v25
	v_max_f16_e32 v25, v99, v99
	v_lshrrev_b32_e32 v47, 16, v99
	v_add_nc_u32_e32 v28, 32, v75
	v_lshrrev_b32_e32 v86, 16, v24
	v_lshrrev_b32_e32 v88, 16, v29
	v_min_f16_e32 v99, v25, v24
	v_mad_i64_i32 v[24:25], null, v28, s6, 0
	v_min3_f16 v47, v47, v86, v88
	v_max_f32_e32 v86, v46, v46
	v_add_co_u32 v46, vcc_lo, v30, v44
	v_mov_b32_e32 v30, 0
	v_min3_f16 v29, v99, v29, v47
	v_lshlrev_b64 v[24:25], 1, v[24:25]
	v_add_co_ci_u32_e64 v47, null, v31, v45, vcc_lo
	v_cvt_f32_f16_e32 v29, v29
	v_add_co_u32 v24, vcc_lo, s12, v24
	v_add_co_ci_u32_e64 v25, null, s13, v25, vcc_lo
	v_min_f32_e32 v29, v86, v29
	s_and_b32 vcc_lo, exec_lo, s1
	v_cvt_f16_f32_e32 v31, v29
	v_mov_b32_e32 v29, 0
	flat_store_short v[46:47], v31
	s_cbranch_vccnz .LBB215_62
; %bb.61:
	v_add_co_u32 v46, vcc_lo, v24, v36
	v_add_co_ci_u32_e64 v47, null, v25, v37, vcc_lo
	flat_load_ushort v29, v[46:47]
	s_waitcnt vmcnt(0) lgkmcnt(0)
	v_mul_f16_e32 v29, s7, v29
	v_cvt_f32_f16_e32 v29, v29
.LBB215_62:
	v_pk_add_f16 v31, v38, v26
	v_pk_add_f16 v86, v39, v27
	v_max_f16_e32 v46, v98, v98
	v_lshrrev_b32_e32 v47, 16, v98
	v_lshrrev_b32_e32 v88, 16, v31
	v_lshrrev_b32_e32 v98, 16, v86
	v_min_f16_e32 v31, v46, v31
	v_min3_f16 v88, v47, v88, v98
	v_mad_i64_i32 v[46:47], null, v28, s8, 0
	v_min3_f16 v28, v31, v86, v88
	v_max_f32_e32 v31, v29, v29
	v_cvt_f32_f16_e32 v86, v28
	v_lshlrev_b64 v[28:29], 1, v[46:47]
	v_min_f32_e32 v31, v31, v86
	v_add_co_u32 v28, vcc_lo, s2, v28
	v_add_co_ci_u32_e64 v29, null, s3, v29, vcc_lo
	v_cvt_f16_f32_e32 v31, v31
	v_add_co_u32 v46, vcc_lo, v28, v36
	v_add_co_ci_u32_e64 v47, null, v29, v37, vcc_lo
	s_and_b32 vcc_lo, exec_lo, s1
	flat_store_short v[46:47], v31
	s_cbranch_vccnz .LBB215_64
; %bb.63:
	v_add_co_u32 v30, vcc_lo, v24, v42
	v_add_co_ci_u32_e64 v31, null, v25, v43, vcc_lo
	flat_load_ushort v30, v[30:31]
	s_waitcnt vmcnt(0) lgkmcnt(0)
	v_mul_f16_e32 v30, s7, v30
	v_cvt_f32_f16_e32 v30, v30
.LBB215_64:
	v_pk_add_f16 v31, v0, v26
	v_pk_add_f16 v46, v1, v27
	v_max_f16_e32 v47, v97, v97
	v_lshrrev_b32_e32 v86, 16, v97
	v_max_f32_e32 v30, v30, v30
	v_lshrrev_b32_e32 v88, 16, v31
	v_lshrrev_b32_e32 v97, 16, v46
	v_min_f16_e32 v31, v47, v31
	v_min3_f16 v47, v86, v88, v97
	v_min3_f16 v31, v31, v46, v47
	v_add_co_u32 v46, vcc_lo, v28, v42
	v_add_co_ci_u32_e64 v47, null, v29, v43, vcc_lo
	v_cvt_f32_f16_e32 v31, v31
	s_and_b32 vcc_lo, exec_lo, s1
	v_min_f32_e32 v30, v30, v31
	v_mov_b32_e32 v31, 0
	v_cvt_f16_f32_e32 v86, v30
	v_mov_b32_e32 v30, 0
	flat_store_short v[46:47], v86
	s_cbranch_vccnz .LBB215_66
; %bb.65:
	v_add_co_u32 v46, vcc_lo, v24, v40
	v_add_co_ci_u32_e64 v47, null, v25, v41, vcc_lo
	flat_load_ushort v31, v[46:47]
	s_waitcnt vmcnt(0) lgkmcnt(0)
	v_mul_f16_e32 v31, s7, v31
	v_cvt_f32_f16_e32 v31, v31
.LBB215_66:
	v_pk_add_f16 v46, v2, v26
	v_pk_add_f16 v47, v3, v27
	v_max_f16_e32 v86, v96, v96
	v_lshrrev_b32_e32 v88, 16, v96
	v_max_f32_e32 v31, v31, v31
	v_lshrrev_b32_e32 v96, 16, v46
	v_lshrrev_b32_e32 v97, 16, v47
	v_min_f16_e32 v46, v86, v46
	v_min3_f16 v86, v88, v96, v97
	v_min3_f16 v46, v46, v47, v86
	v_cvt_f32_f16_e32 v46, v46
	v_min_f32_e32 v31, v31, v46
	v_add_co_u32 v46, vcc_lo, v28, v40
	v_add_co_ci_u32_e64 v47, null, v29, v41, vcc_lo
	v_cvt_f16_f32_e32 v31, v31
	s_and_b32 vcc_lo, exec_lo, s1
	flat_store_short v[46:47], v31
	s_cbranch_vccnz .LBB215_68
; %bb.67:
	v_add_co_u32 v24, vcc_lo, v24, v44
	v_add_co_ci_u32_e64 v25, null, v25, v45, vcc_lo
	flat_load_ushort v24, v[24:25]
	s_waitcnt vmcnt(0) lgkmcnt(0)
	v_mul_f16_e32 v24, s7, v24
	v_cvt_f32_f16_e32 v30, v24
.LBB215_68:
	v_pk_add_f16 v24, v32, v26
	v_pk_add_f16 v27, v33, v27
	v_max_f16_e32 v25, v95, v95
	v_lshrrev_b32_e32 v31, 16, v95
	v_add_nc_u32_e32 v26, 40, v75
	v_lshrrev_b32_e32 v46, 16, v24
	v_lshrrev_b32_e32 v47, 16, v27
	v_min_f16_e32 v86, v25, v24
	v_mad_i64_i32 v[24:25], null, v26, s6, 0
	v_min3_f16 v31, v31, v46, v47
	v_max_f32_e32 v46, v30, v30
	v_add_co_u32 v30, vcc_lo, v28, v44
	v_mov_b32_e32 v28, 0
	v_min3_f16 v27, v86, v27, v31
	v_lshlrev_b64 v[24:25], 1, v[24:25]
	v_add_co_ci_u32_e64 v31, null, v29, v45, vcc_lo
	v_cvt_f32_f16_e32 v27, v27
	v_add_co_u32 v24, vcc_lo, s12, v24
	v_add_co_ci_u32_e64 v25, null, s13, v25, vcc_lo
	v_min_f32_e32 v27, v46, v27
	s_and_b32 vcc_lo, exec_lo, s1
	v_cvt_f16_f32_e32 v29, v27
	v_mov_b32_e32 v27, 0
	flat_store_short v[30:31], v29
	s_cbranch_vccnz .LBB215_70
; %bb.69:
	v_add_co_u32 v29, vcc_lo, v24, v36
	v_add_co_ci_u32_e64 v30, null, v25, v37, vcc_lo
	flat_load_ushort v27, v[29:30]
	s_waitcnt vmcnt(0) lgkmcnt(0)
	v_mul_f16_e32 v27, s7, v27
	v_cvt_f32_f16_e32 v27, v27
.LBB215_70:
	v_pk_add_f16 v29, v38, v20
	v_pk_add_f16 v31, v39, v21
	v_max_f16_e32 v30, v94, v94
	v_lshrrev_b32_e32 v46, 16, v94
	v_lshrrev_b32_e32 v47, 16, v29
	;; [unrolled: 1-line block ×3, first 2 shown]
	v_min_f16_e32 v88, v30, v29
	v_mad_i64_i32 v[29:30], null, v26, s8, 0
	v_min3_f16 v46, v46, v47, v86
	v_min3_f16 v26, v88, v31, v46
	v_max_f32_e32 v31, v27, v27
	v_cvt_f32_f16_e32 v46, v26
	v_lshlrev_b64 v[26:27], 1, v[29:30]
	v_min_f32_e32 v29, v31, v46
	v_add_co_u32 v26, vcc_lo, s2, v26
	v_add_co_ci_u32_e64 v27, null, s3, v27, vcc_lo
	v_cvt_f16_f32_e32 v31, v29
	v_add_co_u32 v29, vcc_lo, v26, v36
	v_add_co_ci_u32_e64 v30, null, v27, v37, vcc_lo
	s_and_b32 vcc_lo, exec_lo, s1
	flat_store_short v[29:30], v31
	s_cbranch_vccnz .LBB215_72
; %bb.71:
	v_add_co_u32 v28, vcc_lo, v24, v42
	v_add_co_ci_u32_e64 v29, null, v25, v43, vcc_lo
	flat_load_ushort v28, v[28:29]
	s_waitcnt vmcnt(0) lgkmcnt(0)
	v_mul_f16_e32 v28, s7, v28
	v_cvt_f32_f16_e32 v28, v28
.LBB215_72:
	v_pk_add_f16 v29, v0, v20
	v_pk_add_f16 v30, v1, v21
	v_max_f16_e32 v31, v93, v93
	v_lshrrev_b32_e32 v46, 16, v93
	v_max_f32_e32 v28, v28, v28
	v_lshrrev_b32_e32 v47, 16, v29
	v_lshrrev_b32_e32 v86, 16, v30
	v_min_f16_e32 v29, v31, v29
	v_min3_f16 v31, v46, v47, v86
	v_min3_f16 v29, v29, v30, v31
	v_add_co_u32 v30, vcc_lo, v26, v42
	v_add_co_ci_u32_e64 v31, null, v27, v43, vcc_lo
	v_cvt_f32_f16_e32 v29, v29
	s_and_b32 vcc_lo, exec_lo, s1
	v_min_f32_e32 v28, v28, v29
	v_mov_b32_e32 v29, 0
	v_cvt_f16_f32_e32 v46, v28
	v_mov_b32_e32 v28, 0
	flat_store_short v[30:31], v46
	s_cbranch_vccnz .LBB215_74
; %bb.73:
	v_add_co_u32 v29, vcc_lo, v24, v40
	v_add_co_ci_u32_e64 v30, null, v25, v41, vcc_lo
	flat_load_ushort v29, v[29:30]
	s_waitcnt vmcnt(0) lgkmcnt(0)
	v_mul_f16_e32 v29, s7, v29
	v_cvt_f32_f16_e32 v29, v29
.LBB215_74:
	v_pk_add_f16 v30, v2, v20
	v_pk_add_f16 v31, v3, v21
	v_max_f16_e32 v46, v92, v92
	v_lshrrev_b32_e32 v47, 16, v92
	v_max_f32_e32 v29, v29, v29
	v_lshrrev_b32_e32 v86, 16, v30
	v_lshrrev_b32_e32 v88, 16, v31
	v_min_f16_e32 v30, v46, v30
	v_min3_f16 v46, v47, v86, v88
	v_min3_f16 v30, v30, v31, v46
	v_cvt_f32_f16_e32 v30, v30
	v_min_f32_e32 v29, v29, v30
	v_cvt_f16_f32_e32 v31, v29
	v_add_co_u32 v29, vcc_lo, v26, v40
	v_add_co_ci_u32_e64 v30, null, v27, v41, vcc_lo
	s_and_b32 vcc_lo, exec_lo, s1
	flat_store_short v[29:30], v31
	s_cbranch_vccnz .LBB215_76
; %bb.75:
	v_add_co_u32 v24, vcc_lo, v24, v44
	v_add_co_ci_u32_e64 v25, null, v25, v45, vcc_lo
	flat_load_ushort v24, v[24:25]
	s_waitcnt vmcnt(0) lgkmcnt(0)
	v_mul_f16_e32 v24, s7, v24
	v_cvt_f32_f16_e32 v28, v24
.LBB215_76:
	v_pk_add_f16 v20, v32, v20
	v_pk_add_f16 v25, v33, v21
	v_max_f16_e32 v21, v91, v91
	v_lshrrev_b32_e32 v29, 16, v91
	v_add_nc_u32_e32 v24, 48, v75
	v_lshrrev_b32_e32 v30, 16, v20
	v_lshrrev_b32_e32 v31, 16, v25
	v_min_f16_e32 v46, v21, v20
	v_mad_i64_i32 v[20:21], null, v24, s6, 0
	v_min3_f16 v29, v29, v30, v31
	v_max_f32_e32 v30, v28, v28
	v_add_co_u32 v28, vcc_lo, v26, v44
	v_mov_b32_e32 v26, 0
	v_min3_f16 v25, v46, v25, v29
	v_lshlrev_b64 v[20:21], 1, v[20:21]
	v_add_co_ci_u32_e64 v29, null, v27, v45, vcc_lo
	v_cvt_f32_f16_e32 v25, v25
	v_add_co_u32 v20, vcc_lo, s12, v20
	v_add_co_ci_u32_e64 v21, null, s13, v21, vcc_lo
	v_min_f32_e32 v25, v30, v25
	s_and_b32 vcc_lo, exec_lo, s1
	v_cvt_f16_f32_e32 v27, v25
	v_mov_b32_e32 v25, 0
	flat_store_short v[28:29], v27
	s_cbranch_vccnz .LBB215_78
; %bb.77:
	v_add_co_u32 v27, vcc_lo, v20, v36
	v_add_co_ci_u32_e64 v28, null, v21, v37, vcc_lo
	flat_load_ushort v25, v[27:28]
	s_waitcnt vmcnt(0) lgkmcnt(0)
	v_mul_f16_e32 v25, s7, v25
	v_cvt_f32_f16_e32 v25, v25
.LBB215_78:
	v_pk_add_f16 v27, v38, v22
	v_pk_add_f16 v29, v39, v23
	v_max_f16_e32 v28, v90, v90
	v_lshrrev_b32_e32 v30, 16, v90
	v_lshrrev_b32_e32 v31, 16, v27
	;; [unrolled: 1-line block ×3, first 2 shown]
	v_min_f16_e32 v47, v28, v27
	v_mad_i64_i32 v[27:28], null, v24, s8, 0
	v_min3_f16 v30, v30, v31, v46
	v_min3_f16 v24, v47, v29, v30
	v_max_f32_e32 v29, v25, v25
	v_cvt_f32_f16_e32 v30, v24
	v_lshlrev_b64 v[24:25], 1, v[27:28]
	v_min_f32_e32 v27, v29, v30
	v_add_co_u32 v24, vcc_lo, s2, v24
	v_add_co_ci_u32_e64 v25, null, s3, v25, vcc_lo
	v_cvt_f16_f32_e32 v29, v27
	v_add_co_u32 v27, vcc_lo, v24, v36
	v_add_co_ci_u32_e64 v28, null, v25, v37, vcc_lo
	s_and_b32 vcc_lo, exec_lo, s1
	flat_store_short v[27:28], v29
	s_cbranch_vccnz .LBB215_80
; %bb.79:
	v_add_co_u32 v26, vcc_lo, v20, v42
	v_add_co_ci_u32_e64 v27, null, v21, v43, vcc_lo
	flat_load_ushort v26, v[26:27]
	s_waitcnt vmcnt(0) lgkmcnt(0)
	v_mul_f16_e32 v26, s7, v26
	v_cvt_f32_f16_e32 v26, v26
.LBB215_80:
	v_pk_add_f16 v27, v0, v22
	v_pk_add_f16 v28, v1, v23
	v_max_f16_e32 v29, v89, v89
	v_lshrrev_b32_e32 v30, 16, v89
	v_max_f32_e32 v26, v26, v26
	v_lshrrev_b32_e32 v31, 16, v27
	v_lshrrev_b32_e32 v46, 16, v28
	v_min_f16_e32 v27, v29, v27
	v_min3_f16 v29, v30, v31, v46
	v_min3_f16 v27, v27, v28, v29
	v_add_co_u32 v28, vcc_lo, v24, v42
	v_add_co_ci_u32_e64 v29, null, v25, v43, vcc_lo
	v_cvt_f32_f16_e32 v27, v27
	s_and_b32 vcc_lo, exec_lo, s1
	v_min_f32_e32 v26, v26, v27
	v_mov_b32_e32 v27, 0
	v_cvt_f16_f32_e32 v30, v26
	v_mov_b32_e32 v26, 0
	flat_store_short v[28:29], v30
	s_cbranch_vccnz .LBB215_82
; %bb.81:
	v_add_co_u32 v27, vcc_lo, v20, v40
	v_add_co_ci_u32_e64 v28, null, v21, v41, vcc_lo
	flat_load_ushort v27, v[27:28]
	s_waitcnt vmcnt(0) lgkmcnt(0)
	v_mul_f16_e32 v27, s7, v27
	v_cvt_f32_f16_e32 v27, v27
.LBB215_82:
	v_pk_add_f16 v28, v2, v22
	v_pk_add_f16 v29, v3, v23
	v_max_f16_e32 v30, v87, v87
	v_lshrrev_b32_e32 v31, 16, v87
	v_max_f32_e32 v27, v27, v27
	v_lshrrev_b32_e32 v46, 16, v28
	v_lshrrev_b32_e32 v47, 16, v29
	v_min_f16_e32 v28, v30, v28
	v_min3_f16 v30, v31, v46, v47
	v_min3_f16 v28, v28, v29, v30
	v_cvt_f32_f16_e32 v28, v28
	v_min_f32_e32 v27, v27, v28
	v_cvt_f16_f32_e32 v29, v27
	v_add_co_u32 v27, vcc_lo, v24, v40
	v_add_co_ci_u32_e64 v28, null, v25, v41, vcc_lo
	s_and_b32 vcc_lo, exec_lo, s1
	flat_store_short v[27:28], v29
	s_cbranch_vccnz .LBB215_84
; %bb.83:
	v_add_co_u32 v20, vcc_lo, v20, v44
	v_add_co_ci_u32_e64 v21, null, v21, v45, vcc_lo
	flat_load_ushort v20, v[20:21]
	s_waitcnt vmcnt(0) lgkmcnt(0)
	v_mul_f16_e32 v20, s7, v20
	v_cvt_f32_f16_e32 v26, v20
.LBB215_84:
	v_pk_add_f16 v20, v32, v22
	v_pk_add_f16 v23, v33, v23
	v_max_f16_e32 v21, v85, v85
	v_lshrrev_b32_e32 v27, 16, v85
	v_add_nc_u32_e32 v22, 56, v75
	v_lshrrev_b32_e32 v28, 16, v20
	v_lshrrev_b32_e32 v29, 16, v23
	v_min_f16_e32 v30, v21, v20
	v_mad_i64_i32 v[20:21], null, v22, s6, 0
	v_min3_f16 v27, v27, v28, v29
	v_max_f32_e32 v28, v26, v26
	v_add_co_u32 v26, vcc_lo, v24, v44
	v_mov_b32_e32 v24, 0
	v_min3_f16 v23, v30, v23, v27
	v_lshlrev_b64 v[20:21], 1, v[20:21]
	v_add_co_ci_u32_e64 v27, null, v25, v45, vcc_lo
	v_cvt_f32_f16_e32 v23, v23
	v_add_co_u32 v20, vcc_lo, s12, v20
	v_add_co_ci_u32_e64 v21, null, s13, v21, vcc_lo
	v_min_f32_e32 v23, v28, v23
	s_and_b32 vcc_lo, exec_lo, s1
	v_cvt_f16_f32_e32 v25, v23
	v_mov_b32_e32 v23, 0
	flat_store_short v[26:27], v25
	s_cbranch_vccnz .LBB215_86
; %bb.85:
	v_add_co_u32 v25, vcc_lo, v20, v36
	v_add_co_ci_u32_e64 v26, null, v21, v37, vcc_lo
	flat_load_ushort v23, v[25:26]
	s_waitcnt vmcnt(0) lgkmcnt(0)
	v_mul_f16_e32 v23, s7, v23
	v_cvt_f32_f16_e32 v23, v23
.LBB215_86:
	v_pk_add_f16 v25, v38, v16
	v_pk_add_f16 v27, v39, v17
	v_max_f16_e32 v26, v84, v84
	v_lshrrev_b32_e32 v28, 16, v84
	v_lshrrev_b32_e32 v29, 16, v25
	;; [unrolled: 1-line block ×3, first 2 shown]
	v_min_f16_e32 v31, v26, v25
	v_mad_i64_i32 v[25:26], null, v22, s8, 0
	v_min3_f16 v28, v28, v29, v30
	v_min3_f16 v22, v31, v27, v28
	v_max_f32_e32 v27, v23, v23
	v_cvt_f32_f16_e32 v28, v22
	v_lshlrev_b64 v[22:23], 1, v[25:26]
	v_min_f32_e32 v25, v27, v28
	v_add_co_u32 v22, vcc_lo, s2, v22
	v_add_co_ci_u32_e64 v23, null, s3, v23, vcc_lo
	v_cvt_f16_f32_e32 v27, v25
	v_add_co_u32 v25, vcc_lo, v22, v36
	v_add_co_ci_u32_e64 v26, null, v23, v37, vcc_lo
	s_and_b32 vcc_lo, exec_lo, s1
	flat_store_short v[25:26], v27
	s_cbranch_vccnz .LBB215_88
; %bb.87:
	v_add_co_u32 v24, vcc_lo, v20, v42
	v_add_co_ci_u32_e64 v25, null, v21, v43, vcc_lo
	flat_load_ushort v24, v[24:25]
	s_waitcnt vmcnt(0) lgkmcnt(0)
	v_mul_f16_e32 v24, s7, v24
	v_cvt_f32_f16_e32 v24, v24
.LBB215_88:
	v_pk_add_f16 v25, v0, v16
	v_pk_add_f16 v26, v1, v17
	v_max_f16_e32 v27, v83, v83
	v_lshrrev_b32_e32 v28, 16, v83
	v_max_f32_e32 v24, v24, v24
	v_lshrrev_b32_e32 v29, 16, v25
	v_lshrrev_b32_e32 v30, 16, v26
	v_min_f16_e32 v25, v27, v25
	v_min3_f16 v27, v28, v29, v30
	v_min3_f16 v25, v25, v26, v27
	v_add_co_u32 v26, vcc_lo, v22, v42
	v_add_co_ci_u32_e64 v27, null, v23, v43, vcc_lo
	v_cvt_f32_f16_e32 v25, v25
	s_and_b32 vcc_lo, exec_lo, s1
	v_min_f32_e32 v24, v24, v25
	v_mov_b32_e32 v25, 0
	v_cvt_f16_f32_e32 v28, v24
	v_mov_b32_e32 v24, 0
	flat_store_short v[26:27], v28
	s_cbranch_vccnz .LBB215_90
; %bb.89:
	v_add_co_u32 v25, vcc_lo, v20, v40
	v_add_co_ci_u32_e64 v26, null, v21, v41, vcc_lo
	flat_load_ushort v25, v[25:26]
	s_waitcnt vmcnt(0) lgkmcnt(0)
	v_mul_f16_e32 v25, s7, v25
	v_cvt_f32_f16_e32 v25, v25
.LBB215_90:
	v_pk_add_f16 v26, v2, v16
	v_pk_add_f16 v27, v3, v17
	v_max_f16_e32 v28, v82, v82
	v_lshrrev_b32_e32 v29, 16, v82
	v_max_f32_e32 v25, v25, v25
	v_lshrrev_b32_e32 v30, 16, v26
	v_lshrrev_b32_e32 v31, 16, v27
	v_min_f16_e32 v26, v28, v26
	v_min3_f16 v28, v29, v30, v31
	v_min3_f16 v26, v26, v27, v28
	v_cvt_f32_f16_e32 v26, v26
	v_min_f32_e32 v25, v25, v26
	v_cvt_f16_f32_e32 v27, v25
	v_add_co_u32 v25, vcc_lo, v22, v40
	v_add_co_ci_u32_e64 v26, null, v23, v41, vcc_lo
	s_and_b32 vcc_lo, exec_lo, s1
	flat_store_short v[25:26], v27
	s_cbranch_vccnz .LBB215_92
; %bb.91:
	v_add_co_u32 v20, vcc_lo, v20, v44
	v_add_co_ci_u32_e64 v21, null, v21, v45, vcc_lo
	flat_load_ushort v20, v[20:21]
	s_waitcnt vmcnt(0) lgkmcnt(0)
	v_mul_f16_e32 v20, s7, v20
	v_cvt_f32_f16_e32 v24, v20
.LBB215_92:
	v_pk_add_f16 v16, v32, v16
	v_pk_add_f16 v21, v33, v17
	v_max_f16_e32 v17, v81, v81
	v_lshrrev_b32_e32 v25, 16, v81
	v_add_nc_u32_e32 v20, 64, v75
	v_lshrrev_b32_e32 v26, 16, v16
	v_lshrrev_b32_e32 v27, 16, v21
	v_min_f16_e32 v28, v17, v16
	v_mad_i64_i32 v[16:17], null, v20, s6, 0
	v_min3_f16 v25, v25, v26, v27
	v_max_f32_e32 v26, v24, v24
	v_add_co_u32 v24, vcc_lo, v22, v44
	v_mov_b32_e32 v22, 0
	v_min3_f16 v21, v28, v21, v25
	v_lshlrev_b64 v[16:17], 1, v[16:17]
	v_add_co_ci_u32_e64 v25, null, v23, v45, vcc_lo
	v_cvt_f32_f16_e32 v21, v21
	v_add_co_u32 v16, vcc_lo, s12, v16
	v_add_co_ci_u32_e64 v17, null, s13, v17, vcc_lo
	v_min_f32_e32 v21, v26, v21
	s_and_b32 vcc_lo, exec_lo, s1
	v_cvt_f16_f32_e32 v23, v21
	v_mov_b32_e32 v21, 0
	flat_store_short v[24:25], v23
	s_cbranch_vccnz .LBB215_94
; %bb.93:
	v_add_co_u32 v23, vcc_lo, v16, v36
	v_add_co_ci_u32_e64 v24, null, v17, v37, vcc_lo
	flat_load_ushort v21, v[23:24]
	s_waitcnt vmcnt(0) lgkmcnt(0)
	v_mul_f16_e32 v21, s7, v21
	v_cvt_f32_f16_e32 v21, v21
.LBB215_94:
	v_pk_add_f16 v23, v38, v18
	v_pk_add_f16 v25, v39, v19
	v_max_f16_e32 v24, v80, v80
	v_lshrrev_b32_e32 v26, 16, v80
	v_lshrrev_b32_e32 v27, 16, v23
	;; [unrolled: 1-line block ×3, first 2 shown]
	v_min_f16_e32 v29, v24, v23
	v_mad_i64_i32 v[23:24], null, v20, s8, 0
	v_min3_f16 v26, v26, v27, v28
	v_min3_f16 v20, v29, v25, v26
	v_max_f32_e32 v25, v21, v21
	v_cvt_f32_f16_e32 v26, v20
	v_lshlrev_b64 v[20:21], 1, v[23:24]
	v_min_f32_e32 v23, v25, v26
	v_add_co_u32 v20, vcc_lo, s2, v20
	v_add_co_ci_u32_e64 v21, null, s3, v21, vcc_lo
	v_cvt_f16_f32_e32 v25, v23
	v_add_co_u32 v23, vcc_lo, v20, v36
	v_add_co_ci_u32_e64 v24, null, v21, v37, vcc_lo
	s_and_b32 vcc_lo, exec_lo, s1
	flat_store_short v[23:24], v25
	s_cbranch_vccnz .LBB215_96
; %bb.95:
	v_add_co_u32 v22, vcc_lo, v16, v42
	v_add_co_ci_u32_e64 v23, null, v17, v43, vcc_lo
	flat_load_ushort v22, v[22:23]
	s_waitcnt vmcnt(0) lgkmcnt(0)
	v_mul_f16_e32 v22, s7, v22
	v_cvt_f32_f16_e32 v22, v22
.LBB215_96:
	v_pk_add_f16 v23, v0, v18
	v_pk_add_f16 v24, v1, v19
	v_max_f16_e32 v25, v79, v79
	v_lshrrev_b32_e32 v26, 16, v79
	v_max_f32_e32 v22, v22, v22
	v_lshrrev_b32_e32 v27, 16, v23
	v_lshrrev_b32_e32 v28, 16, v24
	v_min_f16_e32 v23, v25, v23
	v_min3_f16 v25, v26, v27, v28
	v_min3_f16 v23, v23, v24, v25
	v_add_co_u32 v24, vcc_lo, v20, v42
	v_add_co_ci_u32_e64 v25, null, v21, v43, vcc_lo
	v_cvt_f32_f16_e32 v23, v23
	s_and_b32 vcc_lo, exec_lo, s1
	v_min_f32_e32 v22, v22, v23
	v_mov_b32_e32 v23, 0
	v_cvt_f16_f32_e32 v26, v22
	v_mov_b32_e32 v22, 0
	flat_store_short v[24:25], v26
	s_cbranch_vccnz .LBB215_98
; %bb.97:
	v_add_co_u32 v23, vcc_lo, v16, v40
	v_add_co_ci_u32_e64 v24, null, v17, v41, vcc_lo
	flat_load_ushort v23, v[23:24]
	s_waitcnt vmcnt(0) lgkmcnt(0)
	v_mul_f16_e32 v23, s7, v23
	v_cvt_f32_f16_e32 v23, v23
.LBB215_98:
	v_pk_add_f16 v24, v2, v18
	v_pk_add_f16 v25, v3, v19
	v_max_f16_e32 v26, v78, v78
	v_lshrrev_b32_e32 v27, 16, v78
	v_max_f32_e32 v23, v23, v23
	v_lshrrev_b32_e32 v28, 16, v24
	v_lshrrev_b32_e32 v29, 16, v25
	v_min_f16_e32 v24, v26, v24
	v_min3_f16 v26, v27, v28, v29
	v_min3_f16 v24, v24, v25, v26
	v_cvt_f32_f16_e32 v24, v24
	v_min_f32_e32 v23, v23, v24
	v_cvt_f16_f32_e32 v25, v23
	v_add_co_u32 v23, vcc_lo, v20, v40
	v_add_co_ci_u32_e64 v24, null, v21, v41, vcc_lo
	s_and_b32 vcc_lo, exec_lo, s1
	flat_store_short v[23:24], v25
	s_cbranch_vccnz .LBB215_100
; %bb.99:
	v_add_co_u32 v16, vcc_lo, v16, v44
	v_add_co_ci_u32_e64 v17, null, v17, v45, vcc_lo
	flat_load_ushort v16, v[16:17]
	s_waitcnt vmcnt(0) lgkmcnt(0)
	v_mul_f16_e32 v16, s7, v16
	v_cvt_f32_f16_e32 v22, v16
.LBB215_100:
	v_pk_add_f16 v16, v32, v18
	v_pk_add_f16 v19, v33, v19
	v_max_f16_e32 v17, v77, v77
	v_lshrrev_b32_e32 v23, 16, v77
	v_add_nc_u32_e32 v18, 0x48, v75
	v_lshrrev_b32_e32 v24, 16, v16
	v_lshrrev_b32_e32 v25, 16, v19
	v_min_f16_e32 v26, v17, v16
	v_mad_i64_i32 v[16:17], null, v18, s6, 0
	v_min3_f16 v23, v23, v24, v25
	v_max_f32_e32 v24, v22, v22
	v_add_co_u32 v22, vcc_lo, v20, v44
	v_mov_b32_e32 v20, 0
	v_min3_f16 v19, v26, v19, v23
	v_lshlrev_b64 v[16:17], 1, v[16:17]
	v_add_co_ci_u32_e64 v23, null, v21, v45, vcc_lo
	v_cvt_f32_f16_e32 v19, v19
	v_add_co_u32 v16, vcc_lo, s12, v16
	v_add_co_ci_u32_e64 v17, null, s13, v17, vcc_lo
	v_min_f32_e32 v19, v24, v19
	s_and_b32 vcc_lo, exec_lo, s1
	v_cvt_f16_f32_e32 v21, v19
	v_mov_b32_e32 v19, 0
	flat_store_short v[22:23], v21
	s_cbranch_vccnz .LBB215_102
; %bb.101:
	v_add_co_u32 v21, vcc_lo, v16, v36
	v_add_co_ci_u32_e64 v22, null, v17, v37, vcc_lo
	flat_load_ushort v19, v[21:22]
	s_waitcnt vmcnt(0) lgkmcnt(0)
	v_mul_f16_e32 v19, s7, v19
	v_cvt_f32_f16_e32 v19, v19
.LBB215_102:
	v_pk_add_f16 v21, v38, v12
	v_pk_add_f16 v23, v39, v13
	v_max_f16_e32 v22, v76, v76
	v_lshrrev_b32_e32 v24, 16, v76
	v_lshrrev_b32_e32 v25, 16, v21
	;; [unrolled: 1-line block ×3, first 2 shown]
	v_min_f16_e32 v27, v22, v21
	v_mad_i64_i32 v[21:22], null, v18, s8, 0
	v_min3_f16 v24, v24, v25, v26
	v_min3_f16 v18, v27, v23, v24
	v_max_f32_e32 v23, v19, v19
	v_cvt_f32_f16_e32 v24, v18
	v_lshlrev_b64 v[18:19], 1, v[21:22]
	v_min_f32_e32 v21, v23, v24
	v_add_co_u32 v18, vcc_lo, s2, v18
	v_add_co_ci_u32_e64 v19, null, s3, v19, vcc_lo
	v_cvt_f16_f32_e32 v23, v21
	v_add_co_u32 v21, vcc_lo, v18, v36
	v_add_co_ci_u32_e64 v22, null, v19, v37, vcc_lo
	s_and_b32 vcc_lo, exec_lo, s1
	flat_store_short v[21:22], v23
	s_cbranch_vccnz .LBB215_104
; %bb.103:
	v_add_co_u32 v20, vcc_lo, v16, v42
	v_add_co_ci_u32_e64 v21, null, v17, v43, vcc_lo
	flat_load_ushort v20, v[20:21]
	s_waitcnt vmcnt(0) lgkmcnt(0)
	v_mul_f16_e32 v20, s7, v20
	v_cvt_f32_f16_e32 v20, v20
.LBB215_104:
	v_pk_add_f16 v21, v0, v12
	v_pk_add_f16 v22, v1, v13
	v_max_f16_e32 v23, v74, v74
	v_lshrrev_b32_e32 v24, 16, v74
	v_max_f32_e32 v20, v20, v20
	v_lshrrev_b32_e32 v25, 16, v21
	v_lshrrev_b32_e32 v26, 16, v22
	v_min_f16_e32 v21, v23, v21
	v_min3_f16 v23, v24, v25, v26
	v_min3_f16 v21, v21, v22, v23
	v_add_co_u32 v22, vcc_lo, v18, v42
	v_add_co_ci_u32_e64 v23, null, v19, v43, vcc_lo
	v_cvt_f32_f16_e32 v21, v21
	s_and_b32 vcc_lo, exec_lo, s1
	v_min_f32_e32 v20, v20, v21
	v_mov_b32_e32 v21, 0
	v_cvt_f16_f32_e32 v24, v20
	v_mov_b32_e32 v20, 0
	flat_store_short v[22:23], v24
	s_cbranch_vccnz .LBB215_106
; %bb.105:
	v_add_co_u32 v21, vcc_lo, v16, v40
	v_add_co_ci_u32_e64 v22, null, v17, v41, vcc_lo
	flat_load_ushort v21, v[21:22]
	s_waitcnt vmcnt(0) lgkmcnt(0)
	v_mul_f16_e32 v21, s7, v21
	v_cvt_f32_f16_e32 v21, v21
.LBB215_106:
	v_pk_add_f16 v22, v2, v12
	v_pk_add_f16 v23, v3, v13
	v_max_f16_e32 v24, v73, v73
	v_lshrrev_b32_e32 v25, 16, v73
	v_max_f32_e32 v21, v21, v21
	v_lshrrev_b32_e32 v26, 16, v22
	v_lshrrev_b32_e32 v27, 16, v23
	v_min_f16_e32 v22, v24, v22
	v_min3_f16 v24, v25, v26, v27
	v_min3_f16 v22, v22, v23, v24
	v_cvt_f32_f16_e32 v22, v22
	v_min_f32_e32 v21, v21, v22
	v_cvt_f16_f32_e32 v23, v21
	v_add_co_u32 v21, vcc_lo, v18, v40
	v_add_co_ci_u32_e64 v22, null, v19, v41, vcc_lo
	s_and_b32 vcc_lo, exec_lo, s1
	flat_store_short v[21:22], v23
	s_cbranch_vccnz .LBB215_108
; %bb.107:
	v_add_co_u32 v16, vcc_lo, v16, v44
	v_add_co_ci_u32_e64 v17, null, v17, v45, vcc_lo
	flat_load_ushort v16, v[16:17]
	s_waitcnt vmcnt(0) lgkmcnt(0)
	v_mul_f16_e32 v16, s7, v16
	v_cvt_f32_f16_e32 v20, v16
.LBB215_108:
	v_pk_add_f16 v12, v32, v12
	v_pk_add_f16 v17, v33, v13
	v_max_f16_e32 v13, v72, v72
	v_lshrrev_b32_e32 v21, 16, v72
	v_add_nc_u32_e32 v16, 0x50, v75
	v_lshrrev_b32_e32 v22, 16, v12
	v_lshrrev_b32_e32 v23, 16, v17
	v_min_f16_e32 v24, v13, v12
	v_mad_i64_i32 v[12:13], null, v16, s6, 0
	v_min3_f16 v21, v21, v22, v23
	v_max_f32_e32 v22, v20, v20
	v_add_co_u32 v20, vcc_lo, v18, v44
	v_mov_b32_e32 v18, 0
	v_min3_f16 v17, v24, v17, v21
	v_lshlrev_b64 v[12:13], 1, v[12:13]
	v_add_co_ci_u32_e64 v21, null, v19, v45, vcc_lo
	v_cvt_f32_f16_e32 v17, v17
	v_add_co_u32 v12, vcc_lo, s12, v12
	v_add_co_ci_u32_e64 v13, null, s13, v13, vcc_lo
	v_min_f32_e32 v17, v22, v17
	s_and_b32 vcc_lo, exec_lo, s1
	v_cvt_f16_f32_e32 v19, v17
	v_mov_b32_e32 v17, 0
	flat_store_short v[20:21], v19
	s_cbranch_vccnz .LBB215_110
; %bb.109:
	v_add_co_u32 v19, vcc_lo, v12, v36
	v_add_co_ci_u32_e64 v20, null, v13, v37, vcc_lo
	flat_load_ushort v17, v[19:20]
	s_waitcnt vmcnt(0) lgkmcnt(0)
	v_mul_f16_e32 v17, s7, v17
	v_cvt_f32_f16_e32 v17, v17
.LBB215_110:
	v_pk_add_f16 v19, v38, v14
	v_pk_add_f16 v21, v39, v15
	v_max_f16_e32 v20, v71, v71
	v_lshrrev_b32_e32 v22, 16, v71
	v_lshrrev_b32_e32 v23, 16, v19
	;; [unrolled: 1-line block ×3, first 2 shown]
	v_min_f16_e32 v25, v20, v19
	v_mad_i64_i32 v[19:20], null, v16, s8, 0
	v_min3_f16 v22, v22, v23, v24
	v_min3_f16 v16, v25, v21, v22
	v_max_f32_e32 v21, v17, v17
	v_cvt_f32_f16_e32 v22, v16
	v_lshlrev_b64 v[16:17], 1, v[19:20]
	v_min_f32_e32 v19, v21, v22
	v_add_co_u32 v16, vcc_lo, s2, v16
	v_add_co_ci_u32_e64 v17, null, s3, v17, vcc_lo
	v_cvt_f16_f32_e32 v21, v19
	v_add_co_u32 v19, vcc_lo, v16, v36
	v_add_co_ci_u32_e64 v20, null, v17, v37, vcc_lo
	s_and_b32 vcc_lo, exec_lo, s1
	flat_store_short v[19:20], v21
	s_cbranch_vccnz .LBB215_112
; %bb.111:
	v_add_co_u32 v18, vcc_lo, v12, v42
	v_add_co_ci_u32_e64 v19, null, v13, v43, vcc_lo
	flat_load_ushort v18, v[18:19]
	s_waitcnt vmcnt(0) lgkmcnt(0)
	v_mul_f16_e32 v18, s7, v18
	v_cvt_f32_f16_e32 v18, v18
.LBB215_112:
	v_pk_add_f16 v19, v0, v14
	v_pk_add_f16 v20, v1, v15
	v_max_f16_e32 v21, v70, v70
	v_lshrrev_b32_e32 v22, 16, v70
	v_max_f32_e32 v18, v18, v18
	v_lshrrev_b32_e32 v23, 16, v19
	v_lshrrev_b32_e32 v24, 16, v20
	v_min_f16_e32 v19, v21, v19
	v_min3_f16 v21, v22, v23, v24
	v_min3_f16 v19, v19, v20, v21
	v_add_co_u32 v20, vcc_lo, v16, v42
	v_add_co_ci_u32_e64 v21, null, v17, v43, vcc_lo
	v_cvt_f32_f16_e32 v19, v19
	s_and_b32 vcc_lo, exec_lo, s1
	v_min_f32_e32 v18, v18, v19
	v_mov_b32_e32 v19, 0
	v_cvt_f16_f32_e32 v22, v18
	v_mov_b32_e32 v18, 0
	flat_store_short v[20:21], v22
	s_cbranch_vccnz .LBB215_114
; %bb.113:
	v_add_co_u32 v19, vcc_lo, v12, v40
	v_add_co_ci_u32_e64 v20, null, v13, v41, vcc_lo
	flat_load_ushort v19, v[19:20]
	s_waitcnt vmcnt(0) lgkmcnt(0)
	v_mul_f16_e32 v19, s7, v19
	v_cvt_f32_f16_e32 v19, v19
.LBB215_114:
	v_pk_add_f16 v20, v2, v14
	v_pk_add_f16 v21, v3, v15
	v_max_f16_e32 v22, v69, v69
	v_lshrrev_b32_e32 v23, 16, v69
	v_max_f32_e32 v19, v19, v19
	v_lshrrev_b32_e32 v24, 16, v20
	v_lshrrev_b32_e32 v25, 16, v21
	v_min_f16_e32 v20, v22, v20
	v_min3_f16 v22, v23, v24, v25
	v_min3_f16 v20, v20, v21, v22
	v_cvt_f32_f16_e32 v20, v20
	v_min_f32_e32 v19, v19, v20
	v_cvt_f16_f32_e32 v21, v19
	v_add_co_u32 v19, vcc_lo, v16, v40
	v_add_co_ci_u32_e64 v20, null, v17, v41, vcc_lo
	s_and_b32 vcc_lo, exec_lo, s1
	flat_store_short v[19:20], v21
	s_cbranch_vccnz .LBB215_116
; %bb.115:
	v_add_co_u32 v12, vcc_lo, v12, v44
	v_add_co_ci_u32_e64 v13, null, v13, v45, vcc_lo
	flat_load_ushort v12, v[12:13]
	s_waitcnt vmcnt(0) lgkmcnt(0)
	v_mul_f16_e32 v12, s7, v12
	v_cvt_f32_f16_e32 v18, v12
.LBB215_116:
	v_pk_add_f16 v12, v32, v14
	v_pk_add_f16 v15, v33, v15
	v_max_f16_e32 v13, v68, v68
	v_lshrrev_b32_e32 v19, 16, v68
	v_add_nc_u32_e32 v14, 0x58, v75
	v_lshrrev_b32_e32 v20, 16, v12
	v_lshrrev_b32_e32 v21, 16, v15
	v_min_f16_e32 v22, v13, v12
	v_mad_i64_i32 v[12:13], null, v14, s6, 0
	v_min3_f16 v19, v19, v20, v21
	v_max_f32_e32 v20, v18, v18
	v_add_co_u32 v18, vcc_lo, v16, v44
	v_mov_b32_e32 v16, 0
	v_min3_f16 v15, v22, v15, v19
	v_lshlrev_b64 v[12:13], 1, v[12:13]
	v_add_co_ci_u32_e64 v19, null, v17, v45, vcc_lo
	v_cvt_f32_f16_e32 v15, v15
	v_add_co_u32 v12, vcc_lo, s12, v12
	v_add_co_ci_u32_e64 v13, null, s13, v13, vcc_lo
	v_min_f32_e32 v15, v20, v15
	s_and_b32 vcc_lo, exec_lo, s1
	v_cvt_f16_f32_e32 v17, v15
	v_mov_b32_e32 v15, 0
	flat_store_short v[18:19], v17
	s_cbranch_vccnz .LBB215_118
; %bb.117:
	v_add_co_u32 v17, vcc_lo, v12, v36
	v_add_co_ci_u32_e64 v18, null, v13, v37, vcc_lo
	flat_load_ushort v15, v[17:18]
	s_waitcnt vmcnt(0) lgkmcnt(0)
	v_mul_f16_e32 v15, s7, v15
	v_cvt_f32_f16_e32 v15, v15
.LBB215_118:
	v_pk_add_f16 v17, v38, v8
	v_pk_add_f16 v19, v39, v9
	v_max_f16_e32 v18, v67, v67
	v_lshrrev_b32_e32 v20, 16, v67
	v_lshrrev_b32_e32 v21, 16, v17
	;; [unrolled: 1-line block ×3, first 2 shown]
	v_min_f16_e32 v23, v18, v17
	v_mad_i64_i32 v[17:18], null, v14, s8, 0
	v_min3_f16 v20, v20, v21, v22
	v_min3_f16 v14, v23, v19, v20
	v_max_f32_e32 v19, v15, v15
	v_cvt_f32_f16_e32 v20, v14
	v_lshlrev_b64 v[14:15], 1, v[17:18]
	v_min_f32_e32 v17, v19, v20
	v_add_co_u32 v14, vcc_lo, s2, v14
	v_add_co_ci_u32_e64 v15, null, s3, v15, vcc_lo
	v_cvt_f16_f32_e32 v19, v17
	v_add_co_u32 v17, vcc_lo, v14, v36
	v_add_co_ci_u32_e64 v18, null, v15, v37, vcc_lo
	s_and_b32 vcc_lo, exec_lo, s1
	flat_store_short v[17:18], v19
	s_cbranch_vccnz .LBB215_120
; %bb.119:
	v_add_co_u32 v16, vcc_lo, v12, v42
	v_add_co_ci_u32_e64 v17, null, v13, v43, vcc_lo
	flat_load_ushort v16, v[16:17]
	s_waitcnt vmcnt(0) lgkmcnt(0)
	v_mul_f16_e32 v16, s7, v16
	v_cvt_f32_f16_e32 v16, v16
.LBB215_120:
	v_pk_add_f16 v17, v0, v8
	v_pk_add_f16 v18, v1, v9
	v_max_f16_e32 v19, v66, v66
	v_lshrrev_b32_e32 v20, 16, v66
	v_max_f32_e32 v16, v16, v16
	v_lshrrev_b32_e32 v21, 16, v17
	v_lshrrev_b32_e32 v22, 16, v18
	v_min_f16_e32 v17, v19, v17
	v_min3_f16 v19, v20, v21, v22
	v_min3_f16 v17, v17, v18, v19
	v_add_co_u32 v18, vcc_lo, v14, v42
	v_add_co_ci_u32_e64 v19, null, v15, v43, vcc_lo
	v_cvt_f32_f16_e32 v17, v17
	s_and_b32 vcc_lo, exec_lo, s1
	v_min_f32_e32 v16, v16, v17
	v_mov_b32_e32 v17, 0
	v_cvt_f16_f32_e32 v20, v16
	v_mov_b32_e32 v16, 0
	flat_store_short v[18:19], v20
	s_cbranch_vccnz .LBB215_122
; %bb.121:
	v_add_co_u32 v17, vcc_lo, v12, v40
	v_add_co_ci_u32_e64 v18, null, v13, v41, vcc_lo
	flat_load_ushort v17, v[17:18]
	s_waitcnt vmcnt(0) lgkmcnt(0)
	v_mul_f16_e32 v17, s7, v17
	v_cvt_f32_f16_e32 v17, v17
.LBB215_122:
	v_pk_add_f16 v18, v2, v8
	v_pk_add_f16 v19, v3, v9
	v_max_f16_e32 v20, v65, v65
	v_lshrrev_b32_e32 v21, 16, v65
	v_max_f32_e32 v17, v17, v17
	v_lshrrev_b32_e32 v22, 16, v18
	v_lshrrev_b32_e32 v23, 16, v19
	v_min_f16_e32 v18, v20, v18
	v_min3_f16 v20, v21, v22, v23
	v_min3_f16 v18, v18, v19, v20
	v_cvt_f32_f16_e32 v18, v18
	v_min_f32_e32 v17, v17, v18
	v_cvt_f16_f32_e32 v19, v17
	v_add_co_u32 v17, vcc_lo, v14, v40
	v_add_co_ci_u32_e64 v18, null, v15, v41, vcc_lo
	s_and_b32 vcc_lo, exec_lo, s1
	flat_store_short v[17:18], v19
	s_cbranch_vccnz .LBB215_124
; %bb.123:
	v_add_co_u32 v12, vcc_lo, v12, v44
	v_add_co_ci_u32_e64 v13, null, v13, v45, vcc_lo
	flat_load_ushort v12, v[12:13]
	s_waitcnt vmcnt(0) lgkmcnt(0)
	v_mul_f16_e32 v12, s7, v12
	v_cvt_f32_f16_e32 v16, v12
.LBB215_124:
	v_pk_add_f16 v8, v32, v8
	v_pk_add_f16 v13, v33, v9
	v_max_f16_e32 v9, v64, v64
	v_lshrrev_b32_e32 v17, 16, v64
	v_add_nc_u32_e32 v12, 0x60, v75
	v_lshrrev_b32_e32 v18, 16, v8
	v_lshrrev_b32_e32 v19, 16, v13
	v_min_f16_e32 v20, v9, v8
	v_mad_i64_i32 v[8:9], null, v12, s6, 0
	v_min3_f16 v17, v17, v18, v19
	v_max_f32_e32 v18, v16, v16
	v_add_co_u32 v16, vcc_lo, v14, v44
	v_mov_b32_e32 v14, 0
	v_min3_f16 v13, v20, v13, v17
	v_lshlrev_b64 v[8:9], 1, v[8:9]
	v_add_co_ci_u32_e64 v17, null, v15, v45, vcc_lo
	v_cvt_f32_f16_e32 v13, v13
	v_add_co_u32 v8, vcc_lo, s12, v8
	v_add_co_ci_u32_e64 v9, null, s13, v9, vcc_lo
	v_min_f32_e32 v13, v18, v13
	s_and_b32 vcc_lo, exec_lo, s1
	v_cvt_f16_f32_e32 v15, v13
	v_mov_b32_e32 v13, 0
	flat_store_short v[16:17], v15
	s_cbranch_vccnz .LBB215_126
; %bb.125:
	v_add_co_u32 v15, vcc_lo, v8, v36
	v_add_co_ci_u32_e64 v16, null, v9, v37, vcc_lo
	flat_load_ushort v13, v[15:16]
	s_waitcnt vmcnt(0) lgkmcnt(0)
	v_mul_f16_e32 v13, s7, v13
	v_cvt_f32_f16_e32 v13, v13
.LBB215_126:
	v_pk_add_f16 v15, v38, v10
	v_pk_add_f16 v17, v39, v11
	v_max_f16_e32 v16, v63, v63
	v_lshrrev_b32_e32 v18, 16, v63
	v_lshrrev_b32_e32 v19, 16, v15
	;; [unrolled: 1-line block ×3, first 2 shown]
	v_min_f16_e32 v21, v16, v15
	v_mad_i64_i32 v[15:16], null, v12, s8, 0
	v_min3_f16 v18, v18, v19, v20
	v_min3_f16 v12, v21, v17, v18
	v_max_f32_e32 v17, v13, v13
	v_cvt_f32_f16_e32 v18, v12
	v_lshlrev_b64 v[12:13], 1, v[15:16]
	v_min_f32_e32 v15, v17, v18
	v_add_co_u32 v12, vcc_lo, s2, v12
	v_add_co_ci_u32_e64 v13, null, s3, v13, vcc_lo
	v_cvt_f16_f32_e32 v17, v15
	v_add_co_u32 v15, vcc_lo, v12, v36
	v_add_co_ci_u32_e64 v16, null, v13, v37, vcc_lo
	s_and_b32 vcc_lo, exec_lo, s1
	flat_store_short v[15:16], v17
	s_cbranch_vccnz .LBB215_128
; %bb.127:
	v_add_co_u32 v14, vcc_lo, v8, v42
	v_add_co_ci_u32_e64 v15, null, v9, v43, vcc_lo
	flat_load_ushort v14, v[14:15]
	s_waitcnt vmcnt(0) lgkmcnt(0)
	v_mul_f16_e32 v14, s7, v14
	v_cvt_f32_f16_e32 v14, v14
.LBB215_128:
	v_pk_add_f16 v15, v0, v10
	v_pk_add_f16 v16, v1, v11
	v_max_f16_e32 v17, v62, v62
	v_lshrrev_b32_e32 v18, 16, v62
	v_max_f32_e32 v14, v14, v14
	v_lshrrev_b32_e32 v19, 16, v15
	v_lshrrev_b32_e32 v20, 16, v16
	v_min_f16_e32 v15, v17, v15
	v_min3_f16 v17, v18, v19, v20
	v_min3_f16 v15, v15, v16, v17
	v_add_co_u32 v16, vcc_lo, v12, v42
	v_add_co_ci_u32_e64 v17, null, v13, v43, vcc_lo
	v_cvt_f32_f16_e32 v15, v15
	s_and_b32 vcc_lo, exec_lo, s1
	v_min_f32_e32 v14, v14, v15
	v_mov_b32_e32 v15, 0
	v_cvt_f16_f32_e32 v18, v14
	v_mov_b32_e32 v14, 0
	flat_store_short v[16:17], v18
	s_cbranch_vccnz .LBB215_130
; %bb.129:
	v_add_co_u32 v15, vcc_lo, v8, v40
	v_add_co_ci_u32_e64 v16, null, v9, v41, vcc_lo
	flat_load_ushort v15, v[15:16]
	s_waitcnt vmcnt(0) lgkmcnt(0)
	v_mul_f16_e32 v15, s7, v15
	v_cvt_f32_f16_e32 v15, v15
.LBB215_130:
	v_pk_add_f16 v16, v2, v10
	v_pk_add_f16 v17, v3, v11
	v_max_f16_e32 v18, v61, v61
	v_lshrrev_b32_e32 v19, 16, v61
	v_max_f32_e32 v15, v15, v15
	v_lshrrev_b32_e32 v20, 16, v16
	v_lshrrev_b32_e32 v21, 16, v17
	v_min_f16_e32 v16, v18, v16
	v_min3_f16 v18, v19, v20, v21
	v_min3_f16 v16, v16, v17, v18
	v_cvt_f32_f16_e32 v16, v16
	v_min_f32_e32 v15, v15, v16
	v_cvt_f16_f32_e32 v17, v15
	v_add_co_u32 v15, vcc_lo, v12, v40
	v_add_co_ci_u32_e64 v16, null, v13, v41, vcc_lo
	s_and_b32 vcc_lo, exec_lo, s1
	flat_store_short v[15:16], v17
	s_cbranch_vccnz .LBB215_132
; %bb.131:
	v_add_co_u32 v8, vcc_lo, v8, v44
	v_add_co_ci_u32_e64 v9, null, v9, v45, vcc_lo
	flat_load_ushort v8, v[8:9]
	s_waitcnt vmcnt(0) lgkmcnt(0)
	v_mul_f16_e32 v8, s7, v8
	v_cvt_f32_f16_e32 v14, v8
.LBB215_132:
	v_pk_add_f16 v8, v32, v10
	v_pk_add_f16 v11, v33, v11
	v_max_f16_e32 v9, v60, v60
	v_lshrrev_b32_e32 v15, 16, v60
	v_add_nc_u32_e32 v10, 0x68, v75
	v_lshrrev_b32_e32 v16, 16, v8
	v_lshrrev_b32_e32 v17, 16, v11
	v_min_f16_e32 v18, v9, v8
	v_mad_i64_i32 v[8:9], null, v10, s6, 0
	v_min3_f16 v15, v15, v16, v17
	v_max_f32_e32 v16, v14, v14
	v_add_co_u32 v14, vcc_lo, v12, v44
	v_mov_b32_e32 v12, 0
	v_min3_f16 v11, v18, v11, v15
	v_lshlrev_b64 v[8:9], 1, v[8:9]
	v_add_co_ci_u32_e64 v15, null, v13, v45, vcc_lo
	v_cvt_f32_f16_e32 v11, v11
	v_add_co_u32 v8, vcc_lo, s12, v8
	v_add_co_ci_u32_e64 v9, null, s13, v9, vcc_lo
	v_min_f32_e32 v11, v16, v11
	s_and_b32 vcc_lo, exec_lo, s1
	v_cvt_f16_f32_e32 v13, v11
	v_mov_b32_e32 v11, 0
	flat_store_short v[14:15], v13
	s_cbranch_vccnz .LBB215_134
; %bb.133:
	v_add_co_u32 v13, vcc_lo, v8, v36
	v_add_co_ci_u32_e64 v14, null, v9, v37, vcc_lo
	flat_load_ushort v11, v[13:14]
	s_waitcnt vmcnt(0) lgkmcnt(0)
	v_mul_f16_e32 v11, s7, v11
	v_cvt_f32_f16_e32 v11, v11
.LBB215_134:
	v_pk_add_f16 v13, v38, v4
	v_pk_add_f16 v15, v39, v5
	v_max_f16_e32 v14, v59, v59
	v_lshrrev_b32_e32 v16, 16, v59
	v_lshrrev_b32_e32 v17, 16, v13
	;; [unrolled: 1-line block ×3, first 2 shown]
	v_min_f16_e32 v19, v14, v13
	v_mad_i64_i32 v[13:14], null, v10, s8, 0
	v_min3_f16 v16, v16, v17, v18
	v_min3_f16 v10, v19, v15, v16
	v_max_f32_e32 v15, v11, v11
	v_cvt_f32_f16_e32 v16, v10
	v_lshlrev_b64 v[10:11], 1, v[13:14]
	v_min_f32_e32 v13, v15, v16
	v_add_co_u32 v10, vcc_lo, s2, v10
	v_add_co_ci_u32_e64 v11, null, s3, v11, vcc_lo
	v_cvt_f16_f32_e32 v15, v13
	v_add_co_u32 v13, vcc_lo, v10, v36
	v_add_co_ci_u32_e64 v14, null, v11, v37, vcc_lo
	s_and_b32 vcc_lo, exec_lo, s1
	flat_store_short v[13:14], v15
	s_cbranch_vccnz .LBB215_136
; %bb.135:
	v_add_co_u32 v12, vcc_lo, v8, v42
	v_add_co_ci_u32_e64 v13, null, v9, v43, vcc_lo
	flat_load_ushort v12, v[12:13]
	s_waitcnt vmcnt(0) lgkmcnt(0)
	v_mul_f16_e32 v12, s7, v12
	v_cvt_f32_f16_e32 v12, v12
.LBB215_136:
	v_pk_add_f16 v13, v0, v4
	v_pk_add_f16 v14, v1, v5
	v_max_f16_e32 v15, v58, v58
	v_lshrrev_b32_e32 v16, 16, v58
	v_max_f32_e32 v12, v12, v12
	v_lshrrev_b32_e32 v17, 16, v13
	v_lshrrev_b32_e32 v18, 16, v14
	v_min_f16_e32 v13, v15, v13
	v_min3_f16 v15, v16, v17, v18
	v_min3_f16 v13, v13, v14, v15
	v_add_co_u32 v14, vcc_lo, v10, v42
	v_add_co_ci_u32_e64 v15, null, v11, v43, vcc_lo
	v_cvt_f32_f16_e32 v13, v13
	s_and_b32 vcc_lo, exec_lo, s1
	v_min_f32_e32 v12, v12, v13
	v_mov_b32_e32 v13, 0
	v_cvt_f16_f32_e32 v16, v12
	v_mov_b32_e32 v12, 0
	flat_store_short v[14:15], v16
	s_cbranch_vccnz .LBB215_138
; %bb.137:
	v_add_co_u32 v13, vcc_lo, v8, v40
	v_add_co_ci_u32_e64 v14, null, v9, v41, vcc_lo
	flat_load_ushort v13, v[13:14]
	s_waitcnt vmcnt(0) lgkmcnt(0)
	v_mul_f16_e32 v13, s7, v13
	v_cvt_f32_f16_e32 v13, v13
.LBB215_138:
	v_pk_add_f16 v14, v2, v4
	v_pk_add_f16 v15, v3, v5
	v_max_f16_e32 v16, v57, v57
	v_lshrrev_b32_e32 v17, 16, v57
	v_max_f32_e32 v13, v13, v13
	v_lshrrev_b32_e32 v18, 16, v14
	v_lshrrev_b32_e32 v19, 16, v15
	v_min_f16_e32 v14, v16, v14
	v_min3_f16 v16, v17, v18, v19
	v_min3_f16 v14, v14, v15, v16
	v_cvt_f32_f16_e32 v14, v14
	v_min_f32_e32 v13, v13, v14
	v_cvt_f16_f32_e32 v15, v13
	v_add_co_u32 v13, vcc_lo, v10, v40
	v_add_co_ci_u32_e64 v14, null, v11, v41, vcc_lo
	s_and_b32 vcc_lo, exec_lo, s1
	flat_store_short v[13:14], v15
	s_cbranch_vccnz .LBB215_140
; %bb.139:
	v_add_co_u32 v8, vcc_lo, v8, v44
	v_add_co_ci_u32_e64 v9, null, v9, v45, vcc_lo
	flat_load_ushort v8, v[8:9]
	s_waitcnt vmcnt(0) lgkmcnt(0)
	v_mul_f16_e32 v8, s7, v8
	v_cvt_f32_f16_e32 v12, v8
.LBB215_140:
	v_pk_add_f16 v4, v32, v4
	v_pk_add_f16 v9, v33, v5
	v_max_f16_e32 v5, v56, v56
	v_lshrrev_b32_e32 v13, 16, v56
	v_add_nc_u32_e32 v8, 0x70, v75
	v_lshrrev_b32_e32 v14, 16, v4
	v_lshrrev_b32_e32 v15, 16, v9
	v_min_f16_e32 v16, v5, v4
	v_mad_i64_i32 v[4:5], null, v8, s6, 0
	v_min3_f16 v13, v13, v14, v15
	v_max_f32_e32 v14, v12, v12
	v_add_co_u32 v12, vcc_lo, v10, v44
	v_mov_b32_e32 v10, 0
	v_min3_f16 v9, v16, v9, v13
	v_lshlrev_b64 v[4:5], 1, v[4:5]
	v_add_co_ci_u32_e64 v13, null, v11, v45, vcc_lo
	v_cvt_f32_f16_e32 v9, v9
	v_add_co_u32 v4, vcc_lo, s12, v4
	v_add_co_ci_u32_e64 v5, null, s13, v5, vcc_lo
	v_min_f32_e32 v9, v14, v9
	s_and_b32 vcc_lo, exec_lo, s1
	v_cvt_f16_f32_e32 v11, v9
	v_mov_b32_e32 v9, 0
	flat_store_short v[12:13], v11
	s_cbranch_vccnz .LBB215_142
; %bb.141:
	v_add_co_u32 v11, vcc_lo, v4, v36
	v_add_co_ci_u32_e64 v12, null, v5, v37, vcc_lo
	flat_load_ushort v9, v[11:12]
	s_waitcnt vmcnt(0) lgkmcnt(0)
	v_mul_f16_e32 v9, s7, v9
	v_cvt_f32_f16_e32 v9, v9
.LBB215_142:
	v_pk_add_f16 v11, v38, v6
	v_pk_add_f16 v13, v39, v7
	v_max_f16_e32 v12, v55, v55
	v_lshrrev_b32_e32 v14, 16, v55
	v_lshrrev_b32_e32 v15, 16, v11
	;; [unrolled: 1-line block ×3, first 2 shown]
	v_min_f16_e32 v17, v12, v11
	v_mad_i64_i32 v[11:12], null, v8, s8, 0
	v_min3_f16 v14, v14, v15, v16
	v_min3_f16 v8, v17, v13, v14
	v_max_f32_e32 v13, v9, v9
	v_cvt_f32_f16_e32 v14, v8
	v_lshlrev_b64 v[8:9], 1, v[11:12]
	v_min_f32_e32 v11, v13, v14
	v_add_co_u32 v8, vcc_lo, s2, v8
	v_add_co_ci_u32_e64 v9, null, s3, v9, vcc_lo
	v_cvt_f16_f32_e32 v13, v11
	v_add_co_u32 v11, vcc_lo, v8, v36
	v_add_co_ci_u32_e64 v12, null, v9, v37, vcc_lo
	s_and_b32 vcc_lo, exec_lo, s1
	flat_store_short v[11:12], v13
	s_cbranch_vccnz .LBB215_144
; %bb.143:
	v_add_co_u32 v10, vcc_lo, v4, v42
	v_add_co_ci_u32_e64 v11, null, v5, v43, vcc_lo
	flat_load_ushort v10, v[10:11]
	s_waitcnt vmcnt(0) lgkmcnt(0)
	v_mul_f16_e32 v10, s7, v10
	v_cvt_f32_f16_e32 v10, v10
.LBB215_144:
	v_pk_add_f16 v11, v0, v6
	v_pk_add_f16 v12, v1, v7
	v_max_f16_e32 v13, v54, v54
	v_lshrrev_b32_e32 v14, 16, v54
	v_max_f32_e32 v10, v10, v10
	v_lshrrev_b32_e32 v15, 16, v11
	v_lshrrev_b32_e32 v16, 16, v12
	v_min_f16_e32 v11, v13, v11
	v_min3_f16 v13, v14, v15, v16
	v_min3_f16 v11, v11, v12, v13
	v_add_co_u32 v12, vcc_lo, v8, v42
	v_add_co_ci_u32_e64 v13, null, v9, v43, vcc_lo
	v_cvt_f32_f16_e32 v11, v11
	s_and_b32 vcc_lo, exec_lo, s1
	v_min_f32_e32 v10, v10, v11
	v_mov_b32_e32 v11, 0
	v_cvt_f16_f32_e32 v14, v10
	v_mov_b32_e32 v10, 0
	flat_store_short v[12:13], v14
	s_cbranch_vccnz .LBB215_146
; %bb.145:
	v_add_co_u32 v11, vcc_lo, v4, v40
	v_add_co_ci_u32_e64 v12, null, v5, v41, vcc_lo
	flat_load_ushort v11, v[11:12]
	s_waitcnt vmcnt(0) lgkmcnt(0)
	v_mul_f16_e32 v11, s7, v11
	v_cvt_f32_f16_e32 v11, v11
.LBB215_146:
	v_pk_add_f16 v12, v2, v6
	v_pk_add_f16 v13, v3, v7
	v_max_f16_e32 v14, v53, v53
	v_lshrrev_b32_e32 v15, 16, v53
	v_max_f32_e32 v11, v11, v11
	v_lshrrev_b32_e32 v16, 16, v12
	v_lshrrev_b32_e32 v17, 16, v13
	v_min_f16_e32 v12, v14, v12
	v_min3_f16 v14, v15, v16, v17
	v_min3_f16 v12, v12, v13, v14
	v_cvt_f32_f16_e32 v12, v12
	v_min_f32_e32 v11, v11, v12
	v_cvt_f16_f32_e32 v13, v11
	v_add_co_u32 v11, vcc_lo, v8, v40
	v_add_co_ci_u32_e64 v12, null, v9, v41, vcc_lo
	s_and_b32 vcc_lo, exec_lo, s1
	flat_store_short v[11:12], v13
	s_cbranch_vccnz .LBB215_148
; %bb.147:
	v_add_co_u32 v4, vcc_lo, v4, v44
	v_add_co_ci_u32_e64 v5, null, v5, v45, vcc_lo
	flat_load_ushort v4, v[4:5]
	s_waitcnt vmcnt(0) lgkmcnt(0)
	v_mul_f16_e32 v4, s7, v4
	v_cvt_f32_f16_e32 v10, v4
.LBB215_148:
	v_pk_add_f16 v4, v32, v6
	v_pk_add_f16 v7, v33, v7
	v_max_f16_e32 v5, v52, v52
	v_lshrrev_b32_e32 v11, 16, v52
	v_add_nc_u32_e32 v6, 0x78, v75
	v_lshrrev_b32_e32 v12, 16, v4
	v_lshrrev_b32_e32 v13, 16, v7
	v_min_f16_e32 v14, v5, v4
	v_mad_i64_i32 v[4:5], null, v6, s6, 0
	v_min3_f16 v11, v11, v12, v13
	v_max_f32_e32 v12, v10, v10
	v_add_co_u32 v10, vcc_lo, v8, v44
	v_mov_b32_e32 v8, 0
	v_min3_f16 v7, v14, v7, v11
	v_lshlrev_b64 v[4:5], 1, v[4:5]
	v_add_co_ci_u32_e64 v11, null, v9, v45, vcc_lo
	v_cvt_f32_f16_e32 v7, v7
	v_add_co_u32 v4, vcc_lo, s12, v4
	v_add_co_ci_u32_e64 v5, null, s13, v5, vcc_lo
	v_min_f32_e32 v7, v12, v7
	s_and_b32 vcc_lo, exec_lo, s1
	v_cvt_f16_f32_e32 v9, v7
	v_mov_b32_e32 v7, 0
	flat_store_short v[10:11], v9
	s_cbranch_vccnz .LBB215_150
; %bb.149:
	v_add_co_u32 v9, vcc_lo, v4, v36
	v_add_co_ci_u32_e64 v10, null, v5, v37, vcc_lo
	flat_load_ushort v7, v[9:10]
	s_waitcnt vmcnt(0) lgkmcnt(0)
	v_mul_f16_e32 v7, s7, v7
	v_cvt_f32_f16_e32 v7, v7
.LBB215_150:
	v_pk_add_f16 v9, v38, v34
	v_pk_add_f16 v11, v39, v35
	v_max_f16_e32 v10, v51, v51
	v_lshrrev_b32_e32 v12, 16, v51
	v_lshrrev_b32_e32 v13, 16, v9
	;; [unrolled: 1-line block ×3, first 2 shown]
	v_min_f16_e32 v15, v10, v9
	v_mad_i64_i32 v[9:10], null, v6, s8, 0
	v_min3_f16 v12, v12, v13, v14
	v_min3_f16 v6, v15, v11, v12
	v_max_f32_e32 v11, v7, v7
	v_cvt_f32_f16_e32 v12, v6
	v_lshlrev_b64 v[6:7], 1, v[9:10]
	v_min_f32_e32 v9, v11, v12
	v_add_co_u32 v6, vcc_lo, s2, v6
	v_add_co_ci_u32_e64 v7, null, s3, v7, vcc_lo
	v_cvt_f16_f32_e32 v11, v9
	v_add_co_u32 v9, vcc_lo, v6, v36
	v_add_co_ci_u32_e64 v10, null, v7, v37, vcc_lo
	s_and_b32 vcc_lo, exec_lo, s1
	flat_store_short v[9:10], v11
	s_cbranch_vccnz .LBB215_152
; %bb.151:
	v_add_co_u32 v8, vcc_lo, v4, v42
	v_add_co_ci_u32_e64 v9, null, v5, v43, vcc_lo
	flat_load_ushort v8, v[8:9]
	s_waitcnt vmcnt(0) lgkmcnt(0)
	v_mul_f16_e32 v8, s7, v8
	v_cvt_f32_f16_e32 v8, v8
.LBB215_152:
	v_pk_add_f16 v0, v0, v34
	v_pk_add_f16 v1, v1, v35
	v_max_f16_e32 v9, v50, v50
	v_lshrrev_b32_e32 v10, 16, v50
	v_pk_add_f16 v3, v3, v35
	v_lshrrev_b32_e32 v11, 16, v0
	v_lshrrev_b32_e32 v12, 16, v1
	v_min_f16_e32 v0, v9, v0
	s_mov_b32 s1, -1
	v_min3_f16 v9, v10, v11, v12
	v_lshrrev_b32_e32 v10, 16, v49
	v_lshrrev_b32_e32 v12, 16, v3
	v_min3_f16 v0, v0, v1, v9
	v_pk_add_f16 v9, v2, v34
	v_max_f32_e32 v1, v8, v8
	v_max_f16_e32 v8, v49, v49
	v_cvt_f32_f16_e32 v0, v0
	v_lshrrev_b32_e32 v11, 16, v9
	v_min_f16_e32 v8, v8, v9
	v_min_f32_e32 v0, v1, v0
	v_min3_f16 v9, v10, v11, v12
	v_add_co_u32 v1, vcc_lo, v6, v42
	v_add_co_ci_u32_e64 v2, null, v7, v43, vcc_lo
	v_cvt_f16_f32_e32 v10, v0
	v_min3_f16 v0, v8, v3, v9
	s_mov_b32 vcc_lo, s0
	flat_store_short v[1:2], v10
	s_cbranch_vccz .LBB215_154
; %bb.153:
	v_cvt_f32_f16_e32 v1, v0
	s_mov_b32 s1, 0
	v_min_f32_e32 v1, 0, v1
	v_cvt_f16_f32_e32 v3, v1
	v_add_co_u32 v1, vcc_lo, v6, v40
	v_add_co_ci_u32_e64 v2, null, v7, v41, vcc_lo
	flat_store_short v[1:2], v3
.LBB215_154:
	v_mov_b32_e32 v1, 0
	s_andn2_b32 vcc_lo, exec_lo, s1
	s_cbranch_vccnz .LBB215_156
; %bb.155:
	v_add_co_u32 v1, vcc_lo, v4, v40
	v_add_co_ci_u32_e64 v2, null, v5, v41, vcc_lo
	flat_load_ushort v1, v[1:2]
	v_max_f16_e32 v2, v0, v0
	v_add_co_u32 v0, vcc_lo, v6, v40
	s_waitcnt vmcnt(0) lgkmcnt(0)
	v_mul_f16_e32 v3, s7, v1
	v_add_co_ci_u32_e64 v1, null, v7, v41, vcc_lo
	v_min_f16_e32 v8, v3, v2
	v_add_co_u32 v2, vcc_lo, v4, v44
	v_add_co_ci_u32_e64 v3, null, v5, v45, vcc_lo
	flat_store_short v[0:1], v8
	flat_load_ushort v0, v[2:3]
	s_waitcnt vmcnt(0) lgkmcnt(0)
	v_mul_f16_e32 v0, s7, v0
	v_cvt_f32_f16_e32 v1, v0
.LBB215_156:
	v_pk_add_f16 v0, v32, v34
	v_pk_add_f16 v2, v33, v35
	v_max_f16_e32 v3, v48, v48
	v_lshrrev_b32_e32 v4, 16, v48
	v_max_f32_e32 v1, v1, v1
	v_lshrrev_b32_e32 v5, 16, v0
	v_lshrrev_b32_e32 v8, 16, v2
	v_min_f16_e32 v0, v3, v0
	v_min3_f16 v3, v4, v5, v8
	v_min3_f16 v0, v0, v2, v3
	v_cvt_f32_f16_e32 v0, v0
	v_min_f32_e32 v0, v1, v0
	v_cvt_f16_f32_e32 v2, v0
	v_add_co_u32 v0, vcc_lo, v6, v44
	v_add_co_ci_u32_e64 v1, null, v7, v45, vcc_lo
	flat_store_short v[0:1], v2
	s_endpgm
	.section	.rodata,"a",@progbits
	.p2align	6, 0x0
	.amdhsa_kernel _ZN12_GLOBAL__N_120geam_min_plus_kernelIDF16_Dv2_DF16_S1_Li32ELi8ELi128ELi128ELi4ELi4ELi64ELi4ELi64ELc84ELc78ELb0ELb0ELb1EDF16_KPKDF16_KPDF16_EEviiiT16_PT17_ilS9_ilS7_S9_ilPT18_ili26rocblas_geam_ex_operation_
		.amdhsa_group_segment_fixed_size 4096
		.amdhsa_private_segment_fixed_size 0
		.amdhsa_kernarg_size 128
		.amdhsa_user_sgpr_count 6
		.amdhsa_user_sgpr_private_segment_buffer 1
		.amdhsa_user_sgpr_dispatch_ptr 0
		.amdhsa_user_sgpr_queue_ptr 0
		.amdhsa_user_sgpr_kernarg_segment_ptr 1
		.amdhsa_user_sgpr_dispatch_id 0
		.amdhsa_user_sgpr_flat_scratch_init 0
		.amdhsa_user_sgpr_private_segment_size 0
		.amdhsa_wavefront_size32 1
		.amdhsa_uses_dynamic_stack 0
		.amdhsa_system_sgpr_private_segment_wavefront_offset 0
		.amdhsa_system_sgpr_workgroup_id_x 1
		.amdhsa_system_sgpr_workgroup_id_y 0
		.amdhsa_system_sgpr_workgroup_id_z 1
		.amdhsa_system_sgpr_workgroup_info 0
		.amdhsa_system_vgpr_workitem_id 1
		.amdhsa_next_free_vgpr 168
		.amdhsa_next_free_sgpr 23
		.amdhsa_reserve_vcc 1
		.amdhsa_reserve_flat_scratch 1
		.amdhsa_float_round_mode_32 0
		.amdhsa_float_round_mode_16_64 0
		.amdhsa_float_denorm_mode_32 3
		.amdhsa_float_denorm_mode_16_64 3
		.amdhsa_dx10_clamp 1
		.amdhsa_ieee_mode 1
		.amdhsa_fp16_overflow 0
		.amdhsa_workgroup_processor_mode 1
		.amdhsa_memory_ordered 1
		.amdhsa_forward_progress 1
		.amdhsa_shared_vgpr_count 0
		.amdhsa_exception_fp_ieee_invalid_op 0
		.amdhsa_exception_fp_denorm_src 0
		.amdhsa_exception_fp_ieee_div_zero 0
		.amdhsa_exception_fp_ieee_overflow 0
		.amdhsa_exception_fp_ieee_underflow 0
		.amdhsa_exception_fp_ieee_inexact 0
		.amdhsa_exception_int_div_zero 0
	.end_amdhsa_kernel
	.section	.text._ZN12_GLOBAL__N_120geam_min_plus_kernelIDF16_Dv2_DF16_S1_Li32ELi8ELi128ELi128ELi4ELi4ELi64ELi4ELi64ELc84ELc78ELb0ELb0ELb1EDF16_KPKDF16_KPDF16_EEviiiT16_PT17_ilS9_ilS7_S9_ilPT18_ili26rocblas_geam_ex_operation_,"axG",@progbits,_ZN12_GLOBAL__N_120geam_min_plus_kernelIDF16_Dv2_DF16_S1_Li32ELi8ELi128ELi128ELi4ELi4ELi64ELi4ELi64ELc84ELc78ELb0ELb0ELb1EDF16_KPKDF16_KPDF16_EEviiiT16_PT17_ilS9_ilS7_S9_ilPT18_ili26rocblas_geam_ex_operation_,comdat
.Lfunc_end215:
	.size	_ZN12_GLOBAL__N_120geam_min_plus_kernelIDF16_Dv2_DF16_S1_Li32ELi8ELi128ELi128ELi4ELi4ELi64ELi4ELi64ELc84ELc78ELb0ELb0ELb1EDF16_KPKDF16_KPDF16_EEviiiT16_PT17_ilS9_ilS7_S9_ilPT18_ili26rocblas_geam_ex_operation_, .Lfunc_end215-_ZN12_GLOBAL__N_120geam_min_plus_kernelIDF16_Dv2_DF16_S1_Li32ELi8ELi128ELi128ELi4ELi4ELi64ELi4ELi64ELc84ELc78ELb0ELb0ELb1EDF16_KPKDF16_KPDF16_EEviiiT16_PT17_ilS9_ilS7_S9_ilPT18_ili26rocblas_geam_ex_operation_
                                        ; -- End function
	.set _ZN12_GLOBAL__N_120geam_min_plus_kernelIDF16_Dv2_DF16_S1_Li32ELi8ELi128ELi128ELi4ELi4ELi64ELi4ELi64ELc84ELc78ELb0ELb0ELb1EDF16_KPKDF16_KPDF16_EEviiiT16_PT17_ilS9_ilS7_S9_ilPT18_ili26rocblas_geam_ex_operation_.num_vgpr, 168
	.set _ZN12_GLOBAL__N_120geam_min_plus_kernelIDF16_Dv2_DF16_S1_Li32ELi8ELi128ELi128ELi4ELi4ELi64ELi4ELi64ELc84ELc78ELb0ELb0ELb1EDF16_KPKDF16_KPDF16_EEviiiT16_PT17_ilS9_ilS7_S9_ilPT18_ili26rocblas_geam_ex_operation_.num_agpr, 0
	.set _ZN12_GLOBAL__N_120geam_min_plus_kernelIDF16_Dv2_DF16_S1_Li32ELi8ELi128ELi128ELi4ELi4ELi64ELi4ELi64ELc84ELc78ELb0ELb0ELb1EDF16_KPKDF16_KPDF16_EEviiiT16_PT17_ilS9_ilS7_S9_ilPT18_ili26rocblas_geam_ex_operation_.numbered_sgpr, 23
	.set _ZN12_GLOBAL__N_120geam_min_plus_kernelIDF16_Dv2_DF16_S1_Li32ELi8ELi128ELi128ELi4ELi4ELi64ELi4ELi64ELc84ELc78ELb0ELb0ELb1EDF16_KPKDF16_KPDF16_EEviiiT16_PT17_ilS9_ilS7_S9_ilPT18_ili26rocblas_geam_ex_operation_.num_named_barrier, 0
	.set _ZN12_GLOBAL__N_120geam_min_plus_kernelIDF16_Dv2_DF16_S1_Li32ELi8ELi128ELi128ELi4ELi4ELi64ELi4ELi64ELc84ELc78ELb0ELb0ELb1EDF16_KPKDF16_KPDF16_EEviiiT16_PT17_ilS9_ilS7_S9_ilPT18_ili26rocblas_geam_ex_operation_.private_seg_size, 0
	.set _ZN12_GLOBAL__N_120geam_min_plus_kernelIDF16_Dv2_DF16_S1_Li32ELi8ELi128ELi128ELi4ELi4ELi64ELi4ELi64ELc84ELc78ELb0ELb0ELb1EDF16_KPKDF16_KPDF16_EEviiiT16_PT17_ilS9_ilS7_S9_ilPT18_ili26rocblas_geam_ex_operation_.uses_vcc, 1
	.set _ZN12_GLOBAL__N_120geam_min_plus_kernelIDF16_Dv2_DF16_S1_Li32ELi8ELi128ELi128ELi4ELi4ELi64ELi4ELi64ELc84ELc78ELb0ELb0ELb1EDF16_KPKDF16_KPDF16_EEviiiT16_PT17_ilS9_ilS7_S9_ilPT18_ili26rocblas_geam_ex_operation_.uses_flat_scratch, 1
	.set _ZN12_GLOBAL__N_120geam_min_plus_kernelIDF16_Dv2_DF16_S1_Li32ELi8ELi128ELi128ELi4ELi4ELi64ELi4ELi64ELc84ELc78ELb0ELb0ELb1EDF16_KPKDF16_KPDF16_EEviiiT16_PT17_ilS9_ilS7_S9_ilPT18_ili26rocblas_geam_ex_operation_.has_dyn_sized_stack, 0
	.set _ZN12_GLOBAL__N_120geam_min_plus_kernelIDF16_Dv2_DF16_S1_Li32ELi8ELi128ELi128ELi4ELi4ELi64ELi4ELi64ELc84ELc78ELb0ELb0ELb1EDF16_KPKDF16_KPDF16_EEviiiT16_PT17_ilS9_ilS7_S9_ilPT18_ili26rocblas_geam_ex_operation_.has_recursion, 0
	.set _ZN12_GLOBAL__N_120geam_min_plus_kernelIDF16_Dv2_DF16_S1_Li32ELi8ELi128ELi128ELi4ELi4ELi64ELi4ELi64ELc84ELc78ELb0ELb0ELb1EDF16_KPKDF16_KPDF16_EEviiiT16_PT17_ilS9_ilS7_S9_ilPT18_ili26rocblas_geam_ex_operation_.has_indirect_call, 0
	.section	.AMDGPU.csdata,"",@progbits
; Kernel info:
; codeLenInByte = 19944
; TotalNumSgprs: 25
; NumVgprs: 168
; ScratchSize: 0
; MemoryBound: 0
; FloatMode: 240
; IeeeMode: 1
; LDSByteSize: 4096 bytes/workgroup (compile time only)
; SGPRBlocks: 0
; VGPRBlocks: 20
; NumSGPRsForWavesPerEU: 25
; NumVGPRsForWavesPerEU: 168
; Occupancy: 5
; WaveLimiterHint : 1
; COMPUTE_PGM_RSRC2:SCRATCH_EN: 0
; COMPUTE_PGM_RSRC2:USER_SGPR: 6
; COMPUTE_PGM_RSRC2:TRAP_HANDLER: 0
; COMPUTE_PGM_RSRC2:TGID_X_EN: 1
; COMPUTE_PGM_RSRC2:TGID_Y_EN: 0
; COMPUTE_PGM_RSRC2:TGID_Z_EN: 1
; COMPUTE_PGM_RSRC2:TIDIG_COMP_CNT: 1
	.section	.text._ZN12_GLOBAL__N_120geam_min_plus_kernelIDF16_Dv2_DF16_S1_Li32ELi8ELi128ELi128ELi4ELi4ELi64ELi4ELi64ELc84ELc78ELb0ELb1ELb1EPKDF16_KS3_KPDF16_EEviiiT16_PT17_ilS9_ilS7_S9_ilPT18_ili26rocblas_geam_ex_operation_,"axG",@progbits,_ZN12_GLOBAL__N_120geam_min_plus_kernelIDF16_Dv2_DF16_S1_Li32ELi8ELi128ELi128ELi4ELi4ELi64ELi4ELi64ELc84ELc78ELb0ELb1ELb1EPKDF16_KS3_KPDF16_EEviiiT16_PT17_ilS9_ilS7_S9_ilPT18_ili26rocblas_geam_ex_operation_,comdat
	.globl	_ZN12_GLOBAL__N_120geam_min_plus_kernelIDF16_Dv2_DF16_S1_Li32ELi8ELi128ELi128ELi4ELi4ELi64ELi4ELi64ELc84ELc78ELb0ELb1ELb1EPKDF16_KS3_KPDF16_EEviiiT16_PT17_ilS9_ilS7_S9_ilPT18_ili26rocblas_geam_ex_operation_ ; -- Begin function _ZN12_GLOBAL__N_120geam_min_plus_kernelIDF16_Dv2_DF16_S1_Li32ELi8ELi128ELi128ELi4ELi4ELi64ELi4ELi64ELc84ELc78ELb0ELb1ELb1EPKDF16_KS3_KPDF16_EEviiiT16_PT17_ilS9_ilS7_S9_ilPT18_ili26rocblas_geam_ex_operation_
	.p2align	8
	.type	_ZN12_GLOBAL__N_120geam_min_plus_kernelIDF16_Dv2_DF16_S1_Li32ELi8ELi128ELi128ELi4ELi4ELi64ELi4ELi64ELc84ELc78ELb0ELb1ELb1EPKDF16_KS3_KPDF16_EEviiiT16_PT17_ilS9_ilS7_S9_ilPT18_ili26rocblas_geam_ex_operation_,@function
_ZN12_GLOBAL__N_120geam_min_plus_kernelIDF16_Dv2_DF16_S1_Li32ELi8ELi128ELi128ELi4ELi4ELi64ELi4ELi64ELc84ELc78ELb0ELb1ELb1EPKDF16_KS3_KPDF16_EEviiiT16_PT17_ilS9_ilS7_S9_ilPT18_ili26rocblas_geam_ex_operation_: ; @_ZN12_GLOBAL__N_120geam_min_plus_kernelIDF16_Dv2_DF16_S1_Li32ELi8ELi128ELi128ELi4ELi4ELi64ELi4ELi64ELc84ELc78ELb0ELb1ELb1EPKDF16_KS3_KPDF16_EEviiiT16_PT17_ilS9_ilS7_S9_ilPT18_ili26rocblas_geam_ex_operation_
; %bb.0:
	s_clause 0x1
	s_load_dwordx4 s[0:3], s[4:5], 0x10
	s_load_dwordx4 s[8:11], s[4:5], 0x40
	s_mov_b32 s22, s7
	s_mov_b32 s23, 0
	v_mov_b32_e32 v2, 0
	s_lshl_b64 s[18:19], s[22:23], 1
	s_clause 0x1
	s_load_dwordx4 s[12:15], s[4:5], 0x28
	s_load_dwordx2 s[16:17], s[4:5], 0x50
	s_mov_b64 s[20:21], 0
	s_waitcnt lgkmcnt(0)
	s_add_u32 s0, s0, s18
	s_addc_u32 s1, s1, s19
	global_load_ushort v97, v2, s[0:1]
	s_add_u32 s0, s10, s18
	s_addc_u32 s1, s11, s19
	s_mov_b64 s[18:19], 0
	global_load_ushort v53, v2, s[0:1]
	s_waitcnt vmcnt(1)
	v_cmp_eq_f16_e32 vcc_lo, 0, v97
	v_cmp_neq_f16_e64 s0, 0, v97
	s_cbranch_vccnz .LBB216_2
; %bb.1:
	s_lshl_b64 s[10:11], s[22:23], 3
	s_add_u32 s2, s2, s10
	s_addc_u32 s3, s3, s11
	s_lshl_b64 s[10:11], s[12:13], 1
	s_load_dwordx2 s[2:3], s[2:3], 0x0
	s_waitcnt lgkmcnt(0)
	s_add_u32 s20, s2, s10
	s_addc_u32 s21, s3, s11
.LBB216_2:
	s_andn2_b32 vcc_lo, exec_lo, s0
	s_cbranch_vccnz .LBB216_4
; %bb.3:
	s_lshl_b64 s[0:1], s[22:23], 3
	s_add_u32 s0, s14, s0
	s_addc_u32 s1, s15, s1
	s_lshl_b64 s[2:3], s[8:9], 1
	s_load_dwordx2 s[0:1], s[0:1], 0x0
	s_waitcnt lgkmcnt(0)
	s_add_u32 s18, s0, s2
	s_addc_u32 s19, s1, s3
.LBB216_4:
	s_load_dwordx4 s[8:11], s[4:5], 0x60
	s_waitcnt vmcnt(0)
	v_cmp_eq_f16_e32 vcc_lo, 0, v53
	v_cmp_neq_f16_e64 s1, 0, v53
	s_cbranch_vccnz .LBB216_6
; %bb.5:
	s_lshl_b64 s[2:3], s[22:23], 3
	s_add_u32 s2, s16, s2
	s_addc_u32 s3, s17, s3
	s_waitcnt lgkmcnt(0)
	s_lshl_b64 s[8:9], s[8:9], 1
	s_load_dwordx2 s[2:3], s[2:3], 0x0
	s_waitcnt lgkmcnt(0)
	s_add_u32 s16, s2, s8
	s_addc_u32 s17, s3, s9
	s_branch .LBB216_7
.LBB216_6:
	s_mov_b64 s[16:17], 0
.LBB216_7:
	s_load_dwordx4 s[12:15], s[4:5], 0x0
	s_lshl_b64 s[2:3], s[22:23], 3
	s_load_dword s23, s[4:5], 0x20
	s_waitcnt lgkmcnt(0)
	s_add_u32 s10, s10, s2
	s_addc_u32 s11, s11, s3
	v_and_b32_e32 v101, 3, v0
	v_lshl_add_u32 v3, v1, 5, v0
	v_cmp_eq_f16_e32 vcc_lo, 0, v97
	v_lshrrev_b32_e32 v10, 2, v3
	s_add_i32 s0, s12, -1
	s_ashr_i32 s2, s0, 31
	s_lshr_b32 s2, s2, 25
	s_add_i32 s0, s0, s2
	s_ashr_i32 s0, s0, 7
	s_add_i32 s2, s0, 1
	s_not_b32 s0, s0
	v_cvt_f32_u32_e32 v2, s2
	v_rcp_iflag_f32_e32 v2, v2
	v_mul_f32_e32 v2, 0x4f7ffffe, v2
	v_cvt_u32_f32_e32 v2, v2
	v_readfirstlane_b32 s3, v2
	s_mul_i32 s0, s0, s3
	s_mul_hi_u32 s0, s3, s0
	s_add_i32 s3, s3, s0
	s_mul_hi_u32 s0, s6, s3
	s_mul_i32 s3, s0, s2
	s_add_i32 s7, s0, 1
	s_sub_i32 s3, s6, s3
	s_sub_i32 s8, s3, s2
	s_cmp_ge_u32 s3, s2
	s_cselect_b32 s0, s7, s0
	s_cselect_b32 s3, s8, s3
	s_add_i32 s7, s0, 1
	s_cmp_ge_u32 s3, s2
	s_cselect_b32 s8, s7, s0
	s_add_i32 s22, s14, -1
	s_mul_i32 s0, s8, s2
	v_min_i32_e32 v2, s22, v101
	s_sub_i32 s0, s6, s0
	v_cmp_le_i32_e64 s7, s14, v101
	s_lshl_b32 s9, s0, 7
	v_ashrrev_i32_e32 v3, 31, v2
	v_add_nc_u32_e32 v4, s9, v10
	v_lshlrev_b64 v[2:3], 1, v[2:3]
	v_cmp_le_i32_e64 s0, s12, v4
	v_add_co_u32 v6, s2, s20, v2
	v_add_co_ci_u32_e64 v7, null, s21, v3, s2
	s_or_b32 s2, s7, s0
	v_cndmask_b32_e64 v11, 0, 0x7c00, s2
	s_nor_b32 s2, vcc_lo, s2
	s_and_saveexec_b32 s3, s2
	s_cbranch_execz .LBB216_9
; %bb.8:
	v_mad_i64_i32 v[8:9], null, v4, s23, 0
	v_lshlrev_b64 v[8:9], 1, v[8:9]
	v_add_co_u32 v8, s2, v6, v8
	v_add_co_ci_u32_e64 v9, null, v7, v9, s2
	flat_load_ushort v5, v[8:9]
	s_waitcnt vmcnt(0) lgkmcnt(0)
	v_mul_f16_e32 v11, v97, v5
.LBB216_9:
	s_or_b32 exec_lo, exec_lo, s3
	v_add_nc_u32_e32 v5, 64, v4
	v_cmp_le_i32_e64 s2, s12, v5
	s_or_b32 s3, s7, s2
	v_cndmask_b32_e64 v12, 0, 0x7c00, s3
	s_nor_b32 s3, vcc_lo, s3
	s_and_saveexec_b32 s6, s3
	s_cbranch_execz .LBB216_11
; %bb.10:
	v_mad_i64_i32 v[8:9], null, v5, s23, 0
	v_lshlrev_b64 v[8:9], 1, v[8:9]
	v_add_co_u32 v6, s3, v6, v8
	v_add_co_ci_u32_e64 v7, null, v7, v9, s3
	flat_load_ushort v6, v[6:7]
	s_waitcnt vmcnt(0) lgkmcnt(0)
	v_mul_f16_e32 v12, v97, v6
.LBB216_11:
	s_or_b32 exec_lo, exec_lo, s6
	s_load_dword s24, s[4:5], 0x38
	s_lshl_b32 s15, s8, 7
	v_add_co_u32 v2, s6, s18, v2
	v_add_nc_u32_e32 v6, s15, v10
	v_add_co_ci_u32_e64 v3, null, s19, v3, s6
	v_cmp_le_i32_e64 s3, s13, v6
	s_or_b32 s6, s7, s3
	v_cndmask_b32_e64 v13, 0, 0x7c00, s6
	s_nor_b32 s6, vcc_lo, s6
	s_and_saveexec_b32 s8, s6
	s_cbranch_execz .LBB216_13
; %bb.12:
	s_waitcnt lgkmcnt(0)
	v_mad_i64_i32 v[7:8], null, v6, s24, 0
	v_lshlrev_b64 v[7:8], 1, v[7:8]
	v_add_co_u32 v7, s6, v2, v7
	v_add_co_ci_u32_e64 v8, null, v3, v8, s6
	flat_load_ushort v7, v[7:8]
	s_waitcnt vmcnt(0) lgkmcnt(0)
	v_mul_f16_e32 v13, v97, v7
.LBB216_13:
	s_or_b32 exec_lo, exec_lo, s8
	v_add_nc_u32_e32 v7, 64, v6
	v_cmp_le_i32_e64 s6, s13, v7
	s_or_b32 s7, s7, s6
	v_cndmask_b32_e64 v14, 0, 0x7c00, s7
	s_nor_b32 s7, vcc_lo, s7
	s_and_saveexec_b32 s8, s7
	s_cbranch_execz .LBB216_15
; %bb.14:
	s_waitcnt lgkmcnt(0)
	v_mad_i64_i32 v[8:9], null, v7, s24, 0
	v_lshlrev_b64 v[8:9], 1, v[8:9]
	v_add_co_u32 v2, s7, v2, v8
	v_add_co_ci_u32_e64 v3, null, v3, v9, s7
	flat_load_ushort v2, v[2:3]
	s_waitcnt vmcnt(0) lgkmcnt(0)
	v_mul_f16_e32 v14, v97, v2
.LBB216_15:
	s_or_b32 exec_lo, exec_lo, s8
	v_or_b32_e32 v8, 4, v101
	v_min_i32_e32 v2, s22, v8
	v_cmp_le_i32_e64 s7, s14, v8
	v_ashrrev_i32_e32 v3, 31, v2
	v_lshlrev_b64 v[2:3], 1, v[2:3]
	v_add_co_u32 v15, s8, s20, v2
	v_add_co_ci_u32_e64 v16, null, s21, v3, s8
	s_or_b32 s8, s7, s0
	v_cndmask_b32_e64 v8, 0, 0x7c00, s8
	s_nor_b32 s8, vcc_lo, s8
	s_and_saveexec_b32 s25, s8
	s_cbranch_execz .LBB216_17
; %bb.16:
	v_mad_i64_i32 v[8:9], null, v4, s23, 0
	v_lshlrev_b64 v[8:9], 1, v[8:9]
	v_add_co_u32 v8, s8, v15, v8
	v_add_co_ci_u32_e64 v9, null, v16, v9, s8
	flat_load_ushort v8, v[8:9]
	s_waitcnt vmcnt(0) lgkmcnt(0)
	v_mul_f16_e32 v8, v97, v8
.LBB216_17:
	s_or_b32 exec_lo, exec_lo, s25
	s_or_b32 s8, s7, s2
	v_cndmask_b32_e64 v9, 0, 0x7c00, s8
	s_nor_b32 s8, vcc_lo, s8
	s_and_saveexec_b32 s25, s8
	s_cbranch_execz .LBB216_19
; %bb.18:
	v_mad_i64_i32 v[17:18], null, v5, s23, 0
	v_lshlrev_b64 v[17:18], 1, v[17:18]
	v_add_co_u32 v15, s8, v15, v17
	v_add_co_ci_u32_e64 v16, null, v16, v18, s8
	flat_load_ushort v9, v[15:16]
	s_waitcnt vmcnt(0) lgkmcnt(0)
	v_mul_f16_e32 v9, v97, v9
.LBB216_19:
	s_or_b32 exec_lo, exec_lo, s25
	v_add_co_u32 v15, s8, s18, v2
	v_add_co_ci_u32_e64 v16, null, s19, v3, s8
	s_or_b32 s8, s7, s3
	v_cndmask_b32_e64 v2, 0, 0x7c00, s8
	s_nor_b32 s8, vcc_lo, s8
	s_and_saveexec_b32 s25, s8
	s_cbranch_execz .LBB216_21
; %bb.20:
	s_waitcnt lgkmcnt(0)
	v_mad_i64_i32 v[2:3], null, v6, s24, 0
	v_lshlrev_b64 v[2:3], 1, v[2:3]
	v_add_co_u32 v2, s8, v15, v2
	v_add_co_ci_u32_e64 v3, null, v16, v3, s8
	flat_load_ushort v2, v[2:3]
	s_waitcnt vmcnt(0) lgkmcnt(0)
	v_mul_f16_e32 v2, v97, v2
.LBB216_21:
	s_or_b32 exec_lo, exec_lo, s25
	s_or_b32 s7, s7, s6
	v_cndmask_b32_e64 v3, 0, 0x7c00, s7
	s_nor_b32 s7, vcc_lo, s7
	s_and_saveexec_b32 s8, s7
	s_cbranch_execz .LBB216_23
; %bb.22:
	s_waitcnt lgkmcnt(0)
	v_mad_i64_i32 v[17:18], null, v7, s24, 0
	v_lshlrev_b64 v[17:18], 1, v[17:18]
	v_add_co_u32 v15, s7, v15, v17
	v_add_co_ci_u32_e64 v16, null, v16, v18, s7
	flat_load_ushort v3, v[15:16]
	s_waitcnt vmcnt(0) lgkmcnt(0)
	v_mul_f16_e32 v3, v97, v3
.LBB216_23:
	s_or_b32 exec_lo, exec_lo, s8
	v_lshlrev_b32_e32 v10, 3, v10
	v_lshlrev_b32_e32 v102, 3, v1
	;; [unrolled: 1-line block ×3, first 2 shown]
	s_load_dwordx2 s[10:11], s[10:11], 0x0
	s_cmp_lt_i32 s14, 9
	v_lshl_or_b32 v108, v101, 1, v10
	v_add_nc_u32_e32 v30, 0x800, v102
	ds_write_b16 v108, v11
	ds_write_b16 v108, v12 offset:512
	ds_write_b16 v108, v13 offset:2048
	;; [unrolled: 1-line block ×3, first 2 shown]
	s_waitcnt lgkmcnt(0)
	s_barrier
	buffer_gl0_inv
	ds_read2_b64 v[10:13], v103 offset1:32
	ds_read2_b64 v[14:17], v30 offset1:8
	ds_read2_b64 v[18:21], v103 offset0:64 offset1:96
	ds_read2_b64 v[22:25], v30 offset0:16 offset1:24
	;; [unrolled: 1-line block ×3, first 2 shown]
	s_waitcnt lgkmcnt(3)
	v_pk_add_f16 v31, v10, v14
	v_pk_add_f16 v32, v12, v14
	s_waitcnt lgkmcnt(2)
	v_pk_add_f16 v33, v18, v14
	v_pk_add_f16 v34, v20, v14
	;; [unrolled: 1-line block ×6, first 2 shown]
	s_waitcnt lgkmcnt(1)
	v_pk_add_f16 v39, v10, v22
	v_pk_add_f16 v40, v12, v22
	;; [unrolled: 1-line block ×20, first 2 shown]
	ds_read2_b64 v[14:17], v30 offset0:48 offset1:56
	v_pk_add_f16 v62, v11, v25
	v_pk_add_f16 v63, v13, v25
	;; [unrolled: 1-line block ×4, first 2 shown]
	ds_read2_b64 v[22:25], v30 offset0:64 offset1:72
	s_waitcnt lgkmcnt(2)
	v_pk_add_f16 v47, v10, v26
	v_pk_add_f16 v48, v12, v26
	v_pk_add_f16 v66, v18, v26
	v_pk_add_f16 v67, v20, v26
	v_pk_add_f16 v68, v10, v28
	v_pk_add_f16 v69, v12, v28
	v_pk_add_f16 v70, v18, v28
	v_pk_add_f16 v71, v20, v28
	v_pk_add_f16 v72, v11, v27
	v_pk_add_f16 v73, v13, v27
	v_pk_add_f16 v74, v19, v27
	v_pk_add_f16 v75, v21, v27
	v_pk_add_f16 v76, v11, v29
	v_pk_add_f16 v77, v13, v29
	v_pk_add_f16 v78, v19, v29
	v_pk_add_f16 v79, v21, v29
	s_waitcnt lgkmcnt(1)
	v_pk_add_f16 v80, v10, v14
	v_pk_add_f16 v81, v12, v14
	;; [unrolled: 1-line block ×14, first 2 shown]
	ds_read2_b64 v[26:29], v30 offset0:80 offset1:88
	v_pk_add_f16 v124, v19, v17
	v_pk_add_f16 v125, v21, v17
	s_waitcnt lgkmcnt(1)
	v_pk_add_f16 v126, v10, v22
	v_pk_add_f16 v129, v12, v22
	;; [unrolled: 1-line block ×14, first 2 shown]
	ds_read2_b64 v[14:17], v30 offset0:96 offset1:104
	v_pk_add_f16 v142, v19, v25
	v_pk_add_f16 v143, v21, v25
	ds_read2_b64 v[22:25], v30 offset0:112 offset1:120
	s_waitcnt lgkmcnt(2)
	v_pk_add_f16 v144, v10, v26
	v_pk_add_f16 v145, v12, v26
	v_pk_add_f16 v146, v18, v26
	v_pk_add_f16 v26, v20, v26
	v_pk_add_f16 v147, v10, v28
	v_pk_add_f16 v148, v12, v28
	v_pk_add_f16 v149, v18, v28
	v_pk_add_f16 v28, v20, v28
	v_pk_add_f16 v150, v11, v27
	v_pk_add_f16 v151, v13, v27
	v_pk_add_f16 v152, v19, v27
	v_pk_add_f16 v27, v21, v27
	v_pk_add_f16 v153, v11, v29
	v_pk_add_f16 v30, v13, v29
	v_pk_add_f16 v154, v19, v29
	v_pk_add_f16 v29, v21, v29
	s_waitcnt lgkmcnt(1)
	v_pk_add_f16 v155, v10, v14
	v_pk_add_f16 v156, v12, v14
	v_pk_add_f16 v157, v18, v14
	v_pk_add_f16 v14, v20, v14
	v_pk_add_f16 v158, v10, v16
	v_pk_add_f16 v159, v12, v16
	v_pk_add_f16 v160, v18, v16
	v_pk_add_f16 v16, v20, v16
	v_pk_add_f16 v161, v11, v15
	v_pk_add_f16 v162, v13, v15
	v_pk_add_f16 v163, v19, v15
	v_pk_add_f16 v15, v21, v15
	v_pk_add_f16 v164, v11, v17
	v_pk_add_f16 v165, v13, v17
	v_pk_add_f16 v166, v19, v17
	v_pk_add_f16 v17, v21, v17
	;; [unrolled: 17-line block ×3, first 2 shown]
	v_pk_min_f16 v25, 0x7c00, v35 op_sel_hi:[0,1]
	v_pk_min_f16 v31, 0x7c00, v31 op_sel_hi:[0,1]
	;; [unrolled: 1-line block ×5, first 2 shown]
	v_pk_min_f16 v118, v25, v54
	v_pk_min_f16 v25, 0x7c00, v40 op_sel_hi:[0,1]
	v_pk_min_f16 v128, v31, v49
	v_pk_min_f16 v31, 0x7c00, v36 op_sel_hi:[0,1]
	v_pk_min_f16 v127, v32, v50
	v_pk_min_f16 v120, v33, v51
	;; [unrolled: 1-line block ×3, first 2 shown]
	v_pk_min_f16 v25, 0x7c00, v45 op_sel_hi:[0,1]
	v_pk_min_f16 v32, 0x7c00, v37 op_sel_hi:[0,1]
	;; [unrolled: 1-line block ×3, first 2 shown]
	v_pk_min_f16 v117, v31, v55
	v_pk_min_f16 v31, 0x7c00, v41 op_sel_hi:[0,1]
	v_pk_min_f16 v107, v25, v64
	v_pk_min_f16 v25, 0x7c00, v67 op_sel_hi:[0,1]
	v_pk_min_f16 v119, v34, v52
	v_pk_min_f16 v34, 0x7c00, v39 op_sel_hi:[0,1]
	v_pk_min_f16 v116, v32, v56
	v_pk_min_f16 v115, v33, v57
	v_pk_min_f16 v32, 0x7c00, v42 op_sel_hi:[0,1]
	v_pk_min_f16 v33, 0x7c00, v43 op_sel_hi:[0,1]
	v_pk_min_f16 v112, v31, v60
	v_pk_min_f16 v31, 0x7c00, v46 op_sel_hi:[0,1]
	v_pk_min_f16 v99, v25, v75
	v_pk_min_f16 v25, 0x7c00, v80 op_sel_hi:[0,1]
	v_pk_min_f16 v114, v34, v58
	v_pk_min_f16 v34, 0x7c00, v44 op_sel_hi:[0,1]
	v_pk_min_f16 v111, v32, v61
	v_pk_min_f16 v110, v33, v62
	v_pk_min_f16 v32, 0x7c00, v47 op_sel_hi:[0,1]
	v_pk_min_f16 v33, 0x7c00, v48 op_sel_hi:[0,1]
	;; [unrolled: 10-line block ×4, first 2 shown]
	v_pk_min_f16 v92, v31, v89
	v_pk_min_f16 v31, 0x7c00, v86 op_sel_hi:[0,1]
	v_pk_min_f16 v83, v25, v138
	v_pk_min_f16 v25, 0x7c00, v135 op_sel_hi:[0,1]
	v_pk_min_f16 v26, 0x7c00, v26 op_sel_hi:[0,1]
	v_pk_min_f16 v94, v34, v79
	v_pk_min_f16 v34, 0x7c00, v84 op_sel_hi:[0,1]
	v_pk_min_f16 v91, v32, v90
	v_pk_min_f16 v90, v33, v121
	v_pk_min_f16 v32, 0x7c00, v87 op_sel_hi:[0,1]
	v_pk_min_f16 v33, 0x7c00, v126 op_sel_hi:[0,1]
	v_pk_min_f16 v87, v31, v124
	v_pk_min_f16 v31, 0x7c00, v131 op_sel_hi:[0,1]
	v_pk_min_f16 v78, v25, v143
	v_pk_min_f16 v74, v26, v27
	v_pk_min_f16 v25, 0x7c00, v147 op_sel_hi:[0,1]
	v_pk_min_f16 v26, 0x7c00, v148 op_sel_hi:[0,1]
	;; [unrolled: 1-line block ×3, first 2 shown]
	v_pk_min_f16 v89, v34, v122
	v_pk_min_f16 v34, 0x7c00, v129 op_sel_hi:[0,1]
	v_pk_min_f16 v86, v32, v125
	v_pk_min_f16 v85, v33, v136
	v_pk_min_f16 v32, 0x7c00, v132 op_sel_hi:[0,1]
	v_pk_min_f16 v33, 0x7c00, v133 op_sel_hi:[0,1]
	v_pk_min_f16 v82, v31, v139
	v_pk_min_f16 v31, 0x7c00, v144 op_sel_hi:[0,1]
	v_pk_min_f16 v27, 0x7c00, v149 op_sel_hi:[0,1]
	;; [unrolled: 1-line block ×3, first 2 shown]
	v_pk_min_f16 v73, v25, v153
	v_pk_min_f16 v72, v26, v30
	v_pk_min_f16 v25, 0x7c00, v156 op_sel_hi:[0,1]
	v_pk_min_f16 v26, 0x7c00, v157 op_sel_hi:[0,1]
	v_pk_min_f16 v66, v14, v15
	v_pk_min_f16 v14, 0x7c00, v160 op_sel_hi:[0,1]
	v_pk_min_f16 v15, 0x7c00, v16 op_sel_hi:[0,1]
	;; [unrolled: 1-line block ×3, first 2 shown]
	v_pk_min_f16 v84, v34, v137
	v_pk_min_f16 v34, 0x7c00, v134 op_sel_hi:[0,1]
	v_pk_min_f16 v81, v32, v140
	v_pk_min_f16 v80, v33, v141
	v_pk_min_f16 v32, 0x7c00, v145 op_sel_hi:[0,1]
	v_pk_min_f16 v33, 0x7c00, v146 op_sel_hi:[0,1]
	v_pk_min_f16 v77, v31, v150
	v_pk_min_f16 v31, 0x7c00, v155 op_sel_hi:[0,1]
	v_pk_min_f16 v71, v27, v154
	v_pk_min_f16 v70, v28, v29
	v_pk_min_f16 v27, 0x7c00, v158 op_sel_hi:[0,1]
	v_pk_min_f16 v28, 0x7c00, v159 op_sel_hi:[0,1]
	v_pk_min_f16 v68, v25, v162
	v_pk_min_f16 v67, v26, v163
	v_pk_min_f16 v25, 0x7c00, v168 op_sel_hi:[0,1]
	v_pk_min_f16 v26, 0x7c00, v171 op_sel_hi:[0,1]
	v_pk_min_f16 v63, v14, v166
	v_pk_min_f16 v62, v15, v17
	;; [unrolled: 1-line block ×3, first 2 shown]
	v_pk_min_f16 v14, 0x7c00, v22 op_sel_hi:[0,1]
	v_pk_min_f16 v10, 0x7c00, v10 op_sel_hi:[0,1]
	;; [unrolled: 1-line block ×5, first 2 shown]
	v_pk_min_f16 v79, v34, v142
	v_pk_min_f16 v76, v32, v151
	;; [unrolled: 1-line block ×13, first 2 shown]
	ds_write_b16 v108, v8 offset:1024
	ds_write_b16 v108, v9 offset:1536
	;; [unrolled: 1-line block ×4, first 2 shown]
	s_waitcnt lgkmcnt(0)
	s_barrier
	buffer_gl0_inv
	s_cbranch_scc1 .LBB216_42
; %bb.24:
	v_mad_i64_i32 v[2:3], null, v4, s23, 0
	v_mad_i64_i32 v[4:5], null, v5, s23, 0
	;; [unrolled: 1-line block ×4, first 2 shown]
	v_lshlrev_b64 v[45:46], 1, v[2:3]
	v_add_nc_u32_e32 v121, 0x800, v108
	v_lshlrev_b64 v[47:48], 1, v[4:5]
	v_or_b32_e32 v122, 0x800, v102
	v_lshlrev_b64 v[49:50], 1, v[8:9]
	v_add_nc_u32_e32 v123, 0x400, v108
	v_lshlrev_b64 v[51:52], 1, v[6:7]
	v_add_nc_u32_e32 v124, 0xc00, v108
	v_lshl_add_u32 v125, v0, 3, 0x400
	v_lshl_add_u32 v126, v1, 3, 0xc00
	s_add_i32 s23, s14, -8
	s_mov_b32 s24, 0
	s_branch .LBB216_26
.LBB216_25:                             ;   in Loop: Header=BB216_26 Depth=1
	s_or_b32 exec_lo, exec_lo, s8
	v_pk_add_f16 v6, v9, v41
	v_pk_max_f16 v7, v128, v128
	v_pk_add_f16 v8, v11, v41
	v_pk_max_f16 v127, v127, v127
	;; [unrolled: 2-line block ×3, first 2 shown]
	v_pk_min_f16 v6, v7, v6
	v_pk_add_f16 v41, v15, v41
	v_pk_min_f16 v7, v127, v8
	v_pk_max_f16 v119, v119, v119
	v_pk_min_f16 v8, v120, v128
	v_pk_add_f16 v120, v9, v43
	v_pk_max_f16 v118, v118, v118
	v_pk_add_f16 v127, v11, v43
	v_pk_add_f16 v128, v13, v43
	;; [unrolled: 1-line block ×3, first 2 shown]
	v_pk_max_f16 v115, v115, v115
	v_pk_max_f16 v117, v117, v117
	v_pk_min_f16 v41, v119, v41
	v_pk_min_f16 v118, v118, v120
	v_pk_max_f16 v114, v114, v114
	v_pk_min_f16 v43, v115, v43
	v_pk_add_f16 v115, v9, v37
	v_pk_add_f16 v119, v11, v37
	;; [unrolled: 1-line block ×4, first 2 shown]
	v_pk_max_f16 v111, v111, v111
	v_pk_min_f16 v117, v117, v127
	v_pk_max_f16 v113, v113, v113
	v_pk_max_f16 v112, v112, v112
	v_pk_add_f16 v127, v9, v39
	v_pk_min_f16 v114, v114, v115
	v_pk_min_f16 v37, v111, v37
	v_pk_add_f16 v111, v11, v39
	v_pk_max_f16 v109, v109, v109
	v_pk_add_f16 v115, v13, v39
	v_pk_add_f16 v39, v15, v39
	v_pk_max_f16 v106, v106, v106
	v_pk_min_f16 v113, v113, v119
	v_pk_min_f16 v112, v112, v120
	v_pk_max_f16 v107, v107, v107
	v_pk_add_f16 v119, v9, v33
	v_pk_max_f16 v105, v105, v105
	v_pk_add_f16 v120, v11, v33
	v_pk_min_f16 v109, v109, v111
	v_pk_min_f16 v39, v106, v39
	v_pk_add_f16 v106, v13, v33
	v_pk_max_f16 v100, v100, v100
	v_pk_add_f16 v33, v15, v33
	v_pk_max_f16 v99, v99, v99
	;; [unrolled: 2-line block ×3, first 2 shown]
	v_pk_min_f16 v107, v107, v115
	v_pk_min_f16 v105, v105, v119
	v_pk_add_f16 v115, v11, v35
	v_pk_add_f16 v119, v13, v35
	v_pk_min_f16 v100, v100, v106
	v_pk_min_f16 v33, v99, v33
	;; [unrolled: 1-line block ×3, first 2 shown]
	v_pk_add_f16 v35, v15, v35
	v_pk_max_f16 v94, v94, v94
	v_pk_add_f16 v99, v9, v29
	v_pk_max_f16 v93, v93, v93
	v_pk_add_f16 v106, v11, v29
	v_pk_add_f16 v111, v13, v29
	;; [unrolled: 1-line block ×3, first 2 shown]
	v_pk_max_f16 v90, v90, v90
	v_pk_max_f16 v92, v92, v92
	v_pk_min_f16 v35, v94, v35
	v_pk_min_f16 v93, v93, v99
	v_pk_max_f16 v89, v89, v89
	v_pk_min_f16 v29, v90, v29
	v_pk_add_f16 v90, v9, v31
	v_pk_add_f16 v94, v11, v31
	;; [unrolled: 1-line block ×4, first 2 shown]
	v_pk_max_f16 v86, v86, v86
	v_pk_min_f16 v92, v92, v106
	v_pk_max_f16 v88, v88, v88
	v_pk_max_f16 v87, v87, v87
	v_pk_add_f16 v106, v9, v25
	v_pk_min_f16 v89, v89, v90
	v_pk_min_f16 v31, v86, v31
	v_pk_add_f16 v86, v11, v25
	v_pk_max_f16 v84, v84, v84
	v_pk_add_f16 v90, v13, v25
	v_pk_add_f16 v25, v15, v25
	v_pk_max_f16 v82, v82, v82
	v_pk_min_f16 v88, v88, v94
	v_pk_min_f16 v87, v87, v99
	v_pk_max_f16 v83, v83, v83
	v_pk_add_f16 v94, v9, v27
	v_pk_max_f16 v81, v81, v81
	v_pk_add_f16 v99, v11, v27
	v_pk_min_f16 v84, v84, v86
	v_pk_min_f16 v25, v82, v25
	v_pk_add_f16 v82, v13, v27
	v_pk_max_f16 v79, v79, v79
	v_pk_add_f16 v27, v15, v27
	v_pk_max_f16 v78, v78, v78
	;; [unrolled: 2-line block ×3, first 2 shown]
	v_pk_min_f16 v83, v83, v90
	v_pk_min_f16 v81, v81, v94
	v_pk_add_f16 v90, v11, v21
	v_pk_add_f16 v94, v13, v21
	v_pk_min_f16 v79, v79, v82
	v_pk_min_f16 v27, v78, v27
	;; [unrolled: 1-line block ×3, first 2 shown]
	v_pk_add_f16 v21, v15, v21
	v_pk_max_f16 v74, v74, v74
	v_pk_add_f16 v78, v9, v23
	v_pk_max_f16 v73, v73, v73
	v_pk_add_f16 v82, v11, v23
	v_pk_add_f16 v86, v13, v23
	;; [unrolled: 1-line block ×3, first 2 shown]
	v_pk_max_f16 v70, v70, v70
	v_pk_max_f16 v72, v72, v72
	v_pk_min_f16 v21, v74, v21
	v_pk_min_f16 v73, v73, v78
	v_pk_max_f16 v69, v69, v69
	v_pk_min_f16 v23, v70, v23
	v_pk_add_f16 v70, v9, v2
	v_pk_add_f16 v74, v11, v2
	;; [unrolled: 1-line block ×4, first 2 shown]
	v_pk_max_f16 v66, v66, v66
	v_pk_min_f16 v72, v72, v82
	v_pk_max_f16 v68, v68, v68
	v_pk_add_f16 v82, v9, v4
	v_pk_min_f16 v69, v69, v70
	v_pk_min_f16 v2, v66, v2
	v_pk_add_f16 v66, v11, v4
	v_pk_add_f16 v70, v13, v4
	;; [unrolled: 1-line block ×3, first 2 shown]
	v_pk_max_f16 v62, v62, v62
	v_pk_max_f16 v67, v67, v67
	v_pk_min_f16 v68, v68, v74
	v_pk_add_f16 v74, v9, v17
	v_pk_max_f16 v59, v59, v59
	v_pk_min_f16 v4, v62, v4
	v_pk_add_f16 v62, v13, v17
	v_pk_add_f16 v9, v9, v19
	v_pk_max_f16 v57, v57, v57
	v_pk_min_f16 v67, v67, v78
	v_pk_max_f16 v61, v61, v61
	v_pk_add_f16 v78, v11, v17
	v_pk_add_f16 v17, v15, v17
	v_pk_min_f16 v59, v59, v62
	v_pk_add_f16 v11, v11, v19
	v_pk_min_f16 v62, v57, v9
	v_pk_add_f16 v9, v13, v19
	v_pk_max_f16 v13, v55, v55
	v_pk_add_f16 v15, v15, v19
	v_pk_max_f16 v19, v54, v54
	;; [unrolled: 2-line block ×3, first 2 shown]
	v_pk_max_f16 v65, v65, v65
	v_pk_min_f16 v61, v61, v74
	v_pk_min_f16 v13, v13, v9
	v_pk_add_f16 v9, v12, v42
	v_pk_min_f16 v74, v6, v54
	v_pk_add_f16 v6, v16, v42
	v_pk_min_f16 v116, v116, v128
	v_pk_max_f16 v76, v76, v76
	v_pk_min_f16 v65, v65, v82
	v_pk_max_f16 v60, v60, v60
	v_pk_add_f16 v55, v14, v42
	v_pk_min_f16 v42, v7, v9
	v_pk_add_f16 v7, v10, v44
	v_pk_min_f16 v82, v41, v6
	v_pk_add_f16 v6, v14, v44
	v_pk_max_f16 v80, v80, v80
	v_pk_max_f16 v75, v75, v75
	v_pk_min_f16 v76, v76, v90
	v_pk_min_f16 v60, v60, v78
	;; [unrolled: 1-line block ×3, first 2 shown]
	v_pk_add_f16 v8, v12, v44
	v_pk_add_f16 v9, v16, v44
	v_pk_min_f16 v44, v118, v7
	v_pk_add_f16 v7, v10, v38
	v_pk_min_f16 v90, v116, v6
	v_pk_add_f16 v6, v12, v38
	v_pk_max_f16 v91, v91, v91
	v_pk_min_f16 v80, v80, v99
	v_pk_min_f16 v75, v75, v94
	;; [unrolled: 1-line block ×3, first 2 shown]
	v_pk_add_f16 v7, v16, v38
	v_pk_min_f16 v99, v113, v6
	v_pk_add_f16 v6, v12, v40
	v_pk_min_f16 v91, v91, v111
	v_pk_max_f16 v96, v96, v96
	v_pk_min_f16 v111, v37, v7
	v_pk_add_f16 v7, v14, v40
	v_pk_min_f16 v109, v109, v6
	v_pk_add_f16 v6, v10, v34
	v_pk_max_f16 v71, v71, v71
	v_pk_min_f16 v96, v96, v115
	v_pk_min_f16 v107, v107, v7
	v_pk_add_f16 v7, v14, v34
	v_pk_min_f16 v105, v105, v6
	v_pk_add_f16 v6, v16, v34
	v_pk_max_f16 v85, v85, v85
	v_pk_min_f16 v71, v71, v86
	v_pk_min_f16 v86, v117, v8
	v_pk_add_f16 v8, v14, v38
	v_pk_min_f16 v100, v100, v7
	v_pk_add_f16 v7, v12, v36
	;; [unrolled: 2-line block ×3, first 2 shown]
	v_pk_max_f16 v110, v110, v110
	v_pk_min_f16 v85, v85, v106
	v_pk_min_f16 v106, v112, v8
	v_pk_add_f16 v8, v16, v40
	v_pk_min_f16 v96, v96, v7
	v_pk_add_f16 v7, v10, v30
	;; [unrolled: 2-line block ×3, first 2 shown]
	v_pk_min_f16 v110, v110, v127
	v_pk_max_f16 v104, v104, v104
	v_pk_min_f16 v43, v43, v9
	v_pk_add_f16 v9, v10, v40
	v_pk_min_f16 v137, v39, v8
	v_pk_add_f16 v8, v10, v36
	;; [unrolled: 2-line block ×4, first 2 shown]
	v_pk_min_f16 v104, v104, v120
	v_pk_max_f16 v95, v95, v95
	v_pk_min_f16 v110, v110, v9
	v_pk_add_f16 v9, v12, v34
	v_pk_min_f16 v98, v98, v8
	v_pk_add_f16 v8, v12, v30
	;; [unrolled: 2-line block ×4, first 2 shown]
	v_pk_min_f16 v95, v95, v119
	v_pk_min_f16 v104, v104, v9
	v_pk_add_f16 v9, v14, v36
	v_pk_min_f16 v92, v92, v8
	v_pk_add_f16 v8, v14, v32
	;; [unrolled: 2-line block ×13, first 2 shown]
	v_pk_min_f16 v41, v77, v8
	v_pk_min_f16 v40, v76, v7
	v_pk_add_f16 v7, v10, v24
	v_pk_add_f16 v8, v12, v24
	v_pk_min_f16 v38, v21, v6
	v_pk_add_f16 v6, v14, v24
	v_pk_max_f16 v64, v64, v64
	v_pk_max_f16 v63, v63, v63
	v_pk_min_f16 v80, v80, v9
	v_pk_add_f16 v9, v14, v22
	v_pk_min_f16 v37, v73, v7
	v_pk_min_f16 v36, v72, v8
	v_pk_add_f16 v7, v10, v3
	v_pk_min_f16 v35, v71, v6
	v_pk_add_f16 v6, v12, v3
	v_pk_add_f16 v8, v14, v3
	;; [unrolled: 1-line block ×3, first 2 shown]
	v_pk_min_f16 v64, v64, v66
	v_pk_min_f16 v63, v63, v70
	v_pk_max_f16 v56, v56, v56
	v_pk_min_f16 v39, v75, v9
	v_pk_add_f16 v9, v16, v24
	v_pk_min_f16 v32, v69, v7
	v_pk_add_f16 v7, v10, v5
	;; [unrolled: 2-line block ×4, first 2 shown]
	v_pk_add_f16 v3, v16, v5
	v_pk_add_f16 v5, v10, v18
	v_pk_min_f16 v11, v56, v11
	v_pk_min_f16 v34, v23, v9
	;; [unrolled: 1-line block ×4, first 2 shown]
	v_pk_add_f16 v6, v12, v18
	v_pk_min_f16 v29, v63, v2
	v_pk_min_f16 v23, v4, v3
	v_pk_add_f16 v7, v14, v18
	v_pk_min_f16 v22, v61, v5
	ds_read2_b64 v[2:5], v103 offset1:32
	ds_read2_b64 v[54:57], v122 offset1:8
	v_pk_min_f16 v31, v67, v8
	v_pk_min_f16 v21, v60, v6
	;; [unrolled: 1-line block ×3, first 2 shown]
	ds_read2_b64 v[6:9], v103 offset0:64 offset1:96
	v_pk_max_f16 v58, v58, v58
	v_pk_min_f16 v15, v19, v15
	v_pk_add_f16 v18, v16, v18
	v_pk_add_f16 v10, v10, v20
	;; [unrolled: 1-line block ×3, first 2 shown]
	v_pk_min_f16 v17, v58, v17
	v_pk_add_f16 v14, v14, v20
	v_pk_add_f16 v16, v16, v20
	ds_read2_b64 v[58:61], v122 offset0:16 offset1:24
	v_pk_min_f16 v24, v62, v10
	v_pk_min_f16 v26, v17, v18
	;; [unrolled: 1-line block ×5, first 2 shown]
	ds_read2_b64 v[62:65], v122 offset0:32 offset1:40
	ds_read2_b64 v[66:69], v122 offset0:48 offset1:56
	;; [unrolled: 1-line block ×6, first 2 shown]
	s_waitcnt lgkmcnt(8)
	v_pk_add_f16 v75, v2, v54
	v_pk_add_f16 v76, v4, v54
	v_pk_max_f16 v74, v74, v74
	v_pk_max_f16 v42, v42, v42
	s_waitcnt lgkmcnt(7)
	v_pk_add_f16 v77, v6, v54
	v_pk_add_f16 v116, v3, v55
	;; [unrolled: 1-line block ×3, first 2 shown]
	v_pk_min_f16 v74, v74, v75
	v_pk_max_f16 v78, v78, v78
	v_pk_min_f16 v42, v42, v76
	v_pk_add_f16 v54, v8, v54
	v_pk_add_f16 v112, v2, v56
	;; [unrolled: 1-line block ×3, first 2 shown]
	v_pk_min_f16 v128, v74, v116
	v_pk_min_f16 v74, v78, v77
	;; [unrolled: 1-line block ×3, first 2 shown]
	v_pk_max_f16 v42, v82, v82
	v_pk_max_f16 v44, v44, v44
	s_waitcnt lgkmcnt(6)
	v_pk_add_f16 v115, v2, v58
	v_pk_add_f16 v157, v3, v57
	s_waitcnt lgkmcnt(3)
	v_pk_add_f16 v77, v2, v70
	v_pk_add_f16 v78, v4, v70
	v_pk_min_f16 v120, v74, v118
	v_pk_add_f16 v74, v6, v70
	v_pk_min_f16 v42, v42, v54
	v_pk_add_f16 v54, v8, v70
	v_pk_max_f16 v70, v86, v86
	v_pk_min_f16 v44, v44, v112
	v_pk_max_f16 v86, v94, v94
	v_pk_add_f16 v114, v6, v56
	v_pk_add_f16 v160, v3, v59
	;; [unrolled: 1-line block ×3, first 2 shown]
	v_pk_min_f16 v118, v44, v157
	v_pk_max_f16 v44, v90, v90
	v_pk_min_f16 v86, v86, v115
	v_pk_add_f16 v162, v7, v59
	v_pk_add_f16 v113, v4, v56
	;; [unrolled: 1-line block ×3, first 2 shown]
	v_pk_min_f16 v44, v44, v114
	v_pk_min_f16 v114, v86, v160
	v_pk_max_f16 v86, v106, v106
	v_pk_add_f16 v144, v4, v58
	v_pk_add_f16 v58, v8, v58
	;; [unrolled: 1-line block ×3, first 2 shown]
	v_pk_max_f16 v43, v43, v43
	v_pk_min_f16 v86, v86, v145
	v_pk_max_f16 v90, v111, v111
	v_pk_add_f16 v158, v5, v57
	v_pk_add_f16 v159, v7, v57
	;; [unrolled: 1-line block ×3, first 2 shown]
	v_pk_min_f16 v112, v86, v162
	v_pk_max_f16 v86, v110, v110
	v_pk_add_f16 v161, v5, v59
	v_pk_add_f16 v59, v9, v59
	;; [unrolled: 1-line block ×3, first 2 shown]
	v_pk_min_f16 v43, v43, v56
	v_pk_min_f16 v58, v90, v58
	;; [unrolled: 1-line block ×3, first 2 shown]
	v_pk_add_f16 v147, v4, v60
	v_pk_add_f16 v148, v6, v60
	;; [unrolled: 1-line block ×4, first 2 shown]
	v_pk_min_f16 v115, v43, v57
	v_pk_max_f16 v43, v99, v99
	v_pk_min_f16 v111, v58, v59
	v_pk_max_f16 v58, v109, v109
	v_pk_max_f16 v90, v107, v107
	v_pk_min_f16 v110, v86, v163
	v_pk_max_f16 v86, v137, v137
	v_pk_add_f16 v150, v4, v62
	v_pk_add_f16 v151, v6, v62
	;; [unrolled: 1-line block ×5, first 2 shown]
	v_pk_min_f16 v119, v42, v55
	v_pk_min_f16 v55, v70, v113
	;; [unrolled: 1-line block ×6, first 2 shown]
	v_pk_max_f16 v86, v104, v104
	v_pk_max_f16 v94, v100, v100
	v_pk_add_f16 v149, v2, v62
	v_pk_add_f16 v62, v8, v62
	;; [unrolled: 1-line block ×18, first 2 shown]
	v_pk_min_f16 v117, v55, v158
	s_waitcnt lgkmcnt(2)
	v_pk_add_f16 v55, v2, v133
	v_pk_add_f16 v157, v4, v133
	;; [unrolled: 1-line block ×3, first 2 shown]
	v_pk_min_f16 v116, v44, v159
	v_pk_add_f16 v44, v8, v133
	v_pk_add_f16 v133, v2, v135
	;; [unrolled: 1-line block ×5, first 2 shown]
	s_waitcnt lgkmcnt(1)
	v_pk_add_f16 v144, v2, v14
	v_pk_min_f16 v113, v43, v161
	v_pk_add_f16 v43, v4, v14
	v_pk_add_f16 v145, v6, v14
	;; [unrolled: 1-line block ×7, first 2 shown]
	s_waitcnt lgkmcnt(0)
	v_pk_add_f16 v148, v2, v10
	v_pk_min_f16 v109, v58, v164
	v_pk_add_f16 v58, v4, v10
	v_pk_min_f16 v107, v90, v165
	v_pk_add_f16 v137, v6, v10
	v_pk_max_f16 v90, v105, v105
	v_pk_add_f16 v10, v8, v10
	v_pk_add_f16 v2, v2, v12
	v_pk_min_f16 v86, v86, v150
	v_pk_min_f16 v94, v94, v151
	v_pk_add_f16 v100, v5, v63
	v_pk_min_f16 v106, v60, v61
	v_pk_add_f16 v60, v7, v63
	v_pk_add_f16 v4, v4, v12
	v_pk_max_f16 v61, v138, v138
	v_pk_add_f16 v6, v6, v12
	v_pk_add_f16 v8, v8, v12
	v_pk_max_f16 v12, v98, v98
	v_pk_min_f16 v90, v90, v149
	v_pk_add_f16 v99, v3, v63
	v_pk_min_f16 v104, v86, v100
	v_pk_min_f16 v100, v94, v60
	;; [unrolled: 1-line block ×3, first 2 shown]
	v_pk_max_f16 v61, v96, v96
	v_pk_min_f16 v12, v12, v152
	v_pk_add_f16 v86, v3, v65
	v_pk_min_f16 v105, v90, v99
	v_pk_add_f16 v62, v9, v63
	v_pk_max_f16 v63, v95, v95
	v_pk_min_f16 v61, v61, v153
	v_pk_add_f16 v90, v5, v65
	v_pk_min_f16 v98, v12, v86
	v_pk_max_f16 v12, v139, v139
	v_pk_min_f16 v63, v63, v154
	v_pk_add_f16 v94, v7, v65
	v_pk_min_f16 v99, v60, v62
	v_pk_min_f16 v96, v61, v90
	v_pk_add_f16 v60, v9, v65
	v_pk_max_f16 v61, v93, v93
	v_pk_min_f16 v12, v12, v64
	v_pk_min_f16 v95, v63, v94
	v_pk_add_f16 v63, v3, v67
	v_pk_max_f16 v64, v91, v91
	v_pk_min_f16 v61, v61, v155
	v_pk_min_f16 v94, v12, v60
	v_pk_max_f16 v12, v140, v140
	v_pk_add_f16 v86, v7, v67
	v_pk_min_f16 v64, v64, v166
	v_pk_min_f16 v93, v61, v63
	v_pk_add_f16 v60, v9, v67
	v_pk_max_f16 v61, v89, v89
	v_pk_min_f16 v12, v12, v66
	v_pk_min_f16 v91, v64, v86
	v_pk_add_f16 v63, v3, v69
	v_pk_max_f16 v64, v87, v87
	v_pk_min_f16 v61, v61, v167
	v_pk_min_f16 v90, v12, v60
	v_pk_max_f16 v12, v141, v141
	v_pk_max_f16 v62, v92, v92
	v_pk_add_f16 v66, v7, v69
	v_pk_min_f16 v64, v64, v76
	v_pk_min_f16 v89, v61, v63
	v_pk_add_f16 v60, v9, v69
	v_pk_max_f16 v61, v85, v85
	v_pk_min_f16 v12, v12, v68
	v_pk_add_f16 v65, v5, v67
	v_pk_min_f16 v62, v62, v156
	v_pk_min_f16 v87, v64, v66
	v_pk_add_f16 v63, v3, v71
	v_pk_max_f16 v64, v83, v83
	v_pk_min_f16 v61, v61, v77
	v_pk_min_f16 v86, v12, v60
	v_pk_max_f16 v12, v142, v142
	v_pk_min_f16 v92, v62, v65
	v_pk_max_f16 v62, v88, v88
	v_pk_add_f16 v66, v7, v71
	v_pk_min_f16 v64, v64, v74
	v_pk_min_f16 v85, v61, v63
	v_pk_add_f16 v60, v9, v71
	v_pk_max_f16 v61, v81, v81
	v_pk_min_f16 v12, v12, v54
	v_pk_max_f16 v54, v80, v80
	v_pk_add_f16 v65, v5, v69
	v_pk_min_f16 v62, v62, v75
	v_pk_min_f16 v83, v64, v66
	v_pk_min_f16 v61, v61, v82
	v_pk_add_f16 v64, v5, v73
	v_pk_min_f16 v42, v54, v42
	v_pk_min_f16 v82, v12, v60
	v_pk_max_f16 v12, v143, v143
	v_pk_min_f16 v88, v62, v65
	v_pk_max_f16 v62, v84, v84
	v_pk_min_f16 v80, v42, v64
	v_pk_add_f16 v42, v9, v73
	v_pk_min_f16 v12, v12, v72
	v_pk_max_f16 v63, v79, v79
	v_pk_min_f16 v62, v62, v78
	v_pk_add_f16 v54, v7, v73
	v_pk_max_f16 v41, v41, v41
	v_pk_min_f16 v78, v12, v42
	v_pk_max_f16 v12, v38, v38
	v_pk_add_f16 v38, v9, v134
	v_pk_min_f16 v63, v63, v70
	v_pk_max_f16 v40, v40, v40
	v_pk_max_f16 v39, v39, v39
	v_pk_min_f16 v12, v12, v44
	v_pk_min_f16 v41, v41, v55
	;; [unrolled: 1-line block ×3, first 2 shown]
	v_pk_add_f16 v54, v3, v134
	v_pk_add_f16 v55, v5, v134
	v_pk_min_f16 v74, v12, v38
	v_pk_max_f16 v12, v34, v34
	v_pk_min_f16 v40, v40, v157
	v_pk_add_f16 v60, v7, v134
	v_pk_min_f16 v39, v39, v56
	v_pk_max_f16 v37, v37, v37
	v_pk_max_f16 v36, v36, v36
	;; [unrolled: 1-line block ×3, first 2 shown]
	v_pk_add_f16 v34, v9, v136
	v_pk_min_f16 v12, v12, v135
	v_pk_add_f16 v65, v5, v71
	v_pk_min_f16 v77, v41, v54
	v_pk_min_f16 v76, v40, v55
	;; [unrolled: 1-line block ×3, first 2 shown]
	v_pk_add_f16 v39, v3, v136
	v_pk_min_f16 v37, v37, v133
	v_pk_add_f16 v40, v5, v136
	v_pk_min_f16 v36, v36, v57
	;; [unrolled: 2-line block ×3, first 2 shown]
	v_pk_min_f16 v70, v12, v34
	v_pk_max_f16 v12, v30, v30
	v_pk_min_f16 v84, v62, v65
	v_pk_add_f16 v62, v3, v73
	v_pk_min_f16 v73, v37, v39
	v_pk_min_f16 v72, v36, v40
	v_pk_min_f16 v71, v35, v41
	v_pk_add_f16 v35, v3, v15
	v_pk_add_f16 v36, v5, v15
	;; [unrolled: 1-line block ×4, first 2 shown]
	v_pk_min_f16 v12, v12, v14
	v_pk_max_f16 v14, v28, v28
	v_pk_max_f16 v31, v31, v31
	v_pk_add_f16 v30, v5, v17
	v_pk_min_f16 v81, v61, v62
	v_pk_min_f16 v66, v12, v15
	;; [unrolled: 1-line block ×3, first 2 shown]
	v_pk_max_f16 v12, v23, v23
	v_pk_min_f16 v31, v31, v145
	v_pk_max_f16 v15, v22, v22
	v_pk_add_f16 v28, v3, v17
	v_pk_min_f16 v64, v14, v30
	v_pk_add_f16 v14, v9, v17
	v_pk_min_f16 v12, v12, v16
	v_pk_min_f16 v67, v31, v37
	v_pk_add_f16 v31, v7, v17
	v_pk_add_f16 v17, v3, v11
	v_pk_min_f16 v15, v15, v148
	v_pk_min_f16 v62, v12, v14
	v_pk_max_f16 v12, v26, v26
	v_pk_max_f16 v14, v24, v24
	;; [unrolled: 1-line block ×8, first 2 shown]
	v_pk_min_f16 v61, v15, v17
	v_pk_min_f16 v10, v12, v10
	v_pk_max_f16 v12, v20, v20
	v_pk_min_f16 v2, v14, v2
	v_pk_max_f16 v14, v19, v19
	v_pk_max_f16 v15, v18, v18
	v_pk_min_f16 v32, v32, v144
	v_pk_min_f16 v33, v33, v43
	;; [unrolled: 1-line block ×4, first 2 shown]
	v_pk_add_f16 v22, v5, v11
	v_pk_min_f16 v16, v16, v58
	v_pk_add_f16 v23, v7, v11
	v_pk_min_f16 v21, v21, v137
	v_pk_add_f16 v11, v9, v11
	v_pk_add_f16 v3, v3, v13
	;; [unrolled: 1-line block ×3, first 2 shown]
	v_pk_min_f16 v4, v12, v4
	v_pk_add_f16 v7, v7, v13
	v_pk_min_f16 v6, v14, v6
	v_pk_add_f16 v9, v9, v13
	v_pk_min_f16 v8, v15, v8
	v_pk_min_f16 v69, v32, v35
	;; [unrolled: 1-line block ×12, first 2 shown]
	s_add_i32 s24, s24, 8
	ds_write_b16 v123, v129
	ds_write_b16 v123, v130 offset:512
	ds_write_b16 v124, v131
	ds_write_b16 v124, v132 offset:512
	s_cmp_ge_i32 s24, s23
	s_waitcnt lgkmcnt(0)
	s_barrier
	buffer_gl0_inv
	s_cbranch_scc1 .LBB216_42
.LBB216_26:                             ; =>This Inner Loop Header: Depth=1
	v_add_nc_u32_e32 v4, s24, v101
	v_add_nc_u32_e32 v5, 8, v4
	v_min_i32_e32 v2, s22, v5
	v_cmp_le_i32_e64 s7, s14, v5
	v_ashrrev_i32_e32 v3, 31, v2
	v_lshlrev_b64 v[2:3], 1, v[2:3]
	v_add_co_u32 v5, s8, s20, v2
	v_add_co_ci_u32_e64 v7, null, s21, v3, s8
	s_or_b32 s8, s0, s7
	v_cndmask_b32_e64 v6, 0, 0x7c00, s8
	s_nor_b32 s8, vcc_lo, s8
	s_and_saveexec_b32 s25, s8
	s_cbranch_execz .LBB216_28
; %bb.27:                               ;   in Loop: Header=BB216_26 Depth=1
	v_add_co_u32 v8, s8, v5, v45
	v_add_co_ci_u32_e64 v9, null, v7, v46, s8
	flat_load_ushort v6, v[8:9]
	s_waitcnt vmcnt(0) lgkmcnt(0)
	v_mul_f16_e32 v6, v97, v6
.LBB216_28:                             ;   in Loop: Header=BB216_26 Depth=1
	s_or_b32 exec_lo, exec_lo, s25
	s_or_b32 s8, s2, s7
	v_cndmask_b32_e64 v8, 0, 0x7c00, s8
	s_nor_b32 s8, vcc_lo, s8
	s_and_saveexec_b32 s25, s8
	s_cbranch_execz .LBB216_30
; %bb.29:                               ;   in Loop: Header=BB216_26 Depth=1
	v_add_co_u32 v8, s8, v5, v47
	v_add_co_ci_u32_e64 v9, null, v7, v48, s8
	flat_load_ushort v5, v[8:9]
	s_waitcnt vmcnt(0) lgkmcnt(0)
	v_mul_f16_e32 v8, v97, v5
.LBB216_30:                             ;   in Loop: Header=BB216_26 Depth=1
	s_or_b32 exec_lo, exec_lo, s25
	v_add_co_u32 v2, s8, s18, v2
	v_add_co_ci_u32_e64 v3, null, s19, v3, s8
	s_or_b32 s8, s3, s7
	v_cndmask_b32_e64 v129, 0, 0x7c00, s8
	s_nor_b32 s8, vcc_lo, s8
	s_and_saveexec_b32 s25, s8
	s_cbranch_execz .LBB216_32
; %bb.31:                               ;   in Loop: Header=BB216_26 Depth=1
	v_add_co_u32 v9, s8, v2, v49
	v_add_co_ci_u32_e64 v10, null, v3, v50, s8
	flat_load_ushort v5, v[9:10]
	s_waitcnt vmcnt(0) lgkmcnt(0)
	v_mul_f16_e32 v129, v97, v5
.LBB216_32:                             ;   in Loop: Header=BB216_26 Depth=1
	s_or_b32 exec_lo, exec_lo, s25
	s_or_b32 s7, s6, s7
	v_cndmask_b32_e64 v130, 0, 0x7c00, s7
	s_nor_b32 s7, vcc_lo, s7
	s_and_saveexec_b32 s8, s7
	s_cbranch_execz .LBB216_34
; %bb.33:                               ;   in Loop: Header=BB216_26 Depth=1
	v_add_co_u32 v2, s7, v2, v51
	v_add_co_ci_u32_e64 v3, null, v3, v52, s7
	flat_load_ushort v2, v[2:3]
	s_waitcnt vmcnt(0) lgkmcnt(0)
	v_mul_f16_e32 v130, v97, v2
.LBB216_34:                             ;   in Loop: Header=BB216_26 Depth=1
	s_or_b32 exec_lo, exec_lo, s8
	v_add_nc_u32_e32 v133, 12, v4
	ds_read2_b64 v[9:12], v125 offset1:32
	ds_read2_b64 v[13:16], v125 offset0:64 offset1:96
	ds_read2_b64 v[41:44], v126 offset1:8
	ds_read2_b64 v[37:40], v126 offset0:16 offset1:24
	ds_read2_b64 v[33:36], v126 offset0:32 offset1:40
	;; [unrolled: 1-line block ×7, first 2 shown]
	ds_write_b16 v108, v6
	v_min_i32_e32 v131, s22, v133
	v_cmp_le_i32_e64 s7, s14, v133
	ds_write_b16 v108, v8 offset:512
	ds_write_b16 v121, v129
	ds_write_b16 v121, v130 offset:512
	s_waitcnt lgkmcnt(0)
	s_barrier
	v_ashrrev_i32_e32 v132, 31, v131
	buffer_gl0_inv
	v_lshlrev_b64 v[6:7], 1, v[131:132]
	v_add_co_u32 v8, s8, s20, v6
	v_add_co_ci_u32_e64 v131, null, s21, v7, s8
	s_or_b32 s8, s0, s7
	v_cndmask_b32_e64 v129, 0, 0x7c00, s8
	s_nor_b32 s8, vcc_lo, s8
	s_and_saveexec_b32 s25, s8
	s_cbranch_execz .LBB216_36
; %bb.35:                               ;   in Loop: Header=BB216_26 Depth=1
	v_add_co_u32 v129, s8, v8, v45
	v_add_co_ci_u32_e64 v130, null, v131, v46, s8
	flat_load_ushort v129, v[129:130]
	s_waitcnt vmcnt(0) lgkmcnt(0)
	v_mul_f16_e32 v129, v97, v129
.LBB216_36:                             ;   in Loop: Header=BB216_26 Depth=1
	s_or_b32 exec_lo, exec_lo, s25
	s_or_b32 s8, s2, s7
	v_cndmask_b32_e64 v130, 0, 0x7c00, s8
	s_nor_b32 s8, vcc_lo, s8
	s_and_saveexec_b32 s25, s8
	s_cbranch_execz .LBB216_38
; %bb.37:                               ;   in Loop: Header=BB216_26 Depth=1
	v_add_co_u32 v130, s8, v8, v47
	v_add_co_ci_u32_e64 v131, null, v131, v48, s8
	flat_load_ushort v8, v[130:131]
	s_waitcnt vmcnt(0) lgkmcnt(0)
	v_mul_f16_e32 v130, v97, v8
.LBB216_38:                             ;   in Loop: Header=BB216_26 Depth=1
	s_or_b32 exec_lo, exec_lo, s25
	v_add_co_u32 v6, s8, s18, v6
	v_add_co_ci_u32_e64 v7, null, s19, v7, s8
	s_or_b32 s8, s3, s7
	v_cndmask_b32_e64 v131, 0, 0x7c00, s8
	s_nor_b32 s8, vcc_lo, s8
	s_and_saveexec_b32 s25, s8
	s_cbranch_execz .LBB216_40
; %bb.39:                               ;   in Loop: Header=BB216_26 Depth=1
	v_add_co_u32 v131, s8, v6, v49
	v_add_co_ci_u32_e64 v132, null, v7, v50, s8
	flat_load_ushort v8, v[131:132]
	s_waitcnt vmcnt(0) lgkmcnt(0)
	v_mul_f16_e32 v131, v97, v8
.LBB216_40:                             ;   in Loop: Header=BB216_26 Depth=1
	s_or_b32 exec_lo, exec_lo, s25
	s_or_b32 s7, s6, s7
	v_cndmask_b32_e64 v132, 0, 0x7c00, s7
	s_nor_b32 s7, vcc_lo, s7
	s_and_saveexec_b32 s8, s7
	s_cbranch_execz .LBB216_25
; %bb.41:                               ;   in Loop: Header=BB216_26 Depth=1
	v_add_co_u32 v6, s7, v6, v51
	v_add_co_ci_u32_e64 v7, null, v7, v52, s7
	flat_load_ushort v6, v[6:7]
	s_waitcnt vmcnt(0) lgkmcnt(0)
	v_mul_f16_e32 v132, v97, v6
	s_branch .LBB216_25
.LBB216_42:
	s_clause 0x2
	s_load_dword s7, s[4:5], 0x58
	s_load_dword s6, s[4:5], 0x70
	s_load_dwordx2 s[2:3], s[4:5], 0x78
	v_add_nc_u32_e32 v6, 0x800, v102
	v_add_nc_u32_e32 v49, s15, v1
	ds_read2_b64 v[10:13], v103 offset0:128 offset1:160
	ds_read2_b64 v[2:5], v103 offset0:192 offset1:224
	v_add_nc_u32_e32 v0, s9, v0
	ds_read2_b64 v[38:41], v6 offset0:128 offset1:136
	ds_read2_b64 v[34:37], v6 offset0:144 offset1:152
	;; [unrolled: 1-line block ×8, first 2 shown]
	v_cmp_gt_i32_e64 s4, s13, v49
	v_cmp_gt_i32_e64 s0, s12, v0
	v_ashrrev_i32_e32 v1, 31, v0
	v_cndmask_b32_e64 v48, 0, 1, s1
	s_waitcnt lgkmcnt(0)
	v_mad_i64_i32 v[42:43], null, v49, s7, 0
	v_mad_i64_i32 v[44:45], null, v49, s6, 0
	s_lshl_b64 s[2:3], s[2:3], 1
	s_add_u32 s5, s10, s2
	s_addc_u32 s8, s11, s3
	v_lshlrev_b64 v[42:43], 1, v[42:43]
	s_and_b32 s3, s0, s4
	v_lshlrev_b64 v[44:45], 1, v[44:45]
	v_add_co_u32 v52, vcc_lo, s16, v42
	v_add_co_ci_u32_e64 v97, null, s17, v43, vcc_lo
	v_add_co_u32 v50, vcc_lo, s5, v44
	v_add_co_ci_u32_e64 v51, null, s8, v45, vcc_lo
	s_and_saveexec_b32 s2, s3
	s_cbranch_execz .LBB216_47
; %bb.43:
	s_andn2_b32 vcc_lo, exec_lo, s1
	s_cbranch_vccnz .LBB216_45
; %bb.44:
	v_lshlrev_b64 v[42:43], 1, v[0:1]
	v_add_co_u32 v42, vcc_lo, v52, v42
	v_add_co_ci_u32_e64 v43, null, v97, v43, vcc_lo
	flat_load_ushort v42, v[42:43]
	s_waitcnt vmcnt(0) lgkmcnt(0)
	v_mul_f16_e32 v42, v53, v42
	v_cvt_f32_f16_e32 v42, v42
	s_branch .LBB216_46
.LBB216_45:
	v_mov_b32_e32 v42, 0
.LBB216_46:
	v_pk_add_f16 v43, v10, v38
	v_pk_add_f16 v44, v11, v39
	v_max_f16_e32 v45, v128, v128
	v_lshrrev_b32_e32 v46, 16, v128
	v_max_f32_e32 v42, v42, v42
	v_lshrrev_b32_e32 v47, 16, v43
	v_lshrrev_b32_e32 v101, 16, v44
	v_min_f16_e32 v43, v45, v43
	v_min3_f16 v45, v46, v47, v101
	v_min3_f16 v43, v43, v44, v45
	v_cvt_f32_f16_e32 v43, v43
	v_min_f32_e32 v44, v42, v43
	v_lshlrev_b64 v[42:43], 1, v[0:1]
	v_cvt_f16_f32_e32 v44, v44
	v_add_co_u32 v42, vcc_lo, v50, v42
	v_add_co_ci_u32_e64 v43, null, v51, v43, vcc_lo
	flat_store_short v[42:43], v44
.LBB216_47:
	s_or_b32 exec_lo, exec_lo, s2
	v_add_nc_u32_e32 v42, 32, v0
	v_cmp_gt_i32_e64 s1, s12, v42
	v_ashrrev_i32_e32 v43, 31, v42
	s_and_b32 s3, s1, s4
	s_and_saveexec_b32 s2, s3
	s_cbranch_execz .LBB216_52
; %bb.48:
	v_cmp_ne_u32_e32 vcc_lo, 1, v48
	s_cbranch_vccnz .LBB216_50
; %bb.49:
	v_lshlrev_b64 v[44:45], 1, v[42:43]
	v_add_co_u32 v44, vcc_lo, v52, v44
	v_add_co_ci_u32_e64 v45, null, v97, v45, vcc_lo
	flat_load_ushort v44, v[44:45]
	s_waitcnt vmcnt(0) lgkmcnt(0)
	v_mul_f16_e32 v44, v53, v44
	v_cvt_f32_f16_e32 v44, v44
	s_branch .LBB216_51
.LBB216_50:
	v_mov_b32_e32 v44, 0
.LBB216_51:
	v_pk_add_f16 v45, v12, v38
	v_pk_add_f16 v46, v13, v39
	v_max_f16_e32 v47, v127, v127
	v_lshrrev_b32_e32 v101, 16, v127
	v_max_f32_e32 v44, v44, v44
	v_lshrrev_b32_e32 v102, 16, v45
	v_lshrrev_b32_e32 v103, 16, v46
	v_min_f16_e32 v45, v47, v45
	v_min3_f16 v47, v101, v102, v103
	v_min3_f16 v45, v45, v46, v47
	v_cvt_f32_f16_e32 v45, v45
	v_min_f32_e32 v46, v44, v45
	v_lshlrev_b64 v[44:45], 1, v[42:43]
	v_cvt_f16_f32_e32 v46, v46
	v_add_co_u32 v44, vcc_lo, v50, v44
	v_add_co_ci_u32_e64 v45, null, v51, v45, vcc_lo
	flat_store_short v[44:45], v46
.LBB216_52:
	s_or_b32 exec_lo, exec_lo, s2
	v_add_nc_u32_e32 v44, 64, v0
	v_cmp_gt_i32_e64 s2, s12, v44
	v_ashrrev_i32_e32 v45, 31, v44
	s_and_b32 s9, s2, s4
	s_and_saveexec_b32 s3, s9
	s_cbranch_execz .LBB216_57
; %bb.53:
	v_cmp_ne_u32_e32 vcc_lo, 1, v48
	s_cbranch_vccnz .LBB216_55
; %bb.54:
	v_lshlrev_b64 v[46:47], 1, v[44:45]
	v_add_co_u32 v46, vcc_lo, v52, v46
	v_add_co_ci_u32_e64 v47, null, v97, v47, vcc_lo
	flat_load_ushort v46, v[46:47]
	s_waitcnt vmcnt(0) lgkmcnt(0)
	v_mul_f16_e32 v46, v53, v46
	v_cvt_f32_f16_e32 v46, v46
	s_branch .LBB216_56
.LBB216_55:
	v_mov_b32_e32 v46, 0
.LBB216_56:
	v_pk_add_f16 v47, v2, v38
	v_pk_add_f16 v101, v3, v39
	v_max_f16_e32 v102, v120, v120
	v_lshrrev_b32_e32 v103, 16, v120
	v_max_f32_e32 v46, v46, v46
	v_lshrrev_b32_e32 v108, 16, v47
	v_lshrrev_b32_e32 v120, 16, v101
	v_min_f16_e32 v47, v102, v47
	v_min3_f16 v102, v103, v108, v120
	v_min3_f16 v47, v47, v101, v102
	v_cvt_f32_f16_e32 v47, v47
	v_min_f32_e32 v101, v46, v47
	v_lshlrev_b64 v[46:47], 1, v[44:45]
	v_cvt_f16_f32_e32 v101, v101
	v_add_co_u32 v46, vcc_lo, v50, v46
	v_add_co_ci_u32_e64 v47, null, v51, v47, vcc_lo
	flat_store_short v[46:47], v101
.LBB216_57:
	s_or_b32 exec_lo, exec_lo, s3
	v_add_nc_u32_e32 v46, 0x60, v0
	v_cmp_gt_i32_e64 s3, s12, v46
	v_ashrrev_i32_e32 v47, 31, v46
	s_and_b32 s9, s3, s4
	s_and_saveexec_b32 s4, s9
	s_cbranch_execz .LBB216_62
; %bb.58:
	v_cmp_ne_u32_e32 vcc_lo, 1, v48
	s_cbranch_vccnz .LBB216_60
; %bb.59:
	v_lshlrev_b64 v[101:102], 1, v[46:47]
	v_add_co_u32 v101, vcc_lo, v52, v101
	v_add_co_ci_u32_e64 v102, null, v97, v102, vcc_lo
	flat_load_ushort v52, v[101:102]
	s_waitcnt vmcnt(0) lgkmcnt(0)
	v_mul_f16_e32 v52, v53, v52
	v_cvt_f32_f16_e32 v52, v52
	s_branch .LBB216_61
.LBB216_60:
	v_mov_b32_e32 v52, 0
.LBB216_61:
	v_pk_add_f16 v38, v4, v38
	v_pk_add_f16 v39, v5, v39
	v_max_f16_e32 v97, v119, v119
	v_lshrrev_b32_e32 v101, 16, v119
	v_lshrrev_b32_e32 v102, 16, v38
	;; [unrolled: 1-line block ×3, first 2 shown]
	v_min_f16_e32 v38, v97, v38
	v_min3_f16 v97, v101, v102, v103
	v_min3_f16 v38, v38, v39, v97
	v_max_f32_e32 v39, v52, v52
	v_cvt_f32_f16_e32 v38, v38
	v_min_f32_e32 v52, v39, v38
	v_lshlrev_b64 v[38:39], 1, v[46:47]
	v_cvt_f16_f32_e32 v52, v52
	v_add_co_u32 v38, vcc_lo, v50, v38
	v_add_co_ci_u32_e64 v39, null, v51, v39, vcc_lo
	flat_store_short v[38:39], v52
.LBB216_62:
	s_or_b32 exec_lo, exec_lo, s4
	v_add_nc_u32_e32 v52, 8, v49
	v_mad_i64_i32 v[38:39], null, v52, s7, 0
	v_mad_i64_i32 v[50:51], null, v52, s6, 0
	v_cmp_gt_i32_e64 s4, s13, v52
	v_lshlrev_b64 v[38:39], 1, v[38:39]
	s_and_b32 s10, s0, s4
	v_lshlrev_b64 v[101:102], 1, v[50:51]
	v_add_co_u32 v50, vcc_lo, s16, v38
	v_add_co_ci_u32_e64 v51, null, s17, v39, vcc_lo
	v_add_co_u32 v38, vcc_lo, s5, v101
	v_add_co_ci_u32_e64 v39, null, s8, v102, vcc_lo
	s_and_saveexec_b32 s9, s10
	s_cbranch_execnz .LBB216_66
; %bb.63:
	s_or_b32 exec_lo, exec_lo, s9
	s_and_b32 s10, s1, s4
	s_and_saveexec_b32 s9, s10
	s_cbranch_execnz .LBB216_70
.LBB216_64:
	s_or_b32 exec_lo, exec_lo, s9
	s_and_b32 s10, s2, s4
	s_and_saveexec_b32 s9, s10
	s_cbranch_execnz .LBB216_74
.LBB216_65:
	s_or_b32 exec_lo, exec_lo, s9
	s_and_b32 s9, s3, s4
	s_and_saveexec_b32 s4, s9
	s_cbranch_execnz .LBB216_78
	s_branch .LBB216_82
.LBB216_66:
	v_cmp_ne_u32_e32 vcc_lo, 1, v48
	s_cbranch_vccnz .LBB216_68
; %bb.67:
	v_lshlrev_b64 v[101:102], 1, v[0:1]
	v_add_co_u32 v101, vcc_lo, v50, v101
	v_add_co_ci_u32_e64 v102, null, v51, v102, vcc_lo
	flat_load_ushort v52, v[101:102]
	s_waitcnt vmcnt(0) lgkmcnt(0)
	v_mul_f16_e32 v52, v53, v52
	v_cvt_f32_f16_e32 v52, v52
	s_branch .LBB216_69
.LBB216_68:
	v_mov_b32_e32 v52, 0
.LBB216_69:
	v_pk_add_f16 v97, v10, v40
	v_pk_add_f16 v101, v11, v41
	v_max_f16_e32 v102, v118, v118
	v_lshrrev_b32_e32 v103, 16, v118
	v_max_f32_e32 v52, v52, v52
	v_lshrrev_b32_e32 v108, 16, v97
	v_lshrrev_b32_e32 v118, 16, v101
	v_min_f16_e32 v97, v102, v97
	v_min3_f16 v102, v103, v108, v118
	v_min3_f16 v97, v97, v101, v102
	v_lshlrev_b64 v[101:102], 1, v[0:1]
	v_cvt_f32_f16_e32 v97, v97
	v_add_co_u32 v101, vcc_lo, v38, v101
	v_add_co_ci_u32_e64 v102, null, v39, v102, vcc_lo
	v_min_f32_e32 v52, v52, v97
	v_cvt_f16_f32_e32 v52, v52
	flat_store_short v[101:102], v52
	s_or_b32 exec_lo, exec_lo, s9
	s_and_b32 s10, s1, s4
	s_and_saveexec_b32 s9, s10
	s_cbranch_execz .LBB216_64
.LBB216_70:
	v_cmp_ne_u32_e32 vcc_lo, 1, v48
	s_cbranch_vccnz .LBB216_72
; %bb.71:
	v_lshlrev_b64 v[101:102], 1, v[42:43]
	v_add_co_u32 v101, vcc_lo, v50, v101
	v_add_co_ci_u32_e64 v102, null, v51, v102, vcc_lo
	flat_load_ushort v52, v[101:102]
	s_waitcnt vmcnt(0) lgkmcnt(0)
	v_mul_f16_e32 v52, v53, v52
	v_cvt_f32_f16_e32 v52, v52
	s_branch .LBB216_73
.LBB216_72:
	v_mov_b32_e32 v52, 0
.LBB216_73:
	v_pk_add_f16 v97, v12, v40
	v_pk_add_f16 v101, v13, v41
	v_max_f16_e32 v102, v117, v117
	v_lshrrev_b32_e32 v103, 16, v117
	v_max_f32_e32 v52, v52, v52
	v_lshrrev_b32_e32 v108, 16, v97
	v_lshrrev_b32_e32 v117, 16, v101
	v_min_f16_e32 v97, v102, v97
	v_min3_f16 v102, v103, v108, v117
	v_min3_f16 v97, v97, v101, v102
	v_lshlrev_b64 v[101:102], 1, v[42:43]
	v_cvt_f32_f16_e32 v97, v97
	v_add_co_u32 v101, vcc_lo, v38, v101
	v_add_co_ci_u32_e64 v102, null, v39, v102, vcc_lo
	v_min_f32_e32 v52, v52, v97
	v_cvt_f16_f32_e32 v52, v52
	flat_store_short v[101:102], v52
	s_or_b32 exec_lo, exec_lo, s9
	s_and_b32 s10, s2, s4
	s_and_saveexec_b32 s9, s10
	s_cbranch_execz .LBB216_65
.LBB216_74:
	v_cmp_ne_u32_e32 vcc_lo, 1, v48
	s_cbranch_vccnz .LBB216_76
; %bb.75:
	v_lshlrev_b64 v[101:102], 1, v[44:45]
	v_add_co_u32 v101, vcc_lo, v50, v101
	v_add_co_ci_u32_e64 v102, null, v51, v102, vcc_lo
	flat_load_ushort v52, v[101:102]
	s_waitcnt vmcnt(0) lgkmcnt(0)
	v_mul_f16_e32 v52, v53, v52
	v_cvt_f32_f16_e32 v52, v52
	s_branch .LBB216_77
.LBB216_76:
	v_mov_b32_e32 v52, 0
.LBB216_77:
	v_pk_add_f16 v97, v2, v40
	v_pk_add_f16 v101, v3, v41
	v_max_f16_e32 v102, v116, v116
	v_lshrrev_b32_e32 v103, 16, v116
	v_max_f32_e32 v52, v52, v52
	v_lshrrev_b32_e32 v108, 16, v97
	v_lshrrev_b32_e32 v116, 16, v101
	v_min_f16_e32 v97, v102, v97
	v_min3_f16 v102, v103, v108, v116
	v_min3_f16 v97, v97, v101, v102
	v_lshlrev_b64 v[101:102], 1, v[44:45]
	v_cvt_f32_f16_e32 v97, v97
	v_add_co_u32 v101, vcc_lo, v38, v101
	v_add_co_ci_u32_e64 v102, null, v39, v102, vcc_lo
	v_min_f32_e32 v52, v52, v97
	v_cvt_f16_f32_e32 v52, v52
	flat_store_short v[101:102], v52
	s_or_b32 exec_lo, exec_lo, s9
	s_and_b32 s9, s3, s4
	s_and_saveexec_b32 s4, s9
	s_cbranch_execz .LBB216_82
.LBB216_78:
	v_cmp_ne_u32_e32 vcc_lo, 1, v48
	s_cbranch_vccnz .LBB216_80
; %bb.79:
	v_lshlrev_b64 v[101:102], 1, v[46:47]
	v_add_co_u32 v50, vcc_lo, v50, v101
	v_add_co_ci_u32_e64 v51, null, v51, v102, vcc_lo
	flat_load_ushort v50, v[50:51]
	s_waitcnt vmcnt(0) lgkmcnt(0)
	v_mul_f16_e32 v50, v53, v50
	v_cvt_f32_f16_e32 v50, v50
	s_branch .LBB216_81
.LBB216_80:
	v_mov_b32_e32 v50, 0
.LBB216_81:
	v_pk_add_f16 v40, v4, v40
	v_pk_add_f16 v41, v5, v41
	v_max_f16_e32 v51, v115, v115
	v_lshrrev_b32_e32 v52, 16, v115
	v_lshrrev_b32_e32 v97, 16, v40
	;; [unrolled: 1-line block ×3, first 2 shown]
	v_min_f16_e32 v40, v51, v40
	v_min3_f16 v51, v52, v97, v101
	v_min3_f16 v40, v40, v41, v51
	v_max_f32_e32 v41, v50, v50
	v_cvt_f32_f16_e32 v40, v40
	v_min_f32_e32 v50, v41, v40
	v_lshlrev_b64 v[40:41], 1, v[46:47]
	v_cvt_f16_f32_e32 v50, v50
	v_add_co_u32 v38, vcc_lo, v38, v40
	v_add_co_ci_u32_e64 v39, null, v39, v41, vcc_lo
	flat_store_short v[38:39], v50
.LBB216_82:
	s_or_b32 exec_lo, exec_lo, s4
	v_add_nc_u32_e32 v50, 16, v49
	v_mad_i64_i32 v[38:39], null, v50, s7, 0
	v_mad_i64_i32 v[40:41], null, v50, s6, 0
	v_cmp_gt_i32_e64 s4, s13, v50
	v_lshlrev_b64 v[38:39], 1, v[38:39]
	s_and_b32 s10, s0, s4
	v_lshlrev_b64 v[50:51], 1, v[40:41]
	v_add_co_u32 v40, vcc_lo, s16, v38
	v_add_co_ci_u32_e64 v41, null, s17, v39, vcc_lo
	v_add_co_u32 v38, vcc_lo, s5, v50
	v_add_co_ci_u32_e64 v39, null, s8, v51, vcc_lo
	s_and_saveexec_b32 s9, s10
	s_cbranch_execnz .LBB216_86
; %bb.83:
	s_or_b32 exec_lo, exec_lo, s9
	s_and_b32 s10, s1, s4
	s_and_saveexec_b32 s9, s10
	s_cbranch_execnz .LBB216_90
.LBB216_84:
	s_or_b32 exec_lo, exec_lo, s9
	s_and_b32 s10, s2, s4
	s_and_saveexec_b32 s9, s10
	s_cbranch_execnz .LBB216_94
.LBB216_85:
	s_or_b32 exec_lo, exec_lo, s9
	s_and_b32 s9, s3, s4
	s_and_saveexec_b32 s4, s9
	s_cbranch_execnz .LBB216_98
	s_branch .LBB216_102
.LBB216_86:
	v_cmp_ne_u32_e32 vcc_lo, 1, v48
	s_cbranch_vccnz .LBB216_88
; %bb.87:
	v_lshlrev_b64 v[50:51], 1, v[0:1]
	v_add_co_u32 v50, vcc_lo, v40, v50
	v_add_co_ci_u32_e64 v51, null, v41, v51, vcc_lo
	flat_load_ushort v50, v[50:51]
	s_waitcnt vmcnt(0) lgkmcnt(0)
	v_mul_f16_e32 v50, v53, v50
	v_cvt_f32_f16_e32 v50, v50
	s_branch .LBB216_89
.LBB216_88:
	v_mov_b32_e32 v50, 0
.LBB216_89:
	v_pk_add_f16 v51, v10, v34
	v_pk_add_f16 v52, v11, v35
	v_max_f16_e32 v97, v114, v114
	v_lshrrev_b32_e32 v101, 16, v114
	v_max_f32_e32 v50, v50, v50
	v_lshrrev_b32_e32 v102, 16, v51
	v_lshrrev_b32_e32 v103, 16, v52
	v_min_f16_e32 v51, v97, v51
	v_min3_f16 v97, v101, v102, v103
	v_min3_f16 v51, v51, v52, v97
	v_cvt_f32_f16_e32 v51, v51
	v_min_f32_e32 v52, v50, v51
	v_lshlrev_b64 v[50:51], 1, v[0:1]
	v_cvt_f16_f32_e32 v52, v52
	v_add_co_u32 v50, vcc_lo, v38, v50
	v_add_co_ci_u32_e64 v51, null, v39, v51, vcc_lo
	flat_store_short v[50:51], v52
	s_or_b32 exec_lo, exec_lo, s9
	s_and_b32 s10, s1, s4
	s_and_saveexec_b32 s9, s10
	s_cbranch_execz .LBB216_84
.LBB216_90:
	v_cmp_ne_u32_e32 vcc_lo, 1, v48
	s_cbranch_vccnz .LBB216_92
; %bb.91:
	v_lshlrev_b64 v[50:51], 1, v[42:43]
	v_add_co_u32 v50, vcc_lo, v40, v50
	v_add_co_ci_u32_e64 v51, null, v41, v51, vcc_lo
	flat_load_ushort v50, v[50:51]
	s_waitcnt vmcnt(0) lgkmcnt(0)
	v_mul_f16_e32 v50, v53, v50
	v_cvt_f32_f16_e32 v50, v50
	s_branch .LBB216_93
.LBB216_92:
	v_mov_b32_e32 v50, 0
.LBB216_93:
	v_pk_add_f16 v51, v12, v34
	v_pk_add_f16 v52, v13, v35
	v_max_f16_e32 v97, v113, v113
	v_lshrrev_b32_e32 v101, 16, v113
	v_max_f32_e32 v50, v50, v50
	v_lshrrev_b32_e32 v102, 16, v51
	v_lshrrev_b32_e32 v103, 16, v52
	v_min_f16_e32 v51, v97, v51
	v_min3_f16 v97, v101, v102, v103
	v_min3_f16 v51, v51, v52, v97
	v_cvt_f32_f16_e32 v51, v51
	v_min_f32_e32 v52, v50, v51
	v_lshlrev_b64 v[50:51], 1, v[42:43]
	v_cvt_f16_f32_e32 v52, v52
	v_add_co_u32 v50, vcc_lo, v38, v50
	v_add_co_ci_u32_e64 v51, null, v39, v51, vcc_lo
	flat_store_short v[50:51], v52
	s_or_b32 exec_lo, exec_lo, s9
	s_and_b32 s10, s2, s4
	s_and_saveexec_b32 s9, s10
	s_cbranch_execz .LBB216_85
.LBB216_94:
	v_cmp_ne_u32_e32 vcc_lo, 1, v48
	s_cbranch_vccnz .LBB216_96
; %bb.95:
	v_lshlrev_b64 v[50:51], 1, v[44:45]
	v_add_co_u32 v50, vcc_lo, v40, v50
	v_add_co_ci_u32_e64 v51, null, v41, v51, vcc_lo
	flat_load_ushort v50, v[50:51]
	s_waitcnt vmcnt(0) lgkmcnt(0)
	v_mul_f16_e32 v50, v53, v50
	v_cvt_f32_f16_e32 v50, v50
	s_branch .LBB216_97
.LBB216_96:
	v_mov_b32_e32 v50, 0
.LBB216_97:
	v_pk_add_f16 v51, v2, v34
	v_pk_add_f16 v52, v3, v35
	v_max_f16_e32 v97, v112, v112
	v_lshrrev_b32_e32 v101, 16, v112
	v_max_f32_e32 v50, v50, v50
	v_lshrrev_b32_e32 v102, 16, v51
	v_lshrrev_b32_e32 v103, 16, v52
	v_min_f16_e32 v51, v97, v51
	v_min3_f16 v97, v101, v102, v103
	v_min3_f16 v51, v51, v52, v97
	v_cvt_f32_f16_e32 v51, v51
	v_min_f32_e32 v52, v50, v51
	v_lshlrev_b64 v[50:51], 1, v[44:45]
	v_cvt_f16_f32_e32 v52, v52
	v_add_co_u32 v50, vcc_lo, v38, v50
	v_add_co_ci_u32_e64 v51, null, v39, v51, vcc_lo
	flat_store_short v[50:51], v52
	s_or_b32 exec_lo, exec_lo, s9
	s_and_b32 s9, s3, s4
	s_and_saveexec_b32 s4, s9
	s_cbranch_execz .LBB216_102
.LBB216_98:
	v_cmp_ne_u32_e32 vcc_lo, 1, v48
	s_cbranch_vccnz .LBB216_100
; %bb.99:
	v_lshlrev_b64 v[50:51], 1, v[46:47]
	v_add_co_u32 v40, vcc_lo, v40, v50
	v_add_co_ci_u32_e64 v41, null, v41, v51, vcc_lo
	flat_load_ushort v40, v[40:41]
	s_waitcnt vmcnt(0) lgkmcnt(0)
	v_mul_f16_e32 v40, v53, v40
	v_cvt_f32_f16_e32 v40, v40
	s_branch .LBB216_101
.LBB216_100:
	v_mov_b32_e32 v40, 0
.LBB216_101:
	v_pk_add_f16 v34, v4, v34
	v_pk_add_f16 v35, v5, v35
	v_max_f16_e32 v41, v111, v111
	v_lshrrev_b32_e32 v50, 16, v111
	v_lshrrev_b32_e32 v51, 16, v34
	;; [unrolled: 1-line block ×3, first 2 shown]
	v_min_f16_e32 v34, v41, v34
	v_min3_f16 v41, v50, v51, v52
	v_min3_f16 v34, v34, v35, v41
	v_max_f32_e32 v35, v40, v40
	v_cvt_f32_f16_e32 v34, v34
	v_min_f32_e32 v40, v35, v34
	v_lshlrev_b64 v[34:35], 1, v[46:47]
	v_cvt_f16_f32_e32 v40, v40
	v_add_co_u32 v34, vcc_lo, v38, v34
	v_add_co_ci_u32_e64 v35, null, v39, v35, vcc_lo
	flat_store_short v[34:35], v40
.LBB216_102:
	s_or_b32 exec_lo, exec_lo, s4
	v_add_nc_u32_e32 v40, 24, v49
	v_mad_i64_i32 v[34:35], null, v40, s7, 0
	v_mad_i64_i32 v[38:39], null, v40, s6, 0
	v_cmp_gt_i32_e64 s4, s13, v40
	v_lshlrev_b64 v[34:35], 1, v[34:35]
	s_and_b32 s10, s0, s4
	v_lshlrev_b64 v[40:41], 1, v[38:39]
	v_add_co_u32 v38, vcc_lo, s16, v34
	v_add_co_ci_u32_e64 v39, null, s17, v35, vcc_lo
	v_add_co_u32 v34, vcc_lo, s5, v40
	v_add_co_ci_u32_e64 v35, null, s8, v41, vcc_lo
	s_and_saveexec_b32 s9, s10
	s_cbranch_execnz .LBB216_106
; %bb.103:
	s_or_b32 exec_lo, exec_lo, s9
	s_and_b32 s10, s1, s4
	s_and_saveexec_b32 s9, s10
	s_cbranch_execnz .LBB216_110
.LBB216_104:
	s_or_b32 exec_lo, exec_lo, s9
	s_and_b32 s10, s2, s4
	s_and_saveexec_b32 s9, s10
	s_cbranch_execnz .LBB216_114
.LBB216_105:
	s_or_b32 exec_lo, exec_lo, s9
	s_and_b32 s9, s3, s4
	s_and_saveexec_b32 s4, s9
	s_cbranch_execnz .LBB216_118
	s_branch .LBB216_122
.LBB216_106:
	v_cmp_ne_u32_e32 vcc_lo, 1, v48
	s_cbranch_vccnz .LBB216_108
; %bb.107:
	v_lshlrev_b64 v[40:41], 1, v[0:1]
	v_add_co_u32 v40, vcc_lo, v38, v40
	v_add_co_ci_u32_e64 v41, null, v39, v41, vcc_lo
	flat_load_ushort v40, v[40:41]
	s_waitcnt vmcnt(0) lgkmcnt(0)
	v_mul_f16_e32 v40, v53, v40
	v_cvt_f32_f16_e32 v40, v40
	s_branch .LBB216_109
.LBB216_108:
	v_mov_b32_e32 v40, 0
.LBB216_109:
	v_pk_add_f16 v41, v10, v36
	v_pk_add_f16 v50, v11, v37
	v_max_f16_e32 v51, v110, v110
	v_lshrrev_b32_e32 v52, 16, v110
	v_max_f32_e32 v40, v40, v40
	v_lshrrev_b32_e32 v97, 16, v41
	v_lshrrev_b32_e32 v101, 16, v50
	v_min_f16_e32 v41, v51, v41
	v_min3_f16 v51, v52, v97, v101
	v_min3_f16 v41, v41, v50, v51
	v_cvt_f32_f16_e32 v41, v41
	v_min_f32_e32 v50, v40, v41
	v_lshlrev_b64 v[40:41], 1, v[0:1]
	v_cvt_f16_f32_e32 v50, v50
	v_add_co_u32 v40, vcc_lo, v34, v40
	v_add_co_ci_u32_e64 v41, null, v35, v41, vcc_lo
	flat_store_short v[40:41], v50
	s_or_b32 exec_lo, exec_lo, s9
	s_and_b32 s10, s1, s4
	s_and_saveexec_b32 s9, s10
	s_cbranch_execz .LBB216_104
.LBB216_110:
	v_cmp_ne_u32_e32 vcc_lo, 1, v48
	s_cbranch_vccnz .LBB216_112
; %bb.111:
	v_lshlrev_b64 v[40:41], 1, v[42:43]
	v_add_co_u32 v40, vcc_lo, v38, v40
	v_add_co_ci_u32_e64 v41, null, v39, v41, vcc_lo
	flat_load_ushort v40, v[40:41]
	s_waitcnt vmcnt(0) lgkmcnt(0)
	v_mul_f16_e32 v40, v53, v40
	v_cvt_f32_f16_e32 v40, v40
	s_branch .LBB216_113
.LBB216_112:
	v_mov_b32_e32 v40, 0
.LBB216_113:
	v_pk_add_f16 v41, v12, v36
	v_pk_add_f16 v50, v13, v37
	v_max_f16_e32 v51, v109, v109
	v_lshrrev_b32_e32 v52, 16, v109
	v_max_f32_e32 v40, v40, v40
	v_lshrrev_b32_e32 v97, 16, v41
	v_lshrrev_b32_e32 v101, 16, v50
	v_min_f16_e32 v41, v51, v41
	v_min3_f16 v51, v52, v97, v101
	v_min3_f16 v41, v41, v50, v51
	v_cvt_f32_f16_e32 v41, v41
	v_min_f32_e32 v50, v40, v41
	v_lshlrev_b64 v[40:41], 1, v[42:43]
	v_cvt_f16_f32_e32 v50, v50
	v_add_co_u32 v40, vcc_lo, v34, v40
	v_add_co_ci_u32_e64 v41, null, v35, v41, vcc_lo
	flat_store_short v[40:41], v50
	s_or_b32 exec_lo, exec_lo, s9
	s_and_b32 s10, s2, s4
	s_and_saveexec_b32 s9, s10
	s_cbranch_execz .LBB216_105
.LBB216_114:
	v_cmp_ne_u32_e32 vcc_lo, 1, v48
	s_cbranch_vccnz .LBB216_116
; %bb.115:
	v_lshlrev_b64 v[40:41], 1, v[44:45]
	v_add_co_u32 v40, vcc_lo, v38, v40
	v_add_co_ci_u32_e64 v41, null, v39, v41, vcc_lo
	flat_load_ushort v40, v[40:41]
	s_waitcnt vmcnt(0) lgkmcnt(0)
	v_mul_f16_e32 v40, v53, v40
	v_cvt_f32_f16_e32 v40, v40
	s_branch .LBB216_117
.LBB216_116:
	v_mov_b32_e32 v40, 0
.LBB216_117:
	v_pk_add_f16 v41, v2, v36
	v_pk_add_f16 v50, v3, v37
	v_max_f16_e32 v51, v107, v107
	v_lshrrev_b32_e32 v52, 16, v107
	v_max_f32_e32 v40, v40, v40
	v_lshrrev_b32_e32 v97, 16, v41
	v_lshrrev_b32_e32 v101, 16, v50
	v_min_f16_e32 v41, v51, v41
	v_min3_f16 v51, v52, v97, v101
	v_min3_f16 v41, v41, v50, v51
	v_cvt_f32_f16_e32 v41, v41
	v_min_f32_e32 v50, v40, v41
	v_lshlrev_b64 v[40:41], 1, v[44:45]
	v_cvt_f16_f32_e32 v50, v50
	v_add_co_u32 v40, vcc_lo, v34, v40
	v_add_co_ci_u32_e64 v41, null, v35, v41, vcc_lo
	flat_store_short v[40:41], v50
	s_or_b32 exec_lo, exec_lo, s9
	s_and_b32 s9, s3, s4
	s_and_saveexec_b32 s4, s9
	s_cbranch_execz .LBB216_122
.LBB216_118:
	v_cmp_ne_u32_e32 vcc_lo, 1, v48
	s_cbranch_vccnz .LBB216_120
; %bb.119:
	v_lshlrev_b64 v[40:41], 1, v[46:47]
	v_add_co_u32 v38, vcc_lo, v38, v40
	v_add_co_ci_u32_e64 v39, null, v39, v41, vcc_lo
	flat_load_ushort v38, v[38:39]
	s_waitcnt vmcnt(0) lgkmcnt(0)
	v_mul_f16_e32 v38, v53, v38
	v_cvt_f32_f16_e32 v38, v38
	s_branch .LBB216_121
.LBB216_120:
	v_mov_b32_e32 v38, 0
.LBB216_121:
	v_pk_add_f16 v36, v4, v36
	v_pk_add_f16 v37, v5, v37
	v_max_f16_e32 v39, v106, v106
	v_lshrrev_b32_e32 v40, 16, v106
	v_lshrrev_b32_e32 v41, 16, v36
	;; [unrolled: 1-line block ×3, first 2 shown]
	v_min_f16_e32 v36, v39, v36
	v_min3_f16 v39, v40, v41, v50
	v_min3_f16 v36, v36, v37, v39
	v_max_f32_e32 v37, v38, v38
	v_cvt_f32_f16_e32 v36, v36
	v_min_f32_e32 v38, v37, v36
	v_lshlrev_b64 v[36:37], 1, v[46:47]
	v_cvt_f16_f32_e32 v38, v38
	v_add_co_u32 v34, vcc_lo, v34, v36
	v_add_co_ci_u32_e64 v35, null, v35, v37, vcc_lo
	flat_store_short v[34:35], v38
.LBB216_122:
	s_or_b32 exec_lo, exec_lo, s4
	v_add_nc_u32_e32 v38, 32, v49
	v_mad_i64_i32 v[34:35], null, v38, s7, 0
	v_mad_i64_i32 v[36:37], null, v38, s6, 0
	v_cmp_gt_i32_e64 s4, s13, v38
	v_lshlrev_b64 v[34:35], 1, v[34:35]
	s_and_b32 s10, s0, s4
	v_lshlrev_b64 v[38:39], 1, v[36:37]
	v_add_co_u32 v36, vcc_lo, s16, v34
	v_add_co_ci_u32_e64 v37, null, s17, v35, vcc_lo
	v_add_co_u32 v34, vcc_lo, s5, v38
	v_add_co_ci_u32_e64 v35, null, s8, v39, vcc_lo
	s_and_saveexec_b32 s9, s10
	s_cbranch_execnz .LBB216_126
; %bb.123:
	s_or_b32 exec_lo, exec_lo, s9
	s_and_b32 s10, s1, s4
	s_and_saveexec_b32 s9, s10
	s_cbranch_execnz .LBB216_130
.LBB216_124:
	s_or_b32 exec_lo, exec_lo, s9
	s_and_b32 s10, s2, s4
	s_and_saveexec_b32 s9, s10
	s_cbranch_execnz .LBB216_134
.LBB216_125:
	s_or_b32 exec_lo, exec_lo, s9
	s_and_b32 s9, s3, s4
	s_and_saveexec_b32 s4, s9
	s_cbranch_execnz .LBB216_138
	s_branch .LBB216_142
.LBB216_126:
	v_cmp_ne_u32_e32 vcc_lo, 1, v48
	s_cbranch_vccnz .LBB216_128
; %bb.127:
	v_lshlrev_b64 v[38:39], 1, v[0:1]
	v_add_co_u32 v38, vcc_lo, v36, v38
	v_add_co_ci_u32_e64 v39, null, v37, v39, vcc_lo
	flat_load_ushort v38, v[38:39]
	s_waitcnt vmcnt(0) lgkmcnt(0)
	v_mul_f16_e32 v38, v53, v38
	v_cvt_f32_f16_e32 v38, v38
	s_branch .LBB216_129
.LBB216_128:
	v_mov_b32_e32 v38, 0
.LBB216_129:
	v_pk_add_f16 v39, v10, v30
	v_pk_add_f16 v40, v11, v31
	v_max_f16_e32 v41, v105, v105
	v_lshrrev_b32_e32 v50, 16, v105
	v_max_f32_e32 v38, v38, v38
	v_lshrrev_b32_e32 v51, 16, v39
	v_lshrrev_b32_e32 v52, 16, v40
	v_min_f16_e32 v39, v41, v39
	v_min3_f16 v41, v50, v51, v52
	v_min3_f16 v39, v39, v40, v41
	v_cvt_f32_f16_e32 v39, v39
	v_min_f32_e32 v40, v38, v39
	v_lshlrev_b64 v[38:39], 1, v[0:1]
	v_cvt_f16_f32_e32 v40, v40
	v_add_co_u32 v38, vcc_lo, v34, v38
	v_add_co_ci_u32_e64 v39, null, v35, v39, vcc_lo
	flat_store_short v[38:39], v40
	s_or_b32 exec_lo, exec_lo, s9
	s_and_b32 s10, s1, s4
	s_and_saveexec_b32 s9, s10
	s_cbranch_execz .LBB216_124
.LBB216_130:
	v_cmp_ne_u32_e32 vcc_lo, 1, v48
	s_cbranch_vccnz .LBB216_132
; %bb.131:
	v_lshlrev_b64 v[38:39], 1, v[42:43]
	v_add_co_u32 v38, vcc_lo, v36, v38
	v_add_co_ci_u32_e64 v39, null, v37, v39, vcc_lo
	flat_load_ushort v38, v[38:39]
	s_waitcnt vmcnt(0) lgkmcnt(0)
	v_mul_f16_e32 v38, v53, v38
	v_cvt_f32_f16_e32 v38, v38
	s_branch .LBB216_133
.LBB216_132:
	v_mov_b32_e32 v38, 0
.LBB216_133:
	v_pk_add_f16 v39, v12, v30
	v_pk_add_f16 v40, v13, v31
	v_max_f16_e32 v41, v104, v104
	v_lshrrev_b32_e32 v50, 16, v104
	v_max_f32_e32 v38, v38, v38
	v_lshrrev_b32_e32 v51, 16, v39
	v_lshrrev_b32_e32 v52, 16, v40
	v_min_f16_e32 v39, v41, v39
	v_min3_f16 v41, v50, v51, v52
	v_min3_f16 v39, v39, v40, v41
	v_cvt_f32_f16_e32 v39, v39
	v_min_f32_e32 v40, v38, v39
	v_lshlrev_b64 v[38:39], 1, v[42:43]
	v_cvt_f16_f32_e32 v40, v40
	v_add_co_u32 v38, vcc_lo, v34, v38
	v_add_co_ci_u32_e64 v39, null, v35, v39, vcc_lo
	flat_store_short v[38:39], v40
	s_or_b32 exec_lo, exec_lo, s9
	s_and_b32 s10, s2, s4
	s_and_saveexec_b32 s9, s10
	s_cbranch_execz .LBB216_125
.LBB216_134:
	v_cmp_ne_u32_e32 vcc_lo, 1, v48
	s_cbranch_vccnz .LBB216_136
; %bb.135:
	v_lshlrev_b64 v[38:39], 1, v[44:45]
	v_add_co_u32 v38, vcc_lo, v36, v38
	v_add_co_ci_u32_e64 v39, null, v37, v39, vcc_lo
	flat_load_ushort v38, v[38:39]
	s_waitcnt vmcnt(0) lgkmcnt(0)
	v_mul_f16_e32 v38, v53, v38
	v_cvt_f32_f16_e32 v38, v38
	s_branch .LBB216_137
.LBB216_136:
	v_mov_b32_e32 v38, 0
.LBB216_137:
	v_pk_add_f16 v39, v2, v30
	v_pk_add_f16 v40, v3, v31
	v_max_f16_e32 v41, v100, v100
	v_lshrrev_b32_e32 v50, 16, v100
	v_max_f32_e32 v38, v38, v38
	v_lshrrev_b32_e32 v51, 16, v39
	v_lshrrev_b32_e32 v52, 16, v40
	v_min_f16_e32 v39, v41, v39
	v_min3_f16 v41, v50, v51, v52
	v_min3_f16 v39, v39, v40, v41
	v_cvt_f32_f16_e32 v39, v39
	v_min_f32_e32 v40, v38, v39
	v_lshlrev_b64 v[38:39], 1, v[44:45]
	v_cvt_f16_f32_e32 v40, v40
	v_add_co_u32 v38, vcc_lo, v34, v38
	v_add_co_ci_u32_e64 v39, null, v35, v39, vcc_lo
	flat_store_short v[38:39], v40
	s_or_b32 exec_lo, exec_lo, s9
	s_and_b32 s9, s3, s4
	s_and_saveexec_b32 s4, s9
	s_cbranch_execz .LBB216_142
.LBB216_138:
	v_cmp_ne_u32_e32 vcc_lo, 1, v48
	s_cbranch_vccnz .LBB216_140
; %bb.139:
	v_lshlrev_b64 v[38:39], 1, v[46:47]
	v_add_co_u32 v36, vcc_lo, v36, v38
	v_add_co_ci_u32_e64 v37, null, v37, v39, vcc_lo
	flat_load_ushort v36, v[36:37]
	s_waitcnt vmcnt(0) lgkmcnt(0)
	v_mul_f16_e32 v36, v53, v36
	v_cvt_f32_f16_e32 v36, v36
	s_branch .LBB216_141
.LBB216_140:
	v_mov_b32_e32 v36, 0
.LBB216_141:
	v_pk_add_f16 v30, v4, v30
	v_pk_add_f16 v31, v5, v31
	v_max_f16_e32 v37, v99, v99
	v_lshrrev_b32_e32 v38, 16, v99
	v_lshrrev_b32_e32 v39, 16, v30
	;; [unrolled: 1-line block ×3, first 2 shown]
	v_min_f16_e32 v30, v37, v30
	v_min3_f16 v37, v38, v39, v40
	v_min3_f16 v30, v30, v31, v37
	v_max_f32_e32 v31, v36, v36
	v_cvt_f32_f16_e32 v30, v30
	v_min_f32_e32 v36, v31, v30
	v_lshlrev_b64 v[30:31], 1, v[46:47]
	v_cvt_f16_f32_e32 v36, v36
	v_add_co_u32 v30, vcc_lo, v34, v30
	v_add_co_ci_u32_e64 v31, null, v35, v31, vcc_lo
	flat_store_short v[30:31], v36
.LBB216_142:
	s_or_b32 exec_lo, exec_lo, s4
	v_add_nc_u32_e32 v36, 40, v49
	v_mad_i64_i32 v[30:31], null, v36, s7, 0
	v_mad_i64_i32 v[34:35], null, v36, s6, 0
	v_cmp_gt_i32_e64 s4, s13, v36
	v_lshlrev_b64 v[30:31], 1, v[30:31]
	s_and_b32 s10, s0, s4
	v_lshlrev_b64 v[36:37], 1, v[34:35]
	v_add_co_u32 v34, vcc_lo, s16, v30
	v_add_co_ci_u32_e64 v35, null, s17, v31, vcc_lo
	v_add_co_u32 v30, vcc_lo, s5, v36
	v_add_co_ci_u32_e64 v31, null, s8, v37, vcc_lo
	s_and_saveexec_b32 s9, s10
	s_cbranch_execnz .LBB216_146
; %bb.143:
	s_or_b32 exec_lo, exec_lo, s9
	s_and_b32 s10, s1, s4
	s_and_saveexec_b32 s9, s10
	s_cbranch_execnz .LBB216_150
.LBB216_144:
	s_or_b32 exec_lo, exec_lo, s9
	s_and_b32 s10, s2, s4
	s_and_saveexec_b32 s9, s10
	s_cbranch_execnz .LBB216_154
.LBB216_145:
	s_or_b32 exec_lo, exec_lo, s9
	s_and_b32 s9, s3, s4
	s_and_saveexec_b32 s4, s9
	s_cbranch_execnz .LBB216_158
	s_branch .LBB216_162
.LBB216_146:
	v_cmp_ne_u32_e32 vcc_lo, 1, v48
	s_cbranch_vccnz .LBB216_148
; %bb.147:
	v_lshlrev_b64 v[36:37], 1, v[0:1]
	v_add_co_u32 v36, vcc_lo, v34, v36
	v_add_co_ci_u32_e64 v37, null, v35, v37, vcc_lo
	flat_load_ushort v36, v[36:37]
	s_waitcnt vmcnt(0) lgkmcnt(0)
	v_mul_f16_e32 v36, v53, v36
	v_cvt_f32_f16_e32 v36, v36
	s_branch .LBB216_149
.LBB216_148:
	v_mov_b32_e32 v36, 0
.LBB216_149:
	v_pk_add_f16 v37, v10, v32
	v_pk_add_f16 v38, v11, v33
	v_max_f16_e32 v39, v98, v98
	v_lshrrev_b32_e32 v40, 16, v98
	v_max_f32_e32 v36, v36, v36
	v_lshrrev_b32_e32 v41, 16, v37
	v_lshrrev_b32_e32 v50, 16, v38
	v_min_f16_e32 v37, v39, v37
	v_min3_f16 v39, v40, v41, v50
	v_min3_f16 v37, v37, v38, v39
	v_cvt_f32_f16_e32 v37, v37
	v_min_f32_e32 v38, v36, v37
	v_lshlrev_b64 v[36:37], 1, v[0:1]
	v_cvt_f16_f32_e32 v38, v38
	v_add_co_u32 v36, vcc_lo, v30, v36
	v_add_co_ci_u32_e64 v37, null, v31, v37, vcc_lo
	flat_store_short v[36:37], v38
	s_or_b32 exec_lo, exec_lo, s9
	s_and_b32 s10, s1, s4
	s_and_saveexec_b32 s9, s10
	s_cbranch_execz .LBB216_144
.LBB216_150:
	v_cmp_ne_u32_e32 vcc_lo, 1, v48
	s_cbranch_vccnz .LBB216_152
; %bb.151:
	v_lshlrev_b64 v[36:37], 1, v[42:43]
	v_add_co_u32 v36, vcc_lo, v34, v36
	v_add_co_ci_u32_e64 v37, null, v35, v37, vcc_lo
	flat_load_ushort v36, v[36:37]
	s_waitcnt vmcnt(0) lgkmcnt(0)
	v_mul_f16_e32 v36, v53, v36
	v_cvt_f32_f16_e32 v36, v36
	s_branch .LBB216_153
.LBB216_152:
	v_mov_b32_e32 v36, 0
.LBB216_153:
	v_pk_add_f16 v37, v12, v32
	v_pk_add_f16 v38, v13, v33
	v_max_f16_e32 v39, v96, v96
	v_lshrrev_b32_e32 v40, 16, v96
	v_max_f32_e32 v36, v36, v36
	v_lshrrev_b32_e32 v41, 16, v37
	v_lshrrev_b32_e32 v50, 16, v38
	v_min_f16_e32 v37, v39, v37
	v_min3_f16 v39, v40, v41, v50
	v_min3_f16 v37, v37, v38, v39
	v_cvt_f32_f16_e32 v37, v37
	v_min_f32_e32 v38, v36, v37
	v_lshlrev_b64 v[36:37], 1, v[42:43]
	v_cvt_f16_f32_e32 v38, v38
	v_add_co_u32 v36, vcc_lo, v30, v36
	v_add_co_ci_u32_e64 v37, null, v31, v37, vcc_lo
	flat_store_short v[36:37], v38
	s_or_b32 exec_lo, exec_lo, s9
	s_and_b32 s10, s2, s4
	s_and_saveexec_b32 s9, s10
	s_cbranch_execz .LBB216_145
.LBB216_154:
	v_cmp_ne_u32_e32 vcc_lo, 1, v48
	s_cbranch_vccnz .LBB216_156
; %bb.155:
	v_lshlrev_b64 v[36:37], 1, v[44:45]
	v_add_co_u32 v36, vcc_lo, v34, v36
	v_add_co_ci_u32_e64 v37, null, v35, v37, vcc_lo
	flat_load_ushort v36, v[36:37]
	s_waitcnt vmcnt(0) lgkmcnt(0)
	v_mul_f16_e32 v36, v53, v36
	v_cvt_f32_f16_e32 v36, v36
	s_branch .LBB216_157
.LBB216_156:
	v_mov_b32_e32 v36, 0
.LBB216_157:
	v_pk_add_f16 v37, v2, v32
	v_pk_add_f16 v38, v3, v33
	v_max_f16_e32 v39, v95, v95
	v_lshrrev_b32_e32 v40, 16, v95
	v_max_f32_e32 v36, v36, v36
	v_lshrrev_b32_e32 v41, 16, v37
	v_lshrrev_b32_e32 v50, 16, v38
	v_min_f16_e32 v37, v39, v37
	v_min3_f16 v39, v40, v41, v50
	v_min3_f16 v37, v37, v38, v39
	v_cvt_f32_f16_e32 v37, v37
	v_min_f32_e32 v38, v36, v37
	v_lshlrev_b64 v[36:37], 1, v[44:45]
	v_cvt_f16_f32_e32 v38, v38
	v_add_co_u32 v36, vcc_lo, v30, v36
	v_add_co_ci_u32_e64 v37, null, v31, v37, vcc_lo
	flat_store_short v[36:37], v38
	s_or_b32 exec_lo, exec_lo, s9
	s_and_b32 s9, s3, s4
	s_and_saveexec_b32 s4, s9
	s_cbranch_execz .LBB216_162
.LBB216_158:
	v_cmp_ne_u32_e32 vcc_lo, 1, v48
	s_cbranch_vccnz .LBB216_160
; %bb.159:
	v_lshlrev_b64 v[36:37], 1, v[46:47]
	v_add_co_u32 v34, vcc_lo, v34, v36
	v_add_co_ci_u32_e64 v35, null, v35, v37, vcc_lo
	flat_load_ushort v34, v[34:35]
	s_waitcnt vmcnt(0) lgkmcnt(0)
	v_mul_f16_e32 v34, v53, v34
	v_cvt_f32_f16_e32 v34, v34
	s_branch .LBB216_161
.LBB216_160:
	v_mov_b32_e32 v34, 0
.LBB216_161:
	v_pk_add_f16 v32, v4, v32
	v_pk_add_f16 v33, v5, v33
	v_max_f16_e32 v35, v94, v94
	v_lshrrev_b32_e32 v36, 16, v94
	v_lshrrev_b32_e32 v37, 16, v32
	;; [unrolled: 1-line block ×3, first 2 shown]
	v_min_f16_e32 v32, v35, v32
	v_min3_f16 v35, v36, v37, v38
	v_min3_f16 v32, v32, v33, v35
	v_max_f32_e32 v33, v34, v34
	v_cvt_f32_f16_e32 v32, v32
	v_min_f32_e32 v34, v33, v32
	v_lshlrev_b64 v[32:33], 1, v[46:47]
	v_cvt_f16_f32_e32 v34, v34
	v_add_co_u32 v30, vcc_lo, v30, v32
	v_add_co_ci_u32_e64 v31, null, v31, v33, vcc_lo
	flat_store_short v[30:31], v34
.LBB216_162:
	s_or_b32 exec_lo, exec_lo, s4
	v_add_nc_u32_e32 v34, 48, v49
	v_mad_i64_i32 v[30:31], null, v34, s7, 0
	v_mad_i64_i32 v[32:33], null, v34, s6, 0
	v_cmp_gt_i32_e64 s4, s13, v34
	v_lshlrev_b64 v[30:31], 1, v[30:31]
	s_and_b32 s10, s0, s4
	v_lshlrev_b64 v[34:35], 1, v[32:33]
	v_add_co_u32 v32, vcc_lo, s16, v30
	v_add_co_ci_u32_e64 v33, null, s17, v31, vcc_lo
	v_add_co_u32 v30, vcc_lo, s5, v34
	v_add_co_ci_u32_e64 v31, null, s8, v35, vcc_lo
	s_and_saveexec_b32 s9, s10
	s_cbranch_execnz .LBB216_166
; %bb.163:
	s_or_b32 exec_lo, exec_lo, s9
	s_and_b32 s10, s1, s4
	s_and_saveexec_b32 s9, s10
	s_cbranch_execnz .LBB216_170
.LBB216_164:
	s_or_b32 exec_lo, exec_lo, s9
	s_and_b32 s10, s2, s4
	s_and_saveexec_b32 s9, s10
	s_cbranch_execnz .LBB216_174
.LBB216_165:
	s_or_b32 exec_lo, exec_lo, s9
	s_and_b32 s9, s3, s4
	s_and_saveexec_b32 s4, s9
	s_cbranch_execnz .LBB216_178
	s_branch .LBB216_182
.LBB216_166:
	v_cmp_ne_u32_e32 vcc_lo, 1, v48
	s_cbranch_vccnz .LBB216_168
; %bb.167:
	v_lshlrev_b64 v[34:35], 1, v[0:1]
	v_add_co_u32 v34, vcc_lo, v32, v34
	v_add_co_ci_u32_e64 v35, null, v33, v35, vcc_lo
	flat_load_ushort v34, v[34:35]
	s_waitcnt vmcnt(0) lgkmcnt(0)
	v_mul_f16_e32 v34, v53, v34
	v_cvt_f32_f16_e32 v34, v34
	s_branch .LBB216_169
.LBB216_168:
	v_mov_b32_e32 v34, 0
.LBB216_169:
	v_pk_add_f16 v35, v10, v26
	v_pk_add_f16 v36, v11, v27
	v_max_f16_e32 v37, v93, v93
	v_lshrrev_b32_e32 v38, 16, v93
	v_max_f32_e32 v34, v34, v34
	v_lshrrev_b32_e32 v39, 16, v35
	v_lshrrev_b32_e32 v40, 16, v36
	v_min_f16_e32 v35, v37, v35
	v_min3_f16 v37, v38, v39, v40
	v_min3_f16 v35, v35, v36, v37
	v_cvt_f32_f16_e32 v35, v35
	v_min_f32_e32 v36, v34, v35
	v_lshlrev_b64 v[34:35], 1, v[0:1]
	v_cvt_f16_f32_e32 v36, v36
	v_add_co_u32 v34, vcc_lo, v30, v34
	v_add_co_ci_u32_e64 v35, null, v31, v35, vcc_lo
	flat_store_short v[34:35], v36
	s_or_b32 exec_lo, exec_lo, s9
	s_and_b32 s10, s1, s4
	s_and_saveexec_b32 s9, s10
	s_cbranch_execz .LBB216_164
.LBB216_170:
	v_cmp_ne_u32_e32 vcc_lo, 1, v48
	s_cbranch_vccnz .LBB216_172
; %bb.171:
	v_lshlrev_b64 v[34:35], 1, v[42:43]
	v_add_co_u32 v34, vcc_lo, v32, v34
	v_add_co_ci_u32_e64 v35, null, v33, v35, vcc_lo
	flat_load_ushort v34, v[34:35]
	s_waitcnt vmcnt(0) lgkmcnt(0)
	v_mul_f16_e32 v34, v53, v34
	v_cvt_f32_f16_e32 v34, v34
	s_branch .LBB216_173
.LBB216_172:
	v_mov_b32_e32 v34, 0
.LBB216_173:
	v_pk_add_f16 v35, v12, v26
	v_pk_add_f16 v36, v13, v27
	v_max_f16_e32 v37, v92, v92
	v_lshrrev_b32_e32 v38, 16, v92
	v_max_f32_e32 v34, v34, v34
	v_lshrrev_b32_e32 v39, 16, v35
	v_lshrrev_b32_e32 v40, 16, v36
	v_min_f16_e32 v35, v37, v35
	v_min3_f16 v37, v38, v39, v40
	v_min3_f16 v35, v35, v36, v37
	v_cvt_f32_f16_e32 v35, v35
	v_min_f32_e32 v36, v34, v35
	v_lshlrev_b64 v[34:35], 1, v[42:43]
	v_cvt_f16_f32_e32 v36, v36
	v_add_co_u32 v34, vcc_lo, v30, v34
	v_add_co_ci_u32_e64 v35, null, v31, v35, vcc_lo
	flat_store_short v[34:35], v36
	s_or_b32 exec_lo, exec_lo, s9
	s_and_b32 s10, s2, s4
	s_and_saveexec_b32 s9, s10
	s_cbranch_execz .LBB216_165
.LBB216_174:
	v_cmp_ne_u32_e32 vcc_lo, 1, v48
	s_cbranch_vccnz .LBB216_176
; %bb.175:
	v_lshlrev_b64 v[34:35], 1, v[44:45]
	v_add_co_u32 v34, vcc_lo, v32, v34
	v_add_co_ci_u32_e64 v35, null, v33, v35, vcc_lo
	flat_load_ushort v34, v[34:35]
	s_waitcnt vmcnt(0) lgkmcnt(0)
	v_mul_f16_e32 v34, v53, v34
	v_cvt_f32_f16_e32 v34, v34
	s_branch .LBB216_177
.LBB216_176:
	v_mov_b32_e32 v34, 0
.LBB216_177:
	v_pk_add_f16 v35, v2, v26
	v_pk_add_f16 v36, v3, v27
	v_max_f16_e32 v37, v91, v91
	v_lshrrev_b32_e32 v38, 16, v91
	v_max_f32_e32 v34, v34, v34
	v_lshrrev_b32_e32 v39, 16, v35
	v_lshrrev_b32_e32 v40, 16, v36
	v_min_f16_e32 v35, v37, v35
	v_min3_f16 v37, v38, v39, v40
	v_min3_f16 v35, v35, v36, v37
	v_cvt_f32_f16_e32 v35, v35
	v_min_f32_e32 v36, v34, v35
	v_lshlrev_b64 v[34:35], 1, v[44:45]
	v_cvt_f16_f32_e32 v36, v36
	v_add_co_u32 v34, vcc_lo, v30, v34
	v_add_co_ci_u32_e64 v35, null, v31, v35, vcc_lo
	flat_store_short v[34:35], v36
	s_or_b32 exec_lo, exec_lo, s9
	s_and_b32 s9, s3, s4
	s_and_saveexec_b32 s4, s9
	s_cbranch_execz .LBB216_182
.LBB216_178:
	v_cmp_ne_u32_e32 vcc_lo, 1, v48
	s_cbranch_vccnz .LBB216_180
; %bb.179:
	v_lshlrev_b64 v[34:35], 1, v[46:47]
	v_add_co_u32 v32, vcc_lo, v32, v34
	v_add_co_ci_u32_e64 v33, null, v33, v35, vcc_lo
	flat_load_ushort v32, v[32:33]
	s_waitcnt vmcnt(0) lgkmcnt(0)
	v_mul_f16_e32 v32, v53, v32
	v_cvt_f32_f16_e32 v32, v32
	s_branch .LBB216_181
.LBB216_180:
	v_mov_b32_e32 v32, 0
.LBB216_181:
	v_pk_add_f16 v26, v4, v26
	v_pk_add_f16 v27, v5, v27
	v_max_f16_e32 v33, v90, v90
	v_lshrrev_b32_e32 v34, 16, v90
	v_lshrrev_b32_e32 v35, 16, v26
	;; [unrolled: 1-line block ×3, first 2 shown]
	v_min_f16_e32 v26, v33, v26
	v_min3_f16 v33, v34, v35, v36
	v_min3_f16 v26, v26, v27, v33
	v_max_f32_e32 v27, v32, v32
	v_cvt_f32_f16_e32 v26, v26
	v_min_f32_e32 v32, v27, v26
	v_lshlrev_b64 v[26:27], 1, v[46:47]
	v_cvt_f16_f32_e32 v32, v32
	v_add_co_u32 v26, vcc_lo, v30, v26
	v_add_co_ci_u32_e64 v27, null, v31, v27, vcc_lo
	flat_store_short v[26:27], v32
.LBB216_182:
	s_or_b32 exec_lo, exec_lo, s4
	v_add_nc_u32_e32 v32, 56, v49
	v_mad_i64_i32 v[26:27], null, v32, s7, 0
	v_mad_i64_i32 v[30:31], null, v32, s6, 0
	v_cmp_gt_i32_e64 s4, s13, v32
	v_lshlrev_b64 v[26:27], 1, v[26:27]
	s_and_b32 s10, s0, s4
	v_lshlrev_b64 v[32:33], 1, v[30:31]
	v_add_co_u32 v30, vcc_lo, s16, v26
	v_add_co_ci_u32_e64 v31, null, s17, v27, vcc_lo
	v_add_co_u32 v26, vcc_lo, s5, v32
	v_add_co_ci_u32_e64 v27, null, s8, v33, vcc_lo
	s_and_saveexec_b32 s9, s10
	s_cbranch_execnz .LBB216_186
; %bb.183:
	s_or_b32 exec_lo, exec_lo, s9
	s_and_b32 s10, s1, s4
	s_and_saveexec_b32 s9, s10
	s_cbranch_execnz .LBB216_190
.LBB216_184:
	s_or_b32 exec_lo, exec_lo, s9
	s_and_b32 s10, s2, s4
	s_and_saveexec_b32 s9, s10
	s_cbranch_execnz .LBB216_194
.LBB216_185:
	s_or_b32 exec_lo, exec_lo, s9
	s_and_b32 s9, s3, s4
	s_and_saveexec_b32 s4, s9
	s_cbranch_execnz .LBB216_198
	s_branch .LBB216_202
.LBB216_186:
	v_cmp_ne_u32_e32 vcc_lo, 1, v48
	s_cbranch_vccnz .LBB216_188
; %bb.187:
	v_lshlrev_b64 v[32:33], 1, v[0:1]
	v_add_co_u32 v32, vcc_lo, v30, v32
	v_add_co_ci_u32_e64 v33, null, v31, v33, vcc_lo
	flat_load_ushort v32, v[32:33]
	s_waitcnt vmcnt(0) lgkmcnt(0)
	v_mul_f16_e32 v32, v53, v32
	v_cvt_f32_f16_e32 v32, v32
	s_branch .LBB216_189
.LBB216_188:
	v_mov_b32_e32 v32, 0
.LBB216_189:
	v_pk_add_f16 v33, v10, v28
	v_pk_add_f16 v34, v11, v29
	v_max_f16_e32 v35, v89, v89
	v_lshrrev_b32_e32 v36, 16, v89
	v_max_f32_e32 v32, v32, v32
	v_lshrrev_b32_e32 v37, 16, v33
	v_lshrrev_b32_e32 v38, 16, v34
	v_min_f16_e32 v33, v35, v33
	v_min3_f16 v35, v36, v37, v38
	v_min3_f16 v33, v33, v34, v35
	v_cvt_f32_f16_e32 v33, v33
	v_min_f32_e32 v34, v32, v33
	v_lshlrev_b64 v[32:33], 1, v[0:1]
	v_cvt_f16_f32_e32 v34, v34
	v_add_co_u32 v32, vcc_lo, v26, v32
	v_add_co_ci_u32_e64 v33, null, v27, v33, vcc_lo
	flat_store_short v[32:33], v34
	s_or_b32 exec_lo, exec_lo, s9
	s_and_b32 s10, s1, s4
	s_and_saveexec_b32 s9, s10
	s_cbranch_execz .LBB216_184
.LBB216_190:
	v_cmp_ne_u32_e32 vcc_lo, 1, v48
	s_cbranch_vccnz .LBB216_192
; %bb.191:
	v_lshlrev_b64 v[32:33], 1, v[42:43]
	v_add_co_u32 v32, vcc_lo, v30, v32
	v_add_co_ci_u32_e64 v33, null, v31, v33, vcc_lo
	flat_load_ushort v32, v[32:33]
	s_waitcnt vmcnt(0) lgkmcnt(0)
	v_mul_f16_e32 v32, v53, v32
	v_cvt_f32_f16_e32 v32, v32
	s_branch .LBB216_193
.LBB216_192:
	v_mov_b32_e32 v32, 0
.LBB216_193:
	v_pk_add_f16 v33, v12, v28
	v_pk_add_f16 v34, v13, v29
	v_max_f16_e32 v35, v88, v88
	v_lshrrev_b32_e32 v36, 16, v88
	v_max_f32_e32 v32, v32, v32
	v_lshrrev_b32_e32 v37, 16, v33
	v_lshrrev_b32_e32 v38, 16, v34
	v_min_f16_e32 v33, v35, v33
	v_min3_f16 v35, v36, v37, v38
	v_min3_f16 v33, v33, v34, v35
	v_cvt_f32_f16_e32 v33, v33
	v_min_f32_e32 v34, v32, v33
	v_lshlrev_b64 v[32:33], 1, v[42:43]
	v_cvt_f16_f32_e32 v34, v34
	v_add_co_u32 v32, vcc_lo, v26, v32
	v_add_co_ci_u32_e64 v33, null, v27, v33, vcc_lo
	flat_store_short v[32:33], v34
	s_or_b32 exec_lo, exec_lo, s9
	s_and_b32 s10, s2, s4
	s_and_saveexec_b32 s9, s10
	s_cbranch_execz .LBB216_185
.LBB216_194:
	v_cmp_ne_u32_e32 vcc_lo, 1, v48
	s_cbranch_vccnz .LBB216_196
; %bb.195:
	v_lshlrev_b64 v[32:33], 1, v[44:45]
	v_add_co_u32 v32, vcc_lo, v30, v32
	v_add_co_ci_u32_e64 v33, null, v31, v33, vcc_lo
	flat_load_ushort v32, v[32:33]
	s_waitcnt vmcnt(0) lgkmcnt(0)
	v_mul_f16_e32 v32, v53, v32
	v_cvt_f32_f16_e32 v32, v32
	s_branch .LBB216_197
.LBB216_196:
	v_mov_b32_e32 v32, 0
.LBB216_197:
	v_pk_add_f16 v33, v2, v28
	v_pk_add_f16 v34, v3, v29
	v_max_f16_e32 v35, v87, v87
	v_lshrrev_b32_e32 v36, 16, v87
	v_max_f32_e32 v32, v32, v32
	v_lshrrev_b32_e32 v37, 16, v33
	v_lshrrev_b32_e32 v38, 16, v34
	v_min_f16_e32 v33, v35, v33
	v_min3_f16 v35, v36, v37, v38
	v_min3_f16 v33, v33, v34, v35
	v_cvt_f32_f16_e32 v33, v33
	v_min_f32_e32 v34, v32, v33
	v_lshlrev_b64 v[32:33], 1, v[44:45]
	v_cvt_f16_f32_e32 v34, v34
	v_add_co_u32 v32, vcc_lo, v26, v32
	v_add_co_ci_u32_e64 v33, null, v27, v33, vcc_lo
	flat_store_short v[32:33], v34
	s_or_b32 exec_lo, exec_lo, s9
	s_and_b32 s9, s3, s4
	s_and_saveexec_b32 s4, s9
	s_cbranch_execz .LBB216_202
.LBB216_198:
	v_cmp_ne_u32_e32 vcc_lo, 1, v48
	s_cbranch_vccnz .LBB216_200
; %bb.199:
	v_lshlrev_b64 v[32:33], 1, v[46:47]
	v_add_co_u32 v30, vcc_lo, v30, v32
	v_add_co_ci_u32_e64 v31, null, v31, v33, vcc_lo
	flat_load_ushort v30, v[30:31]
	s_waitcnt vmcnt(0) lgkmcnt(0)
	v_mul_f16_e32 v30, v53, v30
	v_cvt_f32_f16_e32 v30, v30
	s_branch .LBB216_201
.LBB216_200:
	v_mov_b32_e32 v30, 0
.LBB216_201:
	v_pk_add_f16 v28, v4, v28
	v_pk_add_f16 v29, v5, v29
	v_max_f16_e32 v31, v86, v86
	v_lshrrev_b32_e32 v32, 16, v86
	v_lshrrev_b32_e32 v33, 16, v28
	;; [unrolled: 1-line block ×3, first 2 shown]
	v_min_f16_e32 v28, v31, v28
	v_min3_f16 v31, v32, v33, v34
	v_min3_f16 v28, v28, v29, v31
	v_max_f32_e32 v29, v30, v30
	v_cvt_f32_f16_e32 v28, v28
	v_min_f32_e32 v30, v29, v28
	v_lshlrev_b64 v[28:29], 1, v[46:47]
	v_cvt_f16_f32_e32 v30, v30
	v_add_co_u32 v26, vcc_lo, v26, v28
	v_add_co_ci_u32_e64 v27, null, v27, v29, vcc_lo
	flat_store_short v[26:27], v30
.LBB216_202:
	s_or_b32 exec_lo, exec_lo, s4
	v_add_nc_u32_e32 v30, 64, v49
	v_mad_i64_i32 v[26:27], null, v30, s7, 0
	v_mad_i64_i32 v[28:29], null, v30, s6, 0
	v_cmp_gt_i32_e64 s4, s13, v30
	v_lshlrev_b64 v[26:27], 1, v[26:27]
	s_and_b32 s10, s0, s4
	v_lshlrev_b64 v[30:31], 1, v[28:29]
	v_add_co_u32 v28, vcc_lo, s16, v26
	v_add_co_ci_u32_e64 v29, null, s17, v27, vcc_lo
	v_add_co_u32 v26, vcc_lo, s5, v30
	v_add_co_ci_u32_e64 v27, null, s8, v31, vcc_lo
	s_and_saveexec_b32 s9, s10
	s_cbranch_execnz .LBB216_206
; %bb.203:
	s_or_b32 exec_lo, exec_lo, s9
	s_and_b32 s10, s1, s4
	s_and_saveexec_b32 s9, s10
	s_cbranch_execnz .LBB216_210
.LBB216_204:
	s_or_b32 exec_lo, exec_lo, s9
	s_and_b32 s10, s2, s4
	s_and_saveexec_b32 s9, s10
	s_cbranch_execnz .LBB216_214
.LBB216_205:
	s_or_b32 exec_lo, exec_lo, s9
	s_and_b32 s9, s3, s4
	s_and_saveexec_b32 s4, s9
	s_cbranch_execnz .LBB216_218
	s_branch .LBB216_222
.LBB216_206:
	v_cmp_ne_u32_e32 vcc_lo, 1, v48
	s_cbranch_vccnz .LBB216_208
; %bb.207:
	v_lshlrev_b64 v[30:31], 1, v[0:1]
	v_add_co_u32 v30, vcc_lo, v28, v30
	v_add_co_ci_u32_e64 v31, null, v29, v31, vcc_lo
	flat_load_ushort v30, v[30:31]
	s_waitcnt vmcnt(0) lgkmcnt(0)
	v_mul_f16_e32 v30, v53, v30
	v_cvt_f32_f16_e32 v30, v30
	s_branch .LBB216_209
.LBB216_208:
	v_mov_b32_e32 v30, 0
.LBB216_209:
	v_pk_add_f16 v31, v10, v22
	v_pk_add_f16 v32, v11, v23
	v_max_f16_e32 v33, v85, v85
	v_lshrrev_b32_e32 v34, 16, v85
	v_max_f32_e32 v30, v30, v30
	v_lshrrev_b32_e32 v35, 16, v31
	v_lshrrev_b32_e32 v36, 16, v32
	v_min_f16_e32 v31, v33, v31
	v_min3_f16 v33, v34, v35, v36
	v_min3_f16 v31, v31, v32, v33
	v_cvt_f32_f16_e32 v31, v31
	v_min_f32_e32 v32, v30, v31
	v_lshlrev_b64 v[30:31], 1, v[0:1]
	v_cvt_f16_f32_e32 v32, v32
	v_add_co_u32 v30, vcc_lo, v26, v30
	v_add_co_ci_u32_e64 v31, null, v27, v31, vcc_lo
	flat_store_short v[30:31], v32
	s_or_b32 exec_lo, exec_lo, s9
	s_and_b32 s10, s1, s4
	s_and_saveexec_b32 s9, s10
	s_cbranch_execz .LBB216_204
.LBB216_210:
	v_cmp_ne_u32_e32 vcc_lo, 1, v48
	s_cbranch_vccnz .LBB216_212
; %bb.211:
	v_lshlrev_b64 v[30:31], 1, v[42:43]
	v_add_co_u32 v30, vcc_lo, v28, v30
	v_add_co_ci_u32_e64 v31, null, v29, v31, vcc_lo
	flat_load_ushort v30, v[30:31]
	s_waitcnt vmcnt(0) lgkmcnt(0)
	v_mul_f16_e32 v30, v53, v30
	v_cvt_f32_f16_e32 v30, v30
	s_branch .LBB216_213
.LBB216_212:
	v_mov_b32_e32 v30, 0
.LBB216_213:
	v_pk_add_f16 v31, v12, v22
	v_pk_add_f16 v32, v13, v23
	v_max_f16_e32 v33, v84, v84
	v_lshrrev_b32_e32 v34, 16, v84
	v_max_f32_e32 v30, v30, v30
	v_lshrrev_b32_e32 v35, 16, v31
	v_lshrrev_b32_e32 v36, 16, v32
	v_min_f16_e32 v31, v33, v31
	v_min3_f16 v33, v34, v35, v36
	v_min3_f16 v31, v31, v32, v33
	v_cvt_f32_f16_e32 v31, v31
	v_min_f32_e32 v32, v30, v31
	v_lshlrev_b64 v[30:31], 1, v[42:43]
	v_cvt_f16_f32_e32 v32, v32
	v_add_co_u32 v30, vcc_lo, v26, v30
	v_add_co_ci_u32_e64 v31, null, v27, v31, vcc_lo
	flat_store_short v[30:31], v32
	s_or_b32 exec_lo, exec_lo, s9
	s_and_b32 s10, s2, s4
	s_and_saveexec_b32 s9, s10
	s_cbranch_execz .LBB216_205
.LBB216_214:
	v_cmp_ne_u32_e32 vcc_lo, 1, v48
	s_cbranch_vccnz .LBB216_216
; %bb.215:
	v_lshlrev_b64 v[30:31], 1, v[44:45]
	v_add_co_u32 v30, vcc_lo, v28, v30
	v_add_co_ci_u32_e64 v31, null, v29, v31, vcc_lo
	flat_load_ushort v30, v[30:31]
	s_waitcnt vmcnt(0) lgkmcnt(0)
	v_mul_f16_e32 v30, v53, v30
	v_cvt_f32_f16_e32 v30, v30
	s_branch .LBB216_217
.LBB216_216:
	v_mov_b32_e32 v30, 0
.LBB216_217:
	v_pk_add_f16 v31, v2, v22
	v_pk_add_f16 v32, v3, v23
	v_max_f16_e32 v33, v83, v83
	v_lshrrev_b32_e32 v34, 16, v83
	v_max_f32_e32 v30, v30, v30
	v_lshrrev_b32_e32 v35, 16, v31
	v_lshrrev_b32_e32 v36, 16, v32
	v_min_f16_e32 v31, v33, v31
	v_min3_f16 v33, v34, v35, v36
	v_min3_f16 v31, v31, v32, v33
	v_cvt_f32_f16_e32 v31, v31
	v_min_f32_e32 v32, v30, v31
	v_lshlrev_b64 v[30:31], 1, v[44:45]
	v_cvt_f16_f32_e32 v32, v32
	v_add_co_u32 v30, vcc_lo, v26, v30
	v_add_co_ci_u32_e64 v31, null, v27, v31, vcc_lo
	flat_store_short v[30:31], v32
	s_or_b32 exec_lo, exec_lo, s9
	s_and_b32 s9, s3, s4
	s_and_saveexec_b32 s4, s9
	s_cbranch_execz .LBB216_222
.LBB216_218:
	v_cmp_ne_u32_e32 vcc_lo, 1, v48
	s_cbranch_vccnz .LBB216_220
; %bb.219:
	v_lshlrev_b64 v[30:31], 1, v[46:47]
	v_add_co_u32 v28, vcc_lo, v28, v30
	v_add_co_ci_u32_e64 v29, null, v29, v31, vcc_lo
	flat_load_ushort v28, v[28:29]
	s_waitcnt vmcnt(0) lgkmcnt(0)
	v_mul_f16_e32 v28, v53, v28
	v_cvt_f32_f16_e32 v28, v28
	s_branch .LBB216_221
.LBB216_220:
	v_mov_b32_e32 v28, 0
.LBB216_221:
	v_pk_add_f16 v22, v4, v22
	v_pk_add_f16 v23, v5, v23
	v_max_f16_e32 v29, v82, v82
	v_lshrrev_b32_e32 v30, 16, v82
	v_lshrrev_b32_e32 v31, 16, v22
	;; [unrolled: 1-line block ×3, first 2 shown]
	v_min_f16_e32 v22, v29, v22
	v_min3_f16 v29, v30, v31, v32
	v_min3_f16 v22, v22, v23, v29
	v_max_f32_e32 v23, v28, v28
	v_cvt_f32_f16_e32 v22, v22
	v_min_f32_e32 v28, v23, v22
	v_lshlrev_b64 v[22:23], 1, v[46:47]
	v_cvt_f16_f32_e32 v28, v28
	v_add_co_u32 v22, vcc_lo, v26, v22
	v_add_co_ci_u32_e64 v23, null, v27, v23, vcc_lo
	flat_store_short v[22:23], v28
.LBB216_222:
	s_or_b32 exec_lo, exec_lo, s4
	v_add_nc_u32_e32 v28, 0x48, v49
	v_mad_i64_i32 v[22:23], null, v28, s7, 0
	v_mad_i64_i32 v[26:27], null, v28, s6, 0
	v_cmp_gt_i32_e64 s4, s13, v28
	v_lshlrev_b64 v[22:23], 1, v[22:23]
	s_and_b32 s10, s0, s4
	v_lshlrev_b64 v[28:29], 1, v[26:27]
	v_add_co_u32 v26, vcc_lo, s16, v22
	v_add_co_ci_u32_e64 v27, null, s17, v23, vcc_lo
	v_add_co_u32 v22, vcc_lo, s5, v28
	v_add_co_ci_u32_e64 v23, null, s8, v29, vcc_lo
	s_and_saveexec_b32 s9, s10
	s_cbranch_execnz .LBB216_226
; %bb.223:
	s_or_b32 exec_lo, exec_lo, s9
	s_and_b32 s10, s1, s4
	s_and_saveexec_b32 s9, s10
	s_cbranch_execnz .LBB216_230
.LBB216_224:
	s_or_b32 exec_lo, exec_lo, s9
	s_and_b32 s10, s2, s4
	s_and_saveexec_b32 s9, s10
	s_cbranch_execnz .LBB216_234
.LBB216_225:
	s_or_b32 exec_lo, exec_lo, s9
	s_and_b32 s9, s3, s4
	s_and_saveexec_b32 s4, s9
	s_cbranch_execnz .LBB216_238
	s_branch .LBB216_242
.LBB216_226:
	v_cmp_ne_u32_e32 vcc_lo, 1, v48
	s_cbranch_vccnz .LBB216_228
; %bb.227:
	v_lshlrev_b64 v[28:29], 1, v[0:1]
	v_add_co_u32 v28, vcc_lo, v26, v28
	v_add_co_ci_u32_e64 v29, null, v27, v29, vcc_lo
	flat_load_ushort v28, v[28:29]
	s_waitcnt vmcnt(0) lgkmcnt(0)
	v_mul_f16_e32 v28, v53, v28
	v_cvt_f32_f16_e32 v28, v28
	s_branch .LBB216_229
.LBB216_228:
	v_mov_b32_e32 v28, 0
.LBB216_229:
	v_pk_add_f16 v29, v10, v24
	v_pk_add_f16 v30, v11, v25
	v_max_f16_e32 v31, v81, v81
	v_lshrrev_b32_e32 v32, 16, v81
	v_max_f32_e32 v28, v28, v28
	v_lshrrev_b32_e32 v33, 16, v29
	v_lshrrev_b32_e32 v34, 16, v30
	v_min_f16_e32 v29, v31, v29
	v_min3_f16 v31, v32, v33, v34
	v_min3_f16 v29, v29, v30, v31
	v_cvt_f32_f16_e32 v29, v29
	v_min_f32_e32 v30, v28, v29
	v_lshlrev_b64 v[28:29], 1, v[0:1]
	v_cvt_f16_f32_e32 v30, v30
	v_add_co_u32 v28, vcc_lo, v22, v28
	v_add_co_ci_u32_e64 v29, null, v23, v29, vcc_lo
	flat_store_short v[28:29], v30
	s_or_b32 exec_lo, exec_lo, s9
	s_and_b32 s10, s1, s4
	s_and_saveexec_b32 s9, s10
	s_cbranch_execz .LBB216_224
.LBB216_230:
	v_cmp_ne_u32_e32 vcc_lo, 1, v48
	s_cbranch_vccnz .LBB216_232
; %bb.231:
	v_lshlrev_b64 v[28:29], 1, v[42:43]
	v_add_co_u32 v28, vcc_lo, v26, v28
	v_add_co_ci_u32_e64 v29, null, v27, v29, vcc_lo
	flat_load_ushort v28, v[28:29]
	s_waitcnt vmcnt(0) lgkmcnt(0)
	v_mul_f16_e32 v28, v53, v28
	v_cvt_f32_f16_e32 v28, v28
	s_branch .LBB216_233
.LBB216_232:
	v_mov_b32_e32 v28, 0
.LBB216_233:
	v_pk_add_f16 v29, v12, v24
	v_pk_add_f16 v30, v13, v25
	v_max_f16_e32 v31, v80, v80
	v_lshrrev_b32_e32 v32, 16, v80
	v_max_f32_e32 v28, v28, v28
	v_lshrrev_b32_e32 v33, 16, v29
	v_lshrrev_b32_e32 v34, 16, v30
	v_min_f16_e32 v29, v31, v29
	v_min3_f16 v31, v32, v33, v34
	v_min3_f16 v29, v29, v30, v31
	v_cvt_f32_f16_e32 v29, v29
	v_min_f32_e32 v30, v28, v29
	v_lshlrev_b64 v[28:29], 1, v[42:43]
	v_cvt_f16_f32_e32 v30, v30
	v_add_co_u32 v28, vcc_lo, v22, v28
	v_add_co_ci_u32_e64 v29, null, v23, v29, vcc_lo
	flat_store_short v[28:29], v30
	s_or_b32 exec_lo, exec_lo, s9
	s_and_b32 s10, s2, s4
	s_and_saveexec_b32 s9, s10
	s_cbranch_execz .LBB216_225
.LBB216_234:
	v_cmp_ne_u32_e32 vcc_lo, 1, v48
	s_cbranch_vccnz .LBB216_236
; %bb.235:
	v_lshlrev_b64 v[28:29], 1, v[44:45]
	v_add_co_u32 v28, vcc_lo, v26, v28
	v_add_co_ci_u32_e64 v29, null, v27, v29, vcc_lo
	flat_load_ushort v28, v[28:29]
	s_waitcnt vmcnt(0) lgkmcnt(0)
	v_mul_f16_e32 v28, v53, v28
	v_cvt_f32_f16_e32 v28, v28
	s_branch .LBB216_237
.LBB216_236:
	v_mov_b32_e32 v28, 0
.LBB216_237:
	v_pk_add_f16 v29, v2, v24
	v_pk_add_f16 v30, v3, v25
	v_max_f16_e32 v31, v79, v79
	v_lshrrev_b32_e32 v32, 16, v79
	v_max_f32_e32 v28, v28, v28
	v_lshrrev_b32_e32 v33, 16, v29
	v_lshrrev_b32_e32 v34, 16, v30
	v_min_f16_e32 v29, v31, v29
	v_min3_f16 v31, v32, v33, v34
	v_min3_f16 v29, v29, v30, v31
	v_cvt_f32_f16_e32 v29, v29
	v_min_f32_e32 v30, v28, v29
	v_lshlrev_b64 v[28:29], 1, v[44:45]
	v_cvt_f16_f32_e32 v30, v30
	v_add_co_u32 v28, vcc_lo, v22, v28
	v_add_co_ci_u32_e64 v29, null, v23, v29, vcc_lo
	flat_store_short v[28:29], v30
	s_or_b32 exec_lo, exec_lo, s9
	s_and_b32 s9, s3, s4
	s_and_saveexec_b32 s4, s9
	s_cbranch_execz .LBB216_242
.LBB216_238:
	v_cmp_ne_u32_e32 vcc_lo, 1, v48
	s_cbranch_vccnz .LBB216_240
; %bb.239:
	v_lshlrev_b64 v[28:29], 1, v[46:47]
	v_add_co_u32 v26, vcc_lo, v26, v28
	v_add_co_ci_u32_e64 v27, null, v27, v29, vcc_lo
	flat_load_ushort v26, v[26:27]
	s_waitcnt vmcnt(0) lgkmcnt(0)
	v_mul_f16_e32 v26, v53, v26
	v_cvt_f32_f16_e32 v26, v26
	s_branch .LBB216_241
.LBB216_240:
	v_mov_b32_e32 v26, 0
.LBB216_241:
	v_pk_add_f16 v24, v4, v24
	v_pk_add_f16 v25, v5, v25
	v_max_f16_e32 v27, v78, v78
	v_lshrrev_b32_e32 v28, 16, v78
	v_lshrrev_b32_e32 v29, 16, v24
	;; [unrolled: 1-line block ×3, first 2 shown]
	v_min_f16_e32 v24, v27, v24
	v_min3_f16 v27, v28, v29, v30
	v_min3_f16 v24, v24, v25, v27
	v_max_f32_e32 v25, v26, v26
	v_cvt_f32_f16_e32 v24, v24
	v_min_f32_e32 v26, v25, v24
	v_lshlrev_b64 v[24:25], 1, v[46:47]
	v_cvt_f16_f32_e32 v26, v26
	v_add_co_u32 v22, vcc_lo, v22, v24
	v_add_co_ci_u32_e64 v23, null, v23, v25, vcc_lo
	flat_store_short v[22:23], v26
.LBB216_242:
	s_or_b32 exec_lo, exec_lo, s4
	v_add_nc_u32_e32 v26, 0x50, v49
	v_mad_i64_i32 v[22:23], null, v26, s7, 0
	v_mad_i64_i32 v[24:25], null, v26, s6, 0
	v_cmp_gt_i32_e64 s4, s13, v26
	v_lshlrev_b64 v[22:23], 1, v[22:23]
	s_and_b32 s10, s0, s4
	v_lshlrev_b64 v[26:27], 1, v[24:25]
	v_add_co_u32 v24, vcc_lo, s16, v22
	v_add_co_ci_u32_e64 v25, null, s17, v23, vcc_lo
	v_add_co_u32 v22, vcc_lo, s5, v26
	v_add_co_ci_u32_e64 v23, null, s8, v27, vcc_lo
	s_and_saveexec_b32 s9, s10
	s_cbranch_execnz .LBB216_246
; %bb.243:
	s_or_b32 exec_lo, exec_lo, s9
	s_and_b32 s10, s1, s4
	s_and_saveexec_b32 s9, s10
	s_cbranch_execnz .LBB216_250
.LBB216_244:
	s_or_b32 exec_lo, exec_lo, s9
	s_and_b32 s10, s2, s4
	s_and_saveexec_b32 s9, s10
	s_cbranch_execnz .LBB216_254
.LBB216_245:
	s_or_b32 exec_lo, exec_lo, s9
	s_and_b32 s9, s3, s4
	s_and_saveexec_b32 s4, s9
	s_cbranch_execnz .LBB216_258
	s_branch .LBB216_262
.LBB216_246:
	v_cmp_ne_u32_e32 vcc_lo, 1, v48
	s_cbranch_vccnz .LBB216_248
; %bb.247:
	v_lshlrev_b64 v[26:27], 1, v[0:1]
	v_add_co_u32 v26, vcc_lo, v24, v26
	v_add_co_ci_u32_e64 v27, null, v25, v27, vcc_lo
	flat_load_ushort v26, v[26:27]
	s_waitcnt vmcnt(0) lgkmcnt(0)
	v_mul_f16_e32 v26, v53, v26
	v_cvt_f32_f16_e32 v26, v26
	s_branch .LBB216_249
.LBB216_248:
	v_mov_b32_e32 v26, 0
.LBB216_249:
	v_pk_add_f16 v27, v10, v18
	v_pk_add_f16 v28, v11, v19
	v_max_f16_e32 v29, v77, v77
	v_lshrrev_b32_e32 v30, 16, v77
	v_max_f32_e32 v26, v26, v26
	v_lshrrev_b32_e32 v31, 16, v27
	v_lshrrev_b32_e32 v32, 16, v28
	v_min_f16_e32 v27, v29, v27
	v_min3_f16 v29, v30, v31, v32
	v_min3_f16 v27, v27, v28, v29
	v_cvt_f32_f16_e32 v27, v27
	v_min_f32_e32 v28, v26, v27
	v_lshlrev_b64 v[26:27], 1, v[0:1]
	v_cvt_f16_f32_e32 v28, v28
	v_add_co_u32 v26, vcc_lo, v22, v26
	v_add_co_ci_u32_e64 v27, null, v23, v27, vcc_lo
	flat_store_short v[26:27], v28
	s_or_b32 exec_lo, exec_lo, s9
	s_and_b32 s10, s1, s4
	s_and_saveexec_b32 s9, s10
	s_cbranch_execz .LBB216_244
.LBB216_250:
	v_cmp_ne_u32_e32 vcc_lo, 1, v48
	s_cbranch_vccnz .LBB216_252
; %bb.251:
	v_lshlrev_b64 v[26:27], 1, v[42:43]
	v_add_co_u32 v26, vcc_lo, v24, v26
	v_add_co_ci_u32_e64 v27, null, v25, v27, vcc_lo
	flat_load_ushort v26, v[26:27]
	s_waitcnt vmcnt(0) lgkmcnt(0)
	v_mul_f16_e32 v26, v53, v26
	v_cvt_f32_f16_e32 v26, v26
	s_branch .LBB216_253
.LBB216_252:
	v_mov_b32_e32 v26, 0
.LBB216_253:
	v_pk_add_f16 v27, v12, v18
	v_pk_add_f16 v28, v13, v19
	v_max_f16_e32 v29, v76, v76
	v_lshrrev_b32_e32 v30, 16, v76
	v_max_f32_e32 v26, v26, v26
	v_lshrrev_b32_e32 v31, 16, v27
	v_lshrrev_b32_e32 v32, 16, v28
	v_min_f16_e32 v27, v29, v27
	v_min3_f16 v29, v30, v31, v32
	v_min3_f16 v27, v27, v28, v29
	v_cvt_f32_f16_e32 v27, v27
	v_min_f32_e32 v28, v26, v27
	v_lshlrev_b64 v[26:27], 1, v[42:43]
	v_cvt_f16_f32_e32 v28, v28
	v_add_co_u32 v26, vcc_lo, v22, v26
	v_add_co_ci_u32_e64 v27, null, v23, v27, vcc_lo
	flat_store_short v[26:27], v28
	s_or_b32 exec_lo, exec_lo, s9
	s_and_b32 s10, s2, s4
	s_and_saveexec_b32 s9, s10
	s_cbranch_execz .LBB216_245
.LBB216_254:
	v_cmp_ne_u32_e32 vcc_lo, 1, v48
	s_cbranch_vccnz .LBB216_256
; %bb.255:
	v_lshlrev_b64 v[26:27], 1, v[44:45]
	v_add_co_u32 v26, vcc_lo, v24, v26
	v_add_co_ci_u32_e64 v27, null, v25, v27, vcc_lo
	flat_load_ushort v26, v[26:27]
	s_waitcnt vmcnt(0) lgkmcnt(0)
	v_mul_f16_e32 v26, v53, v26
	v_cvt_f32_f16_e32 v26, v26
	s_branch .LBB216_257
.LBB216_256:
	v_mov_b32_e32 v26, 0
.LBB216_257:
	v_pk_add_f16 v27, v2, v18
	v_pk_add_f16 v28, v3, v19
	v_max_f16_e32 v29, v75, v75
	v_lshrrev_b32_e32 v30, 16, v75
	v_max_f32_e32 v26, v26, v26
	v_lshrrev_b32_e32 v31, 16, v27
	v_lshrrev_b32_e32 v32, 16, v28
	v_min_f16_e32 v27, v29, v27
	v_min3_f16 v29, v30, v31, v32
	v_min3_f16 v27, v27, v28, v29
	v_cvt_f32_f16_e32 v27, v27
	v_min_f32_e32 v28, v26, v27
	v_lshlrev_b64 v[26:27], 1, v[44:45]
	v_cvt_f16_f32_e32 v28, v28
	v_add_co_u32 v26, vcc_lo, v22, v26
	v_add_co_ci_u32_e64 v27, null, v23, v27, vcc_lo
	flat_store_short v[26:27], v28
	s_or_b32 exec_lo, exec_lo, s9
	s_and_b32 s9, s3, s4
	s_and_saveexec_b32 s4, s9
	s_cbranch_execz .LBB216_262
.LBB216_258:
	v_cmp_ne_u32_e32 vcc_lo, 1, v48
	s_cbranch_vccnz .LBB216_260
; %bb.259:
	v_lshlrev_b64 v[26:27], 1, v[46:47]
	v_add_co_u32 v24, vcc_lo, v24, v26
	v_add_co_ci_u32_e64 v25, null, v25, v27, vcc_lo
	flat_load_ushort v24, v[24:25]
	s_waitcnt vmcnt(0) lgkmcnt(0)
	v_mul_f16_e32 v24, v53, v24
	v_cvt_f32_f16_e32 v24, v24
	s_branch .LBB216_261
.LBB216_260:
	v_mov_b32_e32 v24, 0
.LBB216_261:
	v_pk_add_f16 v18, v4, v18
	v_pk_add_f16 v19, v5, v19
	v_max_f16_e32 v25, v74, v74
	v_lshrrev_b32_e32 v26, 16, v74
	v_lshrrev_b32_e32 v27, 16, v18
	;; [unrolled: 1-line block ×3, first 2 shown]
	v_min_f16_e32 v18, v25, v18
	v_min3_f16 v25, v26, v27, v28
	v_min3_f16 v18, v18, v19, v25
	v_max_f32_e32 v19, v24, v24
	v_cvt_f32_f16_e32 v18, v18
	v_min_f32_e32 v24, v19, v18
	v_lshlrev_b64 v[18:19], 1, v[46:47]
	v_cvt_f16_f32_e32 v24, v24
	v_add_co_u32 v18, vcc_lo, v22, v18
	v_add_co_ci_u32_e64 v19, null, v23, v19, vcc_lo
	flat_store_short v[18:19], v24
.LBB216_262:
	s_or_b32 exec_lo, exec_lo, s4
	v_add_nc_u32_e32 v24, 0x58, v49
	v_mad_i64_i32 v[18:19], null, v24, s7, 0
	v_mad_i64_i32 v[22:23], null, v24, s6, 0
	v_cmp_gt_i32_e64 s4, s13, v24
	v_lshlrev_b64 v[18:19], 1, v[18:19]
	s_and_b32 s10, s0, s4
	v_lshlrev_b64 v[24:25], 1, v[22:23]
	v_add_co_u32 v22, vcc_lo, s16, v18
	v_add_co_ci_u32_e64 v23, null, s17, v19, vcc_lo
	v_add_co_u32 v18, vcc_lo, s5, v24
	v_add_co_ci_u32_e64 v19, null, s8, v25, vcc_lo
	s_and_saveexec_b32 s9, s10
	s_cbranch_execnz .LBB216_266
; %bb.263:
	s_or_b32 exec_lo, exec_lo, s9
	s_and_b32 s10, s1, s4
	s_and_saveexec_b32 s9, s10
	s_cbranch_execnz .LBB216_270
.LBB216_264:
	s_or_b32 exec_lo, exec_lo, s9
	s_and_b32 s10, s2, s4
	s_and_saveexec_b32 s9, s10
	s_cbranch_execnz .LBB216_274
.LBB216_265:
	s_or_b32 exec_lo, exec_lo, s9
	s_and_b32 s9, s3, s4
	s_and_saveexec_b32 s4, s9
	s_cbranch_execnz .LBB216_278
	s_branch .LBB216_282
.LBB216_266:
	v_cmp_ne_u32_e32 vcc_lo, 1, v48
	s_cbranch_vccnz .LBB216_268
; %bb.267:
	v_lshlrev_b64 v[24:25], 1, v[0:1]
	v_add_co_u32 v24, vcc_lo, v22, v24
	v_add_co_ci_u32_e64 v25, null, v23, v25, vcc_lo
	flat_load_ushort v24, v[24:25]
	s_waitcnt vmcnt(0) lgkmcnt(0)
	v_mul_f16_e32 v24, v53, v24
	v_cvt_f32_f16_e32 v24, v24
	s_branch .LBB216_269
.LBB216_268:
	v_mov_b32_e32 v24, 0
.LBB216_269:
	v_pk_add_f16 v25, v10, v20
	v_pk_add_f16 v26, v11, v21
	v_max_f16_e32 v27, v73, v73
	v_lshrrev_b32_e32 v28, 16, v73
	v_max_f32_e32 v24, v24, v24
	v_lshrrev_b32_e32 v29, 16, v25
	v_lshrrev_b32_e32 v30, 16, v26
	v_min_f16_e32 v25, v27, v25
	v_min3_f16 v27, v28, v29, v30
	v_min3_f16 v25, v25, v26, v27
	v_cvt_f32_f16_e32 v25, v25
	v_min_f32_e32 v26, v24, v25
	v_lshlrev_b64 v[24:25], 1, v[0:1]
	v_cvt_f16_f32_e32 v26, v26
	v_add_co_u32 v24, vcc_lo, v18, v24
	v_add_co_ci_u32_e64 v25, null, v19, v25, vcc_lo
	flat_store_short v[24:25], v26
	s_or_b32 exec_lo, exec_lo, s9
	s_and_b32 s10, s1, s4
	s_and_saveexec_b32 s9, s10
	s_cbranch_execz .LBB216_264
.LBB216_270:
	v_cmp_ne_u32_e32 vcc_lo, 1, v48
	s_cbranch_vccnz .LBB216_272
; %bb.271:
	v_lshlrev_b64 v[24:25], 1, v[42:43]
	v_add_co_u32 v24, vcc_lo, v22, v24
	v_add_co_ci_u32_e64 v25, null, v23, v25, vcc_lo
	flat_load_ushort v24, v[24:25]
	s_waitcnt vmcnt(0) lgkmcnt(0)
	v_mul_f16_e32 v24, v53, v24
	v_cvt_f32_f16_e32 v24, v24
	s_branch .LBB216_273
.LBB216_272:
	v_mov_b32_e32 v24, 0
.LBB216_273:
	v_pk_add_f16 v25, v12, v20
	v_pk_add_f16 v26, v13, v21
	v_max_f16_e32 v27, v72, v72
	v_lshrrev_b32_e32 v28, 16, v72
	v_max_f32_e32 v24, v24, v24
	v_lshrrev_b32_e32 v29, 16, v25
	v_lshrrev_b32_e32 v30, 16, v26
	v_min_f16_e32 v25, v27, v25
	v_min3_f16 v27, v28, v29, v30
	v_min3_f16 v25, v25, v26, v27
	v_cvt_f32_f16_e32 v25, v25
	v_min_f32_e32 v26, v24, v25
	v_lshlrev_b64 v[24:25], 1, v[42:43]
	v_cvt_f16_f32_e32 v26, v26
	v_add_co_u32 v24, vcc_lo, v18, v24
	v_add_co_ci_u32_e64 v25, null, v19, v25, vcc_lo
	flat_store_short v[24:25], v26
	s_or_b32 exec_lo, exec_lo, s9
	s_and_b32 s10, s2, s4
	s_and_saveexec_b32 s9, s10
	s_cbranch_execz .LBB216_265
.LBB216_274:
	v_cmp_ne_u32_e32 vcc_lo, 1, v48
	s_cbranch_vccnz .LBB216_276
; %bb.275:
	v_lshlrev_b64 v[24:25], 1, v[44:45]
	v_add_co_u32 v24, vcc_lo, v22, v24
	v_add_co_ci_u32_e64 v25, null, v23, v25, vcc_lo
	flat_load_ushort v24, v[24:25]
	s_waitcnt vmcnt(0) lgkmcnt(0)
	v_mul_f16_e32 v24, v53, v24
	v_cvt_f32_f16_e32 v24, v24
	s_branch .LBB216_277
.LBB216_276:
	v_mov_b32_e32 v24, 0
.LBB216_277:
	v_pk_add_f16 v25, v2, v20
	v_pk_add_f16 v26, v3, v21
	v_max_f16_e32 v27, v71, v71
	v_lshrrev_b32_e32 v28, 16, v71
	v_max_f32_e32 v24, v24, v24
	v_lshrrev_b32_e32 v29, 16, v25
	v_lshrrev_b32_e32 v30, 16, v26
	v_min_f16_e32 v25, v27, v25
	v_min3_f16 v27, v28, v29, v30
	v_min3_f16 v25, v25, v26, v27
	v_cvt_f32_f16_e32 v25, v25
	v_min_f32_e32 v26, v24, v25
	v_lshlrev_b64 v[24:25], 1, v[44:45]
	v_cvt_f16_f32_e32 v26, v26
	v_add_co_u32 v24, vcc_lo, v18, v24
	v_add_co_ci_u32_e64 v25, null, v19, v25, vcc_lo
	flat_store_short v[24:25], v26
	s_or_b32 exec_lo, exec_lo, s9
	s_and_b32 s9, s3, s4
	s_and_saveexec_b32 s4, s9
	s_cbranch_execz .LBB216_282
.LBB216_278:
	v_cmp_ne_u32_e32 vcc_lo, 1, v48
	s_cbranch_vccnz .LBB216_280
; %bb.279:
	v_lshlrev_b64 v[24:25], 1, v[46:47]
	v_add_co_u32 v22, vcc_lo, v22, v24
	v_add_co_ci_u32_e64 v23, null, v23, v25, vcc_lo
	flat_load_ushort v22, v[22:23]
	s_waitcnt vmcnt(0) lgkmcnt(0)
	v_mul_f16_e32 v22, v53, v22
	v_cvt_f32_f16_e32 v22, v22
	s_branch .LBB216_281
.LBB216_280:
	v_mov_b32_e32 v22, 0
.LBB216_281:
	v_pk_add_f16 v20, v4, v20
	v_pk_add_f16 v21, v5, v21
	v_max_f16_e32 v23, v70, v70
	v_lshrrev_b32_e32 v24, 16, v70
	v_lshrrev_b32_e32 v25, 16, v20
	;; [unrolled: 1-line block ×3, first 2 shown]
	v_min_f16_e32 v20, v23, v20
	v_min3_f16 v23, v24, v25, v26
	v_min3_f16 v20, v20, v21, v23
	v_max_f32_e32 v21, v22, v22
	v_cvt_f32_f16_e32 v20, v20
	v_min_f32_e32 v22, v21, v20
	v_lshlrev_b64 v[20:21], 1, v[46:47]
	v_cvt_f16_f32_e32 v22, v22
	v_add_co_u32 v18, vcc_lo, v18, v20
	v_add_co_ci_u32_e64 v19, null, v19, v21, vcc_lo
	flat_store_short v[18:19], v22
.LBB216_282:
	s_or_b32 exec_lo, exec_lo, s4
	v_add_nc_u32_e32 v22, 0x60, v49
	v_mad_i64_i32 v[18:19], null, v22, s7, 0
	v_mad_i64_i32 v[20:21], null, v22, s6, 0
	v_cmp_gt_i32_e64 s4, s13, v22
	v_lshlrev_b64 v[18:19], 1, v[18:19]
	s_and_b32 s10, s0, s4
	v_lshlrev_b64 v[22:23], 1, v[20:21]
	v_add_co_u32 v20, vcc_lo, s16, v18
	v_add_co_ci_u32_e64 v21, null, s17, v19, vcc_lo
	v_add_co_u32 v18, vcc_lo, s5, v22
	v_add_co_ci_u32_e64 v19, null, s8, v23, vcc_lo
	s_and_saveexec_b32 s9, s10
	s_cbranch_execnz .LBB216_286
; %bb.283:
	s_or_b32 exec_lo, exec_lo, s9
	s_and_b32 s10, s1, s4
	s_and_saveexec_b32 s9, s10
	s_cbranch_execnz .LBB216_290
.LBB216_284:
	s_or_b32 exec_lo, exec_lo, s9
	s_and_b32 s10, s2, s4
	s_and_saveexec_b32 s9, s10
	s_cbranch_execnz .LBB216_294
.LBB216_285:
	s_or_b32 exec_lo, exec_lo, s9
	s_and_b32 s9, s3, s4
	s_and_saveexec_b32 s4, s9
	s_cbranch_execnz .LBB216_298
	s_branch .LBB216_302
.LBB216_286:
	v_cmp_ne_u32_e32 vcc_lo, 1, v48
	s_cbranch_vccnz .LBB216_288
; %bb.287:
	v_lshlrev_b64 v[22:23], 1, v[0:1]
	v_add_co_u32 v22, vcc_lo, v20, v22
	v_add_co_ci_u32_e64 v23, null, v21, v23, vcc_lo
	flat_load_ushort v22, v[22:23]
	s_waitcnt vmcnt(0) lgkmcnt(0)
	v_mul_f16_e32 v22, v53, v22
	v_cvt_f32_f16_e32 v22, v22
	s_branch .LBB216_289
.LBB216_288:
	v_mov_b32_e32 v22, 0
.LBB216_289:
	v_pk_add_f16 v23, v10, v14
	v_pk_add_f16 v24, v11, v15
	v_max_f16_e32 v25, v69, v69
	v_lshrrev_b32_e32 v26, 16, v69
	v_max_f32_e32 v22, v22, v22
	v_lshrrev_b32_e32 v27, 16, v23
	v_lshrrev_b32_e32 v28, 16, v24
	v_min_f16_e32 v23, v25, v23
	v_min3_f16 v25, v26, v27, v28
	v_min3_f16 v23, v23, v24, v25
	v_cvt_f32_f16_e32 v23, v23
	v_min_f32_e32 v24, v22, v23
	v_lshlrev_b64 v[22:23], 1, v[0:1]
	v_cvt_f16_f32_e32 v24, v24
	v_add_co_u32 v22, vcc_lo, v18, v22
	v_add_co_ci_u32_e64 v23, null, v19, v23, vcc_lo
	flat_store_short v[22:23], v24
	s_or_b32 exec_lo, exec_lo, s9
	s_and_b32 s10, s1, s4
	s_and_saveexec_b32 s9, s10
	s_cbranch_execz .LBB216_284
.LBB216_290:
	v_cmp_ne_u32_e32 vcc_lo, 1, v48
	s_cbranch_vccnz .LBB216_292
; %bb.291:
	v_lshlrev_b64 v[22:23], 1, v[42:43]
	v_add_co_u32 v22, vcc_lo, v20, v22
	v_add_co_ci_u32_e64 v23, null, v21, v23, vcc_lo
	flat_load_ushort v22, v[22:23]
	s_waitcnt vmcnt(0) lgkmcnt(0)
	v_mul_f16_e32 v22, v53, v22
	v_cvt_f32_f16_e32 v22, v22
	s_branch .LBB216_293
.LBB216_292:
	v_mov_b32_e32 v22, 0
.LBB216_293:
	v_pk_add_f16 v23, v12, v14
	v_pk_add_f16 v24, v13, v15
	v_max_f16_e32 v25, v68, v68
	v_lshrrev_b32_e32 v26, 16, v68
	v_max_f32_e32 v22, v22, v22
	v_lshrrev_b32_e32 v27, 16, v23
	v_lshrrev_b32_e32 v28, 16, v24
	v_min_f16_e32 v23, v25, v23
	v_min3_f16 v25, v26, v27, v28
	v_min3_f16 v23, v23, v24, v25
	v_cvt_f32_f16_e32 v23, v23
	v_min_f32_e32 v24, v22, v23
	v_lshlrev_b64 v[22:23], 1, v[42:43]
	v_cvt_f16_f32_e32 v24, v24
	v_add_co_u32 v22, vcc_lo, v18, v22
	v_add_co_ci_u32_e64 v23, null, v19, v23, vcc_lo
	flat_store_short v[22:23], v24
	s_or_b32 exec_lo, exec_lo, s9
	s_and_b32 s10, s2, s4
	s_and_saveexec_b32 s9, s10
	s_cbranch_execz .LBB216_285
.LBB216_294:
	v_cmp_ne_u32_e32 vcc_lo, 1, v48
	s_cbranch_vccnz .LBB216_296
; %bb.295:
	v_lshlrev_b64 v[22:23], 1, v[44:45]
	v_add_co_u32 v22, vcc_lo, v20, v22
	v_add_co_ci_u32_e64 v23, null, v21, v23, vcc_lo
	flat_load_ushort v22, v[22:23]
	s_waitcnt vmcnt(0) lgkmcnt(0)
	v_mul_f16_e32 v22, v53, v22
	v_cvt_f32_f16_e32 v22, v22
	s_branch .LBB216_297
.LBB216_296:
	v_mov_b32_e32 v22, 0
.LBB216_297:
	v_pk_add_f16 v23, v2, v14
	v_pk_add_f16 v24, v3, v15
	v_max_f16_e32 v25, v67, v67
	v_lshrrev_b32_e32 v26, 16, v67
	v_max_f32_e32 v22, v22, v22
	v_lshrrev_b32_e32 v27, 16, v23
	v_lshrrev_b32_e32 v28, 16, v24
	v_min_f16_e32 v23, v25, v23
	v_min3_f16 v25, v26, v27, v28
	v_min3_f16 v23, v23, v24, v25
	v_cvt_f32_f16_e32 v23, v23
	v_min_f32_e32 v24, v22, v23
	v_lshlrev_b64 v[22:23], 1, v[44:45]
	v_cvt_f16_f32_e32 v24, v24
	v_add_co_u32 v22, vcc_lo, v18, v22
	v_add_co_ci_u32_e64 v23, null, v19, v23, vcc_lo
	flat_store_short v[22:23], v24
	s_or_b32 exec_lo, exec_lo, s9
	s_and_b32 s9, s3, s4
	s_and_saveexec_b32 s4, s9
	s_cbranch_execz .LBB216_302
.LBB216_298:
	v_cmp_ne_u32_e32 vcc_lo, 1, v48
	s_cbranch_vccnz .LBB216_300
; %bb.299:
	v_lshlrev_b64 v[22:23], 1, v[46:47]
	v_add_co_u32 v20, vcc_lo, v20, v22
	v_add_co_ci_u32_e64 v21, null, v21, v23, vcc_lo
	flat_load_ushort v20, v[20:21]
	s_waitcnt vmcnt(0) lgkmcnt(0)
	v_mul_f16_e32 v20, v53, v20
	v_cvt_f32_f16_e32 v20, v20
	s_branch .LBB216_301
.LBB216_300:
	v_mov_b32_e32 v20, 0
.LBB216_301:
	v_pk_add_f16 v14, v4, v14
	v_pk_add_f16 v15, v5, v15
	v_max_f16_e32 v21, v66, v66
	v_lshrrev_b32_e32 v22, 16, v66
	v_lshrrev_b32_e32 v23, 16, v14
	;; [unrolled: 1-line block ×3, first 2 shown]
	v_min_f16_e32 v14, v21, v14
	v_min3_f16 v21, v22, v23, v24
	v_min3_f16 v14, v14, v15, v21
	v_max_f32_e32 v15, v20, v20
	v_cvt_f32_f16_e32 v14, v14
	v_min_f32_e32 v20, v15, v14
	v_lshlrev_b64 v[14:15], 1, v[46:47]
	v_cvt_f16_f32_e32 v20, v20
	v_add_co_u32 v14, vcc_lo, v18, v14
	v_add_co_ci_u32_e64 v15, null, v19, v15, vcc_lo
	flat_store_short v[14:15], v20
.LBB216_302:
	s_or_b32 exec_lo, exec_lo, s4
	v_add_nc_u32_e32 v20, 0x68, v49
	v_mad_i64_i32 v[14:15], null, v20, s7, 0
	v_mad_i64_i32 v[18:19], null, v20, s6, 0
	v_cmp_gt_i32_e64 s4, s13, v20
	v_lshlrev_b64 v[14:15], 1, v[14:15]
	s_and_b32 s10, s0, s4
	v_lshlrev_b64 v[20:21], 1, v[18:19]
	v_add_co_u32 v18, vcc_lo, s16, v14
	v_add_co_ci_u32_e64 v19, null, s17, v15, vcc_lo
	v_add_co_u32 v14, vcc_lo, s5, v20
	v_add_co_ci_u32_e64 v15, null, s8, v21, vcc_lo
	s_and_saveexec_b32 s9, s10
	s_cbranch_execnz .LBB216_306
; %bb.303:
	s_or_b32 exec_lo, exec_lo, s9
	s_and_b32 s10, s1, s4
	s_and_saveexec_b32 s9, s10
	s_cbranch_execnz .LBB216_310
.LBB216_304:
	s_or_b32 exec_lo, exec_lo, s9
	s_and_b32 s10, s2, s4
	s_and_saveexec_b32 s9, s10
	s_cbranch_execnz .LBB216_314
.LBB216_305:
	s_or_b32 exec_lo, exec_lo, s9
	s_and_b32 s9, s3, s4
	s_and_saveexec_b32 s4, s9
	s_cbranch_execnz .LBB216_318
	s_branch .LBB216_322
.LBB216_306:
	v_cmp_ne_u32_e32 vcc_lo, 1, v48
	s_cbranch_vccnz .LBB216_308
; %bb.307:
	v_lshlrev_b64 v[20:21], 1, v[0:1]
	v_add_co_u32 v20, vcc_lo, v18, v20
	v_add_co_ci_u32_e64 v21, null, v19, v21, vcc_lo
	flat_load_ushort v20, v[20:21]
	s_waitcnt vmcnt(0) lgkmcnt(0)
	v_mul_f16_e32 v20, v53, v20
	v_cvt_f32_f16_e32 v20, v20
	s_branch .LBB216_309
.LBB216_308:
	v_mov_b32_e32 v20, 0
.LBB216_309:
	v_pk_add_f16 v21, v10, v16
	v_pk_add_f16 v22, v11, v17
	v_max_f16_e32 v23, v65, v65
	v_lshrrev_b32_e32 v24, 16, v65
	v_max_f32_e32 v20, v20, v20
	v_lshrrev_b32_e32 v25, 16, v21
	v_lshrrev_b32_e32 v26, 16, v22
	v_min_f16_e32 v21, v23, v21
	v_min3_f16 v23, v24, v25, v26
	v_min3_f16 v21, v21, v22, v23
	v_cvt_f32_f16_e32 v21, v21
	v_min_f32_e32 v22, v20, v21
	v_lshlrev_b64 v[20:21], 1, v[0:1]
	v_cvt_f16_f32_e32 v22, v22
	v_add_co_u32 v20, vcc_lo, v14, v20
	v_add_co_ci_u32_e64 v21, null, v15, v21, vcc_lo
	flat_store_short v[20:21], v22
	s_or_b32 exec_lo, exec_lo, s9
	s_and_b32 s10, s1, s4
	s_and_saveexec_b32 s9, s10
	s_cbranch_execz .LBB216_304
.LBB216_310:
	v_cmp_ne_u32_e32 vcc_lo, 1, v48
	s_cbranch_vccnz .LBB216_312
; %bb.311:
	v_lshlrev_b64 v[20:21], 1, v[42:43]
	v_add_co_u32 v20, vcc_lo, v18, v20
	v_add_co_ci_u32_e64 v21, null, v19, v21, vcc_lo
	flat_load_ushort v20, v[20:21]
	s_waitcnt vmcnt(0) lgkmcnt(0)
	v_mul_f16_e32 v20, v53, v20
	v_cvt_f32_f16_e32 v20, v20
	s_branch .LBB216_313
.LBB216_312:
	v_mov_b32_e32 v20, 0
.LBB216_313:
	v_pk_add_f16 v21, v12, v16
	v_pk_add_f16 v22, v13, v17
	v_max_f16_e32 v23, v64, v64
	v_lshrrev_b32_e32 v24, 16, v64
	v_max_f32_e32 v20, v20, v20
	v_lshrrev_b32_e32 v25, 16, v21
	v_lshrrev_b32_e32 v26, 16, v22
	v_min_f16_e32 v21, v23, v21
	v_min3_f16 v23, v24, v25, v26
	v_min3_f16 v21, v21, v22, v23
	v_cvt_f32_f16_e32 v21, v21
	v_min_f32_e32 v22, v20, v21
	v_lshlrev_b64 v[20:21], 1, v[42:43]
	v_cvt_f16_f32_e32 v22, v22
	v_add_co_u32 v20, vcc_lo, v14, v20
	v_add_co_ci_u32_e64 v21, null, v15, v21, vcc_lo
	flat_store_short v[20:21], v22
	s_or_b32 exec_lo, exec_lo, s9
	s_and_b32 s10, s2, s4
	s_and_saveexec_b32 s9, s10
	s_cbranch_execz .LBB216_305
.LBB216_314:
	v_cmp_ne_u32_e32 vcc_lo, 1, v48
	s_cbranch_vccnz .LBB216_316
; %bb.315:
	v_lshlrev_b64 v[20:21], 1, v[44:45]
	v_add_co_u32 v20, vcc_lo, v18, v20
	v_add_co_ci_u32_e64 v21, null, v19, v21, vcc_lo
	flat_load_ushort v20, v[20:21]
	s_waitcnt vmcnt(0) lgkmcnt(0)
	v_mul_f16_e32 v20, v53, v20
	v_cvt_f32_f16_e32 v20, v20
	s_branch .LBB216_317
.LBB216_316:
	v_mov_b32_e32 v20, 0
.LBB216_317:
	v_pk_add_f16 v21, v2, v16
	v_pk_add_f16 v22, v3, v17
	v_max_f16_e32 v23, v63, v63
	v_lshrrev_b32_e32 v24, 16, v63
	v_max_f32_e32 v20, v20, v20
	v_lshrrev_b32_e32 v25, 16, v21
	v_lshrrev_b32_e32 v26, 16, v22
	v_min_f16_e32 v21, v23, v21
	v_min3_f16 v23, v24, v25, v26
	v_min3_f16 v21, v21, v22, v23
	v_cvt_f32_f16_e32 v21, v21
	v_min_f32_e32 v22, v20, v21
	v_lshlrev_b64 v[20:21], 1, v[44:45]
	v_cvt_f16_f32_e32 v22, v22
	v_add_co_u32 v20, vcc_lo, v14, v20
	v_add_co_ci_u32_e64 v21, null, v15, v21, vcc_lo
	flat_store_short v[20:21], v22
	s_or_b32 exec_lo, exec_lo, s9
	s_and_b32 s9, s3, s4
	s_and_saveexec_b32 s4, s9
	s_cbranch_execz .LBB216_322
.LBB216_318:
	v_cmp_ne_u32_e32 vcc_lo, 1, v48
	s_cbranch_vccnz .LBB216_320
; %bb.319:
	v_lshlrev_b64 v[20:21], 1, v[46:47]
	v_add_co_u32 v18, vcc_lo, v18, v20
	v_add_co_ci_u32_e64 v19, null, v19, v21, vcc_lo
	flat_load_ushort v18, v[18:19]
	s_waitcnt vmcnt(0) lgkmcnt(0)
	v_mul_f16_e32 v18, v53, v18
	v_cvt_f32_f16_e32 v18, v18
	s_branch .LBB216_321
.LBB216_320:
	v_mov_b32_e32 v18, 0
.LBB216_321:
	v_pk_add_f16 v16, v4, v16
	v_pk_add_f16 v17, v5, v17
	v_max_f16_e32 v19, v62, v62
	v_lshrrev_b32_e32 v20, 16, v62
	v_lshrrev_b32_e32 v21, 16, v16
	;; [unrolled: 1-line block ×3, first 2 shown]
	v_min_f16_e32 v16, v19, v16
	v_min3_f16 v19, v20, v21, v22
	v_min3_f16 v16, v16, v17, v19
	v_max_f32_e32 v17, v18, v18
	v_cvt_f32_f16_e32 v16, v16
	v_min_f32_e32 v18, v17, v16
	v_lshlrev_b64 v[16:17], 1, v[46:47]
	v_cvt_f16_f32_e32 v18, v18
	v_add_co_u32 v14, vcc_lo, v14, v16
	v_add_co_ci_u32_e64 v15, null, v15, v17, vcc_lo
	flat_store_short v[14:15], v18
.LBB216_322:
	s_or_b32 exec_lo, exec_lo, s4
	v_add_nc_u32_e32 v18, 0x70, v49
	v_mad_i64_i32 v[14:15], null, v18, s7, 0
	v_mad_i64_i32 v[16:17], null, v18, s6, 0
	v_cmp_gt_i32_e64 s4, s13, v18
	v_lshlrev_b64 v[14:15], 1, v[14:15]
	s_and_b32 s10, s0, s4
	v_lshlrev_b64 v[18:19], 1, v[16:17]
	v_add_co_u32 v16, vcc_lo, s16, v14
	v_add_co_ci_u32_e64 v17, null, s17, v15, vcc_lo
	v_add_co_u32 v14, vcc_lo, s5, v18
	v_add_co_ci_u32_e64 v15, null, s8, v19, vcc_lo
	s_and_saveexec_b32 s9, s10
	s_cbranch_execnz .LBB216_326
; %bb.323:
	s_or_b32 exec_lo, exec_lo, s9
	s_and_b32 s10, s1, s4
	s_and_saveexec_b32 s9, s10
	s_cbranch_execnz .LBB216_330
.LBB216_324:
	s_or_b32 exec_lo, exec_lo, s9
	s_and_b32 s10, s2, s4
	s_and_saveexec_b32 s9, s10
	s_cbranch_execnz .LBB216_334
.LBB216_325:
	s_or_b32 exec_lo, exec_lo, s9
	s_and_b32 s9, s3, s4
	s_and_saveexec_b32 s4, s9
	s_cbranch_execnz .LBB216_338
	s_branch .LBB216_342
.LBB216_326:
	v_cmp_ne_u32_e32 vcc_lo, 1, v48
	s_cbranch_vccnz .LBB216_328
; %bb.327:
	v_lshlrev_b64 v[18:19], 1, v[0:1]
	v_add_co_u32 v18, vcc_lo, v16, v18
	v_add_co_ci_u32_e64 v19, null, v17, v19, vcc_lo
	flat_load_ushort v18, v[18:19]
	s_waitcnt vmcnt(0) lgkmcnt(0)
	v_mul_f16_e32 v18, v53, v18
	v_cvt_f32_f16_e32 v18, v18
	s_branch .LBB216_329
.LBB216_328:
	v_mov_b32_e32 v18, 0
.LBB216_329:
	v_pk_add_f16 v19, v10, v6
	v_pk_add_f16 v20, v11, v7
	v_max_f16_e32 v21, v61, v61
	v_lshrrev_b32_e32 v22, 16, v61
	v_max_f32_e32 v18, v18, v18
	v_lshrrev_b32_e32 v23, 16, v19
	v_lshrrev_b32_e32 v24, 16, v20
	v_min_f16_e32 v19, v21, v19
	v_min3_f16 v21, v22, v23, v24
	v_min3_f16 v19, v19, v20, v21
	v_cvt_f32_f16_e32 v19, v19
	v_min_f32_e32 v20, v18, v19
	v_lshlrev_b64 v[18:19], 1, v[0:1]
	v_cvt_f16_f32_e32 v20, v20
	v_add_co_u32 v18, vcc_lo, v14, v18
	v_add_co_ci_u32_e64 v19, null, v15, v19, vcc_lo
	flat_store_short v[18:19], v20
	s_or_b32 exec_lo, exec_lo, s9
	s_and_b32 s10, s1, s4
	s_and_saveexec_b32 s9, s10
	s_cbranch_execz .LBB216_324
.LBB216_330:
	v_cmp_ne_u32_e32 vcc_lo, 1, v48
	s_cbranch_vccnz .LBB216_332
; %bb.331:
	v_lshlrev_b64 v[18:19], 1, v[42:43]
	v_add_co_u32 v18, vcc_lo, v16, v18
	v_add_co_ci_u32_e64 v19, null, v17, v19, vcc_lo
	flat_load_ushort v18, v[18:19]
	s_waitcnt vmcnt(0) lgkmcnt(0)
	v_mul_f16_e32 v18, v53, v18
	v_cvt_f32_f16_e32 v18, v18
	s_branch .LBB216_333
.LBB216_332:
	v_mov_b32_e32 v18, 0
.LBB216_333:
	v_pk_add_f16 v19, v12, v6
	v_pk_add_f16 v20, v13, v7
	v_max_f16_e32 v21, v60, v60
	v_lshrrev_b32_e32 v22, 16, v60
	v_max_f32_e32 v18, v18, v18
	v_lshrrev_b32_e32 v23, 16, v19
	v_lshrrev_b32_e32 v24, 16, v20
	v_min_f16_e32 v19, v21, v19
	v_min3_f16 v21, v22, v23, v24
	v_min3_f16 v19, v19, v20, v21
	v_cvt_f32_f16_e32 v19, v19
	v_min_f32_e32 v20, v18, v19
	v_lshlrev_b64 v[18:19], 1, v[42:43]
	v_cvt_f16_f32_e32 v20, v20
	v_add_co_u32 v18, vcc_lo, v14, v18
	v_add_co_ci_u32_e64 v19, null, v15, v19, vcc_lo
	flat_store_short v[18:19], v20
	s_or_b32 exec_lo, exec_lo, s9
	s_and_b32 s10, s2, s4
	s_and_saveexec_b32 s9, s10
	s_cbranch_execz .LBB216_325
.LBB216_334:
	v_cmp_ne_u32_e32 vcc_lo, 1, v48
	s_cbranch_vccnz .LBB216_336
; %bb.335:
	v_lshlrev_b64 v[18:19], 1, v[44:45]
	v_add_co_u32 v18, vcc_lo, v16, v18
	v_add_co_ci_u32_e64 v19, null, v17, v19, vcc_lo
	flat_load_ushort v18, v[18:19]
	s_waitcnt vmcnt(0) lgkmcnt(0)
	v_mul_f16_e32 v18, v53, v18
	v_cvt_f32_f16_e32 v18, v18
	s_branch .LBB216_337
.LBB216_336:
	v_mov_b32_e32 v18, 0
.LBB216_337:
	v_pk_add_f16 v19, v2, v6
	v_pk_add_f16 v20, v3, v7
	v_max_f16_e32 v21, v59, v59
	v_lshrrev_b32_e32 v22, 16, v59
	v_max_f32_e32 v18, v18, v18
	v_lshrrev_b32_e32 v23, 16, v19
	v_lshrrev_b32_e32 v24, 16, v20
	v_min_f16_e32 v19, v21, v19
	v_min3_f16 v21, v22, v23, v24
	v_min3_f16 v19, v19, v20, v21
	v_cvt_f32_f16_e32 v19, v19
	v_min_f32_e32 v20, v18, v19
	v_lshlrev_b64 v[18:19], 1, v[44:45]
	v_cvt_f16_f32_e32 v20, v20
	v_add_co_u32 v18, vcc_lo, v14, v18
	v_add_co_ci_u32_e64 v19, null, v15, v19, vcc_lo
	flat_store_short v[18:19], v20
	s_or_b32 exec_lo, exec_lo, s9
	s_and_b32 s9, s3, s4
	s_and_saveexec_b32 s4, s9
	s_cbranch_execz .LBB216_342
.LBB216_338:
	v_cmp_ne_u32_e32 vcc_lo, 1, v48
	s_cbranch_vccnz .LBB216_340
; %bb.339:
	v_lshlrev_b64 v[18:19], 1, v[46:47]
	v_add_co_u32 v16, vcc_lo, v16, v18
	v_add_co_ci_u32_e64 v17, null, v17, v19, vcc_lo
	flat_load_ushort v16, v[16:17]
	s_waitcnt vmcnt(0) lgkmcnt(0)
	v_mul_f16_e32 v16, v53, v16
	v_cvt_f32_f16_e32 v16, v16
	s_branch .LBB216_341
.LBB216_340:
	v_mov_b32_e32 v16, 0
.LBB216_341:
	v_pk_add_f16 v6, v4, v6
	v_pk_add_f16 v7, v5, v7
	v_max_f16_e32 v17, v58, v58
	v_lshrrev_b32_e32 v18, 16, v58
	v_lshrrev_b32_e32 v19, 16, v6
	;; [unrolled: 1-line block ×3, first 2 shown]
	v_min_f16_e32 v6, v17, v6
	v_min3_f16 v17, v18, v19, v20
	v_min3_f16 v6, v6, v7, v17
	v_max_f32_e32 v7, v16, v16
	v_cvt_f32_f16_e32 v6, v6
	v_min_f32_e32 v16, v7, v6
	v_lshlrev_b64 v[6:7], 1, v[46:47]
	v_cvt_f16_f32_e32 v16, v16
	v_add_co_u32 v6, vcc_lo, v14, v6
	v_add_co_ci_u32_e64 v7, null, v15, v7, vcc_lo
	flat_store_short v[6:7], v16
.LBB216_342:
	s_or_b32 exec_lo, exec_lo, s4
	v_add_nc_u32_e32 v16, 0x78, v49
	v_mad_i64_i32 v[6:7], null, v16, s7, 0
	v_mad_i64_i32 v[14:15], null, v16, s6, 0
	v_cmp_gt_i32_e64 s4, s13, v16
	v_lshlrev_b64 v[6:7], 1, v[6:7]
	v_lshlrev_b64 v[16:17], 1, v[14:15]
	v_add_co_u32 v14, vcc_lo, s16, v6
	v_add_co_ci_u32_e64 v15, null, s17, v7, vcc_lo
	v_add_co_u32 v6, vcc_lo, s5, v16
	v_add_co_ci_u32_e64 v7, null, s8, v17, vcc_lo
	s_and_b32 s5, s0, s4
	s_and_saveexec_b32 s0, s5
	s_cbranch_execnz .LBB216_347
; %bb.343:
	s_or_b32 exec_lo, exec_lo, s0
	s_and_b32 s1, s1, s4
	s_and_saveexec_b32 s0, s1
	s_cbranch_execnz .LBB216_351
.LBB216_344:
	s_or_b32 exec_lo, exec_lo, s0
	s_and_b32 s1, s2, s4
	s_and_saveexec_b32 s0, s1
	s_cbranch_execnz .LBB216_355
.LBB216_345:
	s_or_b32 exec_lo, exec_lo, s0
	s_and_b32 s0, s3, s4
	s_and_saveexec_b32 s1, s0
	s_cbranch_execnz .LBB216_359
.LBB216_346:
	s_endpgm
.LBB216_347:
	v_cmp_ne_u32_e32 vcc_lo, 1, v48
	v_lshlrev_b64 v[0:1], 1, v[0:1]
	s_cbranch_vccnz .LBB216_349
; %bb.348:
	v_add_co_u32 v16, vcc_lo, v14, v0
	v_add_co_ci_u32_e64 v17, null, v15, v1, vcc_lo
	flat_load_ushort v16, v[16:17]
	s_waitcnt vmcnt(0) lgkmcnt(0)
	v_mul_f16_e32 v16, v53, v16
	v_cvt_f32_f16_e32 v16, v16
	s_branch .LBB216_350
.LBB216_349:
	v_mov_b32_e32 v16, 0
.LBB216_350:
	v_pk_add_f16 v10, v10, v8
	v_pk_add_f16 v11, v11, v9
	v_max_f16_e32 v17, v57, v57
	v_lshrrev_b32_e32 v18, 16, v57
	v_add_co_u32 v0, vcc_lo, v6, v0
	v_lshrrev_b32_e32 v19, 16, v10
	v_lshrrev_b32_e32 v20, 16, v11
	v_min_f16_e32 v10, v17, v10
	v_add_co_ci_u32_e64 v1, null, v7, v1, vcc_lo
	v_min3_f16 v17, v18, v19, v20
	v_min3_f16 v10, v10, v11, v17
	v_max_f32_e32 v11, v16, v16
	v_cvt_f32_f16_e32 v10, v10
	v_min_f32_e32 v10, v11, v10
	v_cvt_f16_f32_e32 v10, v10
	flat_store_short v[0:1], v10
	s_or_b32 exec_lo, exec_lo, s0
	s_and_b32 s1, s1, s4
	s_and_saveexec_b32 s0, s1
	s_cbranch_execz .LBB216_344
.LBB216_351:
	v_cmp_ne_u32_e32 vcc_lo, 1, v48
	v_lshlrev_b64 v[0:1], 1, v[42:43]
	s_cbranch_vccnz .LBB216_353
; %bb.352:
	v_add_co_u32 v10, vcc_lo, v14, v0
	v_add_co_ci_u32_e64 v11, null, v15, v1, vcc_lo
	flat_load_ushort v10, v[10:11]
	s_waitcnt vmcnt(0) lgkmcnt(0)
	v_mul_f16_e32 v10, v53, v10
	v_cvt_f32_f16_e32 v10, v10
	s_branch .LBB216_354
.LBB216_353:
	v_mov_b32_e32 v10, 0
.LBB216_354:
	v_pk_add_f16 v11, v12, v8
	v_pk_add_f16 v12, v13, v9
	v_max_f16_e32 v13, v56, v56
	v_lshrrev_b32_e32 v16, 16, v56
	v_max_f32_e32 v10, v10, v10
	v_lshrrev_b32_e32 v17, 16, v11
	v_lshrrev_b32_e32 v18, 16, v12
	v_min_f16_e32 v11, v13, v11
	v_add_co_u32 v0, vcc_lo, v6, v0
	v_add_co_ci_u32_e64 v1, null, v7, v1, vcc_lo
	v_min3_f16 v13, v16, v17, v18
	v_min3_f16 v11, v11, v12, v13
	v_cvt_f32_f16_e32 v11, v11
	v_min_f32_e32 v10, v10, v11
	v_cvt_f16_f32_e32 v10, v10
	flat_store_short v[0:1], v10
	s_or_b32 exec_lo, exec_lo, s0
	s_and_b32 s1, s2, s4
	s_and_saveexec_b32 s0, s1
	s_cbranch_execz .LBB216_345
.LBB216_355:
	v_cmp_ne_u32_e32 vcc_lo, 1, v48
	v_lshlrev_b64 v[0:1], 1, v[44:45]
	s_cbranch_vccnz .LBB216_357
; %bb.356:
	v_add_co_u32 v10, vcc_lo, v14, v0
	v_add_co_ci_u32_e64 v11, null, v15, v1, vcc_lo
	flat_load_ushort v10, v[10:11]
	s_waitcnt vmcnt(0) lgkmcnt(0)
	v_mul_f16_e32 v10, v53, v10
	v_cvt_f32_f16_e32 v10, v10
	s_branch .LBB216_358
.LBB216_357:
	v_mov_b32_e32 v10, 0
.LBB216_358:
	v_pk_add_f16 v2, v2, v8
	v_pk_add_f16 v3, v3, v9
	v_max_f16_e32 v11, v55, v55
	v_lshrrev_b32_e32 v12, 16, v55
	v_add_co_u32 v0, vcc_lo, v6, v0
	v_lshrrev_b32_e32 v13, 16, v2
	v_lshrrev_b32_e32 v16, 16, v3
	v_min_f16_e32 v2, v11, v2
	v_add_co_ci_u32_e64 v1, null, v7, v1, vcc_lo
	v_min3_f16 v11, v12, v13, v16
	v_min3_f16 v2, v2, v3, v11
	v_max_f32_e32 v3, v10, v10
	v_cvt_f32_f16_e32 v2, v2
	v_min_f32_e32 v2, v3, v2
	v_cvt_f16_f32_e32 v2, v2
	flat_store_short v[0:1], v2
	s_or_b32 exec_lo, exec_lo, s0
	s_and_b32 s0, s3, s4
	s_and_saveexec_b32 s1, s0
	s_cbranch_execz .LBB216_346
.LBB216_359:
	v_cmp_ne_u32_e32 vcc_lo, 1, v48
	v_lshlrev_b64 v[0:1], 1, v[46:47]
	s_cbranch_vccnz .LBB216_361
; %bb.360:
	v_add_co_u32 v2, vcc_lo, v14, v0
	v_add_co_ci_u32_e64 v3, null, v15, v1, vcc_lo
	flat_load_ushort v2, v[2:3]
	s_waitcnt vmcnt(0) lgkmcnt(0)
	v_mul_f16_e32 v2, v53, v2
	v_cvt_f32_f16_e32 v2, v2
	s_branch .LBB216_362
.LBB216_361:
	v_mov_b32_e32 v2, 0
.LBB216_362:
	v_pk_add_f16 v3, v4, v8
	v_pk_add_f16 v4, v5, v9
	v_max_f16_e32 v5, v54, v54
	v_lshrrev_b32_e32 v8, 16, v54
	v_max_f32_e32 v2, v2, v2
	v_lshrrev_b32_e32 v9, 16, v3
	v_lshrrev_b32_e32 v10, 16, v4
	v_min_f16_e32 v3, v5, v3
	v_add_co_u32 v0, vcc_lo, v6, v0
	v_add_co_ci_u32_e64 v1, null, v7, v1, vcc_lo
	v_min3_f16 v5, v8, v9, v10
	v_min3_f16 v3, v3, v4, v5
	v_cvt_f32_f16_e32 v3, v3
	v_min_f32_e32 v2, v2, v3
	v_cvt_f16_f32_e32 v2, v2
	flat_store_short v[0:1], v2
	s_endpgm
	.section	.rodata,"a",@progbits
	.p2align	6, 0x0
	.amdhsa_kernel _ZN12_GLOBAL__N_120geam_min_plus_kernelIDF16_Dv2_DF16_S1_Li32ELi8ELi128ELi128ELi4ELi4ELi64ELi4ELi64ELc84ELc78ELb0ELb1ELb1EPKDF16_KS3_KPDF16_EEviiiT16_PT17_ilS9_ilS7_S9_ilPT18_ili26rocblas_geam_ex_operation_
		.amdhsa_group_segment_fixed_size 4096
		.amdhsa_private_segment_fixed_size 0
		.amdhsa_kernarg_size 136
		.amdhsa_user_sgpr_count 6
		.amdhsa_user_sgpr_private_segment_buffer 1
		.amdhsa_user_sgpr_dispatch_ptr 0
		.amdhsa_user_sgpr_queue_ptr 0
		.amdhsa_user_sgpr_kernarg_segment_ptr 1
		.amdhsa_user_sgpr_dispatch_id 0
		.amdhsa_user_sgpr_flat_scratch_init 0
		.amdhsa_user_sgpr_private_segment_size 0
		.amdhsa_wavefront_size32 1
		.amdhsa_uses_dynamic_stack 0
		.amdhsa_system_sgpr_private_segment_wavefront_offset 0
		.amdhsa_system_sgpr_workgroup_id_x 1
		.amdhsa_system_sgpr_workgroup_id_y 0
		.amdhsa_system_sgpr_workgroup_id_z 1
		.amdhsa_system_sgpr_workgroup_info 0
		.amdhsa_system_vgpr_workitem_id 1
		.amdhsa_next_free_vgpr 172
		.amdhsa_next_free_sgpr 26
		.amdhsa_reserve_vcc 1
		.amdhsa_reserve_flat_scratch 0
		.amdhsa_float_round_mode_32 0
		.amdhsa_float_round_mode_16_64 0
		.amdhsa_float_denorm_mode_32 3
		.amdhsa_float_denorm_mode_16_64 3
		.amdhsa_dx10_clamp 1
		.amdhsa_ieee_mode 1
		.amdhsa_fp16_overflow 0
		.amdhsa_workgroup_processor_mode 1
		.amdhsa_memory_ordered 1
		.amdhsa_forward_progress 1
		.amdhsa_shared_vgpr_count 0
		.amdhsa_exception_fp_ieee_invalid_op 0
		.amdhsa_exception_fp_denorm_src 0
		.amdhsa_exception_fp_ieee_div_zero 0
		.amdhsa_exception_fp_ieee_overflow 0
		.amdhsa_exception_fp_ieee_underflow 0
		.amdhsa_exception_fp_ieee_inexact 0
		.amdhsa_exception_int_div_zero 0
	.end_amdhsa_kernel
	.section	.text._ZN12_GLOBAL__N_120geam_min_plus_kernelIDF16_Dv2_DF16_S1_Li32ELi8ELi128ELi128ELi4ELi4ELi64ELi4ELi64ELc84ELc78ELb0ELb1ELb1EPKDF16_KS3_KPDF16_EEviiiT16_PT17_ilS9_ilS7_S9_ilPT18_ili26rocblas_geam_ex_operation_,"axG",@progbits,_ZN12_GLOBAL__N_120geam_min_plus_kernelIDF16_Dv2_DF16_S1_Li32ELi8ELi128ELi128ELi4ELi4ELi64ELi4ELi64ELc84ELc78ELb0ELb1ELb1EPKDF16_KS3_KPDF16_EEviiiT16_PT17_ilS9_ilS7_S9_ilPT18_ili26rocblas_geam_ex_operation_,comdat
.Lfunc_end216:
	.size	_ZN12_GLOBAL__N_120geam_min_plus_kernelIDF16_Dv2_DF16_S1_Li32ELi8ELi128ELi128ELi4ELi4ELi64ELi4ELi64ELc84ELc78ELb0ELb1ELb1EPKDF16_KS3_KPDF16_EEviiiT16_PT17_ilS9_ilS7_S9_ilPT18_ili26rocblas_geam_ex_operation_, .Lfunc_end216-_ZN12_GLOBAL__N_120geam_min_plus_kernelIDF16_Dv2_DF16_S1_Li32ELi8ELi128ELi128ELi4ELi4ELi64ELi4ELi64ELc84ELc78ELb0ELb1ELb1EPKDF16_KS3_KPDF16_EEviiiT16_PT17_ilS9_ilS7_S9_ilPT18_ili26rocblas_geam_ex_operation_
                                        ; -- End function
	.set _ZN12_GLOBAL__N_120geam_min_plus_kernelIDF16_Dv2_DF16_S1_Li32ELi8ELi128ELi128ELi4ELi4ELi64ELi4ELi64ELc84ELc78ELb0ELb1ELb1EPKDF16_KS3_KPDF16_EEviiiT16_PT17_ilS9_ilS7_S9_ilPT18_ili26rocblas_geam_ex_operation_.num_vgpr, 172
	.set _ZN12_GLOBAL__N_120geam_min_plus_kernelIDF16_Dv2_DF16_S1_Li32ELi8ELi128ELi128ELi4ELi4ELi64ELi4ELi64ELc84ELc78ELb0ELb1ELb1EPKDF16_KS3_KPDF16_EEviiiT16_PT17_ilS9_ilS7_S9_ilPT18_ili26rocblas_geam_ex_operation_.num_agpr, 0
	.set _ZN12_GLOBAL__N_120geam_min_plus_kernelIDF16_Dv2_DF16_S1_Li32ELi8ELi128ELi128ELi4ELi4ELi64ELi4ELi64ELc84ELc78ELb0ELb1ELb1EPKDF16_KS3_KPDF16_EEviiiT16_PT17_ilS9_ilS7_S9_ilPT18_ili26rocblas_geam_ex_operation_.numbered_sgpr, 26
	.set _ZN12_GLOBAL__N_120geam_min_plus_kernelIDF16_Dv2_DF16_S1_Li32ELi8ELi128ELi128ELi4ELi4ELi64ELi4ELi64ELc84ELc78ELb0ELb1ELb1EPKDF16_KS3_KPDF16_EEviiiT16_PT17_ilS9_ilS7_S9_ilPT18_ili26rocblas_geam_ex_operation_.num_named_barrier, 0
	.set _ZN12_GLOBAL__N_120geam_min_plus_kernelIDF16_Dv2_DF16_S1_Li32ELi8ELi128ELi128ELi4ELi4ELi64ELi4ELi64ELc84ELc78ELb0ELb1ELb1EPKDF16_KS3_KPDF16_EEviiiT16_PT17_ilS9_ilS7_S9_ilPT18_ili26rocblas_geam_ex_operation_.private_seg_size, 0
	.set _ZN12_GLOBAL__N_120geam_min_plus_kernelIDF16_Dv2_DF16_S1_Li32ELi8ELi128ELi128ELi4ELi4ELi64ELi4ELi64ELc84ELc78ELb0ELb1ELb1EPKDF16_KS3_KPDF16_EEviiiT16_PT17_ilS9_ilS7_S9_ilPT18_ili26rocblas_geam_ex_operation_.uses_vcc, 1
	.set _ZN12_GLOBAL__N_120geam_min_plus_kernelIDF16_Dv2_DF16_S1_Li32ELi8ELi128ELi128ELi4ELi4ELi64ELi4ELi64ELc84ELc78ELb0ELb1ELb1EPKDF16_KS3_KPDF16_EEviiiT16_PT17_ilS9_ilS7_S9_ilPT18_ili26rocblas_geam_ex_operation_.uses_flat_scratch, 0
	.set _ZN12_GLOBAL__N_120geam_min_plus_kernelIDF16_Dv2_DF16_S1_Li32ELi8ELi128ELi128ELi4ELi4ELi64ELi4ELi64ELc84ELc78ELb0ELb1ELb1EPKDF16_KS3_KPDF16_EEviiiT16_PT17_ilS9_ilS7_S9_ilPT18_ili26rocblas_geam_ex_operation_.has_dyn_sized_stack, 0
	.set _ZN12_GLOBAL__N_120geam_min_plus_kernelIDF16_Dv2_DF16_S1_Li32ELi8ELi128ELi128ELi4ELi4ELi64ELi4ELi64ELc84ELc78ELb0ELb1ELb1EPKDF16_KS3_KPDF16_EEviiiT16_PT17_ilS9_ilS7_S9_ilPT18_ili26rocblas_geam_ex_operation_.has_recursion, 0
	.set _ZN12_GLOBAL__N_120geam_min_plus_kernelIDF16_Dv2_DF16_S1_Li32ELi8ELi128ELi128ELi4ELi4ELi64ELi4ELi64ELc84ELc78ELb0ELb1ELb1EPKDF16_KS3_KPDF16_EEviiiT16_PT17_ilS9_ilS7_S9_ilPT18_ili26rocblas_geam_ex_operation_.has_indirect_call, 0
	.section	.AMDGPU.csdata,"",@progbits
; Kernel info:
; codeLenInByte = 23496
; TotalNumSgprs: 28
; NumVgprs: 172
; ScratchSize: 0
; MemoryBound: 0
; FloatMode: 240
; IeeeMode: 1
; LDSByteSize: 4096 bytes/workgroup (compile time only)
; SGPRBlocks: 0
; VGPRBlocks: 21
; NumSGPRsForWavesPerEU: 28
; NumVGPRsForWavesPerEU: 172
; Occupancy: 5
; WaveLimiterHint : 1
; COMPUTE_PGM_RSRC2:SCRATCH_EN: 0
; COMPUTE_PGM_RSRC2:USER_SGPR: 6
; COMPUTE_PGM_RSRC2:TRAP_HANDLER: 0
; COMPUTE_PGM_RSRC2:TGID_X_EN: 1
; COMPUTE_PGM_RSRC2:TGID_Y_EN: 0
; COMPUTE_PGM_RSRC2:TGID_Z_EN: 1
; COMPUTE_PGM_RSRC2:TIDIG_COMP_CNT: 1
	.section	.text._ZN12_GLOBAL__N_120geam_min_plus_kernelIDF16_Dv2_DF16_S1_Li32ELi8ELi128ELi128ELi4ELi4ELi64ELi4ELi64ELc84ELc78ELb1ELb1ELb1EDF16_KPKDF16_KPDF16_EEviiiT16_PT17_ilS9_ilS7_S9_ilPT18_ili26rocblas_geam_ex_operation_,"axG",@progbits,_ZN12_GLOBAL__N_120geam_min_plus_kernelIDF16_Dv2_DF16_S1_Li32ELi8ELi128ELi128ELi4ELi4ELi64ELi4ELi64ELc84ELc78ELb1ELb1ELb1EDF16_KPKDF16_KPDF16_EEviiiT16_PT17_ilS9_ilS7_S9_ilPT18_ili26rocblas_geam_ex_operation_,comdat
	.globl	_ZN12_GLOBAL__N_120geam_min_plus_kernelIDF16_Dv2_DF16_S1_Li32ELi8ELi128ELi128ELi4ELi4ELi64ELi4ELi64ELc84ELc78ELb1ELb1ELb1EDF16_KPKDF16_KPDF16_EEviiiT16_PT17_ilS9_ilS7_S9_ilPT18_ili26rocblas_geam_ex_operation_ ; -- Begin function _ZN12_GLOBAL__N_120geam_min_plus_kernelIDF16_Dv2_DF16_S1_Li32ELi8ELi128ELi128ELi4ELi4ELi64ELi4ELi64ELc84ELc78ELb1ELb1ELb1EDF16_KPKDF16_KPDF16_EEviiiT16_PT17_ilS9_ilS7_S9_ilPT18_ili26rocblas_geam_ex_operation_
	.p2align	8
	.type	_ZN12_GLOBAL__N_120geam_min_plus_kernelIDF16_Dv2_DF16_S1_Li32ELi8ELi128ELi128ELi4ELi4ELi64ELi4ELi64ELc84ELc78ELb1ELb1ELb1EDF16_KPKDF16_KPDF16_EEviiiT16_PT17_ilS9_ilS7_S9_ilPT18_ili26rocblas_geam_ex_operation_,@function
_ZN12_GLOBAL__N_120geam_min_plus_kernelIDF16_Dv2_DF16_S1_Li32ELi8ELi128ELi128ELi4ELi4ELi64ELi4ELi64ELc84ELc78ELb1ELb1ELb1EDF16_KPKDF16_KPDF16_EEviiiT16_PT17_ilS9_ilS7_S9_ilPT18_ili26rocblas_geam_ex_operation_: ; @_ZN12_GLOBAL__N_120geam_min_plus_kernelIDF16_Dv2_DF16_S1_Li32ELi8ELi128ELi128ELi4ELi4ELi64ELi4ELi64ELc84ELc78ELb1ELb1ELb1EDF16_KPKDF16_KPDF16_EEviiiT16_PT17_ilS9_ilS7_S9_ilPT18_ili26rocblas_geam_ex_operation_
; %bb.0:
	s_clause 0x1
	s_load_dwordx4 s[8:11], s[4:5], 0x0
	s_load_dwordx4 s[0:3], s[4:5], 0x20
	s_mov_b32 s14, s7
	s_mov_b32 s15, 0
	s_waitcnt lgkmcnt(0)
	v_cmp_eq_f16_e64 s7, s11, 0
	s_and_b32 vcc_lo, exec_lo, s7
	s_cbranch_vccnz .LBB217_3
; %bb.1:
	s_load_dwordx2 s[12:13], s[4:5], 0x10
	s_lshl_b64 s[16:17], s[14:15], 3
	s_waitcnt lgkmcnt(0)
	s_add_u32 s12, s12, s16
	s_addc_u32 s13, s13, s17
	s_lshl_b64 s[0:1], s[0:1], 1
	s_load_dwordx2 s[12:13], s[12:13], 0x0
	s_waitcnt lgkmcnt(0)
	s_add_u32 s16, s12, s0
	s_addc_u32 s17, s13, s1
	s_andn2_b32 vcc_lo, exec_lo, s7
	s_cbranch_vccnz .LBB217_4
.LBB217_2:
	s_mov_b32 s21, 0
	s_mov_b32 s20, s14
	s_mov_b32 s0, s21
	s_mov_b64 s[12:13], 0
	s_andn2_b32 vcc_lo, exec_lo, s0
	s_mov_b64 s[18:19], 0
	s_cbranch_vccz .LBB217_5
	s_branch .LBB217_6
.LBB217_3:
	s_mov_b64 s[16:17], 0
	s_andn2_b32 vcc_lo, exec_lo, s7
	s_cbranch_vccz .LBB217_2
.LBB217_4:
	s_mov_b64 s[20:21], s[14:15]
	s_mov_b64 s[12:13], 0
	;; [unrolled: 1-line block ×3, first 2 shown]
.LBB217_5:
	s_lshl_b64 s[0:1], s[14:15], 3
	s_load_dwordx2 s[14:15], s[4:5], 0x38
	s_add_u32 s0, s2, s0
	s_addc_u32 s1, s3, s1
	s_load_dwordx2 s[0:1], s[0:1], 0x0
	s_waitcnt lgkmcnt(0)
	s_lshl_b64 s[2:3], s[14:15], 1
	s_add_u32 s18, s0, s2
	s_addc_u32 s19, s1, s3
.LBB217_6:
	s_clause 0x1
	s_load_dword s7, s[4:5], 0x40
	s_load_dwordx4 s[0:3], s[4:5], 0x58
	s_waitcnt lgkmcnt(0)
	v_cmp_eq_f16_e64 s11, s7, 0
	v_cmp_neq_f16_e64 s22, s7, 0
	s_and_b32 vcc_lo, exec_lo, s11
	s_cbranch_vccnz .LBB217_8
; %bb.7:
	s_load_dwordx2 s[12:13], s[4:5], 0x48
	s_lshl_b64 s[14:15], s[20:21], 3
	s_waitcnt lgkmcnt(0)
	s_add_u32 s12, s12, s14
	s_addc_u32 s13, s13, s15
	s_lshl_b64 s[0:1], s[0:1], 1
	s_load_dwordx2 s[12:13], s[12:13], 0x0
	s_waitcnt lgkmcnt(0)
	s_add_u32 s12, s12, s0
	s_addc_u32 s13, s13, s1
.LBB217_8:
	s_lshl_b64 s[0:1], s[20:21], 3
	s_load_dword s21, s[4:5], 0x18
	s_add_u32 s14, s2, s0
	s_addc_u32 s15, s3, s1
	s_add_i32 s0, s8, -1
	v_and_b32_e32 v45, 3, v0
	s_ashr_i32 s1, s0, 31
	v_mov_b32_e32 v11, 0x7c00
	s_lshr_b32 s1, s1, 25
	v_mov_b32_e32 v12, 0x7c00
	s_add_i32 s0, s0, s1
	v_lshlrev_b32_e32 v67, 1, v45
	s_ashr_i32 s0, s0, 7
	s_add_i32 s1, s0, 1
	s_not_b32 s0, s0
	v_cvt_f32_u32_e32 v2, s1
	v_rcp_iflag_f32_e32 v2, v2
	v_mul_f32_e32 v2, 0x4f7ffffe, v2
	v_cvt_u32_f32_e32 v2, v2
	v_readfirstlane_b32 s2, v2
	v_lshl_add_u32 v2, v1, 5, v0
	s_mul_i32 s0, s0, s2
	v_lshrrev_b32_e32 v10, 2, v2
	s_mul_hi_u32 s0, s2, s0
	s_add_i32 s2, s2, s0
	s_mul_hi_u32 s0, s6, s2
	s_mul_i32 s2, s0, s1
	s_add_i32 s3, s0, 1
	s_sub_i32 s2, s6, s2
	s_sub_i32 s11, s2, s1
	s_cmp_ge_u32 s2, s1
	s_cselect_b32 s0, s3, s0
	s_cselect_b32 s2, s11, s2
	s_add_i32 s3, s0, 1
	s_cmp_ge_u32 s2, s1
	s_cselect_b32 s2, s3, s0
	v_cmp_le_i32_e64 s3, s10, v45
	s_mul_i32 s0, s2, s1
	s_sub_i32 s0, s6, s0
	s_lshl_b32 s11, s0, 7
	v_add_co_u32 v8, s0, s16, v67
	v_add_nc_u32_e32 v2, s11, v10
	v_add_co_ci_u32_e64 v9, null, s17, 0, s0
	v_cmp_le_i32_e32 vcc_lo, s8, v2
	s_nor_b32 s0, s3, vcc_lo
	s_and_saveexec_b32 s1, s0
	s_cbranch_execz .LBB217_10
; %bb.9:
	s_waitcnt lgkmcnt(0)
	v_mad_i64_i32 v[3:4], null, v2, s21, 0
	v_lshlrev_b64 v[3:4], 1, v[3:4]
	v_add_co_u32 v3, s0, v8, v3
	v_add_co_ci_u32_e64 v4, null, v9, v4, s0
	flat_load_ushort v12, v[3:4]
.LBB217_10:
	s_or_b32 exec_lo, exec_lo, s1
	v_add_nc_u32_e32 v3, 64, v2
	v_cmp_le_i32_e64 s0, s8, v3
	s_nor_b32 s1, s3, s0
	s_and_saveexec_b32 s6, s1
	s_cbranch_execz .LBB217_12
; %bb.11:
	s_waitcnt lgkmcnt(0)
	v_mad_i64_i32 v[4:5], null, v3, s21, 0
	v_lshlrev_b64 v[4:5], 1, v[4:5]
	v_add_co_u32 v4, s1, v8, v4
	v_add_co_ci_u32_e64 v5, null, v9, v5, s1
	flat_load_ushort v11, v[4:5]
.LBB217_12:
	s_or_b32 exec_lo, exec_lo, s6
	s_load_dword s23, s[4:5], 0x30
	s_lshl_b32 s20, s2, 7
	v_add_co_u32 v15, s1, s18, v67
	v_add_nc_u32_e32 v4, s20, v10
	v_add_co_ci_u32_e64 v16, null, s19, 0, s1
	v_mov_b32_e32 v13, 0x7c00
	v_mov_b32_e32 v14, 0x7c00
	v_cmp_le_i32_e64 s1, s9, v4
	s_nor_b32 s2, s3, s1
	s_and_saveexec_b32 s6, s2
	s_cbranch_execz .LBB217_14
; %bb.13:
	s_waitcnt lgkmcnt(0)
	v_mad_i64_i32 v[5:6], null, v4, s23, 0
	v_lshlrev_b64 v[5:6], 1, v[5:6]
	v_add_co_u32 v5, s2, v15, v5
	v_add_co_ci_u32_e64 v6, null, v16, v6, s2
	flat_load_ushort v14, v[5:6]
.LBB217_14:
	s_or_b32 exec_lo, exec_lo, s6
	v_add_nc_u32_e32 v5, 64, v4
	v_cmp_le_i32_e64 s2, s9, v5
	s_nor_b32 s3, s3, s2
	s_and_saveexec_b32 s6, s3
	s_cbranch_execz .LBB217_16
; %bb.15:
	s_waitcnt lgkmcnt(0)
	v_mad_i64_i32 v[6:7], null, v5, s23, 0
	v_lshlrev_b64 v[6:7], 1, v[6:7]
	v_add_co_u32 v6, s3, v15, v6
	v_add_co_ci_u32_e64 v7, null, v16, v7, s3
	flat_load_ushort v13, v[6:7]
.LBB217_16:
	s_or_b32 exec_lo, exec_lo, s6
	v_or_b32_e32 v6, 4, v45
	v_mov_b32_e32 v7, 0x7c00
	v_cmp_le_i32_e64 s3, s10, v6
	v_mov_b32_e32 v6, 0x7c00
	s_nor_b32 s6, s3, vcc_lo
	s_and_saveexec_b32 s24, s6
	s_cbranch_execz .LBB217_18
; %bb.17:
	s_waitcnt lgkmcnt(0)
	v_mad_i64_i32 v[17:18], null, v2, s21, 0
	v_lshlrev_b64 v[17:18], 1, v[17:18]
	v_add_co_u32 v17, s6, v8, v17
	v_add_co_ci_u32_e64 v18, null, v9, v18, s6
	flat_load_ushort v7, v[17:18] offset:8
.LBB217_18:
	s_or_b32 exec_lo, exec_lo, s24
	s_nor_b32 s6, s3, s0
	s_and_saveexec_b32 s24, s6
	s_cbranch_execz .LBB217_20
; %bb.19:
	s_waitcnt lgkmcnt(0)
	v_mad_i64_i32 v[17:18], null, v3, s21, 0
	v_lshlrev_b64 v[17:18], 1, v[17:18]
	v_add_co_u32 v8, s6, v8, v17
	v_add_co_ci_u32_e64 v9, null, v9, v18, s6
	flat_load_ushort v6, v[8:9] offset:8
.LBB217_20:
	s_or_b32 exec_lo, exec_lo, s24
	v_mov_b32_e32 v8, 0x7c00
	v_mov_b32_e32 v9, 0x7c00
	s_nor_b32 s6, s3, s1
	s_and_saveexec_b32 s24, s6
	s_cbranch_execz .LBB217_22
; %bb.21:
	s_waitcnt lgkmcnt(0)
	v_mad_i64_i32 v[17:18], null, v4, s23, 0
	v_lshlrev_b64 v[17:18], 1, v[17:18]
	v_add_co_u32 v17, s6, v15, v17
	v_add_co_ci_u32_e64 v18, null, v16, v18, s6
	flat_load_ushort v9, v[17:18] offset:8
.LBB217_22:
	s_or_b32 exec_lo, exec_lo, s24
	s_nor_b32 s3, s3, s2
	s_and_saveexec_b32 s6, s3
	s_cbranch_execz .LBB217_24
; %bb.23:
	s_waitcnt lgkmcnt(0)
	v_mad_i64_i32 v[17:18], null, v5, s23, 0
	v_lshlrev_b64 v[17:18], 1, v[17:18]
	v_add_co_u32 v15, s3, v15, v17
	v_add_co_ci_u32_e64 v16, null, v16, v18, s3
	flat_load_ushort v8, v[15:16] offset:8
.LBB217_24:
	s_or_b32 exec_lo, exec_lo, s6
	v_lshlrev_b32_e32 v10, 3, v10
	v_lshlrev_b32_e32 v46, 3, v1
	;; [unrolled: 1-line block ×3, first 2 shown]
	s_load_dwordx2 s[14:15], s[14:15], 0x0
	s_cmp_lt_i32 s10, 9
	v_lshl_or_b32 v71, v45, 1, v10
	v_add_nc_u32_e32 v30, 0x800, v46
	s_waitcnt vmcnt(0) lgkmcnt(0)
	ds_write_b16 v71, v12
	ds_write_b16 v71, v11 offset:512
	ds_write_b16 v71, v14 offset:2048
	;; [unrolled: 1-line block ×3, first 2 shown]
	s_waitcnt lgkmcnt(0)
	s_barrier
	buffer_gl0_inv
	ds_read2_b64 v[10:13], v47 offset1:32
	ds_read2_b64 v[14:17], v30 offset1:8
	ds_read2_b64 v[18:21], v47 offset0:64 offset1:96
	ds_read2_b64 v[22:25], v30 offset0:16 offset1:24
	ds_read2_b64 v[26:29], v30 offset0:32 offset1:40
	s_waitcnt lgkmcnt(3)
	v_pk_add_f16 v31, v10, v14
	v_pk_add_f16 v32, v12, v14
	s_waitcnt lgkmcnt(2)
	v_pk_add_f16 v33, v18, v14
	v_pk_add_f16 v34, v20, v14
	;; [unrolled: 1-line block ×6, first 2 shown]
	s_waitcnt lgkmcnt(1)
	v_pk_add_f16 v39, v10, v22
	v_pk_add_f16 v40, v12, v22
	;; [unrolled: 1-line block ×20, first 2 shown]
	ds_read2_b64 v[14:17], v30 offset0:48 offset1:56
	v_pk_add_f16 v64, v11, v25
	v_pk_add_f16 v65, v13, v25
	;; [unrolled: 1-line block ×4, first 2 shown]
	ds_read2_b64 v[22:25], v30 offset0:64 offset1:72
	s_waitcnt lgkmcnt(2)
	v_pk_add_f16 v50, v10, v26
	v_pk_add_f16 v51, v12, v26
	;; [unrolled: 1-line block ×16, first 2 shown]
	s_waitcnt lgkmcnt(1)
	v_pk_add_f16 v84, v10, v14
	v_pk_add_f16 v85, v12, v14
	;; [unrolled: 1-line block ×14, first 2 shown]
	ds_read2_b64 v[26:29], v30 offset0:80 offset1:88
	v_pk_add_f16 v119, v19, v17
	v_pk_add_f16 v120, v21, v17
	s_waitcnt lgkmcnt(1)
	v_pk_add_f16 v121, v10, v22
	v_pk_add_f16 v122, v12, v22
	;; [unrolled: 1-line block ×14, first 2 shown]
	ds_read2_b64 v[14:17], v30 offset0:96 offset1:104
	v_pk_add_f16 v138, v19, v25
	v_pk_add_f16 v139, v21, v25
	ds_read2_b64 v[22:25], v30 offset0:112 offset1:120
	s_waitcnt lgkmcnt(2)
	v_pk_add_f16 v140, v10, v26
	v_pk_add_f16 v141, v12, v26
	v_pk_add_f16 v142, v18, v26
	v_pk_add_f16 v26, v20, v26
	v_pk_add_f16 v143, v10, v28
	v_pk_add_f16 v144, v12, v28
	v_pk_add_f16 v145, v18, v28
	v_pk_add_f16 v28, v20, v28
	v_pk_add_f16 v146, v11, v27
	v_pk_add_f16 v147, v13, v27
	v_pk_add_f16 v148, v19, v27
	v_pk_add_f16 v27, v21, v27
	v_pk_add_f16 v149, v11, v29
	v_pk_add_f16 v30, v13, v29
	v_pk_add_f16 v150, v19, v29
	v_pk_add_f16 v29, v21, v29
	s_waitcnt lgkmcnt(1)
	v_pk_add_f16 v151, v10, v14
	v_pk_add_f16 v152, v12, v14
	v_pk_add_f16 v153, v18, v14
	v_pk_add_f16 v14, v20, v14
	v_pk_add_f16 v154, v10, v16
	v_pk_add_f16 v155, v12, v16
	v_pk_add_f16 v156, v18, v16
	v_pk_add_f16 v16, v20, v16
	v_pk_add_f16 v157, v11, v15
	v_pk_add_f16 v158, v13, v15
	v_pk_add_f16 v159, v19, v15
	v_pk_add_f16 v15, v21, v15
	v_pk_add_f16 v160, v11, v17
	v_pk_add_f16 v161, v13, v17
	v_pk_add_f16 v162, v19, v17
	v_pk_add_f16 v17, v21, v17
	;; [unrolled: 17-line block ×3, first 2 shown]
	v_pk_min_f16 v25, 0x7c00, v35 op_sel_hi:[0,1]
	v_pk_min_f16 v31, 0x7c00, v31 op_sel_hi:[0,1]
	;; [unrolled: 1-line block ×5, first 2 shown]
	v_pk_min_f16 v109, v25, v56
	v_pk_min_f16 v25, 0x7c00, v40 op_sel_hi:[0,1]
	v_pk_min_f16 v127, v31, v52
	v_pk_min_f16 v31, 0x7c00, v36 op_sel_hi:[0,1]
	v_pk_min_f16 v126, v32, v53
	v_pk_min_f16 v111, v33, v54
	;; [unrolled: 1-line block ×3, first 2 shown]
	v_pk_min_f16 v25, 0x7c00, v48 op_sel_hi:[0,1]
	v_pk_min_f16 v125, v34, v55
	v_pk_min_f16 v32, 0x7c00, v37 op_sel_hi:[0,1]
	v_pk_min_f16 v33, 0x7c00, v38 op_sel_hi:[0,1]
	v_pk_min_f16 v34, 0x7c00, v39 op_sel_hi:[0,1]
	v_pk_min_f16 v108, v31, v57
	v_pk_min_f16 v31, 0x7c00, v41 op_sel_hi:[0,1]
	v_pk_min_f16 v99, v25, v66
	v_pk_min_f16 v25, 0x7c00, v70 op_sel_hi:[0,1]
	v_pk_min_f16 v107, v32, v58
	v_pk_min_f16 v106, v33, v59
	v_pk_min_f16 v105, v34, v60
	v_pk_min_f16 v32, 0x7c00, v42 op_sel_hi:[0,1]
	v_pk_min_f16 v33, 0x7c00, v43 op_sel_hi:[0,1]
	v_pk_min_f16 v34, 0x7c00, v44 op_sel_hi:[0,1]
	v_pk_min_f16 v103, v31, v62
	v_pk_min_f16 v31, 0x7c00, v49 op_sel_hi:[0,1]
	v_pk_min_f16 v94, v25, v79
	v_pk_min_f16 v25, 0x7c00, v84 op_sel_hi:[0,1]
	v_pk_min_f16 v102, v32, v63
	v_pk_min_f16 v101, v33, v64
	;; [unrolled: 10-line block ×4, first 2 shown]
	v_pk_min_f16 v90, v34, v83
	v_pk_min_f16 v32, 0x7c00, v86 op_sel_hi:[0,1]
	v_pk_min_f16 v33, 0x7c00, v87 op_sel_hi:[0,1]
	;; [unrolled: 1-line block ×3, first 2 shown]
	v_pk_min_f16 v88, v31, v114
	v_pk_min_f16 v31, 0x7c00, v112 op_sel_hi:[0,1]
	v_pk_min_f16 v79, v25, v134
	v_pk_min_f16 v25, 0x7c00, v131 op_sel_hi:[0,1]
	v_pk_min_f16 v26, 0x7c00, v26 op_sel_hi:[0,1]
	v_pk_min_f16 v87, v32, v115
	v_pk_min_f16 v86, v33, v116
	v_pk_min_f16 v32, 0x7c00, v113 op_sel_hi:[0,1]
	v_pk_min_f16 v33, 0x7c00, v121 op_sel_hi:[0,1]
	v_pk_min_f16 v83, v31, v119
	v_pk_min_f16 v31, 0x7c00, v124 op_sel_hi:[0,1]
	v_pk_min_f16 v74, v25, v139
	v_pk_min_f16 v69, v26, v27
	v_pk_min_f16 v25, 0x7c00, v143 op_sel_hi:[0,1]
	v_pk_min_f16 v26, 0x7c00, v144 op_sel_hi:[0,1]
	;; [unrolled: 1-line block ×3, first 2 shown]
	v_pk_min_f16 v85, v34, v117
	v_pk_min_f16 v34, 0x7c00, v122 op_sel_hi:[0,1]
	v_pk_min_f16 v82, v32, v120
	v_pk_min_f16 v81, v33, v132
	v_pk_min_f16 v32, 0x7c00, v128 op_sel_hi:[0,1]
	v_pk_min_f16 v33, 0x7c00, v129 op_sel_hi:[0,1]
	v_pk_min_f16 v78, v31, v135
	v_pk_min_f16 v31, 0x7c00, v140 op_sel_hi:[0,1]
	v_pk_min_f16 v27, 0x7c00, v145 op_sel_hi:[0,1]
	;; [unrolled: 1-line block ×3, first 2 shown]
	v_pk_min_f16 v68, v25, v149
	v_pk_min_f16 v66, v26, v30
	v_pk_min_f16 v25, 0x7c00, v152 op_sel_hi:[0,1]
	v_pk_min_f16 v26, 0x7c00, v153 op_sel_hi:[0,1]
	v_pk_min_f16 v60, v14, v15
	v_pk_min_f16 v14, 0x7c00, v156 op_sel_hi:[0,1]
	v_pk_min_f16 v15, 0x7c00, v16 op_sel_hi:[0,1]
	;; [unrolled: 1-line block ×3, first 2 shown]
	v_pk_min_f16 v80, v34, v133
	v_pk_min_f16 v34, 0x7c00, v130 op_sel_hi:[0,1]
	v_pk_min_f16 v77, v32, v136
	v_pk_min_f16 v76, v33, v137
	v_pk_min_f16 v32, 0x7c00, v141 op_sel_hi:[0,1]
	v_pk_min_f16 v33, 0x7c00, v142 op_sel_hi:[0,1]
	v_pk_min_f16 v73, v31, v146
	v_pk_min_f16 v31, 0x7c00, v151 op_sel_hi:[0,1]
	v_pk_min_f16 v65, v27, v150
	v_pk_min_f16 v64, v28, v29
	v_pk_min_f16 v27, 0x7c00, v154 op_sel_hi:[0,1]
	v_pk_min_f16 v28, 0x7c00, v155 op_sel_hi:[0,1]
	v_pk_min_f16 v62, v25, v158
	v_pk_min_f16 v61, v26, v159
	v_pk_min_f16 v25, 0x7c00, v164 op_sel_hi:[0,1]
	v_pk_min_f16 v26, 0x7c00, v167 op_sel_hi:[0,1]
	v_pk_min_f16 v57, v14, v162
	v_pk_min_f16 v56, v15, v17
	v_pk_min_f16 v55, v16, v165
	v_pk_min_f16 v14, 0x7c00, v22 op_sel_hi:[0,1]
	v_pk_min_f16 v10, 0x7c00, v10 op_sel_hi:[0,1]
	;; [unrolled: 1-line block ×5, first 2 shown]
	v_pk_min_f16 v75, v34, v138
	v_pk_min_f16 v72, v32, v147
	;; [unrolled: 1-line block ×13, first 2 shown]
	ds_write_b16 v71, v7 offset:1024
	ds_write_b16 v71, v6 offset:1536
	ds_write_b16 v71, v9 offset:3072
	ds_write_b16 v71, v8 offset:3584
	s_waitcnt lgkmcnt(0)
	s_barrier
	buffer_gl0_inv
	s_cbranch_scc1 .LBB217_43
; %bb.25:
	v_mad_i64_i32 v[6:7], null, s23, v4, 0
	v_mad_i64_i32 v[4:5], null, s23, v5, 0
	;; [unrolled: 1-line block ×4, first 2 shown]
	v_lshlrev_b64 v[6:7], 1, v[6:7]
	v_add_nc_u32_e32 v110, 0x800, v71
	v_lshlrev_b64 v[4:5], 1, v[4:5]
	v_or_b32_e32 v112, 0x800, v46
	v_add_nc_u32_e32 v113, 0x400, v71
	v_add_nc_u32_e32 v114, 0xc00, v71
	v_add_co_u32 v117, s3, s18, v6
	v_add_co_ci_u32_e64 v118, null, s19, v7, s3
	v_lshlrev_b64 v[6:7], 1, v[8:9]
	v_lshlrev_b64 v[2:3], 1, v[2:3]
	v_add_co_u32 v119, s3, s18, v4
	v_add_co_ci_u32_e64 v120, null, s19, v5, s3
	v_add_co_u32 v121, s3, s16, v6
	v_add_co_ci_u32_e64 v122, null, s17, v7, s3
	v_add_co_u32 v123, s3, s16, v2
	v_lshl_add_u32 v115, v0, 3, 0x400
	v_lshl_add_u32 v116, v1, 3, 0xc00
	v_add_co_ci_u32_e64 v124, null, s17, v3, s3
	s_add_i32 s16, s10, -8
	s_mov_b32 s17, 0
	s_branch .LBB217_27
.LBB217_26:                             ;   in Loop: Header=BB217_27 Depth=1
	s_or_b32 exec_lo, exec_lo, s6
	v_pk_add_f16 v6, v13, v41
	v_pk_max_f16 v7, v127, v127
	v_pk_add_f16 v8, v15, v41
	v_pk_max_f16 v126, v126, v126
	;; [unrolled: 2-line block ×3, first 2 shown]
	v_pk_min_f16 v6, v7, v6
	v_pk_add_f16 v41, v11, v41
	v_pk_min_f16 v7, v126, v8
	v_pk_max_f16 v109, v109, v109
	v_pk_min_f16 v8, v111, v127
	v_pk_max_f16 v111, v125, v125
	v_pk_add_f16 v125, v13, v43
	v_pk_add_f16 v126, v15, v43
	;; [unrolled: 1-line block ×4, first 2 shown]
	v_pk_max_f16 v106, v106, v106
	v_pk_max_f16 v108, v108, v108
	v_pk_min_f16 v41, v111, v41
	v_pk_min_f16 v109, v109, v125
	v_pk_max_f16 v105, v105, v105
	v_pk_min_f16 v43, v106, v43
	v_pk_add_f16 v106, v13, v37
	v_pk_add_f16 v111, v15, v37
	;; [unrolled: 1-line block ×4, first 2 shown]
	v_pk_max_f16 v102, v102, v102
	v_pk_min_f16 v108, v108, v126
	v_pk_max_f16 v104, v104, v104
	v_pk_max_f16 v103, v103, v103
	v_pk_add_f16 v126, v13, v39
	v_pk_min_f16 v105, v105, v106
	v_pk_min_f16 v37, v102, v37
	v_pk_add_f16 v102, v15, v39
	v_pk_max_f16 v100, v100, v100
	v_pk_add_f16 v106, v9, v39
	v_pk_add_f16 v39, v11, v39
	v_pk_max_f16 v98, v98, v98
	v_pk_min_f16 v104, v104, v111
	v_pk_min_f16 v103, v103, v125
	v_pk_max_f16 v99, v99, v99
	v_pk_add_f16 v111, v13, v33
	v_pk_max_f16 v97, v97, v97
	v_pk_add_f16 v125, v15, v33
	v_pk_min_f16 v100, v100, v102
	v_pk_min_f16 v39, v98, v39
	v_pk_add_f16 v98, v9, v33
	v_pk_max_f16 v95, v95, v95
	v_pk_add_f16 v33, v11, v33
	v_pk_max_f16 v94, v94, v94
	;; [unrolled: 2-line block ×3, first 2 shown]
	v_pk_min_f16 v99, v99, v106
	v_pk_min_f16 v97, v97, v111
	v_pk_add_f16 v106, v15, v35
	v_pk_add_f16 v111, v9, v35
	v_pk_min_f16 v95, v95, v98
	v_pk_min_f16 v33, v94, v33
	;; [unrolled: 1-line block ×3, first 2 shown]
	v_pk_add_f16 v35, v11, v35
	v_pk_max_f16 v90, v90, v90
	v_pk_add_f16 v94, v13, v29
	v_pk_max_f16 v89, v89, v89
	v_pk_add_f16 v98, v15, v29
	v_pk_add_f16 v102, v9, v29
	;; [unrolled: 1-line block ×3, first 2 shown]
	v_pk_max_f16 v86, v86, v86
	v_pk_max_f16 v88, v88, v88
	v_pk_min_f16 v35, v90, v35
	v_pk_min_f16 v89, v89, v94
	v_pk_max_f16 v85, v85, v85
	v_pk_min_f16 v29, v86, v29
	v_pk_add_f16 v86, v13, v31
	v_pk_add_f16 v90, v15, v31
	v_pk_max_f16 v84, v84, v84
	v_pk_add_f16 v94, v9, v31
	v_pk_add_f16 v31, v11, v31
	v_pk_max_f16 v82, v82, v82
	v_pk_min_f16 v88, v88, v98
	v_pk_max_f16 v83, v83, v83
	v_pk_add_f16 v98, v13, v25
	v_pk_min_f16 v85, v85, v86
	v_pk_min_f16 v84, v84, v90
	;; [unrolled: 1-line block ×3, first 2 shown]
	v_pk_add_f16 v82, v15, v25
	v_pk_max_f16 v80, v80, v80
	v_pk_add_f16 v86, v9, v25
	v_pk_max_f16 v79, v79, v79
	;; [unrolled: 2-line block ×4, first 2 shown]
	v_pk_min_f16 v83, v83, v94
	v_pk_add_f16 v94, v15, v27
	v_pk_min_f16 v80, v80, v82
	v_pk_min_f16 v79, v79, v86
	;; [unrolled: 1-line block ×4, first 2 shown]
	v_pk_add_f16 v78, v9, v27
	v_pk_max_f16 v75, v75, v75
	v_pk_add_f16 v27, v11, v27
	v_pk_max_f16 v74, v74, v74
	;; [unrolled: 2-line block ×3, first 2 shown]
	v_pk_add_f16 v86, v15, v21
	v_pk_add_f16 v90, v9, v21
	;; [unrolled: 1-line block ×3, first 2 shown]
	v_pk_max_f16 v69, v69, v69
	v_pk_min_f16 v75, v75, v78
	v_pk_min_f16 v27, v74, v27
	;; [unrolled: 1-line block ×3, first 2 shown]
	v_pk_add_f16 v74, v13, v23
	v_pk_max_f16 v68, v68, v68
	v_pk_add_f16 v78, v15, v23
	v_pk_max_f16 v66, v66, v66
	v_pk_add_f16 v82, v9, v23
	v_pk_add_f16 v23, v11, v23
	v_pk_max_f16 v64, v64, v64
	v_pk_min_f16 v21, v69, v21
	v_pk_add_f16 v69, v15, v2
	v_pk_max_f16 v62, v62, v62
	v_pk_max_f16 v81, v81, v81
	v_pk_min_f16 v68, v68, v74
	v_pk_min_f16 v66, v66, v78
	v_pk_min_f16 v23, v64, v23
	v_pk_add_f16 v64, v13, v2
	v_pk_add_f16 v74, v9, v2
	v_pk_max_f16 v61, v61, v61
	v_pk_add_f16 v2, v11, v2
	v_pk_max_f16 v60, v60, v60
	;; [unrolled: 2-line block ×3, first 2 shown]
	v_pk_min_f16 v69, v62, v69
	v_pk_add_f16 v62, v15, v17
	v_pk_max_f16 v54, v54, v54
	v_pk_max_f16 v92, v92, v92
	;; [unrolled: 1-line block ×3, first 2 shown]
	v_pk_min_f16 v81, v81, v98
	v_pk_min_f16 v74, v61, v74
	;; [unrolled: 1-line block ×4, first 2 shown]
	v_pk_add_f16 v59, v15, v4
	v_pk_add_f16 v60, v9, v4
	;; [unrolled: 1-line block ×4, first 2 shown]
	v_pk_min_f16 v98, v54, v62
	v_pk_add_f16 v54, v9, v17
	v_pk_add_f16 v17, v11, v17
	;; [unrolled: 1-line block ×5, first 2 shown]
	v_pk_max_f16 v49, v49, v49
	v_pk_add_f16 v11, v11, v19
	v_pk_max_f16 v19, v48, v48
	v_pk_add_f16 v48, v14, v42
	v_pk_max_f16 v107, v107, v107
	v_pk_max_f16 v96, v96, v96
	v_pk_min_f16 v92, v92, v106
	v_pk_min_f16 v91, v91, v111
	v_pk_min_f16 v106, v49, v9
	v_pk_add_f16 v9, v16, v42
	v_pk_min_f16 v111, v6, v48
	v_pk_add_f16 v6, v12, v42
	v_pk_min_f16 v107, v107, v127
	v_pk_min_f16 v96, v96, v125
	;; [unrolled: 1-line block ×3, first 2 shown]
	v_pk_add_f16 v7, v14, v44
	v_pk_min_f16 v127, v41, v6
	v_pk_add_f16 v6, v10, v44
	v_pk_max_f16 v101, v101, v101
	v_pk_add_f16 v49, v10, v42
	v_pk_min_f16 v109, v109, v7
	v_pk_add_f16 v7, v14, v38
	v_pk_min_f16 v107, v107, v6
	;; [unrolled: 2-line block ×3, first 2 shown]
	v_pk_min_f16 v126, v8, v49
	v_pk_min_f16 v105, v105, v7
	v_pk_add_f16 v7, v12, v38
	v_pk_min_f16 v104, v104, v6
	v_pk_add_f16 v6, v16, v40
	v_pk_add_f16 v8, v16, v44
	v_pk_max_f16 v87, v87, v87
	v_pk_min_f16 v145, v37, v7
	v_pk_add_f16 v7, v10, v40
	v_pk_min_f16 v100, v100, v6
	v_pk_add_f16 v6, v14, v34
	v_pk_max_f16 v76, v76, v76
	v_pk_max_f16 v65, v65, v65
	v_pk_min_f16 v99, v99, v7
	v_pk_add_f16 v7, v10, v34
	v_pk_min_f16 v97, v97, v6
	v_pk_add_f16 v6, v12, v34
	v_pk_max_f16 v63, v63, v63
	v_pk_max_f16 v55, v55, v55
	v_pk_min_f16 v108, v108, v8
	v_pk_add_f16 v8, v10, v38
	v_pk_min_f16 v95, v95, v7
	v_pk_add_f16 v7, v16, v36
	;; [unrolled: 2-line block ×3, first 2 shown]
	v_pk_min_f16 v87, v87, v102
	v_pk_min_f16 v76, v76, v94
	v_pk_max_f16 v72, v72, v72
	v_pk_max_f16 v70, v70, v70
	v_pk_min_f16 v65, v65, v82
	v_pk_min_f16 v82, v63, v64
	v_pk_max_f16 v58, v58, v58
	v_pk_max_f16 v57, v57, v57
	v_pk_min_f16 v94, v55, v61
	v_pk_min_f16 v103, v103, v8
	v_pk_add_f16 v8, v12, v40
	v_pk_min_f16 v64, v92, v7
	v_pk_add_f16 v7, v14, v30
	v_pk_min_f16 v61, v35, v6
	v_pk_add_f16 v6, v10, v30
	v_pk_min_f16 v72, v72, v86
	v_pk_min_f16 v70, v70, v90
	v_pk_max_f16 v56, v56, v56
	v_pk_min_f16 v86, v58, v59
	v_pk_min_f16 v90, v57, v60
	;; [unrolled: 1-line block ×3, first 2 shown]
	v_pk_add_f16 v8, v14, v36
	v_pk_min_f16 v60, v89, v7
	v_pk_add_f16 v7, v14, v32
	v_pk_min_f16 v58, v87, v6
	;; [unrolled: 2-line block ×3, first 2 shown]
	v_pk_max_f16 v53, v53, v53
	v_pk_max_f16 v51, v51, v51
	v_pk_add_f16 v9, v12, v44
	v_pk_min_f16 v62, v93, v8
	v_pk_add_f16 v8, v16, v30
	v_pk_min_f16 v55, v85, v7
	;; [unrolled: 2-line block ×3, first 2 shown]
	v_pk_add_f16 v6, v16, v26
	v_pk_max_f16 v52, v52, v52
	v_pk_min_f16 v102, v53, v54
	v_pk_min_f16 v13, v51, v13
	;; [unrolled: 1-line block ×3, first 2 shown]
	v_pk_add_f16 v9, v14, v40
	v_pk_min_f16 v59, v88, v8
	v_pk_add_f16 v8, v10, v32
	v_pk_min_f16 v53, v31, v7
	;; [unrolled: 2-line block ×4, first 2 shown]
	v_pk_min_f16 v101, v101, v9
	v_pk_add_f16 v9, v16, v34
	v_pk_min_f16 v54, v83, v8
	v_pk_add_f16 v8, v12, v26
	;; [unrolled: 2-line block ×9, first 2 shown]
	v_pk_min_f16 v41, v73, v8
	v_pk_min_f16 v40, v72, v7
	v_pk_add_f16 v7, v14, v24
	v_pk_add_f16 v8, v16, v24
	v_pk_min_f16 v38, v21, v6
	v_pk_add_f16 v6, v10, v24
	v_pk_max_f16 v50, v50, v50
	v_pk_min_f16 v57, v29, v9
	v_pk_add_f16 v9, v14, v26
	v_pk_min_f16 v37, v68, v7
	v_pk_min_f16 v36, v66, v8
	v_pk_add_f16 v7, v14, v3
	v_pk_min_f16 v35, v65, v6
	v_pk_add_f16 v6, v16, v3
	v_pk_add_f16 v8, v10, v3
	v_pk_add_f16 v3, v12, v3
	v_pk_min_f16 v15, v50, v15
	v_pk_min_f16 v50, v81, v9
	v_pk_add_f16 v9, v16, v28
	v_pk_min_f16 v32, v82, v7
	v_pk_add_f16 v7, v14, v5
	;; [unrolled: 2-line block ×4, first 2 shown]
	v_pk_add_f16 v3, v12, v5
	v_pk_add_f16 v5, v14, v18
	v_pk_min_f16 v43, v76, v9
	v_pk_add_f16 v9, v10, v22
	v_pk_min_f16 v31, v74, v8
	v_pk_min_f16 v26, v90, v2
	;; [unrolled: 1-line block ×4, first 2 shown]
	ds_read2_b64 v[2:5], v47 offset1:32
	ds_read2_b64 v[72:75], v112 offset1:8
	v_pk_min_f16 v39, v70, v9
	v_pk_add_f16 v9, v12, v24
	v_pk_min_f16 v25, v86, v6
	v_pk_add_f16 v6, v16, v18
	v_pk_min_f16 v24, v78, v7
	v_pk_min_f16 v11, v19, v11
	;; [unrolled: 1-line block ×3, first 2 shown]
	v_pk_add_f16 v19, v10, v18
	v_pk_min_f16 v29, v98, v6
	ds_read2_b64 v[6:9], v47 offset0:64 offset1:96
	v_pk_max_f16 v98, v111, v111
	v_pk_max_f16 v111, v125, v125
	ds_read2_b64 v[76:79], v112 offset0:16 offset1:24
	v_pk_min_f16 v27, v102, v19
	v_pk_add_f16 v10, v10, v20
	v_pk_max_f16 v125, v126, v126
	v_pk_add_f16 v18, v12, v18
	v_pk_add_f16 v14, v14, v20
	;; [unrolled: 1-line block ×3, first 2 shown]
	s_waitcnt lgkmcnt(2)
	v_pk_add_f16 v65, v2, v72
	v_pk_add_f16 v66, v4, v72
	;; [unrolled: 1-line block ×5, first 2 shown]
	v_pk_min_f16 v65, v98, v65
	v_pk_min_f16 v66, v111, v66
	v_pk_max_f16 v111, v127, v127
	v_pk_add_f16 v151, v3, v75
	v_pk_min_f16 v19, v106, v10
	v_pk_min_f16 v127, v65, v94
	v_pk_max_f16 v65, v109, v109
	s_waitcnt lgkmcnt(1)
	v_pk_add_f16 v68, v6, v72
	v_pk_add_f16 v69, v8, v72
	;; [unrolled: 1-line block ×4, first 2 shown]
	v_pk_min_f16 v65, v65, v70
	v_pk_add_f16 v74, v8, v74
	v_pk_min_f16 v126, v66, v102
	v_pk_max_f16 v102, v144, v144
	v_pk_add_f16 v106, v7, v73
	v_pk_min_f16 v109, v65, v151
	v_pk_max_f16 v65, v107, v107
	v_pk_add_f16 v152, v5, v75
	v_pk_add_f16 v153, v7, v75
	;; [unrolled: 1-line block ×3, first 2 shown]
	v_pk_min_f16 v68, v125, v68
	v_pk_min_f16 v65, v65, v84
	;; [unrolled: 1-line block ×3, first 2 shown]
	s_waitcnt lgkmcnt(0)
	v_pk_add_f16 v85, v2, v76
	v_pk_add_f16 v86, v4, v76
	v_pk_min_f16 v66, v111, v69
	v_pk_min_f16 v111, v68, v106
	;; [unrolled: 1-line block ×3, first 2 shown]
	v_pk_max_f16 v65, v105, v105
	v_pk_min_f16 v106, v74, v75
	v_pk_max_f16 v74, v104, v104
	v_pk_add_f16 v12, v12, v20
	v_pk_add_f16 v87, v6, v76
	;; [unrolled: 1-line block ×3, first 2 shown]
	v_pk_min_f16 v65, v65, v85
	v_pk_max_f16 v85, v103, v103
	v_pk_min_f16 v74, v74, v86
	v_pk_min_f16 v28, v17, v18
	;; [unrolled: 1-line block ×5, first 2 shown]
	ds_read2_b64 v[80:83], v112 offset0:32 offset1:40
	ds_read2_b64 v[132:135], v112 offset0:48 offset1:56
	;; [unrolled: 1-line block ×5, first 2 shown]
	v_pk_add_f16 v76, v8, v76
	v_pk_add_f16 v156, v7, v77
	v_pk_min_f16 v85, v85, v87
	v_pk_min_f16 v104, v74, v155
	v_pk_max_f16 v74, v145, v145
	v_pk_add_f16 v88, v2, v78
	v_pk_add_f16 v154, v3, v77
	v_pk_add_f16 v77, v9, v77
	v_pk_min_f16 v103, v85, v156
	v_pk_max_f16 v85, v101, v101
	v_pk_min_f16 v74, v74, v76
	v_pk_add_f16 v89, v4, v78
	v_pk_add_f16 v90, v6, v78
	;; [unrolled: 1-line block ×3, first 2 shown]
	v_pk_max_f16 v76, v100, v100
	v_pk_min_f16 v85, v85, v88
	v_pk_min_f16 v102, v74, v77
	v_pk_max_f16 v77, v99, v99
	s_waitcnt lgkmcnt(4)
	v_pk_add_f16 v91, v2, v80
	v_pk_add_f16 v73, v9, v73
	;; [unrolled: 1-line block ×4, first 2 shown]
	v_pk_min_f16 v76, v76, v89
	v_pk_min_f16 v101, v85, v157
	;; [unrolled: 1-line block ×3, first 2 shown]
	v_pk_max_f16 v85, v97, v97
	v_pk_add_f16 v78, v8, v78
	v_pk_add_f16 v148, v2, v82
	;; [unrolled: 1-line block ×4, first 2 shown]
	v_pk_min_f16 v125, v66, v73
	v_pk_max_f16 v66, v108, v108
	v_pk_min_f16 v100, v76, v98
	v_pk_max_f16 v76, v146, v146
	v_pk_min_f16 v99, v77, v158
	v_pk_min_f16 v77, v85, v91
	v_pk_max_f16 v62, v62, v62
	v_pk_max_f16 v63, v63, v63
	v_pk_add_f16 v93, v6, v80
	v_pk_add_f16 v149, v4, v82
	;; [unrolled: 1-line block ×6, first 2 shown]
	s_waitcnt lgkmcnt(3)
	v_pk_add_f16 v70, v2, v132
	v_pk_add_f16 v73, v4, v132
	v_pk_min_f16 v66, v66, v72
	v_pk_min_f16 v76, v76, v78
	;; [unrolled: 1-line block ×3, first 2 shown]
	v_pk_max_f16 v68, v95, v95
	v_pk_min_f16 v62, v62, v148
	v_pk_min_f16 v63, v63, v150
	v_pk_max_f16 v61, v61, v61
	v_pk_max_f16 v60, v60, v60
	;; [unrolled: 1-line block ×3, first 2 shown]
	v_pk_add_f16 v92, v4, v80
	v_pk_add_f16 v160, v5, v83
	;; [unrolled: 1-line block ×6, first 2 shown]
	v_pk_min_f16 v108, v66, v152
	v_pk_add_f16 v66, v4, v134
	v_pk_add_f16 v132, v6, v134
	v_pk_min_f16 v98, v76, v79
	v_pk_max_f16 v76, v96, v96
	v_pk_min_f16 v68, v68, v93
	v_pk_min_f16 v93, v62, v159
	;; [unrolled: 1-line block ×5, first 2 shown]
	v_pk_add_f16 v62, v3, v133
	v_pk_min_f16 v59, v59, v73
	v_pk_add_f16 v63, v5, v133
	v_pk_max_f16 v55, v55, v55
	v_pk_max_f16 v56, v56, v56
	;; [unrolled: 1-line block ×3, first 2 shown]
	v_pk_add_f16 v80, v8, v80
	v_pk_add_f16 v69, v5, v81
	;; [unrolled: 1-line block ×3, first 2 shown]
	s_waitcnt lgkmcnt(2)
	v_pk_add_f16 v75, v2, v136
	v_pk_add_f16 v144, v4, v136
	v_pk_min_f16 v76, v76, v92
	v_pk_max_f16 v77, v147, v147
	v_pk_min_f16 v90, v61, v83
	v_pk_min_f16 v89, v60, v62
	;; [unrolled: 1-line block ×3, first 2 shown]
	v_pk_add_f16 v59, v3, v135
	v_pk_min_f16 v55, v55, v84
	v_pk_add_f16 v60, v5, v135
	v_pk_min_f16 v56, v56, v66
	;; [unrolled: 2-line block ×3, first 2 shown]
	v_pk_max_f16 v53, v53, v53
	v_pk_max_f16 v50, v50, v50
	;; [unrolled: 1-line block ×3, first 2 shown]
	v_pk_add_f16 v94, v7, v81
	v_pk_add_f16 v81, v9, v81
	;; [unrolled: 1-line block ×3, first 2 shown]
	v_pk_min_f16 v105, v65, v154
	v_pk_add_f16 v65, v8, v136
	v_pk_add_f16 v136, v2, v138
	v_pk_add_f16 v153, v6, v138
	v_pk_min_f16 v96, v76, v69
	v_pk_min_f16 v69, v77, v80
	;; [unrolled: 1-line block ×5, first 2 shown]
	v_pk_add_f16 v54, v9, v135
	v_pk_min_f16 v53, v53, v134
	v_pk_add_f16 v55, v3, v137
	v_pk_min_f16 v50, v50, v75
	v_pk_add_f16 v56, v5, v137
	v_pk_min_f16 v51, v51, v144
	v_pk_max_f16 v49, v49, v49
	v_pk_max_f16 v48, v48, v48
	;; [unrolled: 1-line block ×3, first 2 shown]
	s_waitcnt lgkmcnt(1)
	v_pk_add_f16 v154, v2, v14
	v_pk_add_f16 v74, v4, v14
	;; [unrolled: 1-line block ×4, first 2 shown]
	v_pk_min_f16 v95, v68, v94
	v_pk_min_f16 v94, v69, v81
	;; [unrolled: 1-line block ×5, first 2 shown]
	v_pk_add_f16 v50, v9, v137
	v_pk_min_f16 v49, v49, v65
	v_pk_add_f16 v51, v3, v139
	v_pk_min_f16 v48, v48, v136
	;; [unrolled: 2-line block ×3, first 2 shown]
	v_pk_max_f16 v38, v38, v38
	v_pk_max_f16 v64, v64, v64
	v_pk_min_f16 v78, v49, v50
	v_pk_min_f16 v77, v48, v51
	;; [unrolled: 1-line block ×3, first 2 shown]
	v_pk_add_f16 v44, v3, v15
	v_pk_add_f16 v48, v5, v15
	;; [unrolled: 1-line block ×4, first 2 shown]
	v_pk_min_f16 v14, v38, v14
	v_pk_add_f16 v146, v2, v16
	v_pk_add_f16 v156, v4, v16
	;; [unrolled: 1-line block ×4, first 2 shown]
	v_pk_min_f16 v64, v64, v149
	v_pk_max_f16 v58, v58, v58
	v_pk_min_f16 v69, v14, v15
	v_pk_max_f16 v14, v34, v34
	ds_read2_b64 v[140:143], v112 offset0:112 offset1:120
	v_pk_min_f16 v92, v64, v160
	v_pk_min_f16 v58, v58, v151
	v_pk_add_f16 v64, v7, v133
	v_pk_max_f16 v40, v40, v40
	v_pk_max_f16 v39, v39, v39
	v_pk_add_f16 v15, v9, v17
	v_pk_min_f16 v14, v14, v16
	s_waitcnt lgkmcnt(1)
	v_pk_add_f16 v158, v2, v10
	v_pk_add_f16 v162, v4, v10
	;; [unrolled: 1-line block ×4, first 2 shown]
	v_pk_max_f16 v57, v57, v57
	v_pk_min_f16 v87, v58, v64
	v_pk_min_f16 v40, v40, v74
	v_pk_min_f16 v39, v39, v155
	v_pk_min_f16 v64, v14, v15
	v_pk_max_f16 v14, v30, v30
	v_pk_min_f16 v57, v57, v72
	v_pk_min_f16 v72, v40, v48
	;; [unrolled: 1-line block ×3, first 2 shown]
	v_pk_add_f16 v38, v3, v17
	v_pk_add_f16 v39, v5, v17
	;; [unrolled: 1-line block ×3, first 2 shown]
	v_pk_max_f16 v17, v32, v32
	v_pk_max_f16 v16, v33, v33
	v_pk_add_f16 v32, v3, v11
	v_pk_add_f16 v33, v5, v11
	v_pk_add_f16 v34, v7, v11
	v_pk_add_f16 v11, v9, v11
	v_pk_min_f16 v10, v14, v10
	v_pk_add_f16 v147, v2, v12
	v_pk_add_f16 v164, v4, v12
	;; [unrolled: 1-line block ×4, first 2 shown]
	v_pk_min_f16 v16, v16, v162
	v_pk_max_f16 v14, v25, v25
	v_pk_min_f16 v60, v10, v11
	v_pk_max_f16 v10, v22, v22
	s_waitcnt lgkmcnt(0)
	v_pk_add_f16 v166, v2, v140
	v_pk_add_f16 v58, v9, v133
	v_pk_max_f16 v52, v52, v52
	v_pk_min_f16 v17, v17, v158
	v_pk_min_f16 v62, v16, v33
	v_pk_max_f16 v15, v24, v24
	v_pk_add_f16 v16, v3, v13
	v_pk_add_f16 v24, v5, v13
	v_pk_min_f16 v14, v14, v164
	v_pk_add_f16 v25, v7, v13
	v_pk_add_f16 v11, v9, v13
	v_pk_max_f16 v13, v21, v21
	v_pk_min_f16 v10, v10, v12
	v_pk_add_f16 v145, v4, v138
	v_pk_add_f16 v148, v4, v140
	;; [unrolled: 1-line block ×3, first 2 shown]
	v_pk_min_f16 v86, v57, v58
	v_pk_add_f16 v57, v7, v137
	v_pk_min_f16 v52, v52, v152
	v_pk_max_f16 v43, v43, v43
	v_pk_min_f16 v63, v17, v32
	v_pk_max_f16 v17, v26, v26
	v_pk_min_f16 v15, v15, v147
	v_pk_min_f16 v58, v14, v24
	v_pk_max_f16 v12, v29, v29
	v_pk_add_f16 v14, v3, v141
	v_pk_min_f16 v13, v13, v166
	v_pk_min_f16 v56, v10, v11
	v_pk_max_f16 v11, v23, v23
	v_pk_add_f16 v138, v8, v138
	v_pk_add_f16 v149, v6, v140
	;; [unrolled: 1-line block ×6, first 2 shown]
	v_pk_min_f16 v79, v52, v57
	v_pk_add_f16 v52, v5, v139
	v_pk_min_f16 v43, v43, v145
	v_pk_max_f16 v42, v42, v42
	v_pk_max_f16 v41, v41, v41
	;; [unrolled: 1-line block ×6, first 2 shown]
	v_pk_min_f16 v17, v17, v165
	v_pk_min_f16 v59, v15, v16
	v_pk_max_f16 v15, v27, v27
	v_pk_add_f16 v16, v5, v141
	v_pk_min_f16 v12, v12, v148
	v_pk_min_f16 v55, v13, v14
	v_pk_max_f16 v10, v28, v28
	v_pk_max_f16 v13, v20, v20
	v_pk_min_f16 v2, v11, v2
	v_pk_max_f16 v11, v19, v19
	v_pk_max_f16 v14, v18, v18
	v_add_co_u32 v117, s3, v117, 16
	v_add_co_ci_u32_e64 v118, null, 0, v118, s3
	v_add_co_u32 v119, s3, v119, 16
	v_pk_min_f16 v76, v43, v52
	v_pk_add_f16 v43, v9, v139
	v_pk_min_f16 v42, v42, v138
	v_pk_min_f16 v41, v41, v154
	;; [unrolled: 1-line block ×7, first 2 shown]
	v_pk_add_f16 v17, v7, v141
	v_pk_min_f16 v15, v15, v149
	v_pk_min_f16 v54, v12, v16
	v_pk_add_f16 v12, v9, v141
	v_pk_min_f16 v10, v10, v140
	v_pk_add_f16 v3, v3, v143
	v_pk_add_f16 v5, v5, v143
	v_pk_min_f16 v4, v13, v4
	v_pk_add_f16 v7, v7, v143
	v_pk_min_f16 v6, v11, v6
	;; [unrolled: 2-line block ×3, first 2 shown]
	v_add_co_ci_u32_e64 v120, null, 0, v120, s3
	v_add_co_u32 v121, s3, v121, 16
	v_add_co_ci_u32_e64 v122, null, 0, v122, s3
	v_add_co_u32 v123, s3, v123, 16
	v_pk_min_f16 v74, v42, v43
	v_pk_min_f16 v73, v41, v44
	;; [unrolled: 1-line block ×12, first 2 shown]
	v_add_co_ci_u32_e64 v124, null, 0, v124, s3
	s_add_i32 s17, s17, 8
	s_waitcnt vmcnt(0)
	ds_write_b16 v113, v129
	ds_write_b16 v113, v128 offset:512
	ds_write_b16 v114, v131
	ds_write_b16 v114, v130 offset:512
	s_cmp_ge_i32 s17, s16
	s_waitcnt lgkmcnt(0)
	s_barrier
	buffer_gl0_inv
	s_cbranch_scc1 .LBB217_43
.LBB217_27:                             ; =>This Inner Loop Header: Depth=1
	v_add_nc_u32_e32 v6, s17, v45
	v_mov_b32_e32 v7, 0x7c00
	v_mov_b32_e32 v8, 0x7c00
	v_add_nc_u32_e32 v2, 8, v6
	v_cmp_le_i32_e64 s3, s10, v2
	s_nor_b32 s6, vcc_lo, s3
	s_and_saveexec_b32 s18, s6
	s_cbranch_execz .LBB217_29
; %bb.28:                               ;   in Loop: Header=BB217_27 Depth=1
	v_add_co_u32 v2, s6, v121, v67
	v_add_co_ci_u32_e64 v3, null, 0, v122, s6
	flat_load_ushort v8, v[2:3] offset:16
.LBB217_29:                             ;   in Loop: Header=BB217_27 Depth=1
	s_or_b32 exec_lo, exec_lo, s18
	s_nor_b32 s6, s0, s3
	s_and_saveexec_b32 s18, s6
	s_cbranch_execz .LBB217_31
; %bb.30:                               ;   in Loop: Header=BB217_27 Depth=1
	v_add_co_u32 v2, s6, v123, v67
	v_add_co_ci_u32_e64 v3, null, 0, v124, s6
	flat_load_ushort v7, v[2:3] offset:16
.LBB217_31:                             ;   in Loop: Header=BB217_27 Depth=1
	s_or_b32 exec_lo, exec_lo, s18
	v_mov_b32_e32 v128, 0x7c00
	v_mov_b32_e32 v129, 0x7c00
	s_nor_b32 s6, s1, s3
	s_and_saveexec_b32 s18, s6
	s_cbranch_execz .LBB217_33
; %bb.32:                               ;   in Loop: Header=BB217_27 Depth=1
	v_add_co_u32 v2, s6, v117, v67
	v_add_co_ci_u32_e64 v3, null, 0, v118, s6
	flat_load_ushort v129, v[2:3] offset:16
.LBB217_33:                             ;   in Loop: Header=BB217_27 Depth=1
	s_or_b32 exec_lo, exec_lo, s18
	s_nor_b32 s3, s2, s3
	s_and_saveexec_b32 s6, s3
	s_cbranch_execz .LBB217_35
; %bb.34:                               ;   in Loop: Header=BB217_27 Depth=1
	v_add_co_u32 v2, s3, v119, v67
	v_add_co_ci_u32_e64 v3, null, 0, v120, s3
	flat_load_ushort v128, v[2:3] offset:16
.LBB217_35:                             ;   in Loop: Header=BB217_27 Depth=1
	s_or_b32 exec_lo, exec_lo, s6
	ds_read2_b64 v[13:16], v115 offset1:32
	ds_read2_b64 v[9:12], v115 offset0:64 offset1:96
	ds_read2_b64 v[41:44], v116 offset1:8
	ds_read2_b64 v[37:40], v116 offset0:16 offset1:24
	ds_read2_b64 v[33:36], v116 offset0:32 offset1:40
	;; [unrolled: 1-line block ×7, first 2 shown]
	v_add_nc_u32_e32 v6, 12, v6
	s_waitcnt vmcnt(0) lgkmcnt(10)
	ds_write_b16 v71, v8
	ds_write_b16 v71, v7 offset:512
	ds_write_b16 v110, v129
	ds_write_b16 v110, v128 offset:512
	v_mov_b32_e32 v128, 0x7c00
	v_mov_b32_e32 v129, 0x7c00
	s_waitcnt lgkmcnt(0)
	v_cmp_le_i32_e64 s3, s10, v6
	s_barrier
	buffer_gl0_inv
	s_nor_b32 s6, vcc_lo, s3
	s_and_saveexec_b32 s18, s6
	s_cbranch_execz .LBB217_37
; %bb.36:                               ;   in Loop: Header=BB217_27 Depth=1
	v_add_co_u32 v6, s6, v121, v67
	v_add_co_ci_u32_e64 v7, null, 0, v122, s6
	flat_load_ushort v129, v[6:7] offset:24
.LBB217_37:                             ;   in Loop: Header=BB217_27 Depth=1
	s_or_b32 exec_lo, exec_lo, s18
	s_nor_b32 s6, s0, s3
	s_and_saveexec_b32 s18, s6
	s_cbranch_execz .LBB217_39
; %bb.38:                               ;   in Loop: Header=BB217_27 Depth=1
	v_add_co_u32 v6, s6, v123, v67
	v_add_co_ci_u32_e64 v7, null, 0, v124, s6
	flat_load_ushort v128, v[6:7] offset:24
.LBB217_39:                             ;   in Loop: Header=BB217_27 Depth=1
	s_or_b32 exec_lo, exec_lo, s18
	v_mov_b32_e32 v130, 0x7c00
	v_mov_b32_e32 v131, 0x7c00
	s_nor_b32 s6, s1, s3
	s_and_saveexec_b32 s18, s6
	s_cbranch_execz .LBB217_41
; %bb.40:                               ;   in Loop: Header=BB217_27 Depth=1
	v_add_co_u32 v6, s6, v117, v67
	v_add_co_ci_u32_e64 v7, null, 0, v118, s6
	flat_load_ushort v131, v[6:7] offset:24
.LBB217_41:                             ;   in Loop: Header=BB217_27 Depth=1
	s_or_b32 exec_lo, exec_lo, s18
	s_nor_b32 s3, s2, s3
	s_and_saveexec_b32 s6, s3
	s_cbranch_execz .LBB217_26
; %bb.42:                               ;   in Loop: Header=BB217_27 Depth=1
	v_add_co_u32 v6, s3, v119, v67
	v_add_co_ci_u32_e64 v7, null, 0, v120, s3
	flat_load_ushort v130, v[6:7] offset:24
	s_branch .LBB217_26
.LBB217_43:
	s_clause 0x2
	s_load_dword s10, s[4:5], 0x50
	s_load_dword s6, s[4:5], 0x68
	s_load_dwordx2 s[2:3], s[4:5], 0x70
	v_add_nc_u32_e32 v6, 0x800, v46
	v_add_nc_u32_e32 v71, s20, v1
	ds_read2_b64 v[10:13], v47 offset0:128 offset1:160
	ds_read2_b64 v[2:5], v47 offset0:192 offset1:224
	v_add_nc_u32_e32 v0, s11, v0
	ds_read2_b64 v[38:41], v6 offset0:128 offset1:136
	ds_read2_b64 v[34:37], v6 offset0:144 offset1:152
	;; [unrolled: 1-line block ×8, first 2 shown]
	v_cmp_gt_i32_e64 s4, s9, v71
	v_cmp_gt_i32_e64 s0, s8, v0
	v_ashrrev_i32_e32 v1, 31, v0
	v_cndmask_b32_e64 v67, 0, 1, s22
	s_waitcnt lgkmcnt(0)
	v_mad_i64_i32 v[42:43], null, v71, s10, 0
	v_mad_i64_i32 v[44:45], null, v71, s6, 0
	s_lshl_b64 s[2:3], s[2:3], 1
	s_add_u32 s5, s14, s2
	s_addc_u32 s11, s15, s3
	v_lshlrev_b64 v[42:43], 1, v[42:43]
	s_and_b32 s2, s0, s4
	v_lshlrev_b64 v[44:45], 1, v[44:45]
	v_add_co_u32 v113, vcc_lo, s12, v42
	v_add_co_ci_u32_e64 v114, null, s13, v43, vcc_lo
	v_add_co_u32 v110, vcc_lo, s5, v44
	v_add_co_ci_u32_e64 v112, null, s11, v45, vcc_lo
	s_and_saveexec_b32 s1, s2
	s_cbranch_execz .LBB217_48
; %bb.44:
	s_andn2_b32 vcc_lo, exec_lo, s22
	s_cbranch_vccnz .LBB217_46
; %bb.45:
	v_lshlrev_b64 v[42:43], 1, v[0:1]
	v_add_co_u32 v42, vcc_lo, v113, v42
	v_add_co_ci_u32_e64 v43, null, v114, v43, vcc_lo
	flat_load_ushort v42, v[42:43]
	s_waitcnt vmcnt(0) lgkmcnt(0)
	v_mul_f16_e32 v42, s7, v42
	v_cvt_f32_f16_e32 v42, v42
	s_branch .LBB217_47
.LBB217_46:
	v_mov_b32_e32 v42, 0
.LBB217_47:
	v_pk_add_f16 v43, v10, v38
	v_pk_add_f16 v44, v11, v39
	v_max_f16_e32 v45, v127, v127
	v_lshrrev_b32_e32 v46, 16, v127
	v_max_f32_e32 v42, v42, v42
	v_lshrrev_b32_e32 v47, 16, v43
	v_lshrrev_b32_e32 v115, 16, v44
	v_min_f16_e32 v43, v45, v43
	v_min3_f16 v45, v46, v47, v115
	v_min3_f16 v43, v43, v44, v45
	v_cvt_f32_f16_e32 v43, v43
	v_min_f32_e32 v44, v42, v43
	v_lshlrev_b64 v[42:43], 1, v[0:1]
	v_cvt_f16_f32_e32 v44, v44
	v_add_co_u32 v42, vcc_lo, v110, v42
	v_add_co_ci_u32_e64 v43, null, v112, v43, vcc_lo
	flat_store_short v[42:43], v44
.LBB217_48:
	s_or_b32 exec_lo, exec_lo, s1
	v_add_nc_u32_e32 v42, 32, v0
	v_cmp_gt_i32_e64 s1, s8, v42
	v_ashrrev_i32_e32 v43, 31, v42
	s_and_b32 s3, s1, s4
	s_and_saveexec_b32 s2, s3
	s_cbranch_execz .LBB217_53
; %bb.49:
	v_cmp_ne_u32_e32 vcc_lo, 1, v67
	s_cbranch_vccnz .LBB217_51
; %bb.50:
	v_lshlrev_b64 v[44:45], 1, v[42:43]
	v_add_co_u32 v44, vcc_lo, v113, v44
	v_add_co_ci_u32_e64 v45, null, v114, v45, vcc_lo
	flat_load_ushort v44, v[44:45]
	s_waitcnt vmcnt(0) lgkmcnt(0)
	v_mul_f16_e32 v44, s7, v44
	v_cvt_f32_f16_e32 v44, v44
	s_branch .LBB217_52
.LBB217_51:
	v_mov_b32_e32 v44, 0
.LBB217_52:
	v_pk_add_f16 v45, v12, v38
	v_pk_add_f16 v46, v13, v39
	v_max_f16_e32 v47, v126, v126
	v_lshrrev_b32_e32 v115, 16, v126
	v_max_f32_e32 v44, v44, v44
	v_lshrrev_b32_e32 v116, 16, v45
	v_lshrrev_b32_e32 v117, 16, v46
	v_min_f16_e32 v45, v47, v45
	v_min3_f16 v47, v115, v116, v117
	v_min3_f16 v45, v45, v46, v47
	v_cvt_f32_f16_e32 v45, v45
	v_min_f32_e32 v46, v44, v45
	v_lshlrev_b64 v[44:45], 1, v[42:43]
	v_cvt_f16_f32_e32 v46, v46
	v_add_co_u32 v44, vcc_lo, v110, v44
	v_add_co_ci_u32_e64 v45, null, v112, v45, vcc_lo
	flat_store_short v[44:45], v46
.LBB217_53:
	s_or_b32 exec_lo, exec_lo, s2
	v_add_nc_u32_e32 v44, 64, v0
	v_cmp_gt_i32_e64 s2, s8, v44
	v_ashrrev_i32_e32 v45, 31, v44
	s_and_b32 s14, s2, s4
	s_and_saveexec_b32 s3, s14
	s_cbranch_execz .LBB217_58
; %bb.54:
	v_cmp_ne_u32_e32 vcc_lo, 1, v67
	s_cbranch_vccnz .LBB217_56
; %bb.55:
	v_lshlrev_b64 v[46:47], 1, v[44:45]
	v_add_co_u32 v46, vcc_lo, v113, v46
	v_add_co_ci_u32_e64 v47, null, v114, v47, vcc_lo
	flat_load_ushort v46, v[46:47]
	s_waitcnt vmcnt(0) lgkmcnt(0)
	v_mul_f16_e32 v46, s7, v46
	v_cvt_f32_f16_e32 v46, v46
	s_branch .LBB217_57
.LBB217_56:
	v_mov_b32_e32 v46, 0
.LBB217_57:
	v_pk_add_f16 v47, v2, v38
	v_pk_add_f16 v115, v3, v39
	v_max_f16_e32 v116, v111, v111
	v_lshrrev_b32_e32 v111, 16, v111
	v_max_f32_e32 v46, v46, v46
	v_lshrrev_b32_e32 v117, 16, v47
	v_lshrrev_b32_e32 v118, 16, v115
	v_min_f16_e32 v47, v116, v47
	v_min3_f16 v111, v111, v117, v118
	v_min3_f16 v47, v47, v115, v111
	v_cvt_f32_f16_e32 v47, v47
	v_min_f32_e32 v111, v46, v47
	v_lshlrev_b64 v[46:47], 1, v[44:45]
	v_cvt_f16_f32_e32 v111, v111
	v_add_co_u32 v46, vcc_lo, v110, v46
	v_add_co_ci_u32_e64 v47, null, v112, v47, vcc_lo
	flat_store_short v[46:47], v111
.LBB217_58:
	s_or_b32 exec_lo, exec_lo, s3
	v_add_nc_u32_e32 v46, 0x60, v0
	v_cmp_gt_i32_e64 s3, s8, v46
	v_ashrrev_i32_e32 v47, 31, v46
	s_and_b32 s8, s3, s4
	s_and_saveexec_b32 s4, s8
	s_cbranch_execz .LBB217_63
; %bb.59:
	v_cmp_ne_u32_e32 vcc_lo, 1, v67
	s_cbranch_vccnz .LBB217_61
; %bb.60:
	v_lshlrev_b64 v[115:116], 1, v[46:47]
	v_add_co_u32 v113, vcc_lo, v113, v115
	v_add_co_ci_u32_e64 v114, null, v114, v116, vcc_lo
	flat_load_ushort v111, v[113:114]
	s_waitcnt vmcnt(0) lgkmcnt(0)
	v_mul_f16_e32 v111, s7, v111
	v_cvt_f32_f16_e32 v111, v111
	s_branch .LBB217_62
.LBB217_61:
	v_mov_b32_e32 v111, 0
.LBB217_62:
	v_pk_add_f16 v38, v4, v38
	v_pk_add_f16 v39, v5, v39
	v_max_f16_e32 v113, v125, v125
	v_lshrrev_b32_e32 v114, 16, v125
	v_lshrrev_b32_e32 v115, 16, v38
	;; [unrolled: 1-line block ×3, first 2 shown]
	v_min_f16_e32 v38, v113, v38
	v_min3_f16 v113, v114, v115, v116
	v_min3_f16 v38, v38, v39, v113
	v_max_f32_e32 v39, v111, v111
	v_cvt_f32_f16_e32 v38, v38
	v_min_f32_e32 v111, v39, v38
	v_lshlrev_b64 v[38:39], 1, v[46:47]
	v_cvt_f16_f32_e32 v111, v111
	v_add_co_u32 v38, vcc_lo, v110, v38
	v_add_co_ci_u32_e64 v39, null, v112, v39, vcc_lo
	flat_store_short v[38:39], v111
.LBB217_63:
	s_or_b32 exec_lo, exec_lo, s4
	v_add_nc_u32_e32 v112, 8, v71
	v_mad_i64_i32 v[38:39], null, v112, s10, 0
	v_mad_i64_i32 v[110:111], null, v112, s6, 0
	v_cmp_gt_i32_e64 s4, s9, v112
	v_lshlrev_b64 v[38:39], 1, v[38:39]
	s_and_b32 s14, s0, s4
	v_lshlrev_b64 v[112:113], 1, v[110:111]
	v_add_co_u32 v110, vcc_lo, s12, v38
	v_add_co_ci_u32_e64 v111, null, s13, v39, vcc_lo
	v_add_co_u32 v38, vcc_lo, s5, v112
	v_add_co_ci_u32_e64 v39, null, s11, v113, vcc_lo
	s_and_saveexec_b32 s8, s14
	s_cbranch_execnz .LBB217_67
; %bb.64:
	s_or_b32 exec_lo, exec_lo, s8
	s_and_b32 s14, s1, s4
	s_and_saveexec_b32 s8, s14
	s_cbranch_execnz .LBB217_71
.LBB217_65:
	s_or_b32 exec_lo, exec_lo, s8
	s_and_b32 s14, s2, s4
	s_and_saveexec_b32 s8, s14
	s_cbranch_execnz .LBB217_75
.LBB217_66:
	s_or_b32 exec_lo, exec_lo, s8
	s_and_b32 s8, s3, s4
	s_and_saveexec_b32 s4, s8
	s_cbranch_execnz .LBB217_79
	s_branch .LBB217_83
.LBB217_67:
	v_cmp_ne_u32_e32 vcc_lo, 1, v67
	s_cbranch_vccnz .LBB217_69
; %bb.68:
	v_lshlrev_b64 v[112:113], 1, v[0:1]
	v_add_co_u32 v112, vcc_lo, v110, v112
	v_add_co_ci_u32_e64 v113, null, v111, v113, vcc_lo
	flat_load_ushort v112, v[112:113]
	s_waitcnt vmcnt(0) lgkmcnt(0)
	v_mul_f16_e32 v112, s7, v112
	v_cvt_f32_f16_e32 v112, v112
	s_branch .LBB217_70
.LBB217_69:
	v_mov_b32_e32 v112, 0
.LBB217_70:
	v_pk_add_f16 v113, v10, v40
	v_pk_add_f16 v114, v11, v41
	v_max_f16_e32 v115, v109, v109
	v_lshrrev_b32_e32 v109, 16, v109
	v_max_f32_e32 v112, v112, v112
	v_lshrrev_b32_e32 v116, 16, v113
	v_lshrrev_b32_e32 v117, 16, v114
	v_min_f16_e32 v113, v115, v113
	v_min3_f16 v109, v109, v116, v117
	v_min3_f16 v109, v113, v114, v109
	v_cvt_f32_f16_e32 v109, v109
	v_min_f32_e32 v109, v112, v109
	v_lshlrev_b64 v[112:113], 1, v[0:1]
	v_cvt_f16_f32_e32 v109, v109
	v_add_co_u32 v112, vcc_lo, v38, v112
	v_add_co_ci_u32_e64 v113, null, v39, v113, vcc_lo
	flat_store_short v[112:113], v109
	s_or_b32 exec_lo, exec_lo, s8
	s_and_b32 s14, s1, s4
	s_and_saveexec_b32 s8, s14
	s_cbranch_execz .LBB217_65
.LBB217_71:
	v_cmp_ne_u32_e32 vcc_lo, 1, v67
	s_cbranch_vccnz .LBB217_73
; %bb.72:
	v_lshlrev_b64 v[112:113], 1, v[42:43]
	v_add_co_u32 v112, vcc_lo, v110, v112
	v_add_co_ci_u32_e64 v113, null, v111, v113, vcc_lo
	flat_load_ushort v109, v[112:113]
	s_waitcnt vmcnt(0) lgkmcnt(0)
	v_mul_f16_e32 v109, s7, v109
	v_cvt_f32_f16_e32 v109, v109
	s_branch .LBB217_74
.LBB217_73:
	v_mov_b32_e32 v109, 0
.LBB217_74:
	v_pk_add_f16 v112, v12, v40
	v_pk_add_f16 v113, v13, v41
	v_max_f16_e32 v114, v108, v108
	v_lshrrev_b32_e32 v108, 16, v108
	v_max_f32_e32 v109, v109, v109
	v_lshrrev_b32_e32 v115, 16, v112
	v_lshrrev_b32_e32 v116, 16, v113
	v_min_f16_e32 v112, v114, v112
	v_min3_f16 v108, v108, v115, v116
	v_min3_f16 v108, v112, v113, v108
	v_cvt_f32_f16_e32 v108, v108
	v_min_f32_e32 v112, v109, v108
	v_lshlrev_b64 v[108:109], 1, v[42:43]
	v_cvt_f16_f32_e32 v112, v112
	v_add_co_u32 v108, vcc_lo, v38, v108
	v_add_co_ci_u32_e64 v109, null, v39, v109, vcc_lo
	flat_store_short v[108:109], v112
	s_or_b32 exec_lo, exec_lo, s8
	s_and_b32 s14, s2, s4
	s_and_saveexec_b32 s8, s14
	s_cbranch_execz .LBB217_66
.LBB217_75:
	v_cmp_ne_u32_e32 vcc_lo, 1, v67
	s_cbranch_vccnz .LBB217_77
; %bb.76:
	v_lshlrev_b64 v[108:109], 1, v[44:45]
	v_add_co_u32 v108, vcc_lo, v110, v108
	v_add_co_ci_u32_e64 v109, null, v111, v109, vcc_lo
	flat_load_ushort v108, v[108:109]
	s_waitcnt vmcnt(0) lgkmcnt(0)
	v_mul_f16_e32 v108, s7, v108
	v_cvt_f32_f16_e32 v108, v108
	s_branch .LBB217_78
.LBB217_77:
	v_mov_b32_e32 v108, 0
.LBB217_78:
	v_pk_add_f16 v109, v2, v40
	v_pk_add_f16 v112, v3, v41
	v_max_f16_e32 v113, v107, v107
	v_lshrrev_b32_e32 v107, 16, v107
	v_max_f32_e32 v108, v108, v108
	v_lshrrev_b32_e32 v114, 16, v109
	v_lshrrev_b32_e32 v115, 16, v112
	v_min_f16_e32 v109, v113, v109
	v_min3_f16 v107, v107, v114, v115
	v_min3_f16 v107, v109, v112, v107
	v_cvt_f32_f16_e32 v107, v107
	v_min_f32_e32 v109, v108, v107
	v_lshlrev_b64 v[107:108], 1, v[44:45]
	v_cvt_f16_f32_e32 v109, v109
	v_add_co_u32 v107, vcc_lo, v38, v107
	v_add_co_ci_u32_e64 v108, null, v39, v108, vcc_lo
	flat_store_short v[107:108], v109
	s_or_b32 exec_lo, exec_lo, s8
	s_and_b32 s8, s3, s4
	s_and_saveexec_b32 s4, s8
	s_cbranch_execz .LBB217_83
.LBB217_79:
	v_cmp_ne_u32_e32 vcc_lo, 1, v67
	s_cbranch_vccnz .LBB217_81
; %bb.80:
	v_lshlrev_b64 v[107:108], 1, v[46:47]
	v_add_co_u32 v107, vcc_lo, v110, v107
	v_add_co_ci_u32_e64 v108, null, v111, v108, vcc_lo
	flat_load_ushort v107, v[107:108]
	s_waitcnt vmcnt(0) lgkmcnt(0)
	v_mul_f16_e32 v107, s7, v107
	v_cvt_f32_f16_e32 v107, v107
	s_branch .LBB217_82
.LBB217_81:
	v_mov_b32_e32 v107, 0
.LBB217_82:
	v_pk_add_f16 v40, v4, v40
	v_pk_add_f16 v41, v5, v41
	v_max_f16_e32 v108, v106, v106
	v_lshrrev_b32_e32 v106, 16, v106
	v_lshrrev_b32_e32 v109, 16, v40
	;; [unrolled: 1-line block ×3, first 2 shown]
	v_min_f16_e32 v40, v108, v40
	v_min3_f16 v106, v106, v109, v110
	v_min3_f16 v40, v40, v41, v106
	v_max_f32_e32 v41, v107, v107
	v_cvt_f32_f16_e32 v40, v40
	v_min_f32_e32 v106, v41, v40
	v_lshlrev_b64 v[40:41], 1, v[46:47]
	v_cvt_f16_f32_e32 v106, v106
	v_add_co_u32 v38, vcc_lo, v38, v40
	v_add_co_ci_u32_e64 v39, null, v39, v41, vcc_lo
	flat_store_short v[38:39], v106
.LBB217_83:
	s_or_b32 exec_lo, exec_lo, s4
	v_add_nc_u32_e32 v106, 16, v71
	v_mad_i64_i32 v[38:39], null, v106, s10, 0
	v_mad_i64_i32 v[40:41], null, v106, s6, 0
	v_cmp_gt_i32_e64 s4, s9, v106
	v_lshlrev_b64 v[38:39], 1, v[38:39]
	s_and_b32 s14, s0, s4
	v_lshlrev_b64 v[106:107], 1, v[40:41]
	v_add_co_u32 v40, vcc_lo, s12, v38
	v_add_co_ci_u32_e64 v41, null, s13, v39, vcc_lo
	v_add_co_u32 v38, vcc_lo, s5, v106
	v_add_co_ci_u32_e64 v39, null, s11, v107, vcc_lo
	s_and_saveexec_b32 s8, s14
	s_cbranch_execnz .LBB217_87
; %bb.84:
	s_or_b32 exec_lo, exec_lo, s8
	s_and_b32 s14, s1, s4
	s_and_saveexec_b32 s8, s14
	s_cbranch_execnz .LBB217_91
.LBB217_85:
	s_or_b32 exec_lo, exec_lo, s8
	s_and_b32 s14, s2, s4
	s_and_saveexec_b32 s8, s14
	s_cbranch_execnz .LBB217_95
.LBB217_86:
	s_or_b32 exec_lo, exec_lo, s8
	s_and_b32 s8, s3, s4
	s_and_saveexec_b32 s4, s8
	s_cbranch_execnz .LBB217_99
	s_branch .LBB217_103
.LBB217_87:
	v_cmp_ne_u32_e32 vcc_lo, 1, v67
	s_cbranch_vccnz .LBB217_89
; %bb.88:
	v_lshlrev_b64 v[106:107], 1, v[0:1]
	v_add_co_u32 v106, vcc_lo, v40, v106
	v_add_co_ci_u32_e64 v107, null, v41, v107, vcc_lo
	flat_load_ushort v106, v[106:107]
	s_waitcnt vmcnt(0) lgkmcnt(0)
	v_mul_f16_e32 v106, s7, v106
	v_cvt_f32_f16_e32 v106, v106
	s_branch .LBB217_90
.LBB217_89:
	v_mov_b32_e32 v106, 0
.LBB217_90:
	v_pk_add_f16 v107, v10, v34
	v_pk_add_f16 v108, v11, v35
	v_max_f16_e32 v109, v105, v105
	v_lshrrev_b32_e32 v105, 16, v105
	v_max_f32_e32 v106, v106, v106
	v_lshrrev_b32_e32 v110, 16, v107
	v_lshrrev_b32_e32 v111, 16, v108
	v_min_f16_e32 v107, v109, v107
	v_min3_f16 v105, v105, v110, v111
	v_min3_f16 v105, v107, v108, v105
	v_cvt_f32_f16_e32 v105, v105
	v_min_f32_e32 v107, v106, v105
	v_lshlrev_b64 v[105:106], 1, v[0:1]
	v_cvt_f16_f32_e32 v107, v107
	v_add_co_u32 v105, vcc_lo, v38, v105
	v_add_co_ci_u32_e64 v106, null, v39, v106, vcc_lo
	flat_store_short v[105:106], v107
	s_or_b32 exec_lo, exec_lo, s8
	s_and_b32 s14, s1, s4
	s_and_saveexec_b32 s8, s14
	s_cbranch_execz .LBB217_85
.LBB217_91:
	v_cmp_ne_u32_e32 vcc_lo, 1, v67
	s_cbranch_vccnz .LBB217_93
; %bb.92:
	v_lshlrev_b64 v[105:106], 1, v[42:43]
	v_add_co_u32 v105, vcc_lo, v40, v105
	v_add_co_ci_u32_e64 v106, null, v41, v106, vcc_lo
	flat_load_ushort v105, v[105:106]
	s_waitcnt vmcnt(0) lgkmcnt(0)
	v_mul_f16_e32 v105, s7, v105
	v_cvt_f32_f16_e32 v105, v105
	s_branch .LBB217_94
.LBB217_93:
	v_mov_b32_e32 v105, 0
.LBB217_94:
	v_pk_add_f16 v106, v12, v34
	v_pk_add_f16 v107, v13, v35
	v_max_f16_e32 v108, v104, v104
	v_lshrrev_b32_e32 v104, 16, v104
	v_max_f32_e32 v105, v105, v105
	v_lshrrev_b32_e32 v109, 16, v106
	v_lshrrev_b32_e32 v110, 16, v107
	v_min_f16_e32 v106, v108, v106
	v_min3_f16 v104, v104, v109, v110
	v_min3_f16 v104, v106, v107, v104
	v_cvt_f32_f16_e32 v104, v104
	v_min_f32_e32 v106, v105, v104
	v_lshlrev_b64 v[104:105], 1, v[42:43]
	v_cvt_f16_f32_e32 v106, v106
	v_add_co_u32 v104, vcc_lo, v38, v104
	v_add_co_ci_u32_e64 v105, null, v39, v105, vcc_lo
	flat_store_short v[104:105], v106
	s_or_b32 exec_lo, exec_lo, s8
	s_and_b32 s14, s2, s4
	s_and_saveexec_b32 s8, s14
	s_cbranch_execz .LBB217_86
.LBB217_95:
	v_cmp_ne_u32_e32 vcc_lo, 1, v67
	s_cbranch_vccnz .LBB217_97
; %bb.96:
	v_lshlrev_b64 v[104:105], 1, v[44:45]
	v_add_co_u32 v104, vcc_lo, v40, v104
	v_add_co_ci_u32_e64 v105, null, v41, v105, vcc_lo
	flat_load_ushort v104, v[104:105]
	s_waitcnt vmcnt(0) lgkmcnt(0)
	v_mul_f16_e32 v104, s7, v104
	v_cvt_f32_f16_e32 v104, v104
	s_branch .LBB217_98
.LBB217_97:
	v_mov_b32_e32 v104, 0
.LBB217_98:
	v_pk_add_f16 v105, v2, v34
	v_pk_add_f16 v106, v3, v35
	v_max_f16_e32 v107, v103, v103
	v_lshrrev_b32_e32 v103, 16, v103
	v_max_f32_e32 v104, v104, v104
	v_lshrrev_b32_e32 v108, 16, v105
	v_lshrrev_b32_e32 v109, 16, v106
	v_min_f16_e32 v105, v107, v105
	v_min3_f16 v103, v103, v108, v109
	v_min3_f16 v103, v105, v106, v103
	v_cvt_f32_f16_e32 v103, v103
	v_min_f32_e32 v105, v104, v103
	v_lshlrev_b64 v[103:104], 1, v[44:45]
	v_cvt_f16_f32_e32 v105, v105
	v_add_co_u32 v103, vcc_lo, v38, v103
	v_add_co_ci_u32_e64 v104, null, v39, v104, vcc_lo
	flat_store_short v[103:104], v105
	s_or_b32 exec_lo, exec_lo, s8
	s_and_b32 s8, s3, s4
	s_and_saveexec_b32 s4, s8
	s_cbranch_execz .LBB217_103
.LBB217_99:
	v_cmp_ne_u32_e32 vcc_lo, 1, v67
	s_cbranch_vccnz .LBB217_101
; %bb.100:
	v_lshlrev_b64 v[103:104], 1, v[46:47]
	v_add_co_u32 v40, vcc_lo, v40, v103
	v_add_co_ci_u32_e64 v41, null, v41, v104, vcc_lo
	flat_load_ushort v40, v[40:41]
	s_waitcnt vmcnt(0) lgkmcnt(0)
	v_mul_f16_e32 v40, s7, v40
	v_cvt_f32_f16_e32 v40, v40
	s_branch .LBB217_102
.LBB217_101:
	v_mov_b32_e32 v40, 0
.LBB217_102:
	v_pk_add_f16 v34, v4, v34
	v_pk_add_f16 v35, v5, v35
	v_max_f16_e32 v41, v102, v102
	v_lshrrev_b32_e32 v102, 16, v102
	v_lshrrev_b32_e32 v103, 16, v34
	;; [unrolled: 1-line block ×3, first 2 shown]
	v_min_f16_e32 v34, v41, v34
	v_min3_f16 v41, v102, v103, v104
	v_min3_f16 v34, v34, v35, v41
	v_max_f32_e32 v35, v40, v40
	v_cvt_f32_f16_e32 v34, v34
	v_min_f32_e32 v40, v35, v34
	v_lshlrev_b64 v[34:35], 1, v[46:47]
	v_cvt_f16_f32_e32 v40, v40
	v_add_co_u32 v34, vcc_lo, v38, v34
	v_add_co_ci_u32_e64 v35, null, v39, v35, vcc_lo
	flat_store_short v[34:35], v40
.LBB217_103:
	s_or_b32 exec_lo, exec_lo, s4
	v_add_nc_u32_e32 v40, 24, v71
	v_mad_i64_i32 v[34:35], null, v40, s10, 0
	v_mad_i64_i32 v[38:39], null, v40, s6, 0
	v_cmp_gt_i32_e64 s4, s9, v40
	v_lshlrev_b64 v[34:35], 1, v[34:35]
	s_and_b32 s14, s0, s4
	v_lshlrev_b64 v[40:41], 1, v[38:39]
	v_add_co_u32 v38, vcc_lo, s12, v34
	v_add_co_ci_u32_e64 v39, null, s13, v35, vcc_lo
	v_add_co_u32 v34, vcc_lo, s5, v40
	v_add_co_ci_u32_e64 v35, null, s11, v41, vcc_lo
	s_and_saveexec_b32 s8, s14
	s_cbranch_execnz .LBB217_107
; %bb.104:
	s_or_b32 exec_lo, exec_lo, s8
	s_and_b32 s14, s1, s4
	s_and_saveexec_b32 s8, s14
	s_cbranch_execnz .LBB217_111
.LBB217_105:
	s_or_b32 exec_lo, exec_lo, s8
	s_and_b32 s14, s2, s4
	s_and_saveexec_b32 s8, s14
	s_cbranch_execnz .LBB217_115
.LBB217_106:
	s_or_b32 exec_lo, exec_lo, s8
	s_and_b32 s8, s3, s4
	s_and_saveexec_b32 s4, s8
	s_cbranch_execnz .LBB217_119
	s_branch .LBB217_123
.LBB217_107:
	v_cmp_ne_u32_e32 vcc_lo, 1, v67
	s_cbranch_vccnz .LBB217_109
; %bb.108:
	v_lshlrev_b64 v[40:41], 1, v[0:1]
	v_add_co_u32 v40, vcc_lo, v38, v40
	v_add_co_ci_u32_e64 v41, null, v39, v41, vcc_lo
	flat_load_ushort v40, v[40:41]
	s_waitcnt vmcnt(0) lgkmcnt(0)
	v_mul_f16_e32 v40, s7, v40
	v_cvt_f32_f16_e32 v40, v40
	s_branch .LBB217_110
.LBB217_109:
	v_mov_b32_e32 v40, 0
.LBB217_110:
	v_pk_add_f16 v41, v10, v36
	v_pk_add_f16 v102, v11, v37
	v_max_f16_e32 v103, v101, v101
	v_lshrrev_b32_e32 v101, 16, v101
	v_max_f32_e32 v40, v40, v40
	v_lshrrev_b32_e32 v104, 16, v41
	v_lshrrev_b32_e32 v105, 16, v102
	v_min_f16_e32 v41, v103, v41
	v_min3_f16 v101, v101, v104, v105
	v_min3_f16 v41, v41, v102, v101
	v_cvt_f32_f16_e32 v41, v41
	v_min_f32_e32 v101, v40, v41
	v_lshlrev_b64 v[40:41], 1, v[0:1]
	v_cvt_f16_f32_e32 v101, v101
	v_add_co_u32 v40, vcc_lo, v34, v40
	v_add_co_ci_u32_e64 v41, null, v35, v41, vcc_lo
	flat_store_short v[40:41], v101
	s_or_b32 exec_lo, exec_lo, s8
	s_and_b32 s14, s1, s4
	s_and_saveexec_b32 s8, s14
	s_cbranch_execz .LBB217_105
.LBB217_111:
	v_cmp_ne_u32_e32 vcc_lo, 1, v67
	s_cbranch_vccnz .LBB217_113
; %bb.112:
	v_lshlrev_b64 v[40:41], 1, v[42:43]
	v_add_co_u32 v40, vcc_lo, v38, v40
	v_add_co_ci_u32_e64 v41, null, v39, v41, vcc_lo
	flat_load_ushort v40, v[40:41]
	s_waitcnt vmcnt(0) lgkmcnt(0)
	v_mul_f16_e32 v40, s7, v40
	v_cvt_f32_f16_e32 v40, v40
	s_branch .LBB217_114
.LBB217_113:
	v_mov_b32_e32 v40, 0
.LBB217_114:
	v_pk_add_f16 v41, v12, v36
	v_pk_add_f16 v101, v13, v37
	v_max_f16_e32 v102, v100, v100
	v_lshrrev_b32_e32 v100, 16, v100
	v_max_f32_e32 v40, v40, v40
	v_lshrrev_b32_e32 v103, 16, v41
	v_lshrrev_b32_e32 v104, 16, v101
	v_min_f16_e32 v41, v102, v41
	v_min3_f16 v100, v100, v103, v104
	v_min3_f16 v41, v41, v101, v100
	v_cvt_f32_f16_e32 v41, v41
	v_min_f32_e32 v100, v40, v41
	v_lshlrev_b64 v[40:41], 1, v[42:43]
	v_cvt_f16_f32_e32 v100, v100
	v_add_co_u32 v40, vcc_lo, v34, v40
	v_add_co_ci_u32_e64 v41, null, v35, v41, vcc_lo
	flat_store_short v[40:41], v100
	s_or_b32 exec_lo, exec_lo, s8
	s_and_b32 s14, s2, s4
	s_and_saveexec_b32 s8, s14
	s_cbranch_execz .LBB217_106
.LBB217_115:
	v_cmp_ne_u32_e32 vcc_lo, 1, v67
	s_cbranch_vccnz .LBB217_117
; %bb.116:
	v_lshlrev_b64 v[40:41], 1, v[44:45]
	v_add_co_u32 v40, vcc_lo, v38, v40
	v_add_co_ci_u32_e64 v41, null, v39, v41, vcc_lo
	flat_load_ushort v40, v[40:41]
	s_waitcnt vmcnt(0) lgkmcnt(0)
	v_mul_f16_e32 v40, s7, v40
	v_cvt_f32_f16_e32 v40, v40
	s_branch .LBB217_118
.LBB217_117:
	v_mov_b32_e32 v40, 0
.LBB217_118:
	v_pk_add_f16 v41, v2, v36
	v_pk_add_f16 v100, v3, v37
	v_max_f16_e32 v101, v99, v99
	v_lshrrev_b32_e32 v99, 16, v99
	v_max_f32_e32 v40, v40, v40
	v_lshrrev_b32_e32 v102, 16, v41
	v_lshrrev_b32_e32 v103, 16, v100
	v_min_f16_e32 v41, v101, v41
	v_min3_f16 v99, v99, v102, v103
	v_min3_f16 v41, v41, v100, v99
	v_cvt_f32_f16_e32 v41, v41
	v_min_f32_e32 v99, v40, v41
	v_lshlrev_b64 v[40:41], 1, v[44:45]
	v_cvt_f16_f32_e32 v99, v99
	v_add_co_u32 v40, vcc_lo, v34, v40
	v_add_co_ci_u32_e64 v41, null, v35, v41, vcc_lo
	flat_store_short v[40:41], v99
	s_or_b32 exec_lo, exec_lo, s8
	s_and_b32 s8, s3, s4
	s_and_saveexec_b32 s4, s8
	s_cbranch_execz .LBB217_123
.LBB217_119:
	v_cmp_ne_u32_e32 vcc_lo, 1, v67
	s_cbranch_vccnz .LBB217_121
; %bb.120:
	v_lshlrev_b64 v[40:41], 1, v[46:47]
	v_add_co_u32 v38, vcc_lo, v38, v40
	v_add_co_ci_u32_e64 v39, null, v39, v41, vcc_lo
	flat_load_ushort v38, v[38:39]
	s_waitcnt vmcnt(0) lgkmcnt(0)
	v_mul_f16_e32 v38, s7, v38
	v_cvt_f32_f16_e32 v38, v38
	s_branch .LBB217_122
.LBB217_121:
	v_mov_b32_e32 v38, 0
.LBB217_122:
	v_pk_add_f16 v36, v4, v36
	v_pk_add_f16 v37, v5, v37
	v_max_f16_e32 v39, v98, v98
	v_lshrrev_b32_e32 v40, 16, v98
	v_lshrrev_b32_e32 v41, 16, v36
	;; [unrolled: 1-line block ×3, first 2 shown]
	v_min_f16_e32 v36, v39, v36
	v_min3_f16 v39, v40, v41, v98
	v_min3_f16 v36, v36, v37, v39
	v_max_f32_e32 v37, v38, v38
	v_cvt_f32_f16_e32 v36, v36
	v_min_f32_e32 v38, v37, v36
	v_lshlrev_b64 v[36:37], 1, v[46:47]
	v_cvt_f16_f32_e32 v38, v38
	v_add_co_u32 v34, vcc_lo, v34, v36
	v_add_co_ci_u32_e64 v35, null, v35, v37, vcc_lo
	flat_store_short v[34:35], v38
.LBB217_123:
	s_or_b32 exec_lo, exec_lo, s4
	v_add_nc_u32_e32 v38, 32, v71
	v_mad_i64_i32 v[34:35], null, v38, s10, 0
	v_mad_i64_i32 v[36:37], null, v38, s6, 0
	v_cmp_gt_i32_e64 s4, s9, v38
	v_lshlrev_b64 v[34:35], 1, v[34:35]
	s_and_b32 s14, s0, s4
	v_lshlrev_b64 v[38:39], 1, v[36:37]
	v_add_co_u32 v36, vcc_lo, s12, v34
	v_add_co_ci_u32_e64 v37, null, s13, v35, vcc_lo
	v_add_co_u32 v34, vcc_lo, s5, v38
	v_add_co_ci_u32_e64 v35, null, s11, v39, vcc_lo
	s_and_saveexec_b32 s8, s14
	s_cbranch_execnz .LBB217_127
; %bb.124:
	s_or_b32 exec_lo, exec_lo, s8
	s_and_b32 s14, s1, s4
	s_and_saveexec_b32 s8, s14
	s_cbranch_execnz .LBB217_131
.LBB217_125:
	s_or_b32 exec_lo, exec_lo, s8
	s_and_b32 s14, s2, s4
	s_and_saveexec_b32 s8, s14
	s_cbranch_execnz .LBB217_135
.LBB217_126:
	s_or_b32 exec_lo, exec_lo, s8
	s_and_b32 s8, s3, s4
	s_and_saveexec_b32 s4, s8
	s_cbranch_execnz .LBB217_139
	s_branch .LBB217_143
.LBB217_127:
	v_cmp_ne_u32_e32 vcc_lo, 1, v67
	s_cbranch_vccnz .LBB217_129
; %bb.128:
	v_lshlrev_b64 v[38:39], 1, v[0:1]
	v_add_co_u32 v38, vcc_lo, v36, v38
	v_add_co_ci_u32_e64 v39, null, v37, v39, vcc_lo
	flat_load_ushort v38, v[38:39]
	s_waitcnt vmcnt(0) lgkmcnt(0)
	v_mul_f16_e32 v38, s7, v38
	v_cvt_f32_f16_e32 v38, v38
	s_branch .LBB217_130
.LBB217_129:
	v_mov_b32_e32 v38, 0
.LBB217_130:
	v_pk_add_f16 v39, v10, v30
	v_pk_add_f16 v40, v11, v31
	v_max_f16_e32 v41, v97, v97
	v_lshrrev_b32_e32 v97, 16, v97
	v_max_f32_e32 v38, v38, v38
	v_lshrrev_b32_e32 v98, 16, v39
	v_lshrrev_b32_e32 v99, 16, v40
	v_min_f16_e32 v39, v41, v39
	v_min3_f16 v41, v97, v98, v99
	v_min3_f16 v39, v39, v40, v41
	v_cvt_f32_f16_e32 v39, v39
	v_min_f32_e32 v40, v38, v39
	v_lshlrev_b64 v[38:39], 1, v[0:1]
	v_cvt_f16_f32_e32 v40, v40
	v_add_co_u32 v38, vcc_lo, v34, v38
	v_add_co_ci_u32_e64 v39, null, v35, v39, vcc_lo
	flat_store_short v[38:39], v40
	s_or_b32 exec_lo, exec_lo, s8
	s_and_b32 s14, s1, s4
	s_and_saveexec_b32 s8, s14
	s_cbranch_execz .LBB217_125
.LBB217_131:
	v_cmp_ne_u32_e32 vcc_lo, 1, v67
	s_cbranch_vccnz .LBB217_133
; %bb.132:
	v_lshlrev_b64 v[38:39], 1, v[42:43]
	v_add_co_u32 v38, vcc_lo, v36, v38
	v_add_co_ci_u32_e64 v39, null, v37, v39, vcc_lo
	flat_load_ushort v38, v[38:39]
	s_waitcnt vmcnt(0) lgkmcnt(0)
	v_mul_f16_e32 v38, s7, v38
	v_cvt_f32_f16_e32 v38, v38
	s_branch .LBB217_134
.LBB217_133:
	v_mov_b32_e32 v38, 0
.LBB217_134:
	v_pk_add_f16 v39, v12, v30
	v_pk_add_f16 v40, v13, v31
	v_max_f16_e32 v41, v96, v96
	v_lshrrev_b32_e32 v96, 16, v96
	v_max_f32_e32 v38, v38, v38
	v_lshrrev_b32_e32 v97, 16, v39
	v_lshrrev_b32_e32 v98, 16, v40
	v_min_f16_e32 v39, v41, v39
	v_min3_f16 v41, v96, v97, v98
	v_min3_f16 v39, v39, v40, v41
	v_cvt_f32_f16_e32 v39, v39
	v_min_f32_e32 v40, v38, v39
	v_lshlrev_b64 v[38:39], 1, v[42:43]
	v_cvt_f16_f32_e32 v40, v40
	v_add_co_u32 v38, vcc_lo, v34, v38
	v_add_co_ci_u32_e64 v39, null, v35, v39, vcc_lo
	flat_store_short v[38:39], v40
	s_or_b32 exec_lo, exec_lo, s8
	s_and_b32 s14, s2, s4
	s_and_saveexec_b32 s8, s14
	s_cbranch_execz .LBB217_126
.LBB217_135:
	v_cmp_ne_u32_e32 vcc_lo, 1, v67
	s_cbranch_vccnz .LBB217_137
; %bb.136:
	v_lshlrev_b64 v[38:39], 1, v[44:45]
	v_add_co_u32 v38, vcc_lo, v36, v38
	v_add_co_ci_u32_e64 v39, null, v37, v39, vcc_lo
	flat_load_ushort v38, v[38:39]
	s_waitcnt vmcnt(0) lgkmcnt(0)
	v_mul_f16_e32 v38, s7, v38
	v_cvt_f32_f16_e32 v38, v38
	s_branch .LBB217_138
.LBB217_137:
	v_mov_b32_e32 v38, 0
.LBB217_138:
	v_pk_add_f16 v39, v2, v30
	v_pk_add_f16 v40, v3, v31
	v_max_f16_e32 v41, v95, v95
	v_lshrrev_b32_e32 v95, 16, v95
	v_max_f32_e32 v38, v38, v38
	v_lshrrev_b32_e32 v96, 16, v39
	v_lshrrev_b32_e32 v97, 16, v40
	v_min_f16_e32 v39, v41, v39
	v_min3_f16 v41, v95, v96, v97
	v_min3_f16 v39, v39, v40, v41
	v_cvt_f32_f16_e32 v39, v39
	v_min_f32_e32 v40, v38, v39
	v_lshlrev_b64 v[38:39], 1, v[44:45]
	v_cvt_f16_f32_e32 v40, v40
	v_add_co_u32 v38, vcc_lo, v34, v38
	v_add_co_ci_u32_e64 v39, null, v35, v39, vcc_lo
	flat_store_short v[38:39], v40
	s_or_b32 exec_lo, exec_lo, s8
	s_and_b32 s8, s3, s4
	s_and_saveexec_b32 s4, s8
	s_cbranch_execz .LBB217_143
.LBB217_139:
	v_cmp_ne_u32_e32 vcc_lo, 1, v67
	s_cbranch_vccnz .LBB217_141
; %bb.140:
	v_lshlrev_b64 v[38:39], 1, v[46:47]
	v_add_co_u32 v36, vcc_lo, v36, v38
	v_add_co_ci_u32_e64 v37, null, v37, v39, vcc_lo
	flat_load_ushort v36, v[36:37]
	s_waitcnt vmcnt(0) lgkmcnt(0)
	v_mul_f16_e32 v36, s7, v36
	v_cvt_f32_f16_e32 v36, v36
	s_branch .LBB217_142
.LBB217_141:
	v_mov_b32_e32 v36, 0
.LBB217_142:
	v_pk_add_f16 v30, v4, v30
	v_pk_add_f16 v31, v5, v31
	v_max_f16_e32 v37, v94, v94
	v_lshrrev_b32_e32 v38, 16, v94
	v_lshrrev_b32_e32 v39, 16, v30
	;; [unrolled: 1-line block ×3, first 2 shown]
	v_min_f16_e32 v30, v37, v30
	v_min3_f16 v37, v38, v39, v40
	v_min3_f16 v30, v30, v31, v37
	v_max_f32_e32 v31, v36, v36
	v_cvt_f32_f16_e32 v30, v30
	v_min_f32_e32 v36, v31, v30
	v_lshlrev_b64 v[30:31], 1, v[46:47]
	v_cvt_f16_f32_e32 v36, v36
	v_add_co_u32 v30, vcc_lo, v34, v30
	v_add_co_ci_u32_e64 v31, null, v35, v31, vcc_lo
	flat_store_short v[30:31], v36
.LBB217_143:
	s_or_b32 exec_lo, exec_lo, s4
	v_add_nc_u32_e32 v36, 40, v71
	v_mad_i64_i32 v[30:31], null, v36, s10, 0
	v_mad_i64_i32 v[34:35], null, v36, s6, 0
	v_cmp_gt_i32_e64 s4, s9, v36
	v_lshlrev_b64 v[30:31], 1, v[30:31]
	s_and_b32 s14, s0, s4
	v_lshlrev_b64 v[36:37], 1, v[34:35]
	v_add_co_u32 v34, vcc_lo, s12, v30
	v_add_co_ci_u32_e64 v35, null, s13, v31, vcc_lo
	v_add_co_u32 v30, vcc_lo, s5, v36
	v_add_co_ci_u32_e64 v31, null, s11, v37, vcc_lo
	s_and_saveexec_b32 s8, s14
	s_cbranch_execnz .LBB217_147
; %bb.144:
	s_or_b32 exec_lo, exec_lo, s8
	s_and_b32 s14, s1, s4
	s_and_saveexec_b32 s8, s14
	s_cbranch_execnz .LBB217_151
.LBB217_145:
	s_or_b32 exec_lo, exec_lo, s8
	s_and_b32 s14, s2, s4
	s_and_saveexec_b32 s8, s14
	s_cbranch_execnz .LBB217_155
.LBB217_146:
	s_or_b32 exec_lo, exec_lo, s8
	s_and_b32 s8, s3, s4
	s_and_saveexec_b32 s4, s8
	s_cbranch_execnz .LBB217_159
	s_branch .LBB217_163
.LBB217_147:
	v_cmp_ne_u32_e32 vcc_lo, 1, v67
	s_cbranch_vccnz .LBB217_149
; %bb.148:
	v_lshlrev_b64 v[36:37], 1, v[0:1]
	v_add_co_u32 v36, vcc_lo, v34, v36
	v_add_co_ci_u32_e64 v37, null, v35, v37, vcc_lo
	flat_load_ushort v36, v[36:37]
	s_waitcnt vmcnt(0) lgkmcnt(0)
	v_mul_f16_e32 v36, s7, v36
	v_cvt_f32_f16_e32 v36, v36
	s_branch .LBB217_150
.LBB217_149:
	v_mov_b32_e32 v36, 0
.LBB217_150:
	v_pk_add_f16 v37, v10, v32
	v_pk_add_f16 v38, v11, v33
	v_max_f16_e32 v39, v93, v93
	v_lshrrev_b32_e32 v40, 16, v93
	v_max_f32_e32 v36, v36, v36
	v_lshrrev_b32_e32 v41, 16, v37
	v_lshrrev_b32_e32 v93, 16, v38
	v_min_f16_e32 v37, v39, v37
	v_min3_f16 v39, v40, v41, v93
	v_min3_f16 v37, v37, v38, v39
	v_cvt_f32_f16_e32 v37, v37
	v_min_f32_e32 v38, v36, v37
	v_lshlrev_b64 v[36:37], 1, v[0:1]
	v_cvt_f16_f32_e32 v38, v38
	v_add_co_u32 v36, vcc_lo, v30, v36
	v_add_co_ci_u32_e64 v37, null, v31, v37, vcc_lo
	flat_store_short v[36:37], v38
	s_or_b32 exec_lo, exec_lo, s8
	s_and_b32 s14, s1, s4
	s_and_saveexec_b32 s8, s14
	s_cbranch_execz .LBB217_145
.LBB217_151:
	v_cmp_ne_u32_e32 vcc_lo, 1, v67
	s_cbranch_vccnz .LBB217_153
; %bb.152:
	v_lshlrev_b64 v[36:37], 1, v[42:43]
	v_add_co_u32 v36, vcc_lo, v34, v36
	v_add_co_ci_u32_e64 v37, null, v35, v37, vcc_lo
	flat_load_ushort v36, v[36:37]
	s_waitcnt vmcnt(0) lgkmcnt(0)
	v_mul_f16_e32 v36, s7, v36
	v_cvt_f32_f16_e32 v36, v36
	s_branch .LBB217_154
.LBB217_153:
	v_mov_b32_e32 v36, 0
.LBB217_154:
	v_pk_add_f16 v37, v12, v32
	v_pk_add_f16 v38, v13, v33
	v_max_f16_e32 v39, v92, v92
	v_lshrrev_b32_e32 v40, 16, v92
	v_max_f32_e32 v36, v36, v36
	v_lshrrev_b32_e32 v41, 16, v37
	v_lshrrev_b32_e32 v92, 16, v38
	v_min_f16_e32 v37, v39, v37
	v_min3_f16 v39, v40, v41, v92
	v_min3_f16 v37, v37, v38, v39
	v_cvt_f32_f16_e32 v37, v37
	v_min_f32_e32 v38, v36, v37
	v_lshlrev_b64 v[36:37], 1, v[42:43]
	v_cvt_f16_f32_e32 v38, v38
	v_add_co_u32 v36, vcc_lo, v30, v36
	v_add_co_ci_u32_e64 v37, null, v31, v37, vcc_lo
	flat_store_short v[36:37], v38
	s_or_b32 exec_lo, exec_lo, s8
	s_and_b32 s14, s2, s4
	s_and_saveexec_b32 s8, s14
	s_cbranch_execz .LBB217_146
.LBB217_155:
	v_cmp_ne_u32_e32 vcc_lo, 1, v67
	s_cbranch_vccnz .LBB217_157
; %bb.156:
	v_lshlrev_b64 v[36:37], 1, v[44:45]
	v_add_co_u32 v36, vcc_lo, v34, v36
	v_add_co_ci_u32_e64 v37, null, v35, v37, vcc_lo
	flat_load_ushort v36, v[36:37]
	s_waitcnt vmcnt(0) lgkmcnt(0)
	v_mul_f16_e32 v36, s7, v36
	v_cvt_f32_f16_e32 v36, v36
	s_branch .LBB217_158
.LBB217_157:
	v_mov_b32_e32 v36, 0
.LBB217_158:
	v_pk_add_f16 v37, v2, v32
	v_pk_add_f16 v38, v3, v33
	v_max_f16_e32 v39, v91, v91
	v_lshrrev_b32_e32 v40, 16, v91
	v_max_f32_e32 v36, v36, v36
	v_lshrrev_b32_e32 v41, 16, v37
	v_lshrrev_b32_e32 v91, 16, v38
	v_min_f16_e32 v37, v39, v37
	v_min3_f16 v39, v40, v41, v91
	v_min3_f16 v37, v37, v38, v39
	v_cvt_f32_f16_e32 v37, v37
	v_min_f32_e32 v38, v36, v37
	v_lshlrev_b64 v[36:37], 1, v[44:45]
	v_cvt_f16_f32_e32 v38, v38
	v_add_co_u32 v36, vcc_lo, v30, v36
	v_add_co_ci_u32_e64 v37, null, v31, v37, vcc_lo
	flat_store_short v[36:37], v38
	s_or_b32 exec_lo, exec_lo, s8
	s_and_b32 s8, s3, s4
	s_and_saveexec_b32 s4, s8
	s_cbranch_execz .LBB217_163
.LBB217_159:
	v_cmp_ne_u32_e32 vcc_lo, 1, v67
	s_cbranch_vccnz .LBB217_161
; %bb.160:
	v_lshlrev_b64 v[36:37], 1, v[46:47]
	v_add_co_u32 v34, vcc_lo, v34, v36
	v_add_co_ci_u32_e64 v35, null, v35, v37, vcc_lo
	flat_load_ushort v34, v[34:35]
	s_waitcnt vmcnt(0) lgkmcnt(0)
	v_mul_f16_e32 v34, s7, v34
	v_cvt_f32_f16_e32 v34, v34
	s_branch .LBB217_162
.LBB217_161:
	v_mov_b32_e32 v34, 0
.LBB217_162:
	v_pk_add_f16 v32, v4, v32
	v_pk_add_f16 v33, v5, v33
	v_max_f16_e32 v35, v90, v90
	v_lshrrev_b32_e32 v36, 16, v90
	v_lshrrev_b32_e32 v37, 16, v32
	;; [unrolled: 1-line block ×3, first 2 shown]
	v_min_f16_e32 v32, v35, v32
	v_min3_f16 v35, v36, v37, v38
	v_min3_f16 v32, v32, v33, v35
	v_max_f32_e32 v33, v34, v34
	v_cvt_f32_f16_e32 v32, v32
	v_min_f32_e32 v34, v33, v32
	v_lshlrev_b64 v[32:33], 1, v[46:47]
	v_cvt_f16_f32_e32 v34, v34
	v_add_co_u32 v30, vcc_lo, v30, v32
	v_add_co_ci_u32_e64 v31, null, v31, v33, vcc_lo
	flat_store_short v[30:31], v34
.LBB217_163:
	s_or_b32 exec_lo, exec_lo, s4
	v_add_nc_u32_e32 v34, 48, v71
	v_mad_i64_i32 v[30:31], null, v34, s10, 0
	v_mad_i64_i32 v[32:33], null, v34, s6, 0
	v_cmp_gt_i32_e64 s4, s9, v34
	v_lshlrev_b64 v[30:31], 1, v[30:31]
	s_and_b32 s14, s0, s4
	v_lshlrev_b64 v[34:35], 1, v[32:33]
	v_add_co_u32 v32, vcc_lo, s12, v30
	v_add_co_ci_u32_e64 v33, null, s13, v31, vcc_lo
	v_add_co_u32 v30, vcc_lo, s5, v34
	v_add_co_ci_u32_e64 v31, null, s11, v35, vcc_lo
	s_and_saveexec_b32 s8, s14
	s_cbranch_execnz .LBB217_167
; %bb.164:
	s_or_b32 exec_lo, exec_lo, s8
	s_and_b32 s14, s1, s4
	s_and_saveexec_b32 s8, s14
	s_cbranch_execnz .LBB217_171
.LBB217_165:
	s_or_b32 exec_lo, exec_lo, s8
	s_and_b32 s14, s2, s4
	s_and_saveexec_b32 s8, s14
	s_cbranch_execnz .LBB217_175
.LBB217_166:
	s_or_b32 exec_lo, exec_lo, s8
	s_and_b32 s8, s3, s4
	s_and_saveexec_b32 s4, s8
	s_cbranch_execnz .LBB217_179
	s_branch .LBB217_183
.LBB217_167:
	v_cmp_ne_u32_e32 vcc_lo, 1, v67
	s_cbranch_vccnz .LBB217_169
; %bb.168:
	v_lshlrev_b64 v[34:35], 1, v[0:1]
	v_add_co_u32 v34, vcc_lo, v32, v34
	v_add_co_ci_u32_e64 v35, null, v33, v35, vcc_lo
	flat_load_ushort v34, v[34:35]
	s_waitcnt vmcnt(0) lgkmcnt(0)
	v_mul_f16_e32 v34, s7, v34
	v_cvt_f32_f16_e32 v34, v34
	s_branch .LBB217_170
.LBB217_169:
	v_mov_b32_e32 v34, 0
.LBB217_170:
	v_pk_add_f16 v35, v10, v26
	v_pk_add_f16 v36, v11, v27
	v_max_f16_e32 v37, v89, v89
	v_lshrrev_b32_e32 v38, 16, v89
	v_max_f32_e32 v34, v34, v34
	v_lshrrev_b32_e32 v39, 16, v35
	v_lshrrev_b32_e32 v40, 16, v36
	v_min_f16_e32 v35, v37, v35
	v_min3_f16 v37, v38, v39, v40
	v_min3_f16 v35, v35, v36, v37
	v_cvt_f32_f16_e32 v35, v35
	v_min_f32_e32 v36, v34, v35
	v_lshlrev_b64 v[34:35], 1, v[0:1]
	v_cvt_f16_f32_e32 v36, v36
	v_add_co_u32 v34, vcc_lo, v30, v34
	v_add_co_ci_u32_e64 v35, null, v31, v35, vcc_lo
	flat_store_short v[34:35], v36
	s_or_b32 exec_lo, exec_lo, s8
	s_and_b32 s14, s1, s4
	s_and_saveexec_b32 s8, s14
	s_cbranch_execz .LBB217_165
.LBB217_171:
	v_cmp_ne_u32_e32 vcc_lo, 1, v67
	s_cbranch_vccnz .LBB217_173
; %bb.172:
	v_lshlrev_b64 v[34:35], 1, v[42:43]
	v_add_co_u32 v34, vcc_lo, v32, v34
	v_add_co_ci_u32_e64 v35, null, v33, v35, vcc_lo
	flat_load_ushort v34, v[34:35]
	s_waitcnt vmcnt(0) lgkmcnt(0)
	v_mul_f16_e32 v34, s7, v34
	v_cvt_f32_f16_e32 v34, v34
	s_branch .LBB217_174
.LBB217_173:
	v_mov_b32_e32 v34, 0
.LBB217_174:
	v_pk_add_f16 v35, v12, v26
	v_pk_add_f16 v36, v13, v27
	v_max_f16_e32 v37, v88, v88
	v_lshrrev_b32_e32 v38, 16, v88
	v_max_f32_e32 v34, v34, v34
	v_lshrrev_b32_e32 v39, 16, v35
	v_lshrrev_b32_e32 v40, 16, v36
	v_min_f16_e32 v35, v37, v35
	v_min3_f16 v37, v38, v39, v40
	v_min3_f16 v35, v35, v36, v37
	v_cvt_f32_f16_e32 v35, v35
	v_min_f32_e32 v36, v34, v35
	v_lshlrev_b64 v[34:35], 1, v[42:43]
	v_cvt_f16_f32_e32 v36, v36
	v_add_co_u32 v34, vcc_lo, v30, v34
	v_add_co_ci_u32_e64 v35, null, v31, v35, vcc_lo
	flat_store_short v[34:35], v36
	s_or_b32 exec_lo, exec_lo, s8
	s_and_b32 s14, s2, s4
	s_and_saveexec_b32 s8, s14
	s_cbranch_execz .LBB217_166
.LBB217_175:
	v_cmp_ne_u32_e32 vcc_lo, 1, v67
	s_cbranch_vccnz .LBB217_177
; %bb.176:
	v_lshlrev_b64 v[34:35], 1, v[44:45]
	v_add_co_u32 v34, vcc_lo, v32, v34
	v_add_co_ci_u32_e64 v35, null, v33, v35, vcc_lo
	flat_load_ushort v34, v[34:35]
	s_waitcnt vmcnt(0) lgkmcnt(0)
	v_mul_f16_e32 v34, s7, v34
	v_cvt_f32_f16_e32 v34, v34
	s_branch .LBB217_178
.LBB217_177:
	v_mov_b32_e32 v34, 0
.LBB217_178:
	v_pk_add_f16 v35, v2, v26
	v_pk_add_f16 v36, v3, v27
	v_max_f16_e32 v37, v87, v87
	v_lshrrev_b32_e32 v38, 16, v87
	v_max_f32_e32 v34, v34, v34
	v_lshrrev_b32_e32 v39, 16, v35
	v_lshrrev_b32_e32 v40, 16, v36
	v_min_f16_e32 v35, v37, v35
	v_min3_f16 v37, v38, v39, v40
	v_min3_f16 v35, v35, v36, v37
	v_cvt_f32_f16_e32 v35, v35
	v_min_f32_e32 v36, v34, v35
	v_lshlrev_b64 v[34:35], 1, v[44:45]
	v_cvt_f16_f32_e32 v36, v36
	v_add_co_u32 v34, vcc_lo, v30, v34
	v_add_co_ci_u32_e64 v35, null, v31, v35, vcc_lo
	flat_store_short v[34:35], v36
	s_or_b32 exec_lo, exec_lo, s8
	s_and_b32 s8, s3, s4
	s_and_saveexec_b32 s4, s8
	s_cbranch_execz .LBB217_183
.LBB217_179:
	v_cmp_ne_u32_e32 vcc_lo, 1, v67
	s_cbranch_vccnz .LBB217_181
; %bb.180:
	v_lshlrev_b64 v[34:35], 1, v[46:47]
	v_add_co_u32 v32, vcc_lo, v32, v34
	v_add_co_ci_u32_e64 v33, null, v33, v35, vcc_lo
	flat_load_ushort v32, v[32:33]
	s_waitcnt vmcnt(0) lgkmcnt(0)
	v_mul_f16_e32 v32, s7, v32
	v_cvt_f32_f16_e32 v32, v32
	s_branch .LBB217_182
.LBB217_181:
	v_mov_b32_e32 v32, 0
.LBB217_182:
	v_pk_add_f16 v26, v4, v26
	v_pk_add_f16 v27, v5, v27
	v_max_f16_e32 v33, v86, v86
	v_lshrrev_b32_e32 v34, 16, v86
	v_lshrrev_b32_e32 v35, 16, v26
	;; [unrolled: 1-line block ×3, first 2 shown]
	v_min_f16_e32 v26, v33, v26
	v_min3_f16 v33, v34, v35, v36
	v_min3_f16 v26, v26, v27, v33
	v_max_f32_e32 v27, v32, v32
	v_cvt_f32_f16_e32 v26, v26
	v_min_f32_e32 v32, v27, v26
	v_lshlrev_b64 v[26:27], 1, v[46:47]
	v_cvt_f16_f32_e32 v32, v32
	v_add_co_u32 v26, vcc_lo, v30, v26
	v_add_co_ci_u32_e64 v27, null, v31, v27, vcc_lo
	flat_store_short v[26:27], v32
.LBB217_183:
	s_or_b32 exec_lo, exec_lo, s4
	v_add_nc_u32_e32 v32, 56, v71
	v_mad_i64_i32 v[26:27], null, v32, s10, 0
	v_mad_i64_i32 v[30:31], null, v32, s6, 0
	v_cmp_gt_i32_e64 s4, s9, v32
	v_lshlrev_b64 v[26:27], 1, v[26:27]
	s_and_b32 s14, s0, s4
	v_lshlrev_b64 v[32:33], 1, v[30:31]
	v_add_co_u32 v30, vcc_lo, s12, v26
	v_add_co_ci_u32_e64 v31, null, s13, v27, vcc_lo
	v_add_co_u32 v26, vcc_lo, s5, v32
	v_add_co_ci_u32_e64 v27, null, s11, v33, vcc_lo
	s_and_saveexec_b32 s8, s14
	s_cbranch_execnz .LBB217_187
; %bb.184:
	s_or_b32 exec_lo, exec_lo, s8
	s_and_b32 s14, s1, s4
	s_and_saveexec_b32 s8, s14
	s_cbranch_execnz .LBB217_191
.LBB217_185:
	s_or_b32 exec_lo, exec_lo, s8
	s_and_b32 s14, s2, s4
	s_and_saveexec_b32 s8, s14
	s_cbranch_execnz .LBB217_195
.LBB217_186:
	s_or_b32 exec_lo, exec_lo, s8
	s_and_b32 s8, s3, s4
	s_and_saveexec_b32 s4, s8
	s_cbranch_execnz .LBB217_199
	s_branch .LBB217_203
.LBB217_187:
	v_cmp_ne_u32_e32 vcc_lo, 1, v67
	s_cbranch_vccnz .LBB217_189
; %bb.188:
	v_lshlrev_b64 v[32:33], 1, v[0:1]
	v_add_co_u32 v32, vcc_lo, v30, v32
	v_add_co_ci_u32_e64 v33, null, v31, v33, vcc_lo
	flat_load_ushort v32, v[32:33]
	s_waitcnt vmcnt(0) lgkmcnt(0)
	v_mul_f16_e32 v32, s7, v32
	v_cvt_f32_f16_e32 v32, v32
	s_branch .LBB217_190
.LBB217_189:
	v_mov_b32_e32 v32, 0
.LBB217_190:
	v_pk_add_f16 v33, v10, v28
	v_pk_add_f16 v34, v11, v29
	v_max_f16_e32 v35, v85, v85
	v_lshrrev_b32_e32 v36, 16, v85
	v_max_f32_e32 v32, v32, v32
	v_lshrrev_b32_e32 v37, 16, v33
	v_lshrrev_b32_e32 v38, 16, v34
	v_min_f16_e32 v33, v35, v33
	v_min3_f16 v35, v36, v37, v38
	v_min3_f16 v33, v33, v34, v35
	v_cvt_f32_f16_e32 v33, v33
	v_min_f32_e32 v34, v32, v33
	v_lshlrev_b64 v[32:33], 1, v[0:1]
	v_cvt_f16_f32_e32 v34, v34
	v_add_co_u32 v32, vcc_lo, v26, v32
	v_add_co_ci_u32_e64 v33, null, v27, v33, vcc_lo
	flat_store_short v[32:33], v34
	s_or_b32 exec_lo, exec_lo, s8
	s_and_b32 s14, s1, s4
	s_and_saveexec_b32 s8, s14
	s_cbranch_execz .LBB217_185
.LBB217_191:
	v_cmp_ne_u32_e32 vcc_lo, 1, v67
	s_cbranch_vccnz .LBB217_193
; %bb.192:
	v_lshlrev_b64 v[32:33], 1, v[42:43]
	v_add_co_u32 v32, vcc_lo, v30, v32
	v_add_co_ci_u32_e64 v33, null, v31, v33, vcc_lo
	flat_load_ushort v32, v[32:33]
	s_waitcnt vmcnt(0) lgkmcnt(0)
	v_mul_f16_e32 v32, s7, v32
	v_cvt_f32_f16_e32 v32, v32
	s_branch .LBB217_194
.LBB217_193:
	v_mov_b32_e32 v32, 0
.LBB217_194:
	v_pk_add_f16 v33, v12, v28
	v_pk_add_f16 v34, v13, v29
	v_max_f16_e32 v35, v84, v84
	v_lshrrev_b32_e32 v36, 16, v84
	v_max_f32_e32 v32, v32, v32
	v_lshrrev_b32_e32 v37, 16, v33
	v_lshrrev_b32_e32 v38, 16, v34
	v_min_f16_e32 v33, v35, v33
	v_min3_f16 v35, v36, v37, v38
	v_min3_f16 v33, v33, v34, v35
	v_cvt_f32_f16_e32 v33, v33
	v_min_f32_e32 v34, v32, v33
	v_lshlrev_b64 v[32:33], 1, v[42:43]
	v_cvt_f16_f32_e32 v34, v34
	v_add_co_u32 v32, vcc_lo, v26, v32
	v_add_co_ci_u32_e64 v33, null, v27, v33, vcc_lo
	flat_store_short v[32:33], v34
	s_or_b32 exec_lo, exec_lo, s8
	s_and_b32 s14, s2, s4
	s_and_saveexec_b32 s8, s14
	s_cbranch_execz .LBB217_186
.LBB217_195:
	v_cmp_ne_u32_e32 vcc_lo, 1, v67
	s_cbranch_vccnz .LBB217_197
; %bb.196:
	v_lshlrev_b64 v[32:33], 1, v[44:45]
	v_add_co_u32 v32, vcc_lo, v30, v32
	v_add_co_ci_u32_e64 v33, null, v31, v33, vcc_lo
	flat_load_ushort v32, v[32:33]
	s_waitcnt vmcnt(0) lgkmcnt(0)
	v_mul_f16_e32 v32, s7, v32
	v_cvt_f32_f16_e32 v32, v32
	s_branch .LBB217_198
.LBB217_197:
	v_mov_b32_e32 v32, 0
.LBB217_198:
	v_pk_add_f16 v33, v2, v28
	v_pk_add_f16 v34, v3, v29
	v_max_f16_e32 v35, v83, v83
	v_lshrrev_b32_e32 v36, 16, v83
	v_max_f32_e32 v32, v32, v32
	v_lshrrev_b32_e32 v37, 16, v33
	v_lshrrev_b32_e32 v38, 16, v34
	v_min_f16_e32 v33, v35, v33
	v_min3_f16 v35, v36, v37, v38
	v_min3_f16 v33, v33, v34, v35
	v_cvt_f32_f16_e32 v33, v33
	v_min_f32_e32 v34, v32, v33
	v_lshlrev_b64 v[32:33], 1, v[44:45]
	v_cvt_f16_f32_e32 v34, v34
	v_add_co_u32 v32, vcc_lo, v26, v32
	v_add_co_ci_u32_e64 v33, null, v27, v33, vcc_lo
	flat_store_short v[32:33], v34
	s_or_b32 exec_lo, exec_lo, s8
	s_and_b32 s8, s3, s4
	s_and_saveexec_b32 s4, s8
	s_cbranch_execz .LBB217_203
.LBB217_199:
	v_cmp_ne_u32_e32 vcc_lo, 1, v67
	s_cbranch_vccnz .LBB217_201
; %bb.200:
	v_lshlrev_b64 v[32:33], 1, v[46:47]
	v_add_co_u32 v30, vcc_lo, v30, v32
	v_add_co_ci_u32_e64 v31, null, v31, v33, vcc_lo
	flat_load_ushort v30, v[30:31]
	s_waitcnt vmcnt(0) lgkmcnt(0)
	v_mul_f16_e32 v30, s7, v30
	v_cvt_f32_f16_e32 v30, v30
	s_branch .LBB217_202
.LBB217_201:
	v_mov_b32_e32 v30, 0
.LBB217_202:
	v_pk_add_f16 v28, v4, v28
	v_pk_add_f16 v29, v5, v29
	v_max_f16_e32 v31, v82, v82
	v_lshrrev_b32_e32 v32, 16, v82
	v_lshrrev_b32_e32 v33, 16, v28
	;; [unrolled: 1-line block ×3, first 2 shown]
	v_min_f16_e32 v28, v31, v28
	v_min3_f16 v31, v32, v33, v34
	v_min3_f16 v28, v28, v29, v31
	v_max_f32_e32 v29, v30, v30
	v_cvt_f32_f16_e32 v28, v28
	v_min_f32_e32 v30, v29, v28
	v_lshlrev_b64 v[28:29], 1, v[46:47]
	v_cvt_f16_f32_e32 v30, v30
	v_add_co_u32 v26, vcc_lo, v26, v28
	v_add_co_ci_u32_e64 v27, null, v27, v29, vcc_lo
	flat_store_short v[26:27], v30
.LBB217_203:
	s_or_b32 exec_lo, exec_lo, s4
	v_add_nc_u32_e32 v30, 64, v71
	v_mad_i64_i32 v[26:27], null, v30, s10, 0
	v_mad_i64_i32 v[28:29], null, v30, s6, 0
	v_cmp_gt_i32_e64 s4, s9, v30
	v_lshlrev_b64 v[26:27], 1, v[26:27]
	s_and_b32 s14, s0, s4
	v_lshlrev_b64 v[30:31], 1, v[28:29]
	v_add_co_u32 v28, vcc_lo, s12, v26
	v_add_co_ci_u32_e64 v29, null, s13, v27, vcc_lo
	v_add_co_u32 v26, vcc_lo, s5, v30
	v_add_co_ci_u32_e64 v27, null, s11, v31, vcc_lo
	s_and_saveexec_b32 s8, s14
	s_cbranch_execnz .LBB217_207
; %bb.204:
	s_or_b32 exec_lo, exec_lo, s8
	s_and_b32 s14, s1, s4
	s_and_saveexec_b32 s8, s14
	s_cbranch_execnz .LBB217_211
.LBB217_205:
	s_or_b32 exec_lo, exec_lo, s8
	s_and_b32 s14, s2, s4
	s_and_saveexec_b32 s8, s14
	s_cbranch_execnz .LBB217_215
.LBB217_206:
	s_or_b32 exec_lo, exec_lo, s8
	s_and_b32 s8, s3, s4
	s_and_saveexec_b32 s4, s8
	s_cbranch_execnz .LBB217_219
	s_branch .LBB217_223
.LBB217_207:
	v_cmp_ne_u32_e32 vcc_lo, 1, v67
	s_cbranch_vccnz .LBB217_209
; %bb.208:
	v_lshlrev_b64 v[30:31], 1, v[0:1]
	v_add_co_u32 v30, vcc_lo, v28, v30
	v_add_co_ci_u32_e64 v31, null, v29, v31, vcc_lo
	flat_load_ushort v30, v[30:31]
	s_waitcnt vmcnt(0) lgkmcnt(0)
	v_mul_f16_e32 v30, s7, v30
	v_cvt_f32_f16_e32 v30, v30
	s_branch .LBB217_210
.LBB217_209:
	v_mov_b32_e32 v30, 0
.LBB217_210:
	v_pk_add_f16 v31, v10, v22
	v_pk_add_f16 v32, v11, v23
	v_max_f16_e32 v33, v81, v81
	v_lshrrev_b32_e32 v34, 16, v81
	v_max_f32_e32 v30, v30, v30
	v_lshrrev_b32_e32 v35, 16, v31
	v_lshrrev_b32_e32 v36, 16, v32
	v_min_f16_e32 v31, v33, v31
	v_min3_f16 v33, v34, v35, v36
	v_min3_f16 v31, v31, v32, v33
	v_cvt_f32_f16_e32 v31, v31
	v_min_f32_e32 v32, v30, v31
	v_lshlrev_b64 v[30:31], 1, v[0:1]
	v_cvt_f16_f32_e32 v32, v32
	v_add_co_u32 v30, vcc_lo, v26, v30
	v_add_co_ci_u32_e64 v31, null, v27, v31, vcc_lo
	flat_store_short v[30:31], v32
	s_or_b32 exec_lo, exec_lo, s8
	s_and_b32 s14, s1, s4
	s_and_saveexec_b32 s8, s14
	s_cbranch_execz .LBB217_205
.LBB217_211:
	v_cmp_ne_u32_e32 vcc_lo, 1, v67
	s_cbranch_vccnz .LBB217_213
; %bb.212:
	v_lshlrev_b64 v[30:31], 1, v[42:43]
	v_add_co_u32 v30, vcc_lo, v28, v30
	v_add_co_ci_u32_e64 v31, null, v29, v31, vcc_lo
	flat_load_ushort v30, v[30:31]
	s_waitcnt vmcnt(0) lgkmcnt(0)
	v_mul_f16_e32 v30, s7, v30
	v_cvt_f32_f16_e32 v30, v30
	s_branch .LBB217_214
.LBB217_213:
	v_mov_b32_e32 v30, 0
.LBB217_214:
	v_pk_add_f16 v31, v12, v22
	v_pk_add_f16 v32, v13, v23
	v_max_f16_e32 v33, v80, v80
	v_lshrrev_b32_e32 v34, 16, v80
	v_max_f32_e32 v30, v30, v30
	v_lshrrev_b32_e32 v35, 16, v31
	v_lshrrev_b32_e32 v36, 16, v32
	v_min_f16_e32 v31, v33, v31
	v_min3_f16 v33, v34, v35, v36
	v_min3_f16 v31, v31, v32, v33
	v_cvt_f32_f16_e32 v31, v31
	v_min_f32_e32 v32, v30, v31
	v_lshlrev_b64 v[30:31], 1, v[42:43]
	v_cvt_f16_f32_e32 v32, v32
	v_add_co_u32 v30, vcc_lo, v26, v30
	v_add_co_ci_u32_e64 v31, null, v27, v31, vcc_lo
	flat_store_short v[30:31], v32
	s_or_b32 exec_lo, exec_lo, s8
	s_and_b32 s14, s2, s4
	s_and_saveexec_b32 s8, s14
	s_cbranch_execz .LBB217_206
.LBB217_215:
	v_cmp_ne_u32_e32 vcc_lo, 1, v67
	s_cbranch_vccnz .LBB217_217
; %bb.216:
	v_lshlrev_b64 v[30:31], 1, v[44:45]
	v_add_co_u32 v30, vcc_lo, v28, v30
	v_add_co_ci_u32_e64 v31, null, v29, v31, vcc_lo
	flat_load_ushort v30, v[30:31]
	s_waitcnt vmcnt(0) lgkmcnt(0)
	v_mul_f16_e32 v30, s7, v30
	v_cvt_f32_f16_e32 v30, v30
	s_branch .LBB217_218
.LBB217_217:
	v_mov_b32_e32 v30, 0
.LBB217_218:
	v_pk_add_f16 v31, v2, v22
	v_pk_add_f16 v32, v3, v23
	v_max_f16_e32 v33, v79, v79
	v_lshrrev_b32_e32 v34, 16, v79
	v_max_f32_e32 v30, v30, v30
	v_lshrrev_b32_e32 v35, 16, v31
	v_lshrrev_b32_e32 v36, 16, v32
	v_min_f16_e32 v31, v33, v31
	v_min3_f16 v33, v34, v35, v36
	v_min3_f16 v31, v31, v32, v33
	v_cvt_f32_f16_e32 v31, v31
	v_min_f32_e32 v32, v30, v31
	v_lshlrev_b64 v[30:31], 1, v[44:45]
	v_cvt_f16_f32_e32 v32, v32
	v_add_co_u32 v30, vcc_lo, v26, v30
	v_add_co_ci_u32_e64 v31, null, v27, v31, vcc_lo
	flat_store_short v[30:31], v32
	s_or_b32 exec_lo, exec_lo, s8
	s_and_b32 s8, s3, s4
	s_and_saveexec_b32 s4, s8
	s_cbranch_execz .LBB217_223
.LBB217_219:
	v_cmp_ne_u32_e32 vcc_lo, 1, v67
	s_cbranch_vccnz .LBB217_221
; %bb.220:
	v_lshlrev_b64 v[30:31], 1, v[46:47]
	v_add_co_u32 v28, vcc_lo, v28, v30
	v_add_co_ci_u32_e64 v29, null, v29, v31, vcc_lo
	flat_load_ushort v28, v[28:29]
	s_waitcnt vmcnt(0) lgkmcnt(0)
	v_mul_f16_e32 v28, s7, v28
	v_cvt_f32_f16_e32 v28, v28
	s_branch .LBB217_222
.LBB217_221:
	v_mov_b32_e32 v28, 0
.LBB217_222:
	v_pk_add_f16 v22, v4, v22
	v_pk_add_f16 v23, v5, v23
	v_max_f16_e32 v29, v78, v78
	v_lshrrev_b32_e32 v30, 16, v78
	v_lshrrev_b32_e32 v31, 16, v22
	;; [unrolled: 1-line block ×3, first 2 shown]
	v_min_f16_e32 v22, v29, v22
	v_min3_f16 v29, v30, v31, v32
	v_min3_f16 v22, v22, v23, v29
	v_max_f32_e32 v23, v28, v28
	v_cvt_f32_f16_e32 v22, v22
	v_min_f32_e32 v28, v23, v22
	v_lshlrev_b64 v[22:23], 1, v[46:47]
	v_cvt_f16_f32_e32 v28, v28
	v_add_co_u32 v22, vcc_lo, v26, v22
	v_add_co_ci_u32_e64 v23, null, v27, v23, vcc_lo
	flat_store_short v[22:23], v28
.LBB217_223:
	s_or_b32 exec_lo, exec_lo, s4
	v_add_nc_u32_e32 v28, 0x48, v71
	v_mad_i64_i32 v[22:23], null, v28, s10, 0
	v_mad_i64_i32 v[26:27], null, v28, s6, 0
	v_cmp_gt_i32_e64 s4, s9, v28
	v_lshlrev_b64 v[22:23], 1, v[22:23]
	s_and_b32 s14, s0, s4
	v_lshlrev_b64 v[28:29], 1, v[26:27]
	v_add_co_u32 v26, vcc_lo, s12, v22
	v_add_co_ci_u32_e64 v27, null, s13, v23, vcc_lo
	v_add_co_u32 v22, vcc_lo, s5, v28
	v_add_co_ci_u32_e64 v23, null, s11, v29, vcc_lo
	s_and_saveexec_b32 s8, s14
	s_cbranch_execnz .LBB217_227
; %bb.224:
	s_or_b32 exec_lo, exec_lo, s8
	s_and_b32 s14, s1, s4
	s_and_saveexec_b32 s8, s14
	s_cbranch_execnz .LBB217_231
.LBB217_225:
	s_or_b32 exec_lo, exec_lo, s8
	s_and_b32 s14, s2, s4
	s_and_saveexec_b32 s8, s14
	s_cbranch_execnz .LBB217_235
.LBB217_226:
	s_or_b32 exec_lo, exec_lo, s8
	s_and_b32 s8, s3, s4
	s_and_saveexec_b32 s4, s8
	s_cbranch_execnz .LBB217_239
	s_branch .LBB217_243
.LBB217_227:
	v_cmp_ne_u32_e32 vcc_lo, 1, v67
	s_cbranch_vccnz .LBB217_229
; %bb.228:
	v_lshlrev_b64 v[28:29], 1, v[0:1]
	v_add_co_u32 v28, vcc_lo, v26, v28
	v_add_co_ci_u32_e64 v29, null, v27, v29, vcc_lo
	flat_load_ushort v28, v[28:29]
	s_waitcnt vmcnt(0) lgkmcnt(0)
	v_mul_f16_e32 v28, s7, v28
	v_cvt_f32_f16_e32 v28, v28
	s_branch .LBB217_230
.LBB217_229:
	v_mov_b32_e32 v28, 0
.LBB217_230:
	v_pk_add_f16 v29, v10, v24
	v_pk_add_f16 v30, v11, v25
	v_max_f16_e32 v31, v77, v77
	v_lshrrev_b32_e32 v32, 16, v77
	v_max_f32_e32 v28, v28, v28
	v_lshrrev_b32_e32 v33, 16, v29
	v_lshrrev_b32_e32 v34, 16, v30
	v_min_f16_e32 v29, v31, v29
	v_min3_f16 v31, v32, v33, v34
	v_min3_f16 v29, v29, v30, v31
	v_cvt_f32_f16_e32 v29, v29
	v_min_f32_e32 v30, v28, v29
	v_lshlrev_b64 v[28:29], 1, v[0:1]
	v_cvt_f16_f32_e32 v30, v30
	v_add_co_u32 v28, vcc_lo, v22, v28
	v_add_co_ci_u32_e64 v29, null, v23, v29, vcc_lo
	flat_store_short v[28:29], v30
	s_or_b32 exec_lo, exec_lo, s8
	s_and_b32 s14, s1, s4
	s_and_saveexec_b32 s8, s14
	s_cbranch_execz .LBB217_225
.LBB217_231:
	v_cmp_ne_u32_e32 vcc_lo, 1, v67
	s_cbranch_vccnz .LBB217_233
; %bb.232:
	v_lshlrev_b64 v[28:29], 1, v[42:43]
	v_add_co_u32 v28, vcc_lo, v26, v28
	v_add_co_ci_u32_e64 v29, null, v27, v29, vcc_lo
	flat_load_ushort v28, v[28:29]
	s_waitcnt vmcnt(0) lgkmcnt(0)
	v_mul_f16_e32 v28, s7, v28
	v_cvt_f32_f16_e32 v28, v28
	s_branch .LBB217_234
.LBB217_233:
	v_mov_b32_e32 v28, 0
.LBB217_234:
	v_pk_add_f16 v29, v12, v24
	v_pk_add_f16 v30, v13, v25
	v_max_f16_e32 v31, v76, v76
	v_lshrrev_b32_e32 v32, 16, v76
	v_max_f32_e32 v28, v28, v28
	v_lshrrev_b32_e32 v33, 16, v29
	v_lshrrev_b32_e32 v34, 16, v30
	v_min_f16_e32 v29, v31, v29
	v_min3_f16 v31, v32, v33, v34
	v_min3_f16 v29, v29, v30, v31
	v_cvt_f32_f16_e32 v29, v29
	v_min_f32_e32 v30, v28, v29
	v_lshlrev_b64 v[28:29], 1, v[42:43]
	v_cvt_f16_f32_e32 v30, v30
	v_add_co_u32 v28, vcc_lo, v22, v28
	v_add_co_ci_u32_e64 v29, null, v23, v29, vcc_lo
	flat_store_short v[28:29], v30
	s_or_b32 exec_lo, exec_lo, s8
	s_and_b32 s14, s2, s4
	s_and_saveexec_b32 s8, s14
	s_cbranch_execz .LBB217_226
.LBB217_235:
	v_cmp_ne_u32_e32 vcc_lo, 1, v67
	s_cbranch_vccnz .LBB217_237
; %bb.236:
	v_lshlrev_b64 v[28:29], 1, v[44:45]
	v_add_co_u32 v28, vcc_lo, v26, v28
	v_add_co_ci_u32_e64 v29, null, v27, v29, vcc_lo
	flat_load_ushort v28, v[28:29]
	s_waitcnt vmcnt(0) lgkmcnt(0)
	v_mul_f16_e32 v28, s7, v28
	v_cvt_f32_f16_e32 v28, v28
	s_branch .LBB217_238
.LBB217_237:
	v_mov_b32_e32 v28, 0
.LBB217_238:
	v_pk_add_f16 v29, v2, v24
	v_pk_add_f16 v30, v3, v25
	v_max_f16_e32 v31, v75, v75
	v_lshrrev_b32_e32 v32, 16, v75
	v_max_f32_e32 v28, v28, v28
	v_lshrrev_b32_e32 v33, 16, v29
	v_lshrrev_b32_e32 v34, 16, v30
	v_min_f16_e32 v29, v31, v29
	v_min3_f16 v31, v32, v33, v34
	v_min3_f16 v29, v29, v30, v31
	v_cvt_f32_f16_e32 v29, v29
	v_min_f32_e32 v30, v28, v29
	v_lshlrev_b64 v[28:29], 1, v[44:45]
	v_cvt_f16_f32_e32 v30, v30
	v_add_co_u32 v28, vcc_lo, v22, v28
	v_add_co_ci_u32_e64 v29, null, v23, v29, vcc_lo
	flat_store_short v[28:29], v30
	s_or_b32 exec_lo, exec_lo, s8
	s_and_b32 s8, s3, s4
	s_and_saveexec_b32 s4, s8
	s_cbranch_execz .LBB217_243
.LBB217_239:
	v_cmp_ne_u32_e32 vcc_lo, 1, v67
	s_cbranch_vccnz .LBB217_241
; %bb.240:
	v_lshlrev_b64 v[28:29], 1, v[46:47]
	v_add_co_u32 v26, vcc_lo, v26, v28
	v_add_co_ci_u32_e64 v27, null, v27, v29, vcc_lo
	flat_load_ushort v26, v[26:27]
	s_waitcnt vmcnt(0) lgkmcnt(0)
	v_mul_f16_e32 v26, s7, v26
	v_cvt_f32_f16_e32 v26, v26
	s_branch .LBB217_242
.LBB217_241:
	v_mov_b32_e32 v26, 0
.LBB217_242:
	v_pk_add_f16 v24, v4, v24
	v_pk_add_f16 v25, v5, v25
	v_max_f16_e32 v27, v74, v74
	v_lshrrev_b32_e32 v28, 16, v74
	v_lshrrev_b32_e32 v29, 16, v24
	;; [unrolled: 1-line block ×3, first 2 shown]
	v_min_f16_e32 v24, v27, v24
	v_min3_f16 v27, v28, v29, v30
	v_min3_f16 v24, v24, v25, v27
	v_max_f32_e32 v25, v26, v26
	v_cvt_f32_f16_e32 v24, v24
	v_min_f32_e32 v26, v25, v24
	v_lshlrev_b64 v[24:25], 1, v[46:47]
	v_cvt_f16_f32_e32 v26, v26
	v_add_co_u32 v22, vcc_lo, v22, v24
	v_add_co_ci_u32_e64 v23, null, v23, v25, vcc_lo
	flat_store_short v[22:23], v26
.LBB217_243:
	s_or_b32 exec_lo, exec_lo, s4
	v_add_nc_u32_e32 v26, 0x50, v71
	v_mad_i64_i32 v[22:23], null, v26, s10, 0
	v_mad_i64_i32 v[24:25], null, v26, s6, 0
	v_cmp_gt_i32_e64 s4, s9, v26
	v_lshlrev_b64 v[22:23], 1, v[22:23]
	s_and_b32 s14, s0, s4
	v_lshlrev_b64 v[26:27], 1, v[24:25]
	v_add_co_u32 v24, vcc_lo, s12, v22
	v_add_co_ci_u32_e64 v25, null, s13, v23, vcc_lo
	v_add_co_u32 v22, vcc_lo, s5, v26
	v_add_co_ci_u32_e64 v23, null, s11, v27, vcc_lo
	s_and_saveexec_b32 s8, s14
	s_cbranch_execnz .LBB217_247
; %bb.244:
	s_or_b32 exec_lo, exec_lo, s8
	s_and_b32 s14, s1, s4
	s_and_saveexec_b32 s8, s14
	s_cbranch_execnz .LBB217_251
.LBB217_245:
	s_or_b32 exec_lo, exec_lo, s8
	s_and_b32 s14, s2, s4
	s_and_saveexec_b32 s8, s14
	s_cbranch_execnz .LBB217_255
.LBB217_246:
	s_or_b32 exec_lo, exec_lo, s8
	s_and_b32 s8, s3, s4
	s_and_saveexec_b32 s4, s8
	s_cbranch_execnz .LBB217_259
	s_branch .LBB217_263
.LBB217_247:
	v_cmp_ne_u32_e32 vcc_lo, 1, v67
	s_cbranch_vccnz .LBB217_249
; %bb.248:
	v_lshlrev_b64 v[26:27], 1, v[0:1]
	v_add_co_u32 v26, vcc_lo, v24, v26
	v_add_co_ci_u32_e64 v27, null, v25, v27, vcc_lo
	flat_load_ushort v26, v[26:27]
	s_waitcnt vmcnt(0) lgkmcnt(0)
	v_mul_f16_e32 v26, s7, v26
	v_cvt_f32_f16_e32 v26, v26
	s_branch .LBB217_250
.LBB217_249:
	v_mov_b32_e32 v26, 0
.LBB217_250:
	v_pk_add_f16 v27, v10, v18
	v_pk_add_f16 v28, v11, v19
	v_max_f16_e32 v29, v73, v73
	v_lshrrev_b32_e32 v30, 16, v73
	v_max_f32_e32 v26, v26, v26
	v_lshrrev_b32_e32 v31, 16, v27
	v_lshrrev_b32_e32 v32, 16, v28
	v_min_f16_e32 v27, v29, v27
	v_min3_f16 v29, v30, v31, v32
	v_min3_f16 v27, v27, v28, v29
	v_cvt_f32_f16_e32 v27, v27
	v_min_f32_e32 v28, v26, v27
	v_lshlrev_b64 v[26:27], 1, v[0:1]
	v_cvt_f16_f32_e32 v28, v28
	v_add_co_u32 v26, vcc_lo, v22, v26
	v_add_co_ci_u32_e64 v27, null, v23, v27, vcc_lo
	flat_store_short v[26:27], v28
	s_or_b32 exec_lo, exec_lo, s8
	s_and_b32 s14, s1, s4
	s_and_saveexec_b32 s8, s14
	s_cbranch_execz .LBB217_245
.LBB217_251:
	v_cmp_ne_u32_e32 vcc_lo, 1, v67
	s_cbranch_vccnz .LBB217_253
; %bb.252:
	v_lshlrev_b64 v[26:27], 1, v[42:43]
	v_add_co_u32 v26, vcc_lo, v24, v26
	v_add_co_ci_u32_e64 v27, null, v25, v27, vcc_lo
	flat_load_ushort v26, v[26:27]
	s_waitcnt vmcnt(0) lgkmcnt(0)
	v_mul_f16_e32 v26, s7, v26
	v_cvt_f32_f16_e32 v26, v26
	s_branch .LBB217_254
.LBB217_253:
	v_mov_b32_e32 v26, 0
.LBB217_254:
	v_pk_add_f16 v27, v12, v18
	v_pk_add_f16 v28, v13, v19
	v_max_f16_e32 v29, v72, v72
	v_lshrrev_b32_e32 v30, 16, v72
	v_max_f32_e32 v26, v26, v26
	v_lshrrev_b32_e32 v31, 16, v27
	v_lshrrev_b32_e32 v32, 16, v28
	v_min_f16_e32 v27, v29, v27
	v_min3_f16 v29, v30, v31, v32
	v_min3_f16 v27, v27, v28, v29
	v_cvt_f32_f16_e32 v27, v27
	v_min_f32_e32 v28, v26, v27
	v_lshlrev_b64 v[26:27], 1, v[42:43]
	v_cvt_f16_f32_e32 v28, v28
	v_add_co_u32 v26, vcc_lo, v22, v26
	v_add_co_ci_u32_e64 v27, null, v23, v27, vcc_lo
	flat_store_short v[26:27], v28
	s_or_b32 exec_lo, exec_lo, s8
	s_and_b32 s14, s2, s4
	s_and_saveexec_b32 s8, s14
	s_cbranch_execz .LBB217_246
.LBB217_255:
	v_cmp_ne_u32_e32 vcc_lo, 1, v67
	s_cbranch_vccnz .LBB217_257
; %bb.256:
	v_lshlrev_b64 v[26:27], 1, v[44:45]
	v_add_co_u32 v26, vcc_lo, v24, v26
	v_add_co_ci_u32_e64 v27, null, v25, v27, vcc_lo
	flat_load_ushort v26, v[26:27]
	s_waitcnt vmcnt(0) lgkmcnt(0)
	v_mul_f16_e32 v26, s7, v26
	v_cvt_f32_f16_e32 v26, v26
	s_branch .LBB217_258
.LBB217_257:
	v_mov_b32_e32 v26, 0
.LBB217_258:
	v_pk_add_f16 v27, v2, v18
	v_pk_add_f16 v28, v3, v19
	v_max_f16_e32 v29, v70, v70
	v_lshrrev_b32_e32 v30, 16, v70
	v_max_f32_e32 v26, v26, v26
	v_lshrrev_b32_e32 v31, 16, v27
	v_lshrrev_b32_e32 v32, 16, v28
	v_min_f16_e32 v27, v29, v27
	v_min3_f16 v29, v30, v31, v32
	v_min3_f16 v27, v27, v28, v29
	v_cvt_f32_f16_e32 v27, v27
	v_min_f32_e32 v28, v26, v27
	v_lshlrev_b64 v[26:27], 1, v[44:45]
	v_cvt_f16_f32_e32 v28, v28
	v_add_co_u32 v26, vcc_lo, v22, v26
	v_add_co_ci_u32_e64 v27, null, v23, v27, vcc_lo
	flat_store_short v[26:27], v28
	s_or_b32 exec_lo, exec_lo, s8
	s_and_b32 s8, s3, s4
	s_and_saveexec_b32 s4, s8
	s_cbranch_execz .LBB217_263
.LBB217_259:
	v_cmp_ne_u32_e32 vcc_lo, 1, v67
	s_cbranch_vccnz .LBB217_261
; %bb.260:
	v_lshlrev_b64 v[26:27], 1, v[46:47]
	v_add_co_u32 v24, vcc_lo, v24, v26
	v_add_co_ci_u32_e64 v25, null, v25, v27, vcc_lo
	flat_load_ushort v24, v[24:25]
	s_waitcnt vmcnt(0) lgkmcnt(0)
	v_mul_f16_e32 v24, s7, v24
	v_cvt_f32_f16_e32 v24, v24
	s_branch .LBB217_262
.LBB217_261:
	v_mov_b32_e32 v24, 0
.LBB217_262:
	v_pk_add_f16 v18, v4, v18
	v_pk_add_f16 v19, v5, v19
	v_max_f16_e32 v25, v69, v69
	v_lshrrev_b32_e32 v26, 16, v69
	v_lshrrev_b32_e32 v27, 16, v18
	;; [unrolled: 1-line block ×3, first 2 shown]
	v_min_f16_e32 v18, v25, v18
	v_min3_f16 v25, v26, v27, v28
	v_min3_f16 v18, v18, v19, v25
	v_max_f32_e32 v19, v24, v24
	v_cvt_f32_f16_e32 v18, v18
	v_min_f32_e32 v24, v19, v18
	v_lshlrev_b64 v[18:19], 1, v[46:47]
	v_cvt_f16_f32_e32 v24, v24
	v_add_co_u32 v18, vcc_lo, v22, v18
	v_add_co_ci_u32_e64 v19, null, v23, v19, vcc_lo
	flat_store_short v[18:19], v24
.LBB217_263:
	s_or_b32 exec_lo, exec_lo, s4
	v_add_nc_u32_e32 v24, 0x58, v71
	v_mad_i64_i32 v[18:19], null, v24, s10, 0
	v_mad_i64_i32 v[22:23], null, v24, s6, 0
	v_cmp_gt_i32_e64 s4, s9, v24
	v_lshlrev_b64 v[18:19], 1, v[18:19]
	s_and_b32 s14, s0, s4
	v_lshlrev_b64 v[24:25], 1, v[22:23]
	v_add_co_u32 v22, vcc_lo, s12, v18
	v_add_co_ci_u32_e64 v23, null, s13, v19, vcc_lo
	v_add_co_u32 v18, vcc_lo, s5, v24
	v_add_co_ci_u32_e64 v19, null, s11, v25, vcc_lo
	s_and_saveexec_b32 s8, s14
	s_cbranch_execnz .LBB217_267
; %bb.264:
	s_or_b32 exec_lo, exec_lo, s8
	s_and_b32 s14, s1, s4
	s_and_saveexec_b32 s8, s14
	s_cbranch_execnz .LBB217_271
.LBB217_265:
	s_or_b32 exec_lo, exec_lo, s8
	s_and_b32 s14, s2, s4
	s_and_saveexec_b32 s8, s14
	s_cbranch_execnz .LBB217_275
.LBB217_266:
	s_or_b32 exec_lo, exec_lo, s8
	s_and_b32 s8, s3, s4
	s_and_saveexec_b32 s4, s8
	s_cbranch_execnz .LBB217_279
	s_branch .LBB217_283
.LBB217_267:
	v_cmp_ne_u32_e32 vcc_lo, 1, v67
	s_cbranch_vccnz .LBB217_269
; %bb.268:
	v_lshlrev_b64 v[24:25], 1, v[0:1]
	v_add_co_u32 v24, vcc_lo, v22, v24
	v_add_co_ci_u32_e64 v25, null, v23, v25, vcc_lo
	flat_load_ushort v24, v[24:25]
	s_waitcnt vmcnt(0) lgkmcnt(0)
	v_mul_f16_e32 v24, s7, v24
	v_cvt_f32_f16_e32 v24, v24
	s_branch .LBB217_270
.LBB217_269:
	v_mov_b32_e32 v24, 0
.LBB217_270:
	v_pk_add_f16 v25, v10, v20
	v_pk_add_f16 v26, v11, v21
	v_max_f16_e32 v27, v68, v68
	v_lshrrev_b32_e32 v28, 16, v68
	v_max_f32_e32 v24, v24, v24
	v_lshrrev_b32_e32 v29, 16, v25
	v_lshrrev_b32_e32 v30, 16, v26
	v_min_f16_e32 v25, v27, v25
	v_min3_f16 v27, v28, v29, v30
	v_min3_f16 v25, v25, v26, v27
	v_cvt_f32_f16_e32 v25, v25
	v_min_f32_e32 v26, v24, v25
	v_lshlrev_b64 v[24:25], 1, v[0:1]
	v_cvt_f16_f32_e32 v26, v26
	v_add_co_u32 v24, vcc_lo, v18, v24
	v_add_co_ci_u32_e64 v25, null, v19, v25, vcc_lo
	flat_store_short v[24:25], v26
	s_or_b32 exec_lo, exec_lo, s8
	s_and_b32 s14, s1, s4
	s_and_saveexec_b32 s8, s14
	s_cbranch_execz .LBB217_265
.LBB217_271:
	v_cmp_ne_u32_e32 vcc_lo, 1, v67
	s_cbranch_vccnz .LBB217_273
; %bb.272:
	v_lshlrev_b64 v[24:25], 1, v[42:43]
	v_add_co_u32 v24, vcc_lo, v22, v24
	v_add_co_ci_u32_e64 v25, null, v23, v25, vcc_lo
	flat_load_ushort v24, v[24:25]
	s_waitcnt vmcnt(0) lgkmcnt(0)
	v_mul_f16_e32 v24, s7, v24
	v_cvt_f32_f16_e32 v24, v24
	s_branch .LBB217_274
.LBB217_273:
	v_mov_b32_e32 v24, 0
.LBB217_274:
	v_pk_add_f16 v25, v12, v20
	v_pk_add_f16 v26, v13, v21
	v_max_f16_e32 v27, v66, v66
	v_lshrrev_b32_e32 v28, 16, v66
	v_max_f32_e32 v24, v24, v24
	v_lshrrev_b32_e32 v29, 16, v25
	v_lshrrev_b32_e32 v30, 16, v26
	v_min_f16_e32 v25, v27, v25
	v_min3_f16 v27, v28, v29, v30
	v_min3_f16 v25, v25, v26, v27
	v_cvt_f32_f16_e32 v25, v25
	v_min_f32_e32 v26, v24, v25
	v_lshlrev_b64 v[24:25], 1, v[42:43]
	v_cvt_f16_f32_e32 v26, v26
	v_add_co_u32 v24, vcc_lo, v18, v24
	v_add_co_ci_u32_e64 v25, null, v19, v25, vcc_lo
	flat_store_short v[24:25], v26
	s_or_b32 exec_lo, exec_lo, s8
	s_and_b32 s14, s2, s4
	s_and_saveexec_b32 s8, s14
	s_cbranch_execz .LBB217_266
.LBB217_275:
	v_cmp_ne_u32_e32 vcc_lo, 1, v67
	s_cbranch_vccnz .LBB217_277
; %bb.276:
	v_lshlrev_b64 v[24:25], 1, v[44:45]
	v_add_co_u32 v24, vcc_lo, v22, v24
	v_add_co_ci_u32_e64 v25, null, v23, v25, vcc_lo
	flat_load_ushort v24, v[24:25]
	s_waitcnt vmcnt(0) lgkmcnt(0)
	v_mul_f16_e32 v24, s7, v24
	v_cvt_f32_f16_e32 v24, v24
	s_branch .LBB217_278
.LBB217_277:
	v_mov_b32_e32 v24, 0
.LBB217_278:
	v_pk_add_f16 v25, v2, v20
	v_pk_add_f16 v26, v3, v21
	v_max_f16_e32 v27, v65, v65
	v_lshrrev_b32_e32 v28, 16, v65
	v_max_f32_e32 v24, v24, v24
	v_lshrrev_b32_e32 v29, 16, v25
	v_lshrrev_b32_e32 v30, 16, v26
	v_min_f16_e32 v25, v27, v25
	v_min3_f16 v27, v28, v29, v30
	v_min3_f16 v25, v25, v26, v27
	v_cvt_f32_f16_e32 v25, v25
	v_min_f32_e32 v26, v24, v25
	v_lshlrev_b64 v[24:25], 1, v[44:45]
	v_cvt_f16_f32_e32 v26, v26
	v_add_co_u32 v24, vcc_lo, v18, v24
	v_add_co_ci_u32_e64 v25, null, v19, v25, vcc_lo
	flat_store_short v[24:25], v26
	s_or_b32 exec_lo, exec_lo, s8
	s_and_b32 s8, s3, s4
	s_and_saveexec_b32 s4, s8
	s_cbranch_execz .LBB217_283
.LBB217_279:
	v_cmp_ne_u32_e32 vcc_lo, 1, v67
	s_cbranch_vccnz .LBB217_281
; %bb.280:
	v_lshlrev_b64 v[24:25], 1, v[46:47]
	v_add_co_u32 v22, vcc_lo, v22, v24
	v_add_co_ci_u32_e64 v23, null, v23, v25, vcc_lo
	flat_load_ushort v22, v[22:23]
	s_waitcnt vmcnt(0) lgkmcnt(0)
	v_mul_f16_e32 v22, s7, v22
	v_cvt_f32_f16_e32 v22, v22
	s_branch .LBB217_282
.LBB217_281:
	v_mov_b32_e32 v22, 0
.LBB217_282:
	v_pk_add_f16 v20, v4, v20
	v_pk_add_f16 v21, v5, v21
	v_max_f16_e32 v23, v64, v64
	v_lshrrev_b32_e32 v24, 16, v64
	v_lshrrev_b32_e32 v25, 16, v20
	;; [unrolled: 1-line block ×3, first 2 shown]
	v_min_f16_e32 v20, v23, v20
	v_min3_f16 v23, v24, v25, v26
	v_min3_f16 v20, v20, v21, v23
	v_max_f32_e32 v21, v22, v22
	v_cvt_f32_f16_e32 v20, v20
	v_min_f32_e32 v22, v21, v20
	v_lshlrev_b64 v[20:21], 1, v[46:47]
	v_cvt_f16_f32_e32 v22, v22
	v_add_co_u32 v18, vcc_lo, v18, v20
	v_add_co_ci_u32_e64 v19, null, v19, v21, vcc_lo
	flat_store_short v[18:19], v22
.LBB217_283:
	s_or_b32 exec_lo, exec_lo, s4
	v_add_nc_u32_e32 v22, 0x60, v71
	v_mad_i64_i32 v[18:19], null, v22, s10, 0
	v_mad_i64_i32 v[20:21], null, v22, s6, 0
	v_cmp_gt_i32_e64 s4, s9, v22
	v_lshlrev_b64 v[18:19], 1, v[18:19]
	s_and_b32 s14, s0, s4
	v_lshlrev_b64 v[22:23], 1, v[20:21]
	v_add_co_u32 v20, vcc_lo, s12, v18
	v_add_co_ci_u32_e64 v21, null, s13, v19, vcc_lo
	v_add_co_u32 v18, vcc_lo, s5, v22
	v_add_co_ci_u32_e64 v19, null, s11, v23, vcc_lo
	s_and_saveexec_b32 s8, s14
	s_cbranch_execnz .LBB217_287
; %bb.284:
	s_or_b32 exec_lo, exec_lo, s8
	s_and_b32 s14, s1, s4
	s_and_saveexec_b32 s8, s14
	s_cbranch_execnz .LBB217_291
.LBB217_285:
	s_or_b32 exec_lo, exec_lo, s8
	s_and_b32 s14, s2, s4
	s_and_saveexec_b32 s8, s14
	s_cbranch_execnz .LBB217_295
.LBB217_286:
	s_or_b32 exec_lo, exec_lo, s8
	s_and_b32 s8, s3, s4
	s_and_saveexec_b32 s4, s8
	s_cbranch_execnz .LBB217_299
	s_branch .LBB217_303
.LBB217_287:
	v_cmp_ne_u32_e32 vcc_lo, 1, v67
	s_cbranch_vccnz .LBB217_289
; %bb.288:
	v_lshlrev_b64 v[22:23], 1, v[0:1]
	v_add_co_u32 v22, vcc_lo, v20, v22
	v_add_co_ci_u32_e64 v23, null, v21, v23, vcc_lo
	flat_load_ushort v22, v[22:23]
	s_waitcnt vmcnt(0) lgkmcnt(0)
	v_mul_f16_e32 v22, s7, v22
	v_cvt_f32_f16_e32 v22, v22
	s_branch .LBB217_290
.LBB217_289:
	v_mov_b32_e32 v22, 0
.LBB217_290:
	v_pk_add_f16 v23, v10, v14
	v_pk_add_f16 v24, v11, v15
	v_max_f16_e32 v25, v63, v63
	v_lshrrev_b32_e32 v26, 16, v63
	v_max_f32_e32 v22, v22, v22
	v_lshrrev_b32_e32 v27, 16, v23
	v_lshrrev_b32_e32 v28, 16, v24
	v_min_f16_e32 v23, v25, v23
	v_min3_f16 v25, v26, v27, v28
	v_min3_f16 v23, v23, v24, v25
	v_cvt_f32_f16_e32 v23, v23
	v_min_f32_e32 v24, v22, v23
	v_lshlrev_b64 v[22:23], 1, v[0:1]
	v_cvt_f16_f32_e32 v24, v24
	v_add_co_u32 v22, vcc_lo, v18, v22
	v_add_co_ci_u32_e64 v23, null, v19, v23, vcc_lo
	flat_store_short v[22:23], v24
	s_or_b32 exec_lo, exec_lo, s8
	s_and_b32 s14, s1, s4
	s_and_saveexec_b32 s8, s14
	s_cbranch_execz .LBB217_285
.LBB217_291:
	v_cmp_ne_u32_e32 vcc_lo, 1, v67
	s_cbranch_vccnz .LBB217_293
; %bb.292:
	v_lshlrev_b64 v[22:23], 1, v[42:43]
	v_add_co_u32 v22, vcc_lo, v20, v22
	v_add_co_ci_u32_e64 v23, null, v21, v23, vcc_lo
	flat_load_ushort v22, v[22:23]
	s_waitcnt vmcnt(0) lgkmcnt(0)
	v_mul_f16_e32 v22, s7, v22
	v_cvt_f32_f16_e32 v22, v22
	s_branch .LBB217_294
.LBB217_293:
	v_mov_b32_e32 v22, 0
.LBB217_294:
	v_pk_add_f16 v23, v12, v14
	v_pk_add_f16 v24, v13, v15
	v_max_f16_e32 v25, v62, v62
	v_lshrrev_b32_e32 v26, 16, v62
	v_max_f32_e32 v22, v22, v22
	v_lshrrev_b32_e32 v27, 16, v23
	v_lshrrev_b32_e32 v28, 16, v24
	v_min_f16_e32 v23, v25, v23
	v_min3_f16 v25, v26, v27, v28
	v_min3_f16 v23, v23, v24, v25
	v_cvt_f32_f16_e32 v23, v23
	v_min_f32_e32 v24, v22, v23
	v_lshlrev_b64 v[22:23], 1, v[42:43]
	v_cvt_f16_f32_e32 v24, v24
	v_add_co_u32 v22, vcc_lo, v18, v22
	v_add_co_ci_u32_e64 v23, null, v19, v23, vcc_lo
	flat_store_short v[22:23], v24
	s_or_b32 exec_lo, exec_lo, s8
	s_and_b32 s14, s2, s4
	s_and_saveexec_b32 s8, s14
	s_cbranch_execz .LBB217_286
.LBB217_295:
	v_cmp_ne_u32_e32 vcc_lo, 1, v67
	s_cbranch_vccnz .LBB217_297
; %bb.296:
	v_lshlrev_b64 v[22:23], 1, v[44:45]
	v_add_co_u32 v22, vcc_lo, v20, v22
	v_add_co_ci_u32_e64 v23, null, v21, v23, vcc_lo
	flat_load_ushort v22, v[22:23]
	s_waitcnt vmcnt(0) lgkmcnt(0)
	v_mul_f16_e32 v22, s7, v22
	v_cvt_f32_f16_e32 v22, v22
	s_branch .LBB217_298
.LBB217_297:
	v_mov_b32_e32 v22, 0
.LBB217_298:
	v_pk_add_f16 v23, v2, v14
	v_pk_add_f16 v24, v3, v15
	v_max_f16_e32 v25, v61, v61
	v_lshrrev_b32_e32 v26, 16, v61
	v_max_f32_e32 v22, v22, v22
	v_lshrrev_b32_e32 v27, 16, v23
	v_lshrrev_b32_e32 v28, 16, v24
	v_min_f16_e32 v23, v25, v23
	v_min3_f16 v25, v26, v27, v28
	v_min3_f16 v23, v23, v24, v25
	v_cvt_f32_f16_e32 v23, v23
	v_min_f32_e32 v24, v22, v23
	v_lshlrev_b64 v[22:23], 1, v[44:45]
	v_cvt_f16_f32_e32 v24, v24
	v_add_co_u32 v22, vcc_lo, v18, v22
	v_add_co_ci_u32_e64 v23, null, v19, v23, vcc_lo
	flat_store_short v[22:23], v24
	s_or_b32 exec_lo, exec_lo, s8
	s_and_b32 s8, s3, s4
	s_and_saveexec_b32 s4, s8
	s_cbranch_execz .LBB217_303
.LBB217_299:
	v_cmp_ne_u32_e32 vcc_lo, 1, v67
	s_cbranch_vccnz .LBB217_301
; %bb.300:
	v_lshlrev_b64 v[22:23], 1, v[46:47]
	v_add_co_u32 v20, vcc_lo, v20, v22
	v_add_co_ci_u32_e64 v21, null, v21, v23, vcc_lo
	flat_load_ushort v20, v[20:21]
	s_waitcnt vmcnt(0) lgkmcnt(0)
	v_mul_f16_e32 v20, s7, v20
	v_cvt_f32_f16_e32 v20, v20
	s_branch .LBB217_302
.LBB217_301:
	v_mov_b32_e32 v20, 0
.LBB217_302:
	v_pk_add_f16 v14, v4, v14
	v_pk_add_f16 v15, v5, v15
	v_max_f16_e32 v21, v60, v60
	v_lshrrev_b32_e32 v22, 16, v60
	v_lshrrev_b32_e32 v23, 16, v14
	;; [unrolled: 1-line block ×3, first 2 shown]
	v_min_f16_e32 v14, v21, v14
	v_min3_f16 v21, v22, v23, v24
	v_min3_f16 v14, v14, v15, v21
	v_max_f32_e32 v15, v20, v20
	v_cvt_f32_f16_e32 v14, v14
	v_min_f32_e32 v20, v15, v14
	v_lshlrev_b64 v[14:15], 1, v[46:47]
	v_cvt_f16_f32_e32 v20, v20
	v_add_co_u32 v14, vcc_lo, v18, v14
	v_add_co_ci_u32_e64 v15, null, v19, v15, vcc_lo
	flat_store_short v[14:15], v20
.LBB217_303:
	s_or_b32 exec_lo, exec_lo, s4
	v_add_nc_u32_e32 v20, 0x68, v71
	v_mad_i64_i32 v[14:15], null, v20, s10, 0
	v_mad_i64_i32 v[18:19], null, v20, s6, 0
	v_cmp_gt_i32_e64 s4, s9, v20
	v_lshlrev_b64 v[14:15], 1, v[14:15]
	s_and_b32 s14, s0, s4
	v_lshlrev_b64 v[20:21], 1, v[18:19]
	v_add_co_u32 v18, vcc_lo, s12, v14
	v_add_co_ci_u32_e64 v19, null, s13, v15, vcc_lo
	v_add_co_u32 v14, vcc_lo, s5, v20
	v_add_co_ci_u32_e64 v15, null, s11, v21, vcc_lo
	s_and_saveexec_b32 s8, s14
	s_cbranch_execnz .LBB217_307
; %bb.304:
	s_or_b32 exec_lo, exec_lo, s8
	s_and_b32 s14, s1, s4
	s_and_saveexec_b32 s8, s14
	s_cbranch_execnz .LBB217_311
.LBB217_305:
	s_or_b32 exec_lo, exec_lo, s8
	s_and_b32 s14, s2, s4
	s_and_saveexec_b32 s8, s14
	s_cbranch_execnz .LBB217_315
.LBB217_306:
	s_or_b32 exec_lo, exec_lo, s8
	s_and_b32 s8, s3, s4
	s_and_saveexec_b32 s4, s8
	s_cbranch_execnz .LBB217_319
	s_branch .LBB217_323
.LBB217_307:
	v_cmp_ne_u32_e32 vcc_lo, 1, v67
	s_cbranch_vccnz .LBB217_309
; %bb.308:
	v_lshlrev_b64 v[20:21], 1, v[0:1]
	v_add_co_u32 v20, vcc_lo, v18, v20
	v_add_co_ci_u32_e64 v21, null, v19, v21, vcc_lo
	flat_load_ushort v20, v[20:21]
	s_waitcnt vmcnt(0) lgkmcnt(0)
	v_mul_f16_e32 v20, s7, v20
	v_cvt_f32_f16_e32 v20, v20
	s_branch .LBB217_310
.LBB217_309:
	v_mov_b32_e32 v20, 0
.LBB217_310:
	v_pk_add_f16 v21, v10, v16
	v_pk_add_f16 v22, v11, v17
	v_max_f16_e32 v23, v59, v59
	v_lshrrev_b32_e32 v24, 16, v59
	v_max_f32_e32 v20, v20, v20
	v_lshrrev_b32_e32 v25, 16, v21
	v_lshrrev_b32_e32 v26, 16, v22
	v_min_f16_e32 v21, v23, v21
	v_min3_f16 v23, v24, v25, v26
	v_min3_f16 v21, v21, v22, v23
	v_cvt_f32_f16_e32 v21, v21
	v_min_f32_e32 v22, v20, v21
	v_lshlrev_b64 v[20:21], 1, v[0:1]
	v_cvt_f16_f32_e32 v22, v22
	v_add_co_u32 v20, vcc_lo, v14, v20
	v_add_co_ci_u32_e64 v21, null, v15, v21, vcc_lo
	flat_store_short v[20:21], v22
	s_or_b32 exec_lo, exec_lo, s8
	s_and_b32 s14, s1, s4
	s_and_saveexec_b32 s8, s14
	s_cbranch_execz .LBB217_305
.LBB217_311:
	v_cmp_ne_u32_e32 vcc_lo, 1, v67
	s_cbranch_vccnz .LBB217_313
; %bb.312:
	v_lshlrev_b64 v[20:21], 1, v[42:43]
	v_add_co_u32 v20, vcc_lo, v18, v20
	v_add_co_ci_u32_e64 v21, null, v19, v21, vcc_lo
	flat_load_ushort v20, v[20:21]
	s_waitcnt vmcnt(0) lgkmcnt(0)
	v_mul_f16_e32 v20, s7, v20
	v_cvt_f32_f16_e32 v20, v20
	s_branch .LBB217_314
.LBB217_313:
	v_mov_b32_e32 v20, 0
.LBB217_314:
	v_pk_add_f16 v21, v12, v16
	v_pk_add_f16 v22, v13, v17
	v_max_f16_e32 v23, v58, v58
	v_lshrrev_b32_e32 v24, 16, v58
	v_max_f32_e32 v20, v20, v20
	v_lshrrev_b32_e32 v25, 16, v21
	v_lshrrev_b32_e32 v26, 16, v22
	v_min_f16_e32 v21, v23, v21
	v_min3_f16 v23, v24, v25, v26
	v_min3_f16 v21, v21, v22, v23
	v_cvt_f32_f16_e32 v21, v21
	v_min_f32_e32 v22, v20, v21
	v_lshlrev_b64 v[20:21], 1, v[42:43]
	v_cvt_f16_f32_e32 v22, v22
	v_add_co_u32 v20, vcc_lo, v14, v20
	v_add_co_ci_u32_e64 v21, null, v15, v21, vcc_lo
	flat_store_short v[20:21], v22
	s_or_b32 exec_lo, exec_lo, s8
	s_and_b32 s14, s2, s4
	s_and_saveexec_b32 s8, s14
	s_cbranch_execz .LBB217_306
.LBB217_315:
	v_cmp_ne_u32_e32 vcc_lo, 1, v67
	s_cbranch_vccnz .LBB217_317
; %bb.316:
	v_lshlrev_b64 v[20:21], 1, v[44:45]
	v_add_co_u32 v20, vcc_lo, v18, v20
	v_add_co_ci_u32_e64 v21, null, v19, v21, vcc_lo
	flat_load_ushort v20, v[20:21]
	s_waitcnt vmcnt(0) lgkmcnt(0)
	v_mul_f16_e32 v20, s7, v20
	v_cvt_f32_f16_e32 v20, v20
	s_branch .LBB217_318
.LBB217_317:
	v_mov_b32_e32 v20, 0
.LBB217_318:
	v_pk_add_f16 v21, v2, v16
	v_pk_add_f16 v22, v3, v17
	v_max_f16_e32 v23, v57, v57
	v_lshrrev_b32_e32 v24, 16, v57
	v_max_f32_e32 v20, v20, v20
	v_lshrrev_b32_e32 v25, 16, v21
	v_lshrrev_b32_e32 v26, 16, v22
	v_min_f16_e32 v21, v23, v21
	v_min3_f16 v23, v24, v25, v26
	v_min3_f16 v21, v21, v22, v23
	v_cvt_f32_f16_e32 v21, v21
	v_min_f32_e32 v22, v20, v21
	v_lshlrev_b64 v[20:21], 1, v[44:45]
	v_cvt_f16_f32_e32 v22, v22
	v_add_co_u32 v20, vcc_lo, v14, v20
	v_add_co_ci_u32_e64 v21, null, v15, v21, vcc_lo
	flat_store_short v[20:21], v22
	s_or_b32 exec_lo, exec_lo, s8
	s_and_b32 s8, s3, s4
	s_and_saveexec_b32 s4, s8
	s_cbranch_execz .LBB217_323
.LBB217_319:
	v_cmp_ne_u32_e32 vcc_lo, 1, v67
	s_cbranch_vccnz .LBB217_321
; %bb.320:
	v_lshlrev_b64 v[20:21], 1, v[46:47]
	v_add_co_u32 v18, vcc_lo, v18, v20
	v_add_co_ci_u32_e64 v19, null, v19, v21, vcc_lo
	flat_load_ushort v18, v[18:19]
	s_waitcnt vmcnt(0) lgkmcnt(0)
	v_mul_f16_e32 v18, s7, v18
	v_cvt_f32_f16_e32 v18, v18
	s_branch .LBB217_322
.LBB217_321:
	v_mov_b32_e32 v18, 0
.LBB217_322:
	v_pk_add_f16 v16, v4, v16
	v_pk_add_f16 v17, v5, v17
	v_max_f16_e32 v19, v56, v56
	v_lshrrev_b32_e32 v20, 16, v56
	v_lshrrev_b32_e32 v21, 16, v16
	;; [unrolled: 1-line block ×3, first 2 shown]
	v_min_f16_e32 v16, v19, v16
	v_min3_f16 v19, v20, v21, v22
	v_min3_f16 v16, v16, v17, v19
	v_max_f32_e32 v17, v18, v18
	v_cvt_f32_f16_e32 v16, v16
	v_min_f32_e32 v18, v17, v16
	v_lshlrev_b64 v[16:17], 1, v[46:47]
	v_cvt_f16_f32_e32 v18, v18
	v_add_co_u32 v14, vcc_lo, v14, v16
	v_add_co_ci_u32_e64 v15, null, v15, v17, vcc_lo
	flat_store_short v[14:15], v18
.LBB217_323:
	s_or_b32 exec_lo, exec_lo, s4
	v_add_nc_u32_e32 v18, 0x70, v71
	v_mad_i64_i32 v[14:15], null, v18, s10, 0
	v_mad_i64_i32 v[16:17], null, v18, s6, 0
	v_cmp_gt_i32_e64 s4, s9, v18
	v_lshlrev_b64 v[14:15], 1, v[14:15]
	s_and_b32 s14, s0, s4
	v_lshlrev_b64 v[18:19], 1, v[16:17]
	v_add_co_u32 v16, vcc_lo, s12, v14
	v_add_co_ci_u32_e64 v17, null, s13, v15, vcc_lo
	v_add_co_u32 v14, vcc_lo, s5, v18
	v_add_co_ci_u32_e64 v15, null, s11, v19, vcc_lo
	s_and_saveexec_b32 s8, s14
	s_cbranch_execnz .LBB217_327
; %bb.324:
	s_or_b32 exec_lo, exec_lo, s8
	s_and_b32 s14, s1, s4
	s_and_saveexec_b32 s8, s14
	s_cbranch_execnz .LBB217_331
.LBB217_325:
	s_or_b32 exec_lo, exec_lo, s8
	s_and_b32 s14, s2, s4
	s_and_saveexec_b32 s8, s14
	s_cbranch_execnz .LBB217_335
.LBB217_326:
	s_or_b32 exec_lo, exec_lo, s8
	s_and_b32 s8, s3, s4
	s_and_saveexec_b32 s4, s8
	s_cbranch_execnz .LBB217_339
	s_branch .LBB217_343
.LBB217_327:
	v_cmp_ne_u32_e32 vcc_lo, 1, v67
	s_cbranch_vccnz .LBB217_329
; %bb.328:
	v_lshlrev_b64 v[18:19], 1, v[0:1]
	v_add_co_u32 v18, vcc_lo, v16, v18
	v_add_co_ci_u32_e64 v19, null, v17, v19, vcc_lo
	flat_load_ushort v18, v[18:19]
	s_waitcnt vmcnt(0) lgkmcnt(0)
	v_mul_f16_e32 v18, s7, v18
	v_cvt_f32_f16_e32 v18, v18
	s_branch .LBB217_330
.LBB217_329:
	v_mov_b32_e32 v18, 0
.LBB217_330:
	v_pk_add_f16 v19, v10, v6
	v_pk_add_f16 v20, v11, v7
	v_max_f16_e32 v21, v55, v55
	v_lshrrev_b32_e32 v22, 16, v55
	v_max_f32_e32 v18, v18, v18
	v_lshrrev_b32_e32 v23, 16, v19
	v_lshrrev_b32_e32 v24, 16, v20
	v_min_f16_e32 v19, v21, v19
	v_min3_f16 v21, v22, v23, v24
	v_min3_f16 v19, v19, v20, v21
	v_cvt_f32_f16_e32 v19, v19
	v_min_f32_e32 v20, v18, v19
	v_lshlrev_b64 v[18:19], 1, v[0:1]
	v_cvt_f16_f32_e32 v20, v20
	v_add_co_u32 v18, vcc_lo, v14, v18
	v_add_co_ci_u32_e64 v19, null, v15, v19, vcc_lo
	flat_store_short v[18:19], v20
	s_or_b32 exec_lo, exec_lo, s8
	s_and_b32 s14, s1, s4
	s_and_saveexec_b32 s8, s14
	s_cbranch_execz .LBB217_325
.LBB217_331:
	v_cmp_ne_u32_e32 vcc_lo, 1, v67
	s_cbranch_vccnz .LBB217_333
; %bb.332:
	v_lshlrev_b64 v[18:19], 1, v[42:43]
	v_add_co_u32 v18, vcc_lo, v16, v18
	v_add_co_ci_u32_e64 v19, null, v17, v19, vcc_lo
	flat_load_ushort v18, v[18:19]
	s_waitcnt vmcnt(0) lgkmcnt(0)
	v_mul_f16_e32 v18, s7, v18
	v_cvt_f32_f16_e32 v18, v18
	s_branch .LBB217_334
.LBB217_333:
	v_mov_b32_e32 v18, 0
.LBB217_334:
	v_pk_add_f16 v19, v12, v6
	v_pk_add_f16 v20, v13, v7
	v_max_f16_e32 v21, v54, v54
	v_lshrrev_b32_e32 v22, 16, v54
	v_max_f32_e32 v18, v18, v18
	v_lshrrev_b32_e32 v23, 16, v19
	v_lshrrev_b32_e32 v24, 16, v20
	v_min_f16_e32 v19, v21, v19
	v_min3_f16 v21, v22, v23, v24
	v_min3_f16 v19, v19, v20, v21
	v_cvt_f32_f16_e32 v19, v19
	v_min_f32_e32 v20, v18, v19
	v_lshlrev_b64 v[18:19], 1, v[42:43]
	v_cvt_f16_f32_e32 v20, v20
	v_add_co_u32 v18, vcc_lo, v14, v18
	v_add_co_ci_u32_e64 v19, null, v15, v19, vcc_lo
	flat_store_short v[18:19], v20
	s_or_b32 exec_lo, exec_lo, s8
	s_and_b32 s14, s2, s4
	s_and_saveexec_b32 s8, s14
	s_cbranch_execz .LBB217_326
.LBB217_335:
	v_cmp_ne_u32_e32 vcc_lo, 1, v67
	s_cbranch_vccnz .LBB217_337
; %bb.336:
	v_lshlrev_b64 v[18:19], 1, v[44:45]
	v_add_co_u32 v18, vcc_lo, v16, v18
	v_add_co_ci_u32_e64 v19, null, v17, v19, vcc_lo
	flat_load_ushort v18, v[18:19]
	s_waitcnt vmcnt(0) lgkmcnt(0)
	v_mul_f16_e32 v18, s7, v18
	v_cvt_f32_f16_e32 v18, v18
	s_branch .LBB217_338
.LBB217_337:
	v_mov_b32_e32 v18, 0
.LBB217_338:
	v_pk_add_f16 v19, v2, v6
	v_pk_add_f16 v20, v3, v7
	v_max_f16_e32 v21, v53, v53
	v_lshrrev_b32_e32 v22, 16, v53
	v_max_f32_e32 v18, v18, v18
	v_lshrrev_b32_e32 v23, 16, v19
	v_lshrrev_b32_e32 v24, 16, v20
	v_min_f16_e32 v19, v21, v19
	v_min3_f16 v21, v22, v23, v24
	v_min3_f16 v19, v19, v20, v21
	v_cvt_f32_f16_e32 v19, v19
	v_min_f32_e32 v20, v18, v19
	v_lshlrev_b64 v[18:19], 1, v[44:45]
	v_cvt_f16_f32_e32 v20, v20
	v_add_co_u32 v18, vcc_lo, v14, v18
	v_add_co_ci_u32_e64 v19, null, v15, v19, vcc_lo
	flat_store_short v[18:19], v20
	s_or_b32 exec_lo, exec_lo, s8
	s_and_b32 s8, s3, s4
	s_and_saveexec_b32 s4, s8
	s_cbranch_execz .LBB217_343
.LBB217_339:
	v_cmp_ne_u32_e32 vcc_lo, 1, v67
	s_cbranch_vccnz .LBB217_341
; %bb.340:
	v_lshlrev_b64 v[18:19], 1, v[46:47]
	v_add_co_u32 v16, vcc_lo, v16, v18
	v_add_co_ci_u32_e64 v17, null, v17, v19, vcc_lo
	flat_load_ushort v16, v[16:17]
	s_waitcnt vmcnt(0) lgkmcnt(0)
	v_mul_f16_e32 v16, s7, v16
	v_cvt_f32_f16_e32 v16, v16
	s_branch .LBB217_342
.LBB217_341:
	v_mov_b32_e32 v16, 0
.LBB217_342:
	v_pk_add_f16 v6, v4, v6
	v_pk_add_f16 v7, v5, v7
	v_max_f16_e32 v17, v52, v52
	v_lshrrev_b32_e32 v18, 16, v52
	v_lshrrev_b32_e32 v19, 16, v6
	;; [unrolled: 1-line block ×3, first 2 shown]
	v_min_f16_e32 v6, v17, v6
	v_min3_f16 v17, v18, v19, v20
	v_min3_f16 v6, v6, v7, v17
	v_max_f32_e32 v7, v16, v16
	v_cvt_f32_f16_e32 v6, v6
	v_min_f32_e32 v16, v7, v6
	v_lshlrev_b64 v[6:7], 1, v[46:47]
	v_cvt_f16_f32_e32 v16, v16
	v_add_co_u32 v6, vcc_lo, v14, v6
	v_add_co_ci_u32_e64 v7, null, v15, v7, vcc_lo
	flat_store_short v[6:7], v16
.LBB217_343:
	s_or_b32 exec_lo, exec_lo, s4
	v_add_nc_u32_e32 v16, 0x78, v71
	v_mad_i64_i32 v[6:7], null, v16, s10, 0
	v_mad_i64_i32 v[14:15], null, v16, s6, 0
	v_cmp_gt_i32_e64 s4, s9, v16
	v_lshlrev_b64 v[6:7], 1, v[6:7]
	v_lshlrev_b64 v[16:17], 1, v[14:15]
	v_add_co_u32 v14, vcc_lo, s12, v6
	v_add_co_ci_u32_e64 v15, null, s13, v7, vcc_lo
	v_add_co_u32 v6, vcc_lo, s5, v16
	v_add_co_ci_u32_e64 v7, null, s11, v17, vcc_lo
	s_and_b32 s5, s0, s4
	s_and_saveexec_b32 s0, s5
	s_cbranch_execnz .LBB217_348
; %bb.344:
	s_or_b32 exec_lo, exec_lo, s0
	s_and_b32 s1, s1, s4
	s_and_saveexec_b32 s0, s1
	s_cbranch_execnz .LBB217_352
.LBB217_345:
	s_or_b32 exec_lo, exec_lo, s0
	s_and_b32 s1, s2, s4
	s_and_saveexec_b32 s0, s1
	s_cbranch_execnz .LBB217_356
.LBB217_346:
	s_or_b32 exec_lo, exec_lo, s0
	s_and_b32 s0, s3, s4
	s_and_saveexec_b32 s1, s0
	s_cbranch_execnz .LBB217_360
.LBB217_347:
	s_endpgm
.LBB217_348:
	v_cmp_ne_u32_e32 vcc_lo, 1, v67
	v_lshlrev_b64 v[0:1], 1, v[0:1]
	s_cbranch_vccnz .LBB217_350
; %bb.349:
	v_add_co_u32 v16, vcc_lo, v14, v0
	v_add_co_ci_u32_e64 v17, null, v15, v1, vcc_lo
	flat_load_ushort v16, v[16:17]
	s_waitcnt vmcnt(0) lgkmcnt(0)
	v_mul_f16_e32 v16, s7, v16
	v_cvt_f32_f16_e32 v16, v16
	s_branch .LBB217_351
.LBB217_350:
	v_mov_b32_e32 v16, 0
.LBB217_351:
	v_pk_add_f16 v10, v10, v8
	v_pk_add_f16 v11, v11, v9
	v_max_f16_e32 v17, v51, v51
	v_lshrrev_b32_e32 v18, 16, v51
	v_add_co_u32 v0, vcc_lo, v6, v0
	v_lshrrev_b32_e32 v19, 16, v10
	v_lshrrev_b32_e32 v20, 16, v11
	v_min_f16_e32 v10, v17, v10
	v_add_co_ci_u32_e64 v1, null, v7, v1, vcc_lo
	v_min3_f16 v17, v18, v19, v20
	v_min3_f16 v10, v10, v11, v17
	v_max_f32_e32 v11, v16, v16
	v_cvt_f32_f16_e32 v10, v10
	v_min_f32_e32 v10, v11, v10
	v_cvt_f16_f32_e32 v10, v10
	flat_store_short v[0:1], v10
	s_or_b32 exec_lo, exec_lo, s0
	s_and_b32 s1, s1, s4
	s_and_saveexec_b32 s0, s1
	s_cbranch_execz .LBB217_345
.LBB217_352:
	v_cmp_ne_u32_e32 vcc_lo, 1, v67
	v_lshlrev_b64 v[0:1], 1, v[42:43]
	s_cbranch_vccnz .LBB217_354
; %bb.353:
	v_add_co_u32 v10, vcc_lo, v14, v0
	v_add_co_ci_u32_e64 v11, null, v15, v1, vcc_lo
	flat_load_ushort v10, v[10:11]
	s_waitcnt vmcnt(0) lgkmcnt(0)
	v_mul_f16_e32 v10, s7, v10
	v_cvt_f32_f16_e32 v10, v10
	s_branch .LBB217_355
.LBB217_354:
	v_mov_b32_e32 v10, 0
.LBB217_355:
	v_pk_add_f16 v11, v12, v8
	v_pk_add_f16 v12, v13, v9
	v_max_f16_e32 v13, v50, v50
	v_lshrrev_b32_e32 v16, 16, v50
	v_max_f32_e32 v10, v10, v10
	v_lshrrev_b32_e32 v17, 16, v11
	v_lshrrev_b32_e32 v18, 16, v12
	v_min_f16_e32 v11, v13, v11
	v_add_co_u32 v0, vcc_lo, v6, v0
	v_add_co_ci_u32_e64 v1, null, v7, v1, vcc_lo
	v_min3_f16 v13, v16, v17, v18
	v_min3_f16 v11, v11, v12, v13
	v_cvt_f32_f16_e32 v11, v11
	v_min_f32_e32 v10, v10, v11
	v_cvt_f16_f32_e32 v10, v10
	flat_store_short v[0:1], v10
	s_or_b32 exec_lo, exec_lo, s0
	s_and_b32 s1, s2, s4
	s_and_saveexec_b32 s0, s1
	s_cbranch_execz .LBB217_346
.LBB217_356:
	v_cmp_ne_u32_e32 vcc_lo, 1, v67
	v_lshlrev_b64 v[0:1], 1, v[44:45]
	s_cbranch_vccnz .LBB217_358
; %bb.357:
	v_add_co_u32 v10, vcc_lo, v14, v0
	v_add_co_ci_u32_e64 v11, null, v15, v1, vcc_lo
	flat_load_ushort v10, v[10:11]
	s_waitcnt vmcnt(0) lgkmcnt(0)
	v_mul_f16_e32 v10, s7, v10
	v_cvt_f32_f16_e32 v10, v10
	s_branch .LBB217_359
.LBB217_358:
	v_mov_b32_e32 v10, 0
.LBB217_359:
	v_pk_add_f16 v2, v2, v8
	v_pk_add_f16 v3, v3, v9
	v_max_f16_e32 v11, v49, v49
	v_lshrrev_b32_e32 v12, 16, v49
	v_add_co_u32 v0, vcc_lo, v6, v0
	v_lshrrev_b32_e32 v13, 16, v2
	v_lshrrev_b32_e32 v16, 16, v3
	v_min_f16_e32 v2, v11, v2
	v_add_co_ci_u32_e64 v1, null, v7, v1, vcc_lo
	v_min3_f16 v11, v12, v13, v16
	v_min3_f16 v2, v2, v3, v11
	v_max_f32_e32 v3, v10, v10
	v_cvt_f32_f16_e32 v2, v2
	v_min_f32_e32 v2, v3, v2
	v_cvt_f16_f32_e32 v2, v2
	flat_store_short v[0:1], v2
	s_or_b32 exec_lo, exec_lo, s0
	s_and_b32 s0, s3, s4
	s_and_saveexec_b32 s1, s0
	s_cbranch_execz .LBB217_347
.LBB217_360:
	v_cmp_ne_u32_e32 vcc_lo, 1, v67
	v_lshlrev_b64 v[0:1], 1, v[46:47]
	s_cbranch_vccnz .LBB217_362
; %bb.361:
	v_add_co_u32 v2, vcc_lo, v14, v0
	v_add_co_ci_u32_e64 v3, null, v15, v1, vcc_lo
	flat_load_ushort v2, v[2:3]
	s_waitcnt vmcnt(0) lgkmcnt(0)
	v_mul_f16_e32 v2, s7, v2
	v_cvt_f32_f16_e32 v2, v2
	s_branch .LBB217_363
.LBB217_362:
	v_mov_b32_e32 v2, 0
.LBB217_363:
	v_pk_add_f16 v3, v4, v8
	v_pk_add_f16 v4, v5, v9
	v_max_f16_e32 v5, v48, v48
	v_lshrrev_b32_e32 v8, 16, v48
	v_max_f32_e32 v2, v2, v2
	v_lshrrev_b32_e32 v9, 16, v3
	v_lshrrev_b32_e32 v10, 16, v4
	v_min_f16_e32 v3, v5, v3
	v_add_co_u32 v0, vcc_lo, v6, v0
	v_add_co_ci_u32_e64 v1, null, v7, v1, vcc_lo
	v_min3_f16 v5, v8, v9, v10
	v_min3_f16 v3, v3, v4, v5
	v_cvt_f32_f16_e32 v3, v3
	v_min_f32_e32 v2, v2, v3
	v_cvt_f16_f32_e32 v2, v2
	flat_store_short v[0:1], v2
	s_endpgm
	.section	.rodata,"a",@progbits
	.p2align	6, 0x0
	.amdhsa_kernel _ZN12_GLOBAL__N_120geam_min_plus_kernelIDF16_Dv2_DF16_S1_Li32ELi8ELi128ELi128ELi4ELi4ELi64ELi4ELi64ELc84ELc78ELb1ELb1ELb1EDF16_KPKDF16_KPDF16_EEviiiT16_PT17_ilS9_ilS7_S9_ilPT18_ili26rocblas_geam_ex_operation_
		.amdhsa_group_segment_fixed_size 4096
		.amdhsa_private_segment_fixed_size 0
		.amdhsa_kernarg_size 128
		.amdhsa_user_sgpr_count 6
		.amdhsa_user_sgpr_private_segment_buffer 1
		.amdhsa_user_sgpr_dispatch_ptr 0
		.amdhsa_user_sgpr_queue_ptr 0
		.amdhsa_user_sgpr_kernarg_segment_ptr 1
		.amdhsa_user_sgpr_dispatch_id 0
		.amdhsa_user_sgpr_flat_scratch_init 0
		.amdhsa_user_sgpr_private_segment_size 0
		.amdhsa_wavefront_size32 1
		.amdhsa_uses_dynamic_stack 0
		.amdhsa_system_sgpr_private_segment_wavefront_offset 0
		.amdhsa_system_sgpr_workgroup_id_x 1
		.amdhsa_system_sgpr_workgroup_id_y 0
		.amdhsa_system_sgpr_workgroup_id_z 1
		.amdhsa_system_sgpr_workgroup_info 0
		.amdhsa_system_vgpr_workitem_id 1
		.amdhsa_next_free_vgpr 168
		.amdhsa_next_free_sgpr 25
		.amdhsa_reserve_vcc 1
		.amdhsa_reserve_flat_scratch 0
		.amdhsa_float_round_mode_32 0
		.amdhsa_float_round_mode_16_64 0
		.amdhsa_float_denorm_mode_32 3
		.amdhsa_float_denorm_mode_16_64 3
		.amdhsa_dx10_clamp 1
		.amdhsa_ieee_mode 1
		.amdhsa_fp16_overflow 0
		.amdhsa_workgroup_processor_mode 1
		.amdhsa_memory_ordered 1
		.amdhsa_forward_progress 1
		.amdhsa_shared_vgpr_count 0
		.amdhsa_exception_fp_ieee_invalid_op 0
		.amdhsa_exception_fp_denorm_src 0
		.amdhsa_exception_fp_ieee_div_zero 0
		.amdhsa_exception_fp_ieee_overflow 0
		.amdhsa_exception_fp_ieee_underflow 0
		.amdhsa_exception_fp_ieee_inexact 0
		.amdhsa_exception_int_div_zero 0
	.end_amdhsa_kernel
	.section	.text._ZN12_GLOBAL__N_120geam_min_plus_kernelIDF16_Dv2_DF16_S1_Li32ELi8ELi128ELi128ELi4ELi4ELi64ELi4ELi64ELc84ELc78ELb1ELb1ELb1EDF16_KPKDF16_KPDF16_EEviiiT16_PT17_ilS9_ilS7_S9_ilPT18_ili26rocblas_geam_ex_operation_,"axG",@progbits,_ZN12_GLOBAL__N_120geam_min_plus_kernelIDF16_Dv2_DF16_S1_Li32ELi8ELi128ELi128ELi4ELi4ELi64ELi4ELi64ELc84ELc78ELb1ELb1ELb1EDF16_KPKDF16_KPDF16_EEviiiT16_PT17_ilS9_ilS7_S9_ilPT18_ili26rocblas_geam_ex_operation_,comdat
.Lfunc_end217:
	.size	_ZN12_GLOBAL__N_120geam_min_plus_kernelIDF16_Dv2_DF16_S1_Li32ELi8ELi128ELi128ELi4ELi4ELi64ELi4ELi64ELc84ELc78ELb1ELb1ELb1EDF16_KPKDF16_KPDF16_EEviiiT16_PT17_ilS9_ilS7_S9_ilPT18_ili26rocblas_geam_ex_operation_, .Lfunc_end217-_ZN12_GLOBAL__N_120geam_min_plus_kernelIDF16_Dv2_DF16_S1_Li32ELi8ELi128ELi128ELi4ELi4ELi64ELi4ELi64ELc84ELc78ELb1ELb1ELb1EDF16_KPKDF16_KPDF16_EEviiiT16_PT17_ilS9_ilS7_S9_ilPT18_ili26rocblas_geam_ex_operation_
                                        ; -- End function
	.set _ZN12_GLOBAL__N_120geam_min_plus_kernelIDF16_Dv2_DF16_S1_Li32ELi8ELi128ELi128ELi4ELi4ELi64ELi4ELi64ELc84ELc78ELb1ELb1ELb1EDF16_KPKDF16_KPDF16_EEviiiT16_PT17_ilS9_ilS7_S9_ilPT18_ili26rocblas_geam_ex_operation_.num_vgpr, 168
	.set _ZN12_GLOBAL__N_120geam_min_plus_kernelIDF16_Dv2_DF16_S1_Li32ELi8ELi128ELi128ELi4ELi4ELi64ELi4ELi64ELc84ELc78ELb1ELb1ELb1EDF16_KPKDF16_KPDF16_EEviiiT16_PT17_ilS9_ilS7_S9_ilPT18_ili26rocblas_geam_ex_operation_.num_agpr, 0
	.set _ZN12_GLOBAL__N_120geam_min_plus_kernelIDF16_Dv2_DF16_S1_Li32ELi8ELi128ELi128ELi4ELi4ELi64ELi4ELi64ELc84ELc78ELb1ELb1ELb1EDF16_KPKDF16_KPDF16_EEviiiT16_PT17_ilS9_ilS7_S9_ilPT18_ili26rocblas_geam_ex_operation_.numbered_sgpr, 25
	.set _ZN12_GLOBAL__N_120geam_min_plus_kernelIDF16_Dv2_DF16_S1_Li32ELi8ELi128ELi128ELi4ELi4ELi64ELi4ELi64ELc84ELc78ELb1ELb1ELb1EDF16_KPKDF16_KPDF16_EEviiiT16_PT17_ilS9_ilS7_S9_ilPT18_ili26rocblas_geam_ex_operation_.num_named_barrier, 0
	.set _ZN12_GLOBAL__N_120geam_min_plus_kernelIDF16_Dv2_DF16_S1_Li32ELi8ELi128ELi128ELi4ELi4ELi64ELi4ELi64ELc84ELc78ELb1ELb1ELb1EDF16_KPKDF16_KPDF16_EEviiiT16_PT17_ilS9_ilS7_S9_ilPT18_ili26rocblas_geam_ex_operation_.private_seg_size, 0
	.set _ZN12_GLOBAL__N_120geam_min_plus_kernelIDF16_Dv2_DF16_S1_Li32ELi8ELi128ELi128ELi4ELi4ELi64ELi4ELi64ELc84ELc78ELb1ELb1ELb1EDF16_KPKDF16_KPDF16_EEviiiT16_PT17_ilS9_ilS7_S9_ilPT18_ili26rocblas_geam_ex_operation_.uses_vcc, 1
	.set _ZN12_GLOBAL__N_120geam_min_plus_kernelIDF16_Dv2_DF16_S1_Li32ELi8ELi128ELi128ELi4ELi4ELi64ELi4ELi64ELc84ELc78ELb1ELb1ELb1EDF16_KPKDF16_KPDF16_EEviiiT16_PT17_ilS9_ilS7_S9_ilPT18_ili26rocblas_geam_ex_operation_.uses_flat_scratch, 0
	.set _ZN12_GLOBAL__N_120geam_min_plus_kernelIDF16_Dv2_DF16_S1_Li32ELi8ELi128ELi128ELi4ELi4ELi64ELi4ELi64ELc84ELc78ELb1ELb1ELb1EDF16_KPKDF16_KPDF16_EEviiiT16_PT17_ilS9_ilS7_S9_ilPT18_ili26rocblas_geam_ex_operation_.has_dyn_sized_stack, 0
	.set _ZN12_GLOBAL__N_120geam_min_plus_kernelIDF16_Dv2_DF16_S1_Li32ELi8ELi128ELi128ELi4ELi4ELi64ELi4ELi64ELc84ELc78ELb1ELb1ELb1EDF16_KPKDF16_KPDF16_EEviiiT16_PT17_ilS9_ilS7_S9_ilPT18_ili26rocblas_geam_ex_operation_.has_recursion, 0
	.set _ZN12_GLOBAL__N_120geam_min_plus_kernelIDF16_Dv2_DF16_S1_Li32ELi8ELi128ELi128ELi4ELi4ELi64ELi4ELi64ELc84ELc78ELb1ELb1ELb1EDF16_KPKDF16_KPDF16_EEviiiT16_PT17_ilS9_ilS7_S9_ilPT18_ili26rocblas_geam_ex_operation_.has_indirect_call, 0
	.section	.AMDGPU.csdata,"",@progbits
; Kernel info:
; codeLenInByte = 23248
; TotalNumSgprs: 27
; NumVgprs: 168
; ScratchSize: 0
; MemoryBound: 0
; FloatMode: 240
; IeeeMode: 1
; LDSByteSize: 4096 bytes/workgroup (compile time only)
; SGPRBlocks: 0
; VGPRBlocks: 20
; NumSGPRsForWavesPerEU: 27
; NumVGPRsForWavesPerEU: 168
; Occupancy: 5
; WaveLimiterHint : 1
; COMPUTE_PGM_RSRC2:SCRATCH_EN: 0
; COMPUTE_PGM_RSRC2:USER_SGPR: 6
; COMPUTE_PGM_RSRC2:TRAP_HANDLER: 0
; COMPUTE_PGM_RSRC2:TGID_X_EN: 1
; COMPUTE_PGM_RSRC2:TGID_Y_EN: 0
; COMPUTE_PGM_RSRC2:TGID_Z_EN: 1
; COMPUTE_PGM_RSRC2:TIDIG_COMP_CNT: 1
	.section	.text._ZN12_GLOBAL__N_120geam_min_plus_kernelIDF16_Dv2_DF16_S1_Li32ELi8ELi128ELi128ELi4ELi4ELi64ELi4ELi64ELc84ELc78ELb0ELb1ELb1EDF16_KPKDF16_KPDF16_EEviiiT16_PT17_ilS9_ilS7_S9_ilPT18_ili26rocblas_geam_ex_operation_,"axG",@progbits,_ZN12_GLOBAL__N_120geam_min_plus_kernelIDF16_Dv2_DF16_S1_Li32ELi8ELi128ELi128ELi4ELi4ELi64ELi4ELi64ELc84ELc78ELb0ELb1ELb1EDF16_KPKDF16_KPDF16_EEviiiT16_PT17_ilS9_ilS7_S9_ilPT18_ili26rocblas_geam_ex_operation_,comdat
	.globl	_ZN12_GLOBAL__N_120geam_min_plus_kernelIDF16_Dv2_DF16_S1_Li32ELi8ELi128ELi128ELi4ELi4ELi64ELi4ELi64ELc84ELc78ELb0ELb1ELb1EDF16_KPKDF16_KPDF16_EEviiiT16_PT17_ilS9_ilS7_S9_ilPT18_ili26rocblas_geam_ex_operation_ ; -- Begin function _ZN12_GLOBAL__N_120geam_min_plus_kernelIDF16_Dv2_DF16_S1_Li32ELi8ELi128ELi128ELi4ELi4ELi64ELi4ELi64ELc84ELc78ELb0ELb1ELb1EDF16_KPKDF16_KPDF16_EEviiiT16_PT17_ilS9_ilS7_S9_ilPT18_ili26rocblas_geam_ex_operation_
	.p2align	8
	.type	_ZN12_GLOBAL__N_120geam_min_plus_kernelIDF16_Dv2_DF16_S1_Li32ELi8ELi128ELi128ELi4ELi4ELi64ELi4ELi64ELc84ELc78ELb0ELb1ELb1EDF16_KPKDF16_KPDF16_EEviiiT16_PT17_ilS9_ilS7_S9_ilPT18_ili26rocblas_geam_ex_operation_,@function
_ZN12_GLOBAL__N_120geam_min_plus_kernelIDF16_Dv2_DF16_S1_Li32ELi8ELi128ELi128ELi4ELi4ELi64ELi4ELi64ELc84ELc78ELb0ELb1ELb1EDF16_KPKDF16_KPDF16_EEviiiT16_PT17_ilS9_ilS7_S9_ilPT18_ili26rocblas_geam_ex_operation_: ; @_ZN12_GLOBAL__N_120geam_min_plus_kernelIDF16_Dv2_DF16_S1_Li32ELi8ELi128ELi128ELi4ELi4ELi64ELi4ELi64ELc84ELc78ELb0ELb1ELb1EDF16_KPKDF16_KPDF16_EEviiiT16_PT17_ilS9_ilS7_S9_ilPT18_ili26rocblas_geam_ex_operation_
; %bb.0:
	s_clause 0x1
	s_load_dwordx4 s[8:11], s[4:5], 0x0
	s_load_dwordx4 s[0:3], s[4:5], 0x20
	s_mov_b32 s18, s7
	s_mov_b32 s19, 0
	s_waitcnt lgkmcnt(0)
	v_cmp_eq_f16_e64 s7, s11, 0
	s_and_b32 vcc_lo, exec_lo, s7
	s_cbranch_vccnz .LBB218_3
; %bb.1:
	s_load_dwordx2 s[12:13], s[4:5], 0x10
	s_lshl_b64 s[14:15], s[18:19], 3
	s_waitcnt lgkmcnt(0)
	s_add_u32 s12, s12, s14
	s_addc_u32 s13, s13, s15
	s_lshl_b64 s[0:1], s[0:1], 1
	s_load_dwordx2 s[12:13], s[12:13], 0x0
	s_waitcnt lgkmcnt(0)
	s_add_u32 s14, s12, s0
	s_addc_u32 s15, s13, s1
	s_andn2_b32 vcc_lo, exec_lo, s7
	s_cbranch_vccnz .LBB218_4
.LBB218_2:
	s_mov_b32 s21, 0
	s_mov_b32 s20, s18
	;; [unrolled: 1-line block ×3, first 2 shown]
	s_mov_b64 s[12:13], 0
	s_andn2_b32 vcc_lo, exec_lo, s0
	s_mov_b64 s[16:17], 0
	s_cbranch_vccz .LBB218_5
	s_branch .LBB218_6
.LBB218_3:
	s_mov_b64 s[14:15], 0
	s_andn2_b32 vcc_lo, exec_lo, s7
	s_cbranch_vccz .LBB218_2
.LBB218_4:
	s_mov_b64 s[20:21], s[18:19]
	s_mov_b64 s[12:13], 0
	;; [unrolled: 1-line block ×3, first 2 shown]
.LBB218_5:
	s_lshl_b64 s[0:1], s[18:19], 3
	s_load_dwordx2 s[16:17], s[4:5], 0x38
	s_add_u32 s0, s2, s0
	s_addc_u32 s1, s3, s1
	s_load_dwordx2 s[0:1], s[0:1], 0x0
	s_waitcnt lgkmcnt(0)
	s_lshl_b64 s[2:3], s[16:17], 1
	s_add_u32 s16, s0, s2
	s_addc_u32 s17, s1, s3
.LBB218_6:
	s_clause 0x1
	s_load_dword s7, s[4:5], 0x40
	s_load_dwordx4 s[0:3], s[4:5], 0x58
	s_waitcnt lgkmcnt(0)
	v_cmp_eq_f16_e64 s18, s7, 0
	v_cmp_neq_f16_e64 s22, s7, 0
	s_and_b32 vcc_lo, exec_lo, s18
	s_cbranch_vccnz .LBB218_8
; %bb.7:
	s_load_dwordx2 s[12:13], s[4:5], 0x48
	s_lshl_b64 s[18:19], s[20:21], 3
	s_waitcnt lgkmcnt(0)
	s_add_u32 s12, s12, s18
	s_addc_u32 s13, s13, s19
	s_lshl_b64 s[0:1], s[0:1], 1
	s_load_dwordx2 s[12:13], s[12:13], 0x0
	s_waitcnt lgkmcnt(0)
	s_add_u32 s12, s12, s0
	s_addc_u32 s13, s13, s1
.LBB218_8:
	s_lshl_b64 s[0:1], s[20:21], 3
	v_and_b32_e32 v98, 3, v0
	s_add_u32 s18, s2, s0
	s_addc_u32 s19, s3, s1
	s_add_i32 s0, s8, -1
	v_lshl_add_u32 v3, v1, 5, v0
	s_ashr_i32 s1, s0, 31
	s_load_dword s25, s[4:5], 0x18
	s_lshr_b32 s1, s1, 25
	v_cmp_eq_f16_e64 s24, s11, 0
	s_add_i32 s0, s0, s1
	v_lshrrev_b32_e32 v10, 2, v3
	s_ashr_i32 s0, s0, 7
	s_add_i32 s1, s0, 1
	s_not_b32 s0, s0
	v_cvt_f32_u32_e32 v2, s1
	v_rcp_iflag_f32_e32 v2, v2
	v_mul_f32_e32 v2, 0x4f7ffffe, v2
	v_cvt_u32_f32_e32 v2, v2
	v_readfirstlane_b32 s2, v2
	s_mul_i32 s0, s0, s2
	s_mul_hi_u32 s0, s2, s0
	s_add_i32 s2, s2, s0
	s_mul_hi_u32 s0, s6, s2
	s_mul_i32 s2, s0, s1
	s_add_i32 s3, s0, 1
	s_sub_i32 s2, s6, s2
	s_sub_i32 s20, s2, s1
	s_cmp_ge_u32 s2, s1
	s_cselect_b32 s0, s3, s0
	s_cselect_b32 s2, s20, s2
	s_add_i32 s3, s0, 1
	s_cmp_ge_u32 s2, s1
	s_cselect_b32 s2, s3, s0
	s_add_i32 s23, s10, -1
	s_mul_i32 s0, s2, s1
	v_min_i32_e32 v2, s23, v98
	s_sub_i32 s0, s6, s0
	v_cmp_le_i32_e64 s3, s10, v98
	s_lshl_b32 s20, s0, 7
	v_ashrrev_i32_e32 v3, 31, v2
	v_add_nc_u32_e32 v4, s20, v10
	v_lshlrev_b64 v[2:3], 1, v[2:3]
	v_cmp_le_i32_e32 vcc_lo, s8, v4
	v_add_co_u32 v6, s0, s14, v2
	v_add_co_ci_u32_e64 v7, null, s15, v3, s0
	s_or_b32 s0, s3, vcc_lo
	v_cndmask_b32_e64 v11, 0, 0x7c00, s0
	s_nor_b32 s0, s24, s0
	s_and_saveexec_b32 s1, s0
	s_cbranch_execz .LBB218_10
; %bb.9:
	s_waitcnt lgkmcnt(0)
	v_mad_i64_i32 v[8:9], null, v4, s25, 0
	v_lshlrev_b64 v[8:9], 1, v[8:9]
	v_add_co_u32 v8, s0, v6, v8
	v_add_co_ci_u32_e64 v9, null, v7, v9, s0
	flat_load_ushort v5, v[8:9]
	s_waitcnt vmcnt(0) lgkmcnt(0)
	v_mul_f16_e32 v11, s11, v5
.LBB218_10:
	s_or_b32 exec_lo, exec_lo, s1
	v_add_nc_u32_e32 v5, 64, v4
	v_cmp_le_i32_e64 s0, s8, v5
	s_or_b32 s1, s3, s0
	v_cndmask_b32_e64 v12, 0, 0x7c00, s1
	s_nor_b32 s1, s24, s1
	s_and_saveexec_b32 s6, s1
	s_cbranch_execz .LBB218_12
; %bb.11:
	s_waitcnt lgkmcnt(0)
	v_mad_i64_i32 v[8:9], null, v5, s25, 0
	v_lshlrev_b64 v[8:9], 1, v[8:9]
	v_add_co_u32 v6, s1, v6, v8
	v_add_co_ci_u32_e64 v7, null, v7, v9, s1
	flat_load_ushort v6, v[6:7]
	s_waitcnt vmcnt(0) lgkmcnt(0)
	v_mul_f16_e32 v12, s11, v6
.LBB218_12:
	s_or_b32 exec_lo, exec_lo, s6
	s_load_dword s26, s[4:5], 0x30
	s_lshl_b32 s21, s2, 7
	v_add_co_u32 v2, s2, s16, v2
	v_add_nc_u32_e32 v6, s21, v10
	v_add_co_ci_u32_e64 v3, null, s17, v3, s2
	v_cmp_le_i32_e64 s1, s9, v6
	s_or_b32 s2, s3, s1
	v_cndmask_b32_e64 v13, 0, 0x7c00, s2
	s_nor_b32 s2, s24, s2
	s_and_saveexec_b32 s6, s2
	s_cbranch_execz .LBB218_14
; %bb.13:
	s_waitcnt lgkmcnt(0)
	v_mad_i64_i32 v[7:8], null, v6, s26, 0
	v_lshlrev_b64 v[7:8], 1, v[7:8]
	v_add_co_u32 v7, s2, v2, v7
	v_add_co_ci_u32_e64 v8, null, v3, v8, s2
	flat_load_ushort v7, v[7:8]
	s_waitcnt vmcnt(0) lgkmcnt(0)
	v_mul_f16_e32 v13, s11, v7
.LBB218_14:
	s_or_b32 exec_lo, exec_lo, s6
	v_add_nc_u32_e32 v7, 64, v6
	v_cmp_le_i32_e64 s2, s9, v7
	s_or_b32 s3, s3, s2
	v_cndmask_b32_e64 v14, 0, 0x7c00, s3
	s_nor_b32 s3, s24, s3
	s_and_saveexec_b32 s6, s3
	s_cbranch_execz .LBB218_16
; %bb.15:
	s_waitcnt lgkmcnt(0)
	v_mad_i64_i32 v[8:9], null, v7, s26, 0
	v_lshlrev_b64 v[8:9], 1, v[8:9]
	v_add_co_u32 v2, s3, v2, v8
	v_add_co_ci_u32_e64 v3, null, v3, v9, s3
	flat_load_ushort v2, v[2:3]
	s_waitcnt vmcnt(0) lgkmcnt(0)
	v_mul_f16_e32 v14, s11, v2
.LBB218_16:
	s_or_b32 exec_lo, exec_lo, s6
	v_or_b32_e32 v8, 4, v98
	v_min_i32_e32 v2, s23, v8
	v_cmp_le_i32_e64 s3, s10, v8
	v_ashrrev_i32_e32 v3, 31, v2
	v_lshlrev_b64 v[2:3], 1, v[2:3]
	v_add_co_u32 v15, s6, s14, v2
	v_add_co_ci_u32_e64 v16, null, s15, v3, s6
	s_or_b32 s6, s3, vcc_lo
	v_cndmask_b32_e64 v8, 0, 0x7c00, s6
	s_nor_b32 s6, s24, s6
	s_and_saveexec_b32 s27, s6
	s_cbranch_execz .LBB218_18
; %bb.17:
	s_waitcnt lgkmcnt(0)
	v_mad_i64_i32 v[8:9], null, v4, s25, 0
	v_lshlrev_b64 v[8:9], 1, v[8:9]
	v_add_co_u32 v8, s6, v15, v8
	v_add_co_ci_u32_e64 v9, null, v16, v9, s6
	flat_load_ushort v8, v[8:9]
	s_waitcnt vmcnt(0) lgkmcnt(0)
	v_mul_f16_e32 v8, s11, v8
.LBB218_18:
	s_or_b32 exec_lo, exec_lo, s27
	s_or_b32 s6, s3, s0
	v_cndmask_b32_e64 v9, 0, 0x7c00, s6
	s_nor_b32 s6, s24, s6
	s_and_saveexec_b32 s27, s6
	s_cbranch_execz .LBB218_20
; %bb.19:
	s_waitcnt lgkmcnt(0)
	v_mad_i64_i32 v[17:18], null, v5, s25, 0
	v_lshlrev_b64 v[17:18], 1, v[17:18]
	v_add_co_u32 v15, s6, v15, v17
	v_add_co_ci_u32_e64 v16, null, v16, v18, s6
	flat_load_ushort v9, v[15:16]
	s_waitcnt vmcnt(0) lgkmcnt(0)
	v_mul_f16_e32 v9, s11, v9
.LBB218_20:
	s_or_b32 exec_lo, exec_lo, s27
	v_add_co_u32 v15, s6, s16, v2
	v_add_co_ci_u32_e64 v16, null, s17, v3, s6
	s_or_b32 s6, s3, s1
	v_cndmask_b32_e64 v2, 0, 0x7c00, s6
	s_nor_b32 s6, s24, s6
	s_and_saveexec_b32 s27, s6
	s_cbranch_execz .LBB218_22
; %bb.21:
	s_waitcnt lgkmcnt(0)
	v_mad_i64_i32 v[2:3], null, v6, s26, 0
	v_lshlrev_b64 v[2:3], 1, v[2:3]
	v_add_co_u32 v2, s6, v15, v2
	v_add_co_ci_u32_e64 v3, null, v16, v3, s6
	flat_load_ushort v2, v[2:3]
	s_waitcnt vmcnt(0) lgkmcnt(0)
	v_mul_f16_e32 v2, s11, v2
.LBB218_22:
	s_or_b32 exec_lo, exec_lo, s27
	s_or_b32 s3, s3, s2
	v_cndmask_b32_e64 v3, 0, 0x7c00, s3
	s_nor_b32 s3, s24, s3
	s_and_saveexec_b32 s6, s3
	s_cbranch_execz .LBB218_24
; %bb.23:
	s_waitcnt lgkmcnt(0)
	v_mad_i64_i32 v[17:18], null, v7, s26, 0
	v_lshlrev_b64 v[17:18], 1, v[17:18]
	v_add_co_u32 v15, s3, v15, v17
	v_add_co_ci_u32_e64 v16, null, v16, v18, s3
	flat_load_ushort v3, v[15:16]
	s_waitcnt vmcnt(0) lgkmcnt(0)
	v_mul_f16_e32 v3, s11, v3
.LBB218_24:
	s_or_b32 exec_lo, exec_lo, s6
	v_lshlrev_b32_e32 v10, 3, v10
	v_lshlrev_b32_e32 v100, 3, v1
	;; [unrolled: 1-line block ×3, first 2 shown]
	s_load_dwordx2 s[18:19], s[18:19], 0x0
	s_cmp_lt_i32 s10, 9
	v_lshl_or_b32 v106, v98, 1, v10
	v_add_nc_u32_e32 v30, 0x800, v100
	ds_write_b16 v106, v11
	ds_write_b16 v106, v12 offset:512
	ds_write_b16 v106, v13 offset:2048
	;; [unrolled: 1-line block ×3, first 2 shown]
	s_waitcnt lgkmcnt(0)
	s_barrier
	buffer_gl0_inv
	ds_read2_b64 v[10:13], v101 offset1:32
	ds_read2_b64 v[14:17], v30 offset1:8
	ds_read2_b64 v[18:21], v101 offset0:64 offset1:96
	ds_read2_b64 v[22:25], v30 offset0:16 offset1:24
	;; [unrolled: 1-line block ×3, first 2 shown]
	s_waitcnt lgkmcnt(3)
	v_pk_add_f16 v31, v10, v14
	v_pk_add_f16 v32, v12, v14
	s_waitcnt lgkmcnt(2)
	v_pk_add_f16 v33, v18, v14
	v_pk_add_f16 v34, v20, v14
	;; [unrolled: 1-line block ×6, first 2 shown]
	s_waitcnt lgkmcnt(1)
	v_pk_add_f16 v39, v10, v22
	v_pk_add_f16 v40, v12, v22
	;; [unrolled: 1-line block ×20, first 2 shown]
	ds_read2_b64 v[14:17], v30 offset0:48 offset1:56
	v_pk_add_f16 v61, v11, v25
	v_pk_add_f16 v62, v13, v25
	;; [unrolled: 1-line block ×4, first 2 shown]
	ds_read2_b64 v[22:25], v30 offset0:64 offset1:72
	s_waitcnt lgkmcnt(2)
	v_pk_add_f16 v47, v10, v26
	v_pk_add_f16 v48, v12, v26
	;; [unrolled: 1-line block ×16, first 2 shown]
	s_waitcnt lgkmcnt(1)
	v_pk_add_f16 v79, v10, v14
	v_pk_add_f16 v80, v12, v14
	;; [unrolled: 1-line block ×14, first 2 shown]
	ds_read2_b64 v[26:29], v30 offset0:80 offset1:88
	v_pk_add_f16 v123, v19, v17
	v_pk_add_f16 v124, v21, v17
	s_waitcnt lgkmcnt(1)
	v_pk_add_f16 v125, v10, v22
	v_pk_add_f16 v127, v12, v22
	;; [unrolled: 1-line block ×14, first 2 shown]
	ds_read2_b64 v[14:17], v30 offset0:96 offset1:104
	v_pk_add_f16 v140, v19, v25
	v_pk_add_f16 v141, v21, v25
	ds_read2_b64 v[22:25], v30 offset0:112 offset1:120
	s_waitcnt lgkmcnt(2)
	v_pk_add_f16 v142, v10, v26
	v_pk_add_f16 v143, v12, v26
	v_pk_add_f16 v144, v18, v26
	v_pk_add_f16 v26, v20, v26
	v_pk_add_f16 v145, v10, v28
	v_pk_add_f16 v146, v12, v28
	v_pk_add_f16 v147, v18, v28
	v_pk_add_f16 v28, v20, v28
	v_pk_add_f16 v148, v11, v27
	v_pk_add_f16 v149, v13, v27
	v_pk_add_f16 v150, v19, v27
	v_pk_add_f16 v27, v21, v27
	v_pk_add_f16 v151, v11, v29
	v_pk_add_f16 v30, v13, v29
	v_pk_add_f16 v152, v19, v29
	v_pk_add_f16 v29, v21, v29
	s_waitcnt lgkmcnt(1)
	v_pk_add_f16 v153, v10, v14
	v_pk_add_f16 v154, v12, v14
	v_pk_add_f16 v155, v18, v14
	v_pk_add_f16 v14, v20, v14
	v_pk_add_f16 v156, v10, v16
	v_pk_add_f16 v157, v12, v16
	v_pk_add_f16 v158, v18, v16
	v_pk_add_f16 v16, v20, v16
	v_pk_add_f16 v159, v11, v15
	v_pk_add_f16 v160, v13, v15
	v_pk_add_f16 v161, v19, v15
	v_pk_add_f16 v15, v21, v15
	v_pk_add_f16 v162, v11, v17
	v_pk_add_f16 v163, v13, v17
	v_pk_add_f16 v164, v19, v17
	v_pk_add_f16 v17, v21, v17
	;; [unrolled: 17-line block ×3, first 2 shown]
	v_pk_min_f16 v25, 0x7c00, v35 op_sel_hi:[0,1]
	v_pk_min_f16 v31, 0x7c00, v31 op_sel_hi:[0,1]
	;; [unrolled: 1-line block ×5, first 2 shown]
	v_pk_min_f16 v116, v25, v53
	v_pk_min_f16 v25, 0x7c00, v40 op_sel_hi:[0,1]
	v_pk_min_f16 v126, v31, v49
	v_pk_min_f16 v31, 0x7c00, v36 op_sel_hi:[0,1]
	v_pk_min_f16 v120, v32, v50
	v_pk_min_f16 v117, v33, v51
	;; [unrolled: 1-line block ×3, first 2 shown]
	v_pk_min_f16 v25, 0x7c00, v45 op_sel_hi:[0,1]
	v_pk_min_f16 v32, 0x7c00, v37 op_sel_hi:[0,1]
	;; [unrolled: 1-line block ×3, first 2 shown]
	v_pk_min_f16 v115, v31, v54
	v_pk_min_f16 v31, 0x7c00, v41 op_sel_hi:[0,1]
	v_pk_min_f16 v105, v25, v63
	v_pk_min_f16 v25, 0x7c00, v66 op_sel_hi:[0,1]
	v_pk_min_f16 v118, v34, v52
	v_pk_min_f16 v34, 0x7c00, v39 op_sel_hi:[0,1]
	v_pk_min_f16 v114, v32, v55
	v_pk_min_f16 v113, v33, v56
	v_pk_min_f16 v32, 0x7c00, v42 op_sel_hi:[0,1]
	v_pk_min_f16 v33, 0x7c00, v43 op_sel_hi:[0,1]
	v_pk_min_f16 v110, v31, v59
	v_pk_min_f16 v31, 0x7c00, v46 op_sel_hi:[0,1]
	v_pk_min_f16 v97, v25, v74
	v_pk_min_f16 v25, 0x7c00, v79 op_sel_hi:[0,1]
	v_pk_min_f16 v112, v34, v57
	v_pk_min_f16 v34, 0x7c00, v44 op_sel_hi:[0,1]
	v_pk_min_f16 v109, v32, v60
	v_pk_min_f16 v108, v33, v61
	v_pk_min_f16 v32, 0x7c00, v47 op_sel_hi:[0,1]
	v_pk_min_f16 v33, 0x7c00, v48 op_sel_hi:[0,1]
	;; [unrolled: 10-line block ×4, first 2 shown]
	v_pk_min_f16 v91, v31, v88
	v_pk_min_f16 v31, 0x7c00, v85 op_sel_hi:[0,1]
	v_pk_min_f16 v82, v25, v136
	v_pk_min_f16 v25, 0x7c00, v133 op_sel_hi:[0,1]
	v_pk_min_f16 v26, 0x7c00, v26 op_sel_hi:[0,1]
	v_pk_min_f16 v93, v34, v78
	v_pk_min_f16 v34, 0x7c00, v83 op_sel_hi:[0,1]
	v_pk_min_f16 v90, v32, v89
	v_pk_min_f16 v89, v33, v119
	v_pk_min_f16 v32, 0x7c00, v86 op_sel_hi:[0,1]
	v_pk_min_f16 v33, 0x7c00, v125 op_sel_hi:[0,1]
	v_pk_min_f16 v86, v31, v123
	v_pk_min_f16 v31, 0x7c00, v129 op_sel_hi:[0,1]
	v_pk_min_f16 v77, v25, v141
	v_pk_min_f16 v73, v26, v27
	v_pk_min_f16 v25, 0x7c00, v145 op_sel_hi:[0,1]
	v_pk_min_f16 v26, 0x7c00, v146 op_sel_hi:[0,1]
	;; [unrolled: 1-line block ×3, first 2 shown]
	v_pk_min_f16 v88, v34, v121
	v_pk_min_f16 v34, 0x7c00, v127 op_sel_hi:[0,1]
	v_pk_min_f16 v85, v32, v124
	v_pk_min_f16 v84, v33, v134
	v_pk_min_f16 v32, 0x7c00, v130 op_sel_hi:[0,1]
	v_pk_min_f16 v33, 0x7c00, v131 op_sel_hi:[0,1]
	v_pk_min_f16 v81, v31, v137
	v_pk_min_f16 v31, 0x7c00, v142 op_sel_hi:[0,1]
	v_pk_min_f16 v27, 0x7c00, v147 op_sel_hi:[0,1]
	;; [unrolled: 1-line block ×3, first 2 shown]
	v_pk_min_f16 v72, v25, v151
	v_pk_min_f16 v71, v26, v30
	v_pk_min_f16 v25, 0x7c00, v154 op_sel_hi:[0,1]
	v_pk_min_f16 v26, 0x7c00, v155 op_sel_hi:[0,1]
	v_pk_min_f16 v65, v14, v15
	v_pk_min_f16 v14, 0x7c00, v158 op_sel_hi:[0,1]
	v_pk_min_f16 v15, 0x7c00, v16 op_sel_hi:[0,1]
	;; [unrolled: 1-line block ×3, first 2 shown]
	v_pk_min_f16 v83, v34, v135
	v_pk_min_f16 v34, 0x7c00, v132 op_sel_hi:[0,1]
	v_pk_min_f16 v80, v32, v138
	v_pk_min_f16 v79, v33, v139
	v_pk_min_f16 v32, 0x7c00, v143 op_sel_hi:[0,1]
	v_pk_min_f16 v33, 0x7c00, v144 op_sel_hi:[0,1]
	v_pk_min_f16 v76, v31, v148
	v_pk_min_f16 v31, 0x7c00, v153 op_sel_hi:[0,1]
	v_pk_min_f16 v70, v27, v152
	v_pk_min_f16 v69, v28, v29
	v_pk_min_f16 v27, 0x7c00, v156 op_sel_hi:[0,1]
	v_pk_min_f16 v28, 0x7c00, v157 op_sel_hi:[0,1]
	v_pk_min_f16 v67, v25, v160
	v_pk_min_f16 v66, v26, v161
	v_pk_min_f16 v25, 0x7c00, v166 op_sel_hi:[0,1]
	v_pk_min_f16 v26, 0x7c00, v169 op_sel_hi:[0,1]
	v_pk_min_f16 v62, v14, v164
	v_pk_min_f16 v61, v15, v17
	;; [unrolled: 1-line block ×3, first 2 shown]
	v_pk_min_f16 v14, 0x7c00, v22 op_sel_hi:[0,1]
	v_pk_min_f16 v10, 0x7c00, v10 op_sel_hi:[0,1]
	;; [unrolled: 1-line block ×5, first 2 shown]
	v_pk_min_f16 v78, v34, v140
	v_pk_min_f16 v75, v32, v149
	;; [unrolled: 1-line block ×13, first 2 shown]
	ds_write_b16 v106, v8 offset:1024
	ds_write_b16 v106, v9 offset:1536
	;; [unrolled: 1-line block ×4, first 2 shown]
	s_waitcnt lgkmcnt(0)
	s_barrier
	buffer_gl0_inv
	s_cbranch_scc1 .LBB218_43
; %bb.25:
	v_mad_i64_i32 v[2:3], null, v4, s25, 0
	v_mad_i64_i32 v[4:5], null, v5, s25, 0
	;; [unrolled: 1-line block ×4, first 2 shown]
	v_lshlrev_b64 v[45:46], 1, v[2:3]
	v_add_nc_u32_e32 v119, 0x800, v106
	v_lshlrev_b64 v[47:48], 1, v[4:5]
	v_or_b32_e32 v121, 0x800, v100
	v_lshlrev_b64 v[49:50], 1, v[8:9]
	v_add_nc_u32_e32 v122, 0x400, v106
	v_lshlrev_b64 v[51:52], 1, v[6:7]
	v_add_nc_u32_e32 v123, 0xc00, v106
	v_lshl_add_u32 v124, v0, 3, 0x400
	v_lshl_add_u32 v125, v1, 3, 0xc00
	s_add_i32 s25, s10, -8
	s_mov_b32 s26, 0
	s_branch .LBB218_27
.LBB218_26:                             ;   in Loop: Header=BB218_27 Depth=1
	s_or_b32 exec_lo, exec_lo, s6
	v_pk_add_f16 v6, v9, v41
	v_pk_max_f16 v7, v126, v126
	v_pk_add_f16 v8, v11, v41
	v_pk_add_f16 v126, v13, v41
	;; [unrolled: 1-line block ×3, first 2 shown]
	v_pk_max_f16 v116, v116, v116
	v_pk_min_f16 v6, v7, v6
	v_pk_max_f16 v7, v117, v117
	v_pk_max_f16 v117, v118, v118
	v_pk_add_f16 v118, v9, v43
	v_pk_max_f16 v120, v120, v120
	v_pk_add_f16 v131, v11, v43
	v_pk_max_f16 v114, v114, v114
	v_pk_min_f16 v41, v117, v41
	v_pk_min_f16 v116, v116, v118
	v_pk_add_f16 v117, v13, v43
	v_pk_add_f16 v43, v15, v43
	v_pk_max_f16 v113, v113, v113
	v_pk_add_f16 v118, v9, v37
	v_pk_max_f16 v112, v112, v112
	v_pk_min_f16 v8, v120, v8
	v_pk_min_f16 v7, v7, v126
	v_pk_add_f16 v120, v11, v37
	v_pk_add_f16 v126, v13, v37
	v_pk_min_f16 v114, v114, v117
	v_pk_min_f16 v43, v113, v43
	v_pk_min_f16 v112, v112, v118
	v_pk_add_f16 v37, v15, v37
	v_pk_max_f16 v109, v109, v109
	v_pk_add_f16 v113, v9, v39
	v_pk_max_f16 v108, v108, v108
	v_pk_add_f16 v117, v11, v39
	v_pk_add_f16 v118, v13, v39
	;; [unrolled: 1-line block ×3, first 2 shown]
	v_pk_max_f16 v104, v104, v104
	v_pk_max_f16 v107, v107, v107
	v_pk_min_f16 v37, v109, v37
	v_pk_min_f16 v108, v108, v113
	v_pk_max_f16 v103, v103, v103
	v_pk_min_f16 v39, v104, v39
	v_pk_add_f16 v104, v9, v33
	v_pk_add_f16 v109, v11, v33
	;; [unrolled: 1-line block ×4, first 2 shown]
	v_pk_max_f16 v97, v97, v97
	v_pk_min_f16 v107, v107, v117
	v_pk_max_f16 v102, v102, v102
	v_pk_max_f16 v99, v99, v99
	v_pk_add_f16 v117, v9, v35
	v_pk_min_f16 v103, v103, v104
	v_pk_min_f16 v33, v97, v33
	v_pk_add_f16 v97, v11, v35
	v_pk_max_f16 v95, v95, v95
	v_pk_add_f16 v104, v13, v35
	v_pk_add_f16 v35, v15, v35
	v_pk_max_f16 v93, v93, v93
	v_pk_min_f16 v102, v102, v109
	v_pk_min_f16 v99, v99, v113
	v_pk_max_f16 v94, v94, v94
	v_pk_add_f16 v109, v9, v29
	v_pk_max_f16 v92, v92, v92
	v_pk_add_f16 v113, v11, v29
	v_pk_min_f16 v95, v95, v97
	v_pk_min_f16 v35, v93, v35
	v_pk_add_f16 v93, v13, v29
	v_pk_max_f16 v90, v90, v90
	v_pk_add_f16 v29, v15, v29
	v_pk_max_f16 v89, v89, v89
	v_pk_add_f16 v97, v9, v31
	v_pk_max_f16 v88, v88, v88
	v_pk_min_f16 v94, v94, v104
	v_pk_min_f16 v92, v92, v109
	v_pk_add_f16 v104, v11, v31
	v_pk_add_f16 v109, v13, v31
	v_pk_min_f16 v90, v90, v93
	v_pk_min_f16 v29, v89, v29
	;; [unrolled: 1-line block ×3, first 2 shown]
	v_pk_add_f16 v31, v15, v31
	v_pk_max_f16 v85, v85, v85
	v_pk_add_f16 v89, v9, v25
	v_pk_max_f16 v84, v84, v84
	v_pk_add_f16 v93, v11, v25
	v_pk_add_f16 v97, v13, v25
	;; [unrolled: 1-line block ×3, first 2 shown]
	v_pk_max_f16 v81, v81, v81
	v_pk_max_f16 v83, v83, v83
	v_pk_min_f16 v31, v85, v31
	v_pk_min_f16 v84, v84, v89
	v_pk_max_f16 v80, v80, v80
	v_pk_min_f16 v25, v81, v25
	v_pk_add_f16 v81, v9, v27
	v_pk_add_f16 v85, v11, v27
	;; [unrolled: 1-line block ×4, first 2 shown]
	v_pk_max_f16 v77, v77, v77
	v_pk_min_f16 v83, v83, v93
	v_pk_max_f16 v79, v79, v79
	v_pk_max_f16 v78, v78, v78
	v_pk_add_f16 v93, v9, v21
	v_pk_min_f16 v80, v80, v81
	v_pk_min_f16 v27, v77, v27
	v_pk_add_f16 v77, v11, v21
	v_pk_max_f16 v75, v75, v75
	v_pk_add_f16 v81, v13, v21
	v_pk_add_f16 v21, v15, v21
	v_pk_max_f16 v73, v73, v73
	v_pk_min_f16 v79, v79, v85
	v_pk_min_f16 v78, v78, v89
	v_pk_add_f16 v85, v9, v23
	v_pk_add_f16 v89, v11, v23
	v_pk_min_f16 v75, v75, v77
	v_pk_min_f16 v21, v73, v21
	v_pk_add_f16 v73, v13, v23
	v_pk_max_f16 v70, v70, v70
	v_pk_add_f16 v23, v15, v23
	v_pk_max_f16 v69, v69, v69
	;; [unrolled: 2-line block ×3, first 2 shown]
	v_pk_max_f16 v74, v74, v74
	v_pk_max_f16 v72, v72, v72
	v_pk_min_f16 v70, v70, v73
	v_pk_min_f16 v23, v69, v23
	;; [unrolled: 1-line block ×3, first 2 shown]
	v_pk_add_f16 v69, v9, v4
	v_pk_max_f16 v64, v64, v64
	v_pk_add_f16 v73, v11, v4
	v_pk_add_f16 v77, v13, v4
	;; [unrolled: 1-line block ×3, first 2 shown]
	v_pk_max_f16 v61, v61, v61
	v_pk_min_f16 v74, v74, v81
	v_pk_min_f16 v72, v72, v85
	v_pk_add_f16 v81, v11, v2
	v_pk_add_f16 v85, v13, v2
	;; [unrolled: 1-line block ×3, first 2 shown]
	v_pk_max_f16 v65, v65, v65
	v_pk_min_f16 v64, v64, v69
	v_pk_min_f16 v61, v61, v4
	v_pk_add_f16 v4, v9, v17
	v_pk_max_f16 v60, v60, v60
	v_pk_add_f16 v69, v13, v17
	v_pk_max_f16 v58, v58, v58
	;; [unrolled: 2-line block ×3, first 2 shown]
	v_pk_max_f16 v67, v67, v67
	v_pk_max_f16 v63, v63, v63
	v_pk_min_f16 v2, v65, v2
	v_pk_add_f16 v65, v11, v17
	v_pk_add_f16 v17, v15, v17
	v_pk_min_f16 v60, v60, v4
	v_pk_min_f16 v58, v58, v69
	;; [unrolled: 1-line block ×3, first 2 shown]
	v_pk_add_f16 v4, v11, v19
	v_pk_max_f16 v9, v55, v55
	v_pk_add_f16 v11, v13, v19
	v_pk_add_f16 v15, v15, v19
	;; [unrolled: 1-line block ×3, first 2 shown]
	v_pk_max_f16 v71, v71, v71
	v_pk_max_f16 v66, v66, v66
	v_pk_min_f16 v67, v67, v81
	v_pk_min_f16 v63, v63, v73
	;; [unrolled: 1-line block ×3, first 2 shown]
	v_pk_add_f16 v4, v12, v42
	v_pk_min_f16 v81, v6, v19
	v_pk_add_f16 v6, v14, v42
	v_pk_max_f16 v76, v76, v76
	v_pk_min_f16 v71, v71, v89
	v_pk_min_f16 v66, v66, v85
	;; [unrolled: 1-line block ×3, first 2 shown]
	v_pk_add_f16 v4, v16, v42
	v_pk_min_f16 v89, v7, v6
	v_pk_add_f16 v6, v14, v44
	v_pk_max_f16 v86, v86, v86
	v_pk_min_f16 v76, v76, v93
	v_pk_add_f16 v8, v10, v44
	v_pk_add_f16 v9, v12, v44
	v_pk_min_f16 v93, v41, v4
	v_pk_add_f16 v4, v16, v44
	v_pk_min_f16 v44, v114, v6
	;; [unrolled: 2-line block ×3, first 2 shown]
	v_pk_max_f16 v111, v111, v111
	v_pk_min_f16 v43, v43, v4
	v_pk_add_f16 v4, v16, v38
	v_pk_min_f16 v109, v112, v6
	v_pk_add_f16 v6, v10, v40
	v_pk_max_f16 v110, v110, v110
	v_pk_max_f16 v82, v82, v82
	v_pk_min_f16 v135, v37, v4
	v_pk_add_f16 v4, v12, v40
	v_pk_min_f16 v108, v108, v6
	v_pk_add_f16 v6, v10, v34
	v_pk_min_f16 v111, v111, v120
	v_pk_min_f16 v110, v110, v126
	;; [unrolled: 1-line block ×3, first 2 shown]
	v_pk_add_f16 v4, v12, v34
	v_pk_min_f16 v103, v103, v6
	v_pk_add_f16 v6, v14, v34
	v_pk_max_f16 v105, v105, v105
	v_pk_min_f16 v82, v82, v97
	v_pk_min_f16 v97, v116, v8
	v_pk_add_f16 v7, v12, v38
	v_pk_add_f16 v8, v14, v38
	v_pk_min_f16 v102, v102, v4
	v_pk_add_f16 v4, v12, v36
	v_pk_min_f16 v99, v99, v6
	v_pk_add_f16 v6, v14, v36
	v_pk_min_f16 v105, v105, v118
	v_pk_max_f16 v96, v96, v96
	v_pk_min_f16 v111, v111, v7
	v_pk_min_f16 v110, v110, v8
	v_pk_add_f16 v7, v14, v40
	v_pk_add_f16 v8, v16, v40
	v_pk_min_f16 v95, v95, v4
	v_pk_add_f16 v4, v16, v36
	v_pk_min_f16 v94, v94, v6
	v_pk_add_f16 v6, v14, v30
	v_pk_min_f16 v96, v96, v117
	;; [unrolled: 10-line block ×4, first 2 shown]
	v_pk_min_f16 v92, v92, v7
	v_pk_min_f16 v91, v91, v8
	v_pk_add_f16 v7, v12, v32
	v_pk_add_f16 v8, v14, v32
	v_pk_min_f16 v140, v31, v4
	v_pk_add_f16 v4, v12, v26
	v_pk_min_f16 v84, v84, v6
	v_pk_add_f16 v6, v10, v28
	v_pk_min_f16 v87, v87, v7
	v_pk_min_f16 v86, v86, v8
	v_pk_add_f16 v7, v14, v26
	v_pk_add_f16 v8, v16, v26
	v_pk_min_f16 v83, v83, v4
	v_pk_add_f16 v4, v12, v28
	v_pk_min_f16 v38, v80, v6
	v_pk_add_f16 v6, v14, v28
	;; [unrolled: 8-line block ×3, first 2 shown]
	v_pk_max_f16 v59, v59, v59
	v_pk_max_f16 v57, v57, v57
	v_pk_min_f16 v37, v27, v7
	v_pk_min_f16 v35, v76, v8
	;; [unrolled: 1-line block ×3, first 2 shown]
	v_pk_add_f16 v4, v16, v22
	v_pk_add_f16 v7, v10, v24
	;; [unrolled: 1-line block ×3, first 2 shown]
	v_pk_min_f16 v36, v74, v6
	v_pk_add_f16 v6, v14, v24
	v_pk_max_f16 v115, v115, v115
	v_pk_max_f16 v62, v62, v62
	v_pk_min_f16 v59, v59, v65
	v_pk_min_f16 v65, v57, v17
	v_pk_max_f16 v13, v54, v54
	v_pk_max_f16 v17, v53, v53
	v_pk_min_f16 v33, v21, v4
	v_pk_min_f16 v32, v72, v7
	;; [unrolled: 1-line block ×3, first 2 shown]
	v_pk_add_f16 v4, v16, v24
	v_pk_min_f16 v30, v70, v6
	v_pk_add_f16 v6, v10, v3
	v_pk_add_f16 v7, v12, v3
	;; [unrolled: 1-line block ×4, first 2 shown]
	v_pk_min_f16 v115, v115, v131
	v_pk_min_f16 v62, v62, v77
	v_pk_min_f16 v11, v13, v11
	v_pk_min_f16 v77, v17, v15
	v_pk_min_f16 v29, v23, v4
	v_pk_min_f16 v28, v68, v6
	v_pk_add_f16 v4, v10, v5
	v_pk_min_f16 v21, v2, v3
	v_pk_add_f16 v2, v12, v5
	v_pk_add_f16 v3, v14, v5
	;; [unrolled: 1-line block ×6, first 2 shown]
	v_pk_min_f16 v104, v115, v9
	v_pk_min_f16 v27, v67, v7
	;; [unrolled: 1-line block ×6, first 2 shown]
	ds_read2_b64 v[2:5], v101 offset1:32
	ds_read2_b64 v[53:56], v121 offset1:8
	v_pk_min_f16 v26, v61, v6
	ds_read2_b64 v[6:9], v101 offset0:64 offset1:96
	v_pk_min_f16 v24, v60, v13
	v_pk_min_f16 v23, v59, v17
	;; [unrolled: 1-line block ×3, first 2 shown]
	ds_read2_b64 v[57:60], v121 offset0:16 offset1:24
	v_pk_add_f16 v13, v16, v18
	v_pk_add_f16 v10, v10, v20
	;; [unrolled: 1-line block ×5, first 2 shown]
	v_pk_min_f16 v14, v65, v13
	v_pk_min_f16 v13, v69, v10
	;; [unrolled: 1-line block ×5, first 2 shown]
	ds_read2_b64 v[61:64], v121 offset0:32 offset1:40
	ds_read2_b64 v[65:68], v121 offset0:48 offset1:56
	;; [unrolled: 1-line block ×3, first 2 shown]
	v_pk_max_f16 v44, v44, v44
	s_waitcnt lgkmcnt(5)
	v_pk_add_f16 v16, v2, v53
	v_pk_add_f16 v18, v4, v53
	;; [unrolled: 1-line block ×4, first 2 shown]
	s_waitcnt lgkmcnt(4)
	v_pk_add_f16 v75, v6, v55
	v_pk_add_f16 v76, v8, v55
	s_waitcnt lgkmcnt(3)
	v_pk_add_f16 v77, v2, v57
	v_pk_add_f16 v78, v4, v57
	;; [unrolled: 1-line block ×4, first 2 shown]
	v_pk_max_f16 v55, v81, v81
	v_pk_max_f16 v57, v85, v85
	v_pk_add_f16 v20, v6, v53
	v_pk_max_f16 v81, v89, v89
	v_pk_add_f16 v82, v2, v59
	v_pk_min_f16 v16, v55, v16
	v_pk_add_f16 v55, v5, v54
	v_pk_min_f16 v18, v57, v18
	v_pk_add_f16 v141, v4, v59
	v_pk_add_f16 v142, v6, v59
	v_pk_add_f16 v143, v8, v59
	v_pk_add_f16 v59, v3, v54
	v_pk_min_f16 v120, v18, v55
	v_pk_max_f16 v18, v97, v97
	v_pk_min_f16 v20, v81, v20
	v_pk_add_f16 v81, v3, v56
	v_pk_add_f16 v53, v8, v53
	;; [unrolled: 1-line block ×3, first 2 shown]
	v_pk_min_f16 v18, v18, v73
	v_pk_min_f16 v126, v16, v59
	v_pk_max_f16 v16, v93, v93
	v_pk_add_f16 v97, v3, v58
	v_pk_min_f16 v117, v20, v57
	v_pk_min_f16 v116, v18, v81
	v_pk_max_f16 v18, v109, v109
	v_pk_add_f16 v20, v9, v54
	v_pk_min_f16 v16, v16, v53
	v_pk_max_f16 v57, v104, v104
	v_pk_add_f16 v85, v5, v56
	v_pk_min_f16 v18, v18, v77
	v_pk_add_f16 v93, v9, v56
	v_pk_min_f16 v118, v16, v20
	v_pk_min_f16 v16, v57, v74
	v_pk_max_f16 v20, v43, v43
	v_pk_min_f16 v112, v18, v97
	v_pk_max_f16 v18, v110, v110
	v_pk_add_f16 v150, v7, v58
	v_pk_min_f16 v115, v16, v85
	v_pk_min_f16 v16, v20, v76
	v_pk_add_f16 v152, v3, v60
	v_pk_min_f16 v18, v18, v79
	v_pk_add_f16 v154, v7, v60
	s_waitcnt lgkmcnt(0)
	v_pk_add_f16 v76, v2, v69
	v_pk_min_f16 v113, v16, v93
	v_pk_max_f16 v16, v111, v111
	v_pk_min_f16 v110, v18, v150
	v_pk_max_f16 v18, v108, v108
	v_pk_add_f16 v77, v4, v69
	v_pk_add_f16 v79, v6, v69
	v_pk_min_f16 v16, v16, v78
	v_pk_max_f16 v78, v105, v105
	v_pk_min_f16 v18, v18, v82
	v_pk_add_f16 v144, v2, v61
	v_pk_add_f16 v156, v3, v62
	;; [unrolled: 1-line block ×4, first 2 shown]
	v_pk_min_f16 v108, v18, v152
	v_pk_add_f16 v18, v8, v69
	v_pk_min_f16 v69, v78, v142
	v_pk_add_f16 v147, v2, v63
	v_pk_add_f16 v158, v7, v62
	v_pk_max_f16 v82, v102, v102
	v_pk_max_f16 v85, v96, v96
	v_pk_min_f16 v105, v69, v154
	v_pk_max_f16 v69, v103, v103
	v_pk_add_f16 v157, v5, v62
	v_pk_add_f16 v159, v3, v64
	v_pk_min_f16 v82, v82, v145
	v_pk_add_f16 v61, v8, v61
	v_pk_min_f16 v69, v69, v144
	v_pk_add_f16 v149, v6, v63
	v_pk_add_f16 v148, v4, v63
	v_pk_min_f16 v102, v82, v157
	v_pk_max_f16 v82, v137, v137
	v_pk_min_f16 v103, v69, v156
	v_pk_max_f16 v69, v99, v99
	v_pk_add_f16 v63, v8, v63
	v_pk_add_f16 v161, v7, v64
	v_pk_min_f16 v61, v82, v61
	v_pk_max_f16 v82, v138, v138
	v_pk_min_f16 v69, v69, v146
	v_pk_add_f16 v89, v7, v56
	v_pk_add_f16 v160, v5, v64
	v_pk_add_f16 v64, v9, v64
	v_pk_min_f16 v43, v44, v75
	v_pk_min_f16 v99, v69, v158
	;; [unrolled: 1-line block ×3, first 2 shown]
	v_pk_add_f16 v20, v2, v65
	v_pk_min_f16 v63, v82, v63
	v_pk_min_f16 v114, v43, v89
	v_pk_add_f16 v43, v4, v65
	v_pk_min_f16 v96, v69, v159
	v_pk_max_f16 v69, v94, v94
	v_pk_add_f16 v44, v6, v65
	v_pk_min_f16 v93, v63, v64
	v_pk_max_f16 v63, v91, v91
	v_pk_max_f16 v64, v90, v90
	v_pk_min_f16 v69, v69, v149
	v_pk_add_f16 v104, v5, v58
	v_pk_add_f16 v65, v8, v65
	v_pk_min_f16 v43, v63, v43
	v_pk_add_f16 v63, v5, v66
	v_pk_min_f16 v94, v69, v161
	v_pk_max_f16 v69, v92, v92
	v_pk_min_f16 v44, v64, v44
	v_pk_add_f16 v64, v7, v66
	v_pk_add_f16 v74, v2, v67
	v_pk_min_f16 v111, v16, v104
	v_pk_min_f16 v20, v69, v20
	v_pk_add_f16 v69, v3, v66
	v_pk_add_f16 v16, v4, v67
	v_pk_min_f16 v91, v43, v63
	v_pk_min_f16 v90, v44, v64
	v_pk_max_f16 v63, v88, v88
	v_pk_min_f16 v92, v20, v69
	v_pk_max_f16 v69, v139, v139
	v_pk_max_f16 v73, v135, v135
	v_pk_add_f16 v75, v6, v67
	v_pk_min_f16 v63, v63, v74
	v_pk_add_f16 v74, v5, v68
	v_pk_min_f16 v64, v69, v65
	v_pk_max_f16 v65, v87, v87
	v_pk_add_f16 v67, v8, v67
	v_pk_add_f16 v151, v9, v58
	v_pk_min_f16 v73, v73, v80
	ds_read2_b64 v[53:56], v121 offset0:80 offset1:88
	v_pk_min_f16 v16, v65, v16
	v_pk_add_f16 v65, v3, v68
	v_pk_add_f16 v66, v9, v66
	v_pk_min_f16 v109, v73, v151
	v_pk_max_f16 v73, v107, v107
	v_pk_min_f16 v87, v16, v74
	v_pk_max_f16 v16, v140, v140
	v_pk_min_f16 v88, v63, v65
	v_pk_add_f16 v63, v9, v68
	v_pk_max_f16 v42, v42, v42
	v_pk_add_f16 v153, v5, v60
	v_pk_min_f16 v16, v16, v67
	v_pk_min_f16 v73, v73, v141
	v_pk_add_f16 v80, v4, v71
	v_pk_add_f16 v81, v6, v71
	v_pk_min_f16 v89, v64, v66
	v_pk_min_f16 v85, v16, v63
	v_pk_max_f16 v16, v41, v41
	v_pk_add_f16 v64, v7, v68
	v_pk_add_f16 v68, v7, v70
	v_pk_min_f16 v42, v42, v79
	v_pk_add_f16 v41, v9, v70
	v_pk_min_f16 v16, v16, v18
	v_pk_max_f16 v18, v40, v40
	v_pk_max_f16 v39, v39, v39
	v_pk_add_f16 v78, v2, v71
	v_pk_min_f16 v107, v73, v153
	v_pk_max_f16 v73, v136, v136
	v_pk_add_f16 v71, v8, v71
	v_pk_min_f16 v82, v42, v68
	v_pk_add_f16 v42, v5, v72
	v_pk_min_f16 v18, v18, v80
	v_pk_min_f16 v39, v39, v81
	;; [unrolled: 1-line block ×3, first 2 shown]
	v_pk_max_f16 v16, v37, v37
	v_pk_add_f16 v155, v9, v60
	v_pk_min_f16 v73, v73, v143
	v_pk_max_f16 v65, v83, v83
	v_pk_min_f16 v79, v18, v42
	v_pk_add_f16 v18, v9, v72
	v_pk_min_f16 v16, v16, v71
	ds_read2_b64 v[57:60], v121 offset0:96 offset1:104
	s_waitcnt lgkmcnt(1)
	v_pk_add_f16 v135, v2, v53
	v_pk_min_f16 v104, v73, v155
	v_pk_add_f16 v73, v4, v53
	v_pk_add_f16 v136, v6, v53
	;; [unrolled: 1-line block ×3, first 2 shown]
	v_pk_min_f16 v65, v65, v77
	v_pk_min_f16 v77, v16, v18
	v_pk_max_f16 v16, v33, v33
	v_pk_max_f16 v69, v86, v86
	v_pk_max_f16 v38, v38, v38
	v_pk_max_f16 v34, v34, v34
	v_pk_add_f16 v18, v9, v54
	v_pk_min_f16 v16, v16, v53
	v_pk_add_f16 v62, v9, v62
	v_pk_add_f16 v137, v2, v55
	;; [unrolled: 1-line block ×5, first 2 shown]
	v_pk_min_f16 v69, v69, v75
	v_pk_add_f16 v40, v3, v72
	v_pk_min_f16 v38, v38, v78
	v_pk_max_f16 v35, v35, v35
	v_pk_min_f16 v34, v34, v73
	v_pk_min_f16 v73, v16, v18
	v_pk_max_f16 v16, v29, v29
	ds_read2_b64 v[131:134], v121 offset0:112 offset1:120
	v_pk_min_f16 v97, v61, v62
	v_pk_max_f16 v61, v95, v95
	v_pk_min_f16 v86, v69, v64
	v_pk_max_f16 v64, v84, v84
	v_pk_min_f16 v80, v38, v40
	v_pk_add_f16 v37, v3, v54
	v_pk_min_f16 v35, v35, v135
	v_pk_add_f16 v38, v5, v54
	v_pk_max_f16 v31, v31, v31
	v_pk_max_f16 v30, v30, v30
	v_pk_add_f16 v18, v9, v56
	v_pk_min_f16 v16, v16, v55
	s_waitcnt lgkmcnt(1)
	v_pk_add_f16 v143, v2, v57
	v_pk_add_f16 v62, v4, v57
	;; [unrolled: 1-line block ×3, first 2 shown]
	v_pk_min_f16 v61, v61, v148
	v_pk_add_f16 v57, v8, v57
	v_pk_min_f16 v64, v64, v76
	v_pk_min_f16 v76, v35, v37
	;; [unrolled: 1-line block ×3, first 2 shown]
	v_pk_add_f16 v34, v5, v56
	v_pk_min_f16 v31, v31, v141
	v_pk_add_f16 v35, v7, v56
	v_pk_min_f16 v30, v30, v142
	v_pk_max_f16 v27, v27, v27
	v_pk_max_f16 v25, v25, v25
	v_pk_min_f16 v69, v16, v18
	v_pk_max_f16 v16, v21, v21
	v_pk_min_f16 v95, v61, v160
	v_pk_add_f16 v61, v4, v59
	v_pk_add_f16 v145, v6, v59
	;; [unrolled: 1-line block ×4, first 2 shown]
	v_pk_min_f16 v71, v31, v34
	v_pk_min_f16 v70, v30, v35
	v_pk_add_f16 v30, v5, v58
	v_pk_min_f16 v27, v27, v62
	v_pk_add_f16 v31, v7, v58
	;; [unrolled: 2-line block ×3, first 2 shown]
	v_pk_min_f16 v16, v16, v57
	v_pk_max_f16 v19, v19, v19
	v_pk_max_f16 v15, v15, v15
	v_pk_add_f16 v138, v2, v59
	v_pk_add_f16 v59, v8, v59
	v_pk_min_f16 v84, v64, v66
	v_pk_min_f16 v83, v65, v67
	v_pk_add_f16 v63, v7, v72
	v_pk_min_f16 v67, v27, v30
	v_pk_min_f16 v66, v25, v31
	v_pk_max_f16 v21, v22, v22
	v_pk_add_f16 v25, v5, v60
	v_pk_min_f16 v19, v19, v61
	v_pk_add_f16 v27, v7, v60
	v_pk_min_f16 v15, v15, v145
	v_pk_min_f16 v65, v16, v18
	v_pk_max_f16 v16, v26, v26
	s_waitcnt lgkmcnt(0)
	v_pk_add_f16 v146, v2, v131
	v_pk_add_f16 v20, v4, v131
	;; [unrolled: 1-line block ×8, first 2 shown]
	v_pk_min_f16 v78, v39, v63
	v_pk_max_f16 v36, v36, v36
	v_pk_max_f16 v32, v32, v32
	;; [unrolled: 1-line block ×3, first 2 shown]
	v_pk_add_f16 v22, v3, v60
	v_pk_min_f16 v21, v21, v138
	v_pk_min_f16 v63, v19, v25
	;; [unrolled: 1-line block ×3, first 2 shown]
	v_pk_add_f16 v15, v9, v60
	v_pk_max_f16 v18, v24, v24
	v_pk_min_f16 v16, v16, v59
	v_pk_max_f16 v19, v23, v23
	v_pk_max_f16 v17, v17, v17
	;; [unrolled: 1-line block ×7, first 2 shown]
	v_pk_add_f16 v39, v7, v54
	v_pk_min_f16 v36, v36, v136
	v_pk_add_f16 v33, v3, v56
	v_pk_min_f16 v32, v32, v137
	v_pk_add_f16 v29, v3, v58
	v_pk_min_f16 v28, v28, v143
	v_pk_min_f16 v64, v21, v22
	v_pk_add_f16 v21, v3, v132
	v_pk_min_f16 v18, v18, v146
	v_pk_add_f16 v22, v5, v132
	;; [unrolled: 2-line block ×3, first 2 shown]
	v_pk_min_f16 v17, v17, v43
	v_pk_min_f16 v61, v16, v15
	v_pk_add_f16 v15, v9, v132
	v_pk_min_f16 v14, v14, v44
	v_pk_add_f16 v3, v3, v134
	;; [unrolled: 2-line block ×5, first 2 shown]
	v_pk_min_f16 v8, v11, v8
	v_pk_min_f16 v74, v36, v39
	;; [unrolled: 1-line block ×12, first 2 shown]
	s_add_i32 s26, s26, 8
	ds_write_b16 v122, v127
	ds_write_b16 v122, v128 offset:512
	ds_write_b16 v123, v129
	ds_write_b16 v123, v130 offset:512
	s_cmp_ge_i32 s26, s25
	s_waitcnt lgkmcnt(0)
	s_barrier
	buffer_gl0_inv
	s_cbranch_scc1 .LBB218_43
.LBB218_27:                             ; =>This Inner Loop Header: Depth=1
	v_add_nc_u32_e32 v4, s26, v98
	v_add_nc_u32_e32 v5, 8, v4
	v_min_i32_e32 v2, s23, v5
	v_cmp_le_i32_e64 s3, s10, v5
	v_ashrrev_i32_e32 v3, 31, v2
	v_lshlrev_b64 v[2:3], 1, v[2:3]
	v_add_co_u32 v5, s6, s14, v2
	v_add_co_ci_u32_e64 v7, null, s15, v3, s6
	s_or_b32 s6, vcc_lo, s3
	v_cndmask_b32_e64 v6, 0, 0x7c00, s6
	s_nor_b32 s6, s24, s6
	s_and_saveexec_b32 s27, s6
	s_cbranch_execz .LBB218_29
; %bb.28:                               ;   in Loop: Header=BB218_27 Depth=1
	v_add_co_u32 v8, s6, v5, v45
	v_add_co_ci_u32_e64 v9, null, v7, v46, s6
	flat_load_ushort v6, v[8:9]
	s_waitcnt vmcnt(0) lgkmcnt(0)
	v_mul_f16_e32 v6, s11, v6
.LBB218_29:                             ;   in Loop: Header=BB218_27 Depth=1
	s_or_b32 exec_lo, exec_lo, s27
	s_or_b32 s6, s0, s3
	v_cndmask_b32_e64 v8, 0, 0x7c00, s6
	s_nor_b32 s6, s24, s6
	s_and_saveexec_b32 s27, s6
	s_cbranch_execz .LBB218_31
; %bb.30:                               ;   in Loop: Header=BB218_27 Depth=1
	v_add_co_u32 v8, s6, v5, v47
	v_add_co_ci_u32_e64 v9, null, v7, v48, s6
	flat_load_ushort v5, v[8:9]
	s_waitcnt vmcnt(0) lgkmcnt(0)
	v_mul_f16_e32 v8, s11, v5
.LBB218_31:                             ;   in Loop: Header=BB218_27 Depth=1
	s_or_b32 exec_lo, exec_lo, s27
	v_add_co_u32 v2, s6, s16, v2
	v_add_co_ci_u32_e64 v3, null, s17, v3, s6
	s_or_b32 s6, s1, s3
	v_cndmask_b32_e64 v127, 0, 0x7c00, s6
	s_nor_b32 s6, s24, s6
	s_and_saveexec_b32 s27, s6
	s_cbranch_execz .LBB218_33
; %bb.32:                               ;   in Loop: Header=BB218_27 Depth=1
	v_add_co_u32 v9, s6, v2, v49
	v_add_co_ci_u32_e64 v10, null, v3, v50, s6
	flat_load_ushort v5, v[9:10]
	s_waitcnt vmcnt(0) lgkmcnt(0)
	v_mul_f16_e32 v127, s11, v5
.LBB218_33:                             ;   in Loop: Header=BB218_27 Depth=1
	s_or_b32 exec_lo, exec_lo, s27
	s_or_b32 s3, s2, s3
	v_cndmask_b32_e64 v128, 0, 0x7c00, s3
	s_nor_b32 s3, s24, s3
	s_and_saveexec_b32 s6, s3
	s_cbranch_execz .LBB218_35
; %bb.34:                               ;   in Loop: Header=BB218_27 Depth=1
	v_add_co_u32 v2, s3, v2, v51
	v_add_co_ci_u32_e64 v3, null, v3, v52, s3
	flat_load_ushort v2, v[2:3]
	s_waitcnt vmcnt(0) lgkmcnt(0)
	v_mul_f16_e32 v128, s11, v2
.LBB218_35:                             ;   in Loop: Header=BB218_27 Depth=1
	s_or_b32 exec_lo, exec_lo, s6
	v_add_nc_u32_e32 v131, 12, v4
	ds_read2_b64 v[9:12], v124 offset1:32
	ds_read2_b64 v[13:16], v124 offset0:64 offset1:96
	ds_read2_b64 v[41:44], v125 offset1:8
	ds_read2_b64 v[37:40], v125 offset0:16 offset1:24
	ds_read2_b64 v[33:36], v125 offset0:32 offset1:40
	;; [unrolled: 1-line block ×7, first 2 shown]
	ds_write_b16 v106, v6
	v_min_i32_e32 v129, s23, v131
	v_cmp_le_i32_e64 s3, s10, v131
	ds_write_b16 v106, v8 offset:512
	ds_write_b16 v119, v127
	ds_write_b16 v119, v128 offset:512
	s_waitcnt lgkmcnt(0)
	s_barrier
	v_ashrrev_i32_e32 v130, 31, v129
	buffer_gl0_inv
	v_lshlrev_b64 v[6:7], 1, v[129:130]
	v_add_co_u32 v8, s6, s14, v6
	v_add_co_ci_u32_e64 v129, null, s15, v7, s6
	s_or_b32 s6, vcc_lo, s3
	v_cndmask_b32_e64 v127, 0, 0x7c00, s6
	s_nor_b32 s6, s24, s6
	s_and_saveexec_b32 s27, s6
	s_cbranch_execz .LBB218_37
; %bb.36:                               ;   in Loop: Header=BB218_27 Depth=1
	v_add_co_u32 v127, s6, v8, v45
	v_add_co_ci_u32_e64 v128, null, v129, v46, s6
	flat_load_ushort v127, v[127:128]
	s_waitcnt vmcnt(0) lgkmcnt(0)
	v_mul_f16_e32 v127, s11, v127
.LBB218_37:                             ;   in Loop: Header=BB218_27 Depth=1
	s_or_b32 exec_lo, exec_lo, s27
	s_or_b32 s6, s0, s3
	v_cndmask_b32_e64 v128, 0, 0x7c00, s6
	s_nor_b32 s6, s24, s6
	s_and_saveexec_b32 s27, s6
	s_cbranch_execz .LBB218_39
; %bb.38:                               ;   in Loop: Header=BB218_27 Depth=1
	v_add_co_u32 v128, s6, v8, v47
	v_add_co_ci_u32_e64 v129, null, v129, v48, s6
	flat_load_ushort v8, v[128:129]
	s_waitcnt vmcnt(0) lgkmcnt(0)
	v_mul_f16_e32 v128, s11, v8
.LBB218_39:                             ;   in Loop: Header=BB218_27 Depth=1
	s_or_b32 exec_lo, exec_lo, s27
	v_add_co_u32 v6, s6, s16, v6
	v_add_co_ci_u32_e64 v7, null, s17, v7, s6
	s_or_b32 s6, s1, s3
	v_cndmask_b32_e64 v129, 0, 0x7c00, s6
	s_nor_b32 s6, s24, s6
	s_and_saveexec_b32 s27, s6
	s_cbranch_execz .LBB218_41
; %bb.40:                               ;   in Loop: Header=BB218_27 Depth=1
	v_add_co_u32 v129, s6, v6, v49
	v_add_co_ci_u32_e64 v130, null, v7, v50, s6
	flat_load_ushort v8, v[129:130]
	s_waitcnt vmcnt(0) lgkmcnt(0)
	v_mul_f16_e32 v129, s11, v8
.LBB218_41:                             ;   in Loop: Header=BB218_27 Depth=1
	s_or_b32 exec_lo, exec_lo, s27
	s_or_b32 s3, s2, s3
	v_cndmask_b32_e64 v130, 0, 0x7c00, s3
	s_nor_b32 s3, s24, s3
	s_and_saveexec_b32 s6, s3
	s_cbranch_execz .LBB218_26
; %bb.42:                               ;   in Loop: Header=BB218_27 Depth=1
	v_add_co_u32 v6, s3, v6, v51
	v_add_co_ci_u32_e64 v7, null, v7, v52, s3
	flat_load_ushort v6, v[6:7]
	s_waitcnt vmcnt(0) lgkmcnt(0)
	v_mul_f16_e32 v130, s11, v6
	s_branch .LBB218_26
.LBB218_43:
	s_clause 0x2
	s_load_dword s10, s[4:5], 0x50
	s_load_dword s6, s[4:5], 0x68
	s_load_dwordx2 s[2:3], s[4:5], 0x70
	v_add_nc_u32_e32 v6, 0x800, v100
	v_add_nc_u32_e32 v49, s21, v1
	ds_read2_b64 v[10:13], v101 offset0:128 offset1:160
	ds_read2_b64 v[2:5], v101 offset0:192 offset1:224
	v_add_nc_u32_e32 v0, s20, v0
	ds_read2_b64 v[38:41], v6 offset0:128 offset1:136
	ds_read2_b64 v[34:37], v6 offset0:144 offset1:152
	;; [unrolled: 1-line block ×8, first 2 shown]
	v_cmp_gt_i32_e64 s4, s9, v49
	v_cmp_gt_i32_e64 s0, s8, v0
	v_ashrrev_i32_e32 v1, 31, v0
	v_cndmask_b32_e64 v48, 0, 1, s22
	s_waitcnt lgkmcnt(0)
	v_mad_i64_i32 v[42:43], null, v49, s10, 0
	v_mad_i64_i32 v[44:45], null, v49, s6, 0
	s_lshl_b64 s[2:3], s[2:3], 1
	s_add_u32 s5, s18, s2
	s_addc_u32 s11, s19, s3
	v_lshlrev_b64 v[42:43], 1, v[42:43]
	s_and_b32 s2, s0, s4
	v_lshlrev_b64 v[44:45], 1, v[44:45]
	v_add_co_u32 v52, vcc_lo, s12, v42
	v_add_co_ci_u32_e64 v98, null, s13, v43, vcc_lo
	v_add_co_u32 v50, vcc_lo, s5, v44
	v_add_co_ci_u32_e64 v51, null, s11, v45, vcc_lo
	s_and_saveexec_b32 s1, s2
	s_cbranch_execz .LBB218_48
; %bb.44:
	s_andn2_b32 vcc_lo, exec_lo, s22
	s_cbranch_vccnz .LBB218_46
; %bb.45:
	v_lshlrev_b64 v[42:43], 1, v[0:1]
	v_add_co_u32 v42, vcc_lo, v52, v42
	v_add_co_ci_u32_e64 v43, null, v98, v43, vcc_lo
	flat_load_ushort v42, v[42:43]
	s_waitcnt vmcnt(0) lgkmcnt(0)
	v_mul_f16_e32 v42, s7, v42
	v_cvt_f32_f16_e32 v42, v42
	s_branch .LBB218_47
.LBB218_46:
	v_mov_b32_e32 v42, 0
.LBB218_47:
	v_pk_add_f16 v43, v10, v38
	v_pk_add_f16 v44, v11, v39
	v_max_f16_e32 v45, v126, v126
	v_lshrrev_b32_e32 v46, 16, v126
	v_max_f32_e32 v42, v42, v42
	v_lshrrev_b32_e32 v47, 16, v43
	v_lshrrev_b32_e32 v100, 16, v44
	v_min_f16_e32 v43, v45, v43
	v_min3_f16 v45, v46, v47, v100
	v_min3_f16 v43, v43, v44, v45
	v_cvt_f32_f16_e32 v43, v43
	v_min_f32_e32 v44, v42, v43
	v_lshlrev_b64 v[42:43], 1, v[0:1]
	v_cvt_f16_f32_e32 v44, v44
	v_add_co_u32 v42, vcc_lo, v50, v42
	v_add_co_ci_u32_e64 v43, null, v51, v43, vcc_lo
	flat_store_short v[42:43], v44
.LBB218_48:
	s_or_b32 exec_lo, exec_lo, s1
	v_add_nc_u32_e32 v42, 32, v0
	v_cmp_gt_i32_e64 s1, s8, v42
	v_ashrrev_i32_e32 v43, 31, v42
	s_and_b32 s3, s1, s4
	s_and_saveexec_b32 s2, s3
	s_cbranch_execz .LBB218_53
; %bb.49:
	v_cmp_ne_u32_e32 vcc_lo, 1, v48
	s_cbranch_vccnz .LBB218_51
; %bb.50:
	v_lshlrev_b64 v[44:45], 1, v[42:43]
	v_add_co_u32 v44, vcc_lo, v52, v44
	v_add_co_ci_u32_e64 v45, null, v98, v45, vcc_lo
	flat_load_ushort v44, v[44:45]
	s_waitcnt vmcnt(0) lgkmcnt(0)
	v_mul_f16_e32 v44, s7, v44
	v_cvt_f32_f16_e32 v44, v44
	s_branch .LBB218_52
.LBB218_51:
	v_mov_b32_e32 v44, 0
.LBB218_52:
	v_pk_add_f16 v45, v12, v38
	v_pk_add_f16 v46, v13, v39
	v_max_f16_e32 v47, v120, v120
	v_lshrrev_b32_e32 v100, 16, v120
	v_max_f32_e32 v44, v44, v44
	v_lshrrev_b32_e32 v101, 16, v45
	v_lshrrev_b32_e32 v106, 16, v46
	v_min_f16_e32 v45, v47, v45
	v_min3_f16 v47, v100, v101, v106
	v_min3_f16 v45, v45, v46, v47
	v_cvt_f32_f16_e32 v45, v45
	v_min_f32_e32 v46, v44, v45
	v_lshlrev_b64 v[44:45], 1, v[42:43]
	v_cvt_f16_f32_e32 v46, v46
	v_add_co_u32 v44, vcc_lo, v50, v44
	v_add_co_ci_u32_e64 v45, null, v51, v45, vcc_lo
	flat_store_short v[44:45], v46
.LBB218_53:
	s_or_b32 exec_lo, exec_lo, s2
	v_add_nc_u32_e32 v44, 64, v0
	v_cmp_gt_i32_e64 s2, s8, v44
	v_ashrrev_i32_e32 v45, 31, v44
	s_and_b32 s14, s2, s4
	s_and_saveexec_b32 s3, s14
	s_cbranch_execz .LBB218_58
; %bb.54:
	v_cmp_ne_u32_e32 vcc_lo, 1, v48
	s_cbranch_vccnz .LBB218_56
; %bb.55:
	v_lshlrev_b64 v[46:47], 1, v[44:45]
	v_add_co_u32 v46, vcc_lo, v52, v46
	v_add_co_ci_u32_e64 v47, null, v98, v47, vcc_lo
	flat_load_ushort v46, v[46:47]
	s_waitcnt vmcnt(0) lgkmcnt(0)
	v_mul_f16_e32 v46, s7, v46
	v_cvt_f32_f16_e32 v46, v46
	s_branch .LBB218_57
.LBB218_56:
	v_mov_b32_e32 v46, 0
.LBB218_57:
	v_pk_add_f16 v47, v2, v38
	v_pk_add_f16 v100, v3, v39
	v_max_f16_e32 v101, v117, v117
	v_lshrrev_b32_e32 v106, 16, v117
	v_max_f32_e32 v46, v46, v46
	v_lshrrev_b32_e32 v117, 16, v47
	v_lshrrev_b32_e32 v119, 16, v100
	v_min_f16_e32 v47, v101, v47
	v_min3_f16 v101, v106, v117, v119
	v_min3_f16 v47, v47, v100, v101
	v_cvt_f32_f16_e32 v47, v47
	v_min_f32_e32 v100, v46, v47
	v_lshlrev_b64 v[46:47], 1, v[44:45]
	v_cvt_f16_f32_e32 v100, v100
	v_add_co_u32 v46, vcc_lo, v50, v46
	v_add_co_ci_u32_e64 v47, null, v51, v47, vcc_lo
	flat_store_short v[46:47], v100
.LBB218_58:
	s_or_b32 exec_lo, exec_lo, s3
	v_add_nc_u32_e32 v46, 0x60, v0
	v_cmp_gt_i32_e64 s3, s8, v46
	v_ashrrev_i32_e32 v47, 31, v46
	s_and_b32 s8, s3, s4
	s_and_saveexec_b32 s4, s8
	s_cbranch_execz .LBB218_63
; %bb.59:
	v_cmp_ne_u32_e32 vcc_lo, 1, v48
	s_cbranch_vccnz .LBB218_61
; %bb.60:
	v_lshlrev_b64 v[100:101], 1, v[46:47]
	v_add_co_u32 v100, vcc_lo, v52, v100
	v_add_co_ci_u32_e64 v101, null, v98, v101, vcc_lo
	flat_load_ushort v52, v[100:101]
	s_waitcnt vmcnt(0) lgkmcnt(0)
	v_mul_f16_e32 v52, s7, v52
	v_cvt_f32_f16_e32 v52, v52
	s_branch .LBB218_62
.LBB218_61:
	v_mov_b32_e32 v52, 0
.LBB218_62:
	v_pk_add_f16 v38, v4, v38
	v_pk_add_f16 v39, v5, v39
	v_max_f16_e32 v98, v118, v118
	v_lshrrev_b32_e32 v100, 16, v118
	v_lshrrev_b32_e32 v101, 16, v38
	;; [unrolled: 1-line block ×3, first 2 shown]
	v_min_f16_e32 v38, v98, v38
	v_min3_f16 v98, v100, v101, v106
	v_min3_f16 v38, v38, v39, v98
	v_max_f32_e32 v39, v52, v52
	v_cvt_f32_f16_e32 v38, v38
	v_min_f32_e32 v52, v39, v38
	v_lshlrev_b64 v[38:39], 1, v[46:47]
	v_cvt_f16_f32_e32 v52, v52
	v_add_co_u32 v38, vcc_lo, v50, v38
	v_add_co_ci_u32_e64 v39, null, v51, v39, vcc_lo
	flat_store_short v[38:39], v52
.LBB218_63:
	s_or_b32 exec_lo, exec_lo, s4
	v_add_nc_u32_e32 v52, 8, v49
	v_mad_i64_i32 v[38:39], null, v52, s10, 0
	v_mad_i64_i32 v[50:51], null, v52, s6, 0
	v_cmp_gt_i32_e64 s4, s9, v52
	v_lshlrev_b64 v[38:39], 1, v[38:39]
	s_and_b32 s14, s0, s4
	v_lshlrev_b64 v[100:101], 1, v[50:51]
	v_add_co_u32 v50, vcc_lo, s12, v38
	v_add_co_ci_u32_e64 v51, null, s13, v39, vcc_lo
	v_add_co_u32 v38, vcc_lo, s5, v100
	v_add_co_ci_u32_e64 v39, null, s11, v101, vcc_lo
	s_and_saveexec_b32 s8, s14
	s_cbranch_execnz .LBB218_67
; %bb.64:
	s_or_b32 exec_lo, exec_lo, s8
	s_and_b32 s14, s1, s4
	s_and_saveexec_b32 s8, s14
	s_cbranch_execnz .LBB218_71
.LBB218_65:
	s_or_b32 exec_lo, exec_lo, s8
	s_and_b32 s14, s2, s4
	s_and_saveexec_b32 s8, s14
	s_cbranch_execnz .LBB218_75
.LBB218_66:
	s_or_b32 exec_lo, exec_lo, s8
	s_and_b32 s8, s3, s4
	s_and_saveexec_b32 s4, s8
	s_cbranch_execnz .LBB218_79
	s_branch .LBB218_83
.LBB218_67:
	v_cmp_ne_u32_e32 vcc_lo, 1, v48
	s_cbranch_vccnz .LBB218_69
; %bb.68:
	v_lshlrev_b64 v[100:101], 1, v[0:1]
	v_add_co_u32 v100, vcc_lo, v50, v100
	v_add_co_ci_u32_e64 v101, null, v51, v101, vcc_lo
	flat_load_ushort v52, v[100:101]
	s_waitcnt vmcnt(0) lgkmcnt(0)
	v_mul_f16_e32 v52, s7, v52
	v_cvt_f32_f16_e32 v52, v52
	s_branch .LBB218_70
.LBB218_69:
	v_mov_b32_e32 v52, 0
.LBB218_70:
	v_pk_add_f16 v98, v10, v40
	v_pk_add_f16 v100, v11, v41
	v_max_f16_e32 v101, v116, v116
	v_lshrrev_b32_e32 v106, 16, v116
	v_max_f32_e32 v52, v52, v52
	v_lshrrev_b32_e32 v116, 16, v98
	v_lshrrev_b32_e32 v117, 16, v100
	v_min_f16_e32 v98, v101, v98
	v_min3_f16 v101, v106, v116, v117
	v_min3_f16 v98, v98, v100, v101
	v_lshlrev_b64 v[100:101], 1, v[0:1]
	v_cvt_f32_f16_e32 v98, v98
	v_add_co_u32 v100, vcc_lo, v38, v100
	v_add_co_ci_u32_e64 v101, null, v39, v101, vcc_lo
	v_min_f32_e32 v52, v52, v98
	v_cvt_f16_f32_e32 v52, v52
	flat_store_short v[100:101], v52
	s_or_b32 exec_lo, exec_lo, s8
	s_and_b32 s14, s1, s4
	s_and_saveexec_b32 s8, s14
	s_cbranch_execz .LBB218_65
.LBB218_71:
	v_cmp_ne_u32_e32 vcc_lo, 1, v48
	s_cbranch_vccnz .LBB218_73
; %bb.72:
	v_lshlrev_b64 v[100:101], 1, v[42:43]
	v_add_co_u32 v100, vcc_lo, v50, v100
	v_add_co_ci_u32_e64 v101, null, v51, v101, vcc_lo
	flat_load_ushort v52, v[100:101]
	s_waitcnt vmcnt(0) lgkmcnt(0)
	v_mul_f16_e32 v52, s7, v52
	v_cvt_f32_f16_e32 v52, v52
	s_branch .LBB218_74
.LBB218_73:
	v_mov_b32_e32 v52, 0
.LBB218_74:
	v_pk_add_f16 v98, v12, v40
	v_pk_add_f16 v100, v13, v41
	v_max_f16_e32 v101, v115, v115
	v_lshrrev_b32_e32 v106, 16, v115
	v_max_f32_e32 v52, v52, v52
	v_lshrrev_b32_e32 v115, 16, v98
	v_lshrrev_b32_e32 v116, 16, v100
	v_min_f16_e32 v98, v101, v98
	v_min3_f16 v101, v106, v115, v116
	v_min3_f16 v98, v98, v100, v101
	v_lshlrev_b64 v[100:101], 1, v[42:43]
	v_cvt_f32_f16_e32 v98, v98
	v_add_co_u32 v100, vcc_lo, v38, v100
	v_add_co_ci_u32_e64 v101, null, v39, v101, vcc_lo
	v_min_f32_e32 v52, v52, v98
	v_cvt_f16_f32_e32 v52, v52
	flat_store_short v[100:101], v52
	s_or_b32 exec_lo, exec_lo, s8
	s_and_b32 s14, s2, s4
	s_and_saveexec_b32 s8, s14
	s_cbranch_execz .LBB218_66
.LBB218_75:
	v_cmp_ne_u32_e32 vcc_lo, 1, v48
	s_cbranch_vccnz .LBB218_77
; %bb.76:
	v_lshlrev_b64 v[100:101], 1, v[44:45]
	v_add_co_u32 v100, vcc_lo, v50, v100
	v_add_co_ci_u32_e64 v101, null, v51, v101, vcc_lo
	flat_load_ushort v52, v[100:101]
	s_waitcnt vmcnt(0) lgkmcnt(0)
	v_mul_f16_e32 v52, s7, v52
	v_cvt_f32_f16_e32 v52, v52
	s_branch .LBB218_78
.LBB218_77:
	v_mov_b32_e32 v52, 0
.LBB218_78:
	v_pk_add_f16 v98, v2, v40
	v_pk_add_f16 v100, v3, v41
	v_max_f16_e32 v101, v114, v114
	v_lshrrev_b32_e32 v106, 16, v114
	v_max_f32_e32 v52, v52, v52
	v_lshrrev_b32_e32 v114, 16, v98
	v_lshrrev_b32_e32 v115, 16, v100
	v_min_f16_e32 v98, v101, v98
	v_min3_f16 v101, v106, v114, v115
	v_min3_f16 v98, v98, v100, v101
	v_lshlrev_b64 v[100:101], 1, v[44:45]
	v_cvt_f32_f16_e32 v98, v98
	v_add_co_u32 v100, vcc_lo, v38, v100
	v_add_co_ci_u32_e64 v101, null, v39, v101, vcc_lo
	v_min_f32_e32 v52, v52, v98
	v_cvt_f16_f32_e32 v52, v52
	flat_store_short v[100:101], v52
	s_or_b32 exec_lo, exec_lo, s8
	s_and_b32 s8, s3, s4
	s_and_saveexec_b32 s4, s8
	s_cbranch_execz .LBB218_83
.LBB218_79:
	v_cmp_ne_u32_e32 vcc_lo, 1, v48
	s_cbranch_vccnz .LBB218_81
; %bb.80:
	v_lshlrev_b64 v[100:101], 1, v[46:47]
	v_add_co_u32 v50, vcc_lo, v50, v100
	v_add_co_ci_u32_e64 v51, null, v51, v101, vcc_lo
	flat_load_ushort v50, v[50:51]
	s_waitcnt vmcnt(0) lgkmcnt(0)
	v_mul_f16_e32 v50, s7, v50
	v_cvt_f32_f16_e32 v50, v50
	s_branch .LBB218_82
.LBB218_81:
	v_mov_b32_e32 v50, 0
.LBB218_82:
	v_pk_add_f16 v40, v4, v40
	v_pk_add_f16 v41, v5, v41
	v_max_f16_e32 v51, v113, v113
	v_lshrrev_b32_e32 v52, 16, v113
	v_lshrrev_b32_e32 v98, 16, v40
	;; [unrolled: 1-line block ×3, first 2 shown]
	v_min_f16_e32 v40, v51, v40
	v_min3_f16 v51, v52, v98, v100
	v_min3_f16 v40, v40, v41, v51
	v_max_f32_e32 v41, v50, v50
	v_cvt_f32_f16_e32 v40, v40
	v_min_f32_e32 v50, v41, v40
	v_lshlrev_b64 v[40:41], 1, v[46:47]
	v_cvt_f16_f32_e32 v50, v50
	v_add_co_u32 v38, vcc_lo, v38, v40
	v_add_co_ci_u32_e64 v39, null, v39, v41, vcc_lo
	flat_store_short v[38:39], v50
.LBB218_83:
	s_or_b32 exec_lo, exec_lo, s4
	v_add_nc_u32_e32 v50, 16, v49
	v_mad_i64_i32 v[38:39], null, v50, s10, 0
	v_mad_i64_i32 v[40:41], null, v50, s6, 0
	v_cmp_gt_i32_e64 s4, s9, v50
	v_lshlrev_b64 v[38:39], 1, v[38:39]
	s_and_b32 s14, s0, s4
	v_lshlrev_b64 v[50:51], 1, v[40:41]
	v_add_co_u32 v40, vcc_lo, s12, v38
	v_add_co_ci_u32_e64 v41, null, s13, v39, vcc_lo
	v_add_co_u32 v38, vcc_lo, s5, v50
	v_add_co_ci_u32_e64 v39, null, s11, v51, vcc_lo
	s_and_saveexec_b32 s8, s14
	s_cbranch_execnz .LBB218_87
; %bb.84:
	s_or_b32 exec_lo, exec_lo, s8
	s_and_b32 s14, s1, s4
	s_and_saveexec_b32 s8, s14
	s_cbranch_execnz .LBB218_91
.LBB218_85:
	s_or_b32 exec_lo, exec_lo, s8
	s_and_b32 s14, s2, s4
	s_and_saveexec_b32 s8, s14
	s_cbranch_execnz .LBB218_95
.LBB218_86:
	s_or_b32 exec_lo, exec_lo, s8
	s_and_b32 s8, s3, s4
	s_and_saveexec_b32 s4, s8
	s_cbranch_execnz .LBB218_99
	s_branch .LBB218_103
.LBB218_87:
	v_cmp_ne_u32_e32 vcc_lo, 1, v48
	s_cbranch_vccnz .LBB218_89
; %bb.88:
	v_lshlrev_b64 v[50:51], 1, v[0:1]
	v_add_co_u32 v50, vcc_lo, v40, v50
	v_add_co_ci_u32_e64 v51, null, v41, v51, vcc_lo
	flat_load_ushort v50, v[50:51]
	s_waitcnt vmcnt(0) lgkmcnt(0)
	v_mul_f16_e32 v50, s7, v50
	v_cvt_f32_f16_e32 v50, v50
	s_branch .LBB218_90
.LBB218_89:
	v_mov_b32_e32 v50, 0
.LBB218_90:
	v_pk_add_f16 v51, v10, v34
	v_pk_add_f16 v52, v11, v35
	v_max_f16_e32 v98, v112, v112
	v_lshrrev_b32_e32 v100, 16, v112
	v_max_f32_e32 v50, v50, v50
	v_lshrrev_b32_e32 v101, 16, v51
	v_lshrrev_b32_e32 v106, 16, v52
	v_min_f16_e32 v51, v98, v51
	v_min3_f16 v98, v100, v101, v106
	v_min3_f16 v51, v51, v52, v98
	v_cvt_f32_f16_e32 v51, v51
	v_min_f32_e32 v52, v50, v51
	v_lshlrev_b64 v[50:51], 1, v[0:1]
	v_cvt_f16_f32_e32 v52, v52
	v_add_co_u32 v50, vcc_lo, v38, v50
	v_add_co_ci_u32_e64 v51, null, v39, v51, vcc_lo
	flat_store_short v[50:51], v52
	s_or_b32 exec_lo, exec_lo, s8
	s_and_b32 s14, s1, s4
	s_and_saveexec_b32 s8, s14
	s_cbranch_execz .LBB218_85
.LBB218_91:
	v_cmp_ne_u32_e32 vcc_lo, 1, v48
	s_cbranch_vccnz .LBB218_93
; %bb.92:
	v_lshlrev_b64 v[50:51], 1, v[42:43]
	v_add_co_u32 v50, vcc_lo, v40, v50
	v_add_co_ci_u32_e64 v51, null, v41, v51, vcc_lo
	flat_load_ushort v50, v[50:51]
	s_waitcnt vmcnt(0) lgkmcnt(0)
	v_mul_f16_e32 v50, s7, v50
	v_cvt_f32_f16_e32 v50, v50
	s_branch .LBB218_94
.LBB218_93:
	v_mov_b32_e32 v50, 0
.LBB218_94:
	v_pk_add_f16 v51, v12, v34
	v_pk_add_f16 v52, v13, v35
	v_max_f16_e32 v98, v111, v111
	v_lshrrev_b32_e32 v100, 16, v111
	v_max_f32_e32 v50, v50, v50
	v_lshrrev_b32_e32 v101, 16, v51
	v_lshrrev_b32_e32 v106, 16, v52
	v_min_f16_e32 v51, v98, v51
	v_min3_f16 v98, v100, v101, v106
	v_min3_f16 v51, v51, v52, v98
	v_cvt_f32_f16_e32 v51, v51
	v_min_f32_e32 v52, v50, v51
	v_lshlrev_b64 v[50:51], 1, v[42:43]
	v_cvt_f16_f32_e32 v52, v52
	v_add_co_u32 v50, vcc_lo, v38, v50
	v_add_co_ci_u32_e64 v51, null, v39, v51, vcc_lo
	flat_store_short v[50:51], v52
	s_or_b32 exec_lo, exec_lo, s8
	s_and_b32 s14, s2, s4
	s_and_saveexec_b32 s8, s14
	s_cbranch_execz .LBB218_86
.LBB218_95:
	v_cmp_ne_u32_e32 vcc_lo, 1, v48
	s_cbranch_vccnz .LBB218_97
; %bb.96:
	v_lshlrev_b64 v[50:51], 1, v[44:45]
	v_add_co_u32 v50, vcc_lo, v40, v50
	v_add_co_ci_u32_e64 v51, null, v41, v51, vcc_lo
	flat_load_ushort v50, v[50:51]
	s_waitcnt vmcnt(0) lgkmcnt(0)
	v_mul_f16_e32 v50, s7, v50
	v_cvt_f32_f16_e32 v50, v50
	s_branch .LBB218_98
.LBB218_97:
	v_mov_b32_e32 v50, 0
.LBB218_98:
	v_pk_add_f16 v51, v2, v34
	v_pk_add_f16 v52, v3, v35
	v_max_f16_e32 v98, v110, v110
	v_lshrrev_b32_e32 v100, 16, v110
	v_max_f32_e32 v50, v50, v50
	v_lshrrev_b32_e32 v101, 16, v51
	v_lshrrev_b32_e32 v106, 16, v52
	v_min_f16_e32 v51, v98, v51
	v_min3_f16 v98, v100, v101, v106
	v_min3_f16 v51, v51, v52, v98
	v_cvt_f32_f16_e32 v51, v51
	v_min_f32_e32 v52, v50, v51
	v_lshlrev_b64 v[50:51], 1, v[44:45]
	v_cvt_f16_f32_e32 v52, v52
	v_add_co_u32 v50, vcc_lo, v38, v50
	v_add_co_ci_u32_e64 v51, null, v39, v51, vcc_lo
	flat_store_short v[50:51], v52
	s_or_b32 exec_lo, exec_lo, s8
	s_and_b32 s8, s3, s4
	s_and_saveexec_b32 s4, s8
	s_cbranch_execz .LBB218_103
.LBB218_99:
	v_cmp_ne_u32_e32 vcc_lo, 1, v48
	s_cbranch_vccnz .LBB218_101
; %bb.100:
	v_lshlrev_b64 v[50:51], 1, v[46:47]
	v_add_co_u32 v40, vcc_lo, v40, v50
	v_add_co_ci_u32_e64 v41, null, v41, v51, vcc_lo
	flat_load_ushort v40, v[40:41]
	s_waitcnt vmcnt(0) lgkmcnt(0)
	v_mul_f16_e32 v40, s7, v40
	v_cvt_f32_f16_e32 v40, v40
	s_branch .LBB218_102
.LBB218_101:
	v_mov_b32_e32 v40, 0
.LBB218_102:
	v_pk_add_f16 v34, v4, v34
	v_pk_add_f16 v35, v5, v35
	v_max_f16_e32 v41, v109, v109
	v_lshrrev_b32_e32 v50, 16, v109
	v_lshrrev_b32_e32 v51, 16, v34
	;; [unrolled: 1-line block ×3, first 2 shown]
	v_min_f16_e32 v34, v41, v34
	v_min3_f16 v41, v50, v51, v52
	v_min3_f16 v34, v34, v35, v41
	v_max_f32_e32 v35, v40, v40
	v_cvt_f32_f16_e32 v34, v34
	v_min_f32_e32 v40, v35, v34
	v_lshlrev_b64 v[34:35], 1, v[46:47]
	v_cvt_f16_f32_e32 v40, v40
	v_add_co_u32 v34, vcc_lo, v38, v34
	v_add_co_ci_u32_e64 v35, null, v39, v35, vcc_lo
	flat_store_short v[34:35], v40
.LBB218_103:
	s_or_b32 exec_lo, exec_lo, s4
	v_add_nc_u32_e32 v40, 24, v49
	v_mad_i64_i32 v[34:35], null, v40, s10, 0
	v_mad_i64_i32 v[38:39], null, v40, s6, 0
	v_cmp_gt_i32_e64 s4, s9, v40
	v_lshlrev_b64 v[34:35], 1, v[34:35]
	s_and_b32 s14, s0, s4
	v_lshlrev_b64 v[40:41], 1, v[38:39]
	v_add_co_u32 v38, vcc_lo, s12, v34
	v_add_co_ci_u32_e64 v39, null, s13, v35, vcc_lo
	v_add_co_u32 v34, vcc_lo, s5, v40
	v_add_co_ci_u32_e64 v35, null, s11, v41, vcc_lo
	s_and_saveexec_b32 s8, s14
	s_cbranch_execnz .LBB218_107
; %bb.104:
	s_or_b32 exec_lo, exec_lo, s8
	s_and_b32 s14, s1, s4
	s_and_saveexec_b32 s8, s14
	s_cbranch_execnz .LBB218_111
.LBB218_105:
	s_or_b32 exec_lo, exec_lo, s8
	s_and_b32 s14, s2, s4
	s_and_saveexec_b32 s8, s14
	s_cbranch_execnz .LBB218_115
.LBB218_106:
	s_or_b32 exec_lo, exec_lo, s8
	s_and_b32 s8, s3, s4
	s_and_saveexec_b32 s4, s8
	s_cbranch_execnz .LBB218_119
	s_branch .LBB218_123
.LBB218_107:
	v_cmp_ne_u32_e32 vcc_lo, 1, v48
	s_cbranch_vccnz .LBB218_109
; %bb.108:
	v_lshlrev_b64 v[40:41], 1, v[0:1]
	v_add_co_u32 v40, vcc_lo, v38, v40
	v_add_co_ci_u32_e64 v41, null, v39, v41, vcc_lo
	flat_load_ushort v40, v[40:41]
	s_waitcnt vmcnt(0) lgkmcnt(0)
	v_mul_f16_e32 v40, s7, v40
	v_cvt_f32_f16_e32 v40, v40
	s_branch .LBB218_110
.LBB218_109:
	v_mov_b32_e32 v40, 0
.LBB218_110:
	v_pk_add_f16 v41, v10, v36
	v_pk_add_f16 v50, v11, v37
	v_max_f16_e32 v51, v108, v108
	v_lshrrev_b32_e32 v52, 16, v108
	v_max_f32_e32 v40, v40, v40
	v_lshrrev_b32_e32 v98, 16, v41
	v_lshrrev_b32_e32 v100, 16, v50
	v_min_f16_e32 v41, v51, v41
	v_min3_f16 v51, v52, v98, v100
	v_min3_f16 v41, v41, v50, v51
	v_cvt_f32_f16_e32 v41, v41
	v_min_f32_e32 v50, v40, v41
	v_lshlrev_b64 v[40:41], 1, v[0:1]
	v_cvt_f16_f32_e32 v50, v50
	v_add_co_u32 v40, vcc_lo, v34, v40
	v_add_co_ci_u32_e64 v41, null, v35, v41, vcc_lo
	flat_store_short v[40:41], v50
	s_or_b32 exec_lo, exec_lo, s8
	s_and_b32 s14, s1, s4
	s_and_saveexec_b32 s8, s14
	s_cbranch_execz .LBB218_105
.LBB218_111:
	v_cmp_ne_u32_e32 vcc_lo, 1, v48
	s_cbranch_vccnz .LBB218_113
; %bb.112:
	v_lshlrev_b64 v[40:41], 1, v[42:43]
	v_add_co_u32 v40, vcc_lo, v38, v40
	v_add_co_ci_u32_e64 v41, null, v39, v41, vcc_lo
	flat_load_ushort v40, v[40:41]
	s_waitcnt vmcnt(0) lgkmcnt(0)
	v_mul_f16_e32 v40, s7, v40
	v_cvt_f32_f16_e32 v40, v40
	s_branch .LBB218_114
.LBB218_113:
	v_mov_b32_e32 v40, 0
.LBB218_114:
	v_pk_add_f16 v41, v12, v36
	v_pk_add_f16 v50, v13, v37
	v_max_f16_e32 v51, v107, v107
	v_lshrrev_b32_e32 v52, 16, v107
	v_max_f32_e32 v40, v40, v40
	v_lshrrev_b32_e32 v98, 16, v41
	v_lshrrev_b32_e32 v100, 16, v50
	v_min_f16_e32 v41, v51, v41
	v_min3_f16 v51, v52, v98, v100
	v_min3_f16 v41, v41, v50, v51
	v_cvt_f32_f16_e32 v41, v41
	v_min_f32_e32 v50, v40, v41
	v_lshlrev_b64 v[40:41], 1, v[42:43]
	v_cvt_f16_f32_e32 v50, v50
	v_add_co_u32 v40, vcc_lo, v34, v40
	v_add_co_ci_u32_e64 v41, null, v35, v41, vcc_lo
	flat_store_short v[40:41], v50
	s_or_b32 exec_lo, exec_lo, s8
	s_and_b32 s14, s2, s4
	s_and_saveexec_b32 s8, s14
	s_cbranch_execz .LBB218_106
.LBB218_115:
	v_cmp_ne_u32_e32 vcc_lo, 1, v48
	s_cbranch_vccnz .LBB218_117
; %bb.116:
	v_lshlrev_b64 v[40:41], 1, v[44:45]
	v_add_co_u32 v40, vcc_lo, v38, v40
	v_add_co_ci_u32_e64 v41, null, v39, v41, vcc_lo
	flat_load_ushort v40, v[40:41]
	s_waitcnt vmcnt(0) lgkmcnt(0)
	v_mul_f16_e32 v40, s7, v40
	v_cvt_f32_f16_e32 v40, v40
	s_branch .LBB218_118
.LBB218_117:
	v_mov_b32_e32 v40, 0
.LBB218_118:
	v_pk_add_f16 v41, v2, v36
	v_pk_add_f16 v50, v3, v37
	v_max_f16_e32 v51, v105, v105
	v_lshrrev_b32_e32 v52, 16, v105
	v_max_f32_e32 v40, v40, v40
	v_lshrrev_b32_e32 v98, 16, v41
	v_lshrrev_b32_e32 v100, 16, v50
	v_min_f16_e32 v41, v51, v41
	v_min3_f16 v51, v52, v98, v100
	v_min3_f16 v41, v41, v50, v51
	v_cvt_f32_f16_e32 v41, v41
	v_min_f32_e32 v50, v40, v41
	v_lshlrev_b64 v[40:41], 1, v[44:45]
	v_cvt_f16_f32_e32 v50, v50
	v_add_co_u32 v40, vcc_lo, v34, v40
	v_add_co_ci_u32_e64 v41, null, v35, v41, vcc_lo
	flat_store_short v[40:41], v50
	s_or_b32 exec_lo, exec_lo, s8
	s_and_b32 s8, s3, s4
	s_and_saveexec_b32 s4, s8
	s_cbranch_execz .LBB218_123
.LBB218_119:
	v_cmp_ne_u32_e32 vcc_lo, 1, v48
	s_cbranch_vccnz .LBB218_121
; %bb.120:
	v_lshlrev_b64 v[40:41], 1, v[46:47]
	v_add_co_u32 v38, vcc_lo, v38, v40
	v_add_co_ci_u32_e64 v39, null, v39, v41, vcc_lo
	flat_load_ushort v38, v[38:39]
	s_waitcnt vmcnt(0) lgkmcnt(0)
	v_mul_f16_e32 v38, s7, v38
	v_cvt_f32_f16_e32 v38, v38
	s_branch .LBB218_122
.LBB218_121:
	v_mov_b32_e32 v38, 0
.LBB218_122:
	v_pk_add_f16 v36, v4, v36
	v_pk_add_f16 v37, v5, v37
	v_max_f16_e32 v39, v104, v104
	v_lshrrev_b32_e32 v40, 16, v104
	v_lshrrev_b32_e32 v41, 16, v36
	;; [unrolled: 1-line block ×3, first 2 shown]
	v_min_f16_e32 v36, v39, v36
	v_min3_f16 v39, v40, v41, v50
	v_min3_f16 v36, v36, v37, v39
	v_max_f32_e32 v37, v38, v38
	v_cvt_f32_f16_e32 v36, v36
	v_min_f32_e32 v38, v37, v36
	v_lshlrev_b64 v[36:37], 1, v[46:47]
	v_cvt_f16_f32_e32 v38, v38
	v_add_co_u32 v34, vcc_lo, v34, v36
	v_add_co_ci_u32_e64 v35, null, v35, v37, vcc_lo
	flat_store_short v[34:35], v38
.LBB218_123:
	s_or_b32 exec_lo, exec_lo, s4
	v_add_nc_u32_e32 v38, 32, v49
	v_mad_i64_i32 v[34:35], null, v38, s10, 0
	v_mad_i64_i32 v[36:37], null, v38, s6, 0
	v_cmp_gt_i32_e64 s4, s9, v38
	v_lshlrev_b64 v[34:35], 1, v[34:35]
	s_and_b32 s14, s0, s4
	v_lshlrev_b64 v[38:39], 1, v[36:37]
	v_add_co_u32 v36, vcc_lo, s12, v34
	v_add_co_ci_u32_e64 v37, null, s13, v35, vcc_lo
	v_add_co_u32 v34, vcc_lo, s5, v38
	v_add_co_ci_u32_e64 v35, null, s11, v39, vcc_lo
	s_and_saveexec_b32 s8, s14
	s_cbranch_execnz .LBB218_127
; %bb.124:
	s_or_b32 exec_lo, exec_lo, s8
	s_and_b32 s14, s1, s4
	s_and_saveexec_b32 s8, s14
	s_cbranch_execnz .LBB218_131
.LBB218_125:
	s_or_b32 exec_lo, exec_lo, s8
	s_and_b32 s14, s2, s4
	s_and_saveexec_b32 s8, s14
	s_cbranch_execnz .LBB218_135
.LBB218_126:
	s_or_b32 exec_lo, exec_lo, s8
	s_and_b32 s8, s3, s4
	s_and_saveexec_b32 s4, s8
	s_cbranch_execnz .LBB218_139
	s_branch .LBB218_143
.LBB218_127:
	v_cmp_ne_u32_e32 vcc_lo, 1, v48
	s_cbranch_vccnz .LBB218_129
; %bb.128:
	v_lshlrev_b64 v[38:39], 1, v[0:1]
	v_add_co_u32 v38, vcc_lo, v36, v38
	v_add_co_ci_u32_e64 v39, null, v37, v39, vcc_lo
	flat_load_ushort v38, v[38:39]
	s_waitcnt vmcnt(0) lgkmcnt(0)
	v_mul_f16_e32 v38, s7, v38
	v_cvt_f32_f16_e32 v38, v38
	s_branch .LBB218_130
.LBB218_129:
	v_mov_b32_e32 v38, 0
.LBB218_130:
	v_pk_add_f16 v39, v10, v30
	v_pk_add_f16 v40, v11, v31
	v_max_f16_e32 v41, v103, v103
	v_lshrrev_b32_e32 v50, 16, v103
	v_max_f32_e32 v38, v38, v38
	v_lshrrev_b32_e32 v51, 16, v39
	v_lshrrev_b32_e32 v52, 16, v40
	v_min_f16_e32 v39, v41, v39
	v_min3_f16 v41, v50, v51, v52
	v_min3_f16 v39, v39, v40, v41
	v_cvt_f32_f16_e32 v39, v39
	v_min_f32_e32 v40, v38, v39
	v_lshlrev_b64 v[38:39], 1, v[0:1]
	v_cvt_f16_f32_e32 v40, v40
	v_add_co_u32 v38, vcc_lo, v34, v38
	v_add_co_ci_u32_e64 v39, null, v35, v39, vcc_lo
	flat_store_short v[38:39], v40
	s_or_b32 exec_lo, exec_lo, s8
	s_and_b32 s14, s1, s4
	s_and_saveexec_b32 s8, s14
	s_cbranch_execz .LBB218_125
.LBB218_131:
	v_cmp_ne_u32_e32 vcc_lo, 1, v48
	s_cbranch_vccnz .LBB218_133
; %bb.132:
	v_lshlrev_b64 v[38:39], 1, v[42:43]
	v_add_co_u32 v38, vcc_lo, v36, v38
	v_add_co_ci_u32_e64 v39, null, v37, v39, vcc_lo
	flat_load_ushort v38, v[38:39]
	s_waitcnt vmcnt(0) lgkmcnt(0)
	v_mul_f16_e32 v38, s7, v38
	v_cvt_f32_f16_e32 v38, v38
	s_branch .LBB218_134
.LBB218_133:
	v_mov_b32_e32 v38, 0
.LBB218_134:
	v_pk_add_f16 v39, v12, v30
	v_pk_add_f16 v40, v13, v31
	v_max_f16_e32 v41, v102, v102
	v_lshrrev_b32_e32 v50, 16, v102
	v_max_f32_e32 v38, v38, v38
	v_lshrrev_b32_e32 v51, 16, v39
	v_lshrrev_b32_e32 v52, 16, v40
	v_min_f16_e32 v39, v41, v39
	v_min3_f16 v41, v50, v51, v52
	v_min3_f16 v39, v39, v40, v41
	v_cvt_f32_f16_e32 v39, v39
	v_min_f32_e32 v40, v38, v39
	v_lshlrev_b64 v[38:39], 1, v[42:43]
	v_cvt_f16_f32_e32 v40, v40
	v_add_co_u32 v38, vcc_lo, v34, v38
	v_add_co_ci_u32_e64 v39, null, v35, v39, vcc_lo
	flat_store_short v[38:39], v40
	s_or_b32 exec_lo, exec_lo, s8
	s_and_b32 s14, s2, s4
	s_and_saveexec_b32 s8, s14
	s_cbranch_execz .LBB218_126
.LBB218_135:
	v_cmp_ne_u32_e32 vcc_lo, 1, v48
	s_cbranch_vccnz .LBB218_137
; %bb.136:
	v_lshlrev_b64 v[38:39], 1, v[44:45]
	v_add_co_u32 v38, vcc_lo, v36, v38
	v_add_co_ci_u32_e64 v39, null, v37, v39, vcc_lo
	flat_load_ushort v38, v[38:39]
	s_waitcnt vmcnt(0) lgkmcnt(0)
	v_mul_f16_e32 v38, s7, v38
	v_cvt_f32_f16_e32 v38, v38
	s_branch .LBB218_138
.LBB218_137:
	v_mov_b32_e32 v38, 0
.LBB218_138:
	v_pk_add_f16 v39, v2, v30
	v_pk_add_f16 v40, v3, v31
	v_max_f16_e32 v41, v99, v99
	v_lshrrev_b32_e32 v50, 16, v99
	v_max_f32_e32 v38, v38, v38
	v_lshrrev_b32_e32 v51, 16, v39
	v_lshrrev_b32_e32 v52, 16, v40
	v_min_f16_e32 v39, v41, v39
	v_min3_f16 v41, v50, v51, v52
	v_min3_f16 v39, v39, v40, v41
	v_cvt_f32_f16_e32 v39, v39
	v_min_f32_e32 v40, v38, v39
	v_lshlrev_b64 v[38:39], 1, v[44:45]
	v_cvt_f16_f32_e32 v40, v40
	v_add_co_u32 v38, vcc_lo, v34, v38
	v_add_co_ci_u32_e64 v39, null, v35, v39, vcc_lo
	flat_store_short v[38:39], v40
	s_or_b32 exec_lo, exec_lo, s8
	s_and_b32 s8, s3, s4
	s_and_saveexec_b32 s4, s8
	s_cbranch_execz .LBB218_143
.LBB218_139:
	v_cmp_ne_u32_e32 vcc_lo, 1, v48
	s_cbranch_vccnz .LBB218_141
; %bb.140:
	v_lshlrev_b64 v[38:39], 1, v[46:47]
	v_add_co_u32 v36, vcc_lo, v36, v38
	v_add_co_ci_u32_e64 v37, null, v37, v39, vcc_lo
	flat_load_ushort v36, v[36:37]
	s_waitcnt vmcnt(0) lgkmcnt(0)
	v_mul_f16_e32 v36, s7, v36
	v_cvt_f32_f16_e32 v36, v36
	s_branch .LBB218_142
.LBB218_141:
	v_mov_b32_e32 v36, 0
.LBB218_142:
	v_pk_add_f16 v30, v4, v30
	v_pk_add_f16 v31, v5, v31
	v_max_f16_e32 v37, v97, v97
	v_lshrrev_b32_e32 v38, 16, v97
	v_lshrrev_b32_e32 v39, 16, v30
	;; [unrolled: 1-line block ×3, first 2 shown]
	v_min_f16_e32 v30, v37, v30
	v_min3_f16 v37, v38, v39, v40
	v_min3_f16 v30, v30, v31, v37
	v_max_f32_e32 v31, v36, v36
	v_cvt_f32_f16_e32 v30, v30
	v_min_f32_e32 v36, v31, v30
	v_lshlrev_b64 v[30:31], 1, v[46:47]
	v_cvt_f16_f32_e32 v36, v36
	v_add_co_u32 v30, vcc_lo, v34, v30
	v_add_co_ci_u32_e64 v31, null, v35, v31, vcc_lo
	flat_store_short v[30:31], v36
.LBB218_143:
	s_or_b32 exec_lo, exec_lo, s4
	v_add_nc_u32_e32 v36, 40, v49
	v_mad_i64_i32 v[30:31], null, v36, s10, 0
	v_mad_i64_i32 v[34:35], null, v36, s6, 0
	v_cmp_gt_i32_e64 s4, s9, v36
	v_lshlrev_b64 v[30:31], 1, v[30:31]
	s_and_b32 s14, s0, s4
	v_lshlrev_b64 v[36:37], 1, v[34:35]
	v_add_co_u32 v34, vcc_lo, s12, v30
	v_add_co_ci_u32_e64 v35, null, s13, v31, vcc_lo
	v_add_co_u32 v30, vcc_lo, s5, v36
	v_add_co_ci_u32_e64 v31, null, s11, v37, vcc_lo
	s_and_saveexec_b32 s8, s14
	s_cbranch_execnz .LBB218_147
; %bb.144:
	s_or_b32 exec_lo, exec_lo, s8
	s_and_b32 s14, s1, s4
	s_and_saveexec_b32 s8, s14
	s_cbranch_execnz .LBB218_151
.LBB218_145:
	s_or_b32 exec_lo, exec_lo, s8
	s_and_b32 s14, s2, s4
	s_and_saveexec_b32 s8, s14
	s_cbranch_execnz .LBB218_155
.LBB218_146:
	s_or_b32 exec_lo, exec_lo, s8
	s_and_b32 s8, s3, s4
	s_and_saveexec_b32 s4, s8
	s_cbranch_execnz .LBB218_159
	s_branch .LBB218_163
.LBB218_147:
	v_cmp_ne_u32_e32 vcc_lo, 1, v48
	s_cbranch_vccnz .LBB218_149
; %bb.148:
	v_lshlrev_b64 v[36:37], 1, v[0:1]
	v_add_co_u32 v36, vcc_lo, v34, v36
	v_add_co_ci_u32_e64 v37, null, v35, v37, vcc_lo
	flat_load_ushort v36, v[36:37]
	s_waitcnt vmcnt(0) lgkmcnt(0)
	v_mul_f16_e32 v36, s7, v36
	v_cvt_f32_f16_e32 v36, v36
	s_branch .LBB218_150
.LBB218_149:
	v_mov_b32_e32 v36, 0
.LBB218_150:
	v_pk_add_f16 v37, v10, v32
	v_pk_add_f16 v38, v11, v33
	v_max_f16_e32 v39, v96, v96
	v_lshrrev_b32_e32 v40, 16, v96
	v_max_f32_e32 v36, v36, v36
	v_lshrrev_b32_e32 v41, 16, v37
	v_lshrrev_b32_e32 v50, 16, v38
	v_min_f16_e32 v37, v39, v37
	v_min3_f16 v39, v40, v41, v50
	v_min3_f16 v37, v37, v38, v39
	v_cvt_f32_f16_e32 v37, v37
	v_min_f32_e32 v38, v36, v37
	v_lshlrev_b64 v[36:37], 1, v[0:1]
	v_cvt_f16_f32_e32 v38, v38
	v_add_co_u32 v36, vcc_lo, v30, v36
	v_add_co_ci_u32_e64 v37, null, v31, v37, vcc_lo
	flat_store_short v[36:37], v38
	s_or_b32 exec_lo, exec_lo, s8
	s_and_b32 s14, s1, s4
	s_and_saveexec_b32 s8, s14
	s_cbranch_execz .LBB218_145
.LBB218_151:
	v_cmp_ne_u32_e32 vcc_lo, 1, v48
	s_cbranch_vccnz .LBB218_153
; %bb.152:
	v_lshlrev_b64 v[36:37], 1, v[42:43]
	v_add_co_u32 v36, vcc_lo, v34, v36
	v_add_co_ci_u32_e64 v37, null, v35, v37, vcc_lo
	flat_load_ushort v36, v[36:37]
	s_waitcnt vmcnt(0) lgkmcnt(0)
	v_mul_f16_e32 v36, s7, v36
	v_cvt_f32_f16_e32 v36, v36
	s_branch .LBB218_154
.LBB218_153:
	v_mov_b32_e32 v36, 0
.LBB218_154:
	v_pk_add_f16 v37, v12, v32
	v_pk_add_f16 v38, v13, v33
	v_max_f16_e32 v39, v95, v95
	v_lshrrev_b32_e32 v40, 16, v95
	v_max_f32_e32 v36, v36, v36
	v_lshrrev_b32_e32 v41, 16, v37
	v_lshrrev_b32_e32 v50, 16, v38
	v_min_f16_e32 v37, v39, v37
	v_min3_f16 v39, v40, v41, v50
	v_min3_f16 v37, v37, v38, v39
	v_cvt_f32_f16_e32 v37, v37
	v_min_f32_e32 v38, v36, v37
	v_lshlrev_b64 v[36:37], 1, v[42:43]
	v_cvt_f16_f32_e32 v38, v38
	v_add_co_u32 v36, vcc_lo, v30, v36
	v_add_co_ci_u32_e64 v37, null, v31, v37, vcc_lo
	flat_store_short v[36:37], v38
	s_or_b32 exec_lo, exec_lo, s8
	s_and_b32 s14, s2, s4
	s_and_saveexec_b32 s8, s14
	s_cbranch_execz .LBB218_146
.LBB218_155:
	v_cmp_ne_u32_e32 vcc_lo, 1, v48
	s_cbranch_vccnz .LBB218_157
; %bb.156:
	v_lshlrev_b64 v[36:37], 1, v[44:45]
	v_add_co_u32 v36, vcc_lo, v34, v36
	v_add_co_ci_u32_e64 v37, null, v35, v37, vcc_lo
	flat_load_ushort v36, v[36:37]
	s_waitcnt vmcnt(0) lgkmcnt(0)
	v_mul_f16_e32 v36, s7, v36
	v_cvt_f32_f16_e32 v36, v36
	s_branch .LBB218_158
.LBB218_157:
	v_mov_b32_e32 v36, 0
.LBB218_158:
	v_pk_add_f16 v37, v2, v32
	v_pk_add_f16 v38, v3, v33
	v_max_f16_e32 v39, v94, v94
	v_lshrrev_b32_e32 v40, 16, v94
	v_max_f32_e32 v36, v36, v36
	v_lshrrev_b32_e32 v41, 16, v37
	v_lshrrev_b32_e32 v50, 16, v38
	v_min_f16_e32 v37, v39, v37
	v_min3_f16 v39, v40, v41, v50
	v_min3_f16 v37, v37, v38, v39
	v_cvt_f32_f16_e32 v37, v37
	v_min_f32_e32 v38, v36, v37
	v_lshlrev_b64 v[36:37], 1, v[44:45]
	v_cvt_f16_f32_e32 v38, v38
	v_add_co_u32 v36, vcc_lo, v30, v36
	v_add_co_ci_u32_e64 v37, null, v31, v37, vcc_lo
	flat_store_short v[36:37], v38
	s_or_b32 exec_lo, exec_lo, s8
	s_and_b32 s8, s3, s4
	s_and_saveexec_b32 s4, s8
	s_cbranch_execz .LBB218_163
.LBB218_159:
	v_cmp_ne_u32_e32 vcc_lo, 1, v48
	s_cbranch_vccnz .LBB218_161
; %bb.160:
	v_lshlrev_b64 v[36:37], 1, v[46:47]
	v_add_co_u32 v34, vcc_lo, v34, v36
	v_add_co_ci_u32_e64 v35, null, v35, v37, vcc_lo
	flat_load_ushort v34, v[34:35]
	s_waitcnt vmcnt(0) lgkmcnt(0)
	v_mul_f16_e32 v34, s7, v34
	v_cvt_f32_f16_e32 v34, v34
	s_branch .LBB218_162
.LBB218_161:
	v_mov_b32_e32 v34, 0
.LBB218_162:
	v_pk_add_f16 v32, v4, v32
	v_pk_add_f16 v33, v5, v33
	v_max_f16_e32 v35, v93, v93
	v_lshrrev_b32_e32 v36, 16, v93
	v_lshrrev_b32_e32 v37, 16, v32
	;; [unrolled: 1-line block ×3, first 2 shown]
	v_min_f16_e32 v32, v35, v32
	v_min3_f16 v35, v36, v37, v38
	v_min3_f16 v32, v32, v33, v35
	v_max_f32_e32 v33, v34, v34
	v_cvt_f32_f16_e32 v32, v32
	v_min_f32_e32 v34, v33, v32
	v_lshlrev_b64 v[32:33], 1, v[46:47]
	v_cvt_f16_f32_e32 v34, v34
	v_add_co_u32 v30, vcc_lo, v30, v32
	v_add_co_ci_u32_e64 v31, null, v31, v33, vcc_lo
	flat_store_short v[30:31], v34
.LBB218_163:
	s_or_b32 exec_lo, exec_lo, s4
	v_add_nc_u32_e32 v34, 48, v49
	v_mad_i64_i32 v[30:31], null, v34, s10, 0
	v_mad_i64_i32 v[32:33], null, v34, s6, 0
	v_cmp_gt_i32_e64 s4, s9, v34
	v_lshlrev_b64 v[30:31], 1, v[30:31]
	s_and_b32 s14, s0, s4
	v_lshlrev_b64 v[34:35], 1, v[32:33]
	v_add_co_u32 v32, vcc_lo, s12, v30
	v_add_co_ci_u32_e64 v33, null, s13, v31, vcc_lo
	v_add_co_u32 v30, vcc_lo, s5, v34
	v_add_co_ci_u32_e64 v31, null, s11, v35, vcc_lo
	s_and_saveexec_b32 s8, s14
	s_cbranch_execnz .LBB218_167
; %bb.164:
	s_or_b32 exec_lo, exec_lo, s8
	s_and_b32 s14, s1, s4
	s_and_saveexec_b32 s8, s14
	s_cbranch_execnz .LBB218_171
.LBB218_165:
	s_or_b32 exec_lo, exec_lo, s8
	s_and_b32 s14, s2, s4
	s_and_saveexec_b32 s8, s14
	s_cbranch_execnz .LBB218_175
.LBB218_166:
	s_or_b32 exec_lo, exec_lo, s8
	s_and_b32 s8, s3, s4
	s_and_saveexec_b32 s4, s8
	s_cbranch_execnz .LBB218_179
	s_branch .LBB218_183
.LBB218_167:
	v_cmp_ne_u32_e32 vcc_lo, 1, v48
	s_cbranch_vccnz .LBB218_169
; %bb.168:
	v_lshlrev_b64 v[34:35], 1, v[0:1]
	v_add_co_u32 v34, vcc_lo, v32, v34
	v_add_co_ci_u32_e64 v35, null, v33, v35, vcc_lo
	flat_load_ushort v34, v[34:35]
	s_waitcnt vmcnt(0) lgkmcnt(0)
	v_mul_f16_e32 v34, s7, v34
	v_cvt_f32_f16_e32 v34, v34
	s_branch .LBB218_170
.LBB218_169:
	v_mov_b32_e32 v34, 0
.LBB218_170:
	v_pk_add_f16 v35, v10, v26
	v_pk_add_f16 v36, v11, v27
	v_max_f16_e32 v37, v92, v92
	v_lshrrev_b32_e32 v38, 16, v92
	v_max_f32_e32 v34, v34, v34
	v_lshrrev_b32_e32 v39, 16, v35
	v_lshrrev_b32_e32 v40, 16, v36
	v_min_f16_e32 v35, v37, v35
	v_min3_f16 v37, v38, v39, v40
	v_min3_f16 v35, v35, v36, v37
	v_cvt_f32_f16_e32 v35, v35
	v_min_f32_e32 v36, v34, v35
	v_lshlrev_b64 v[34:35], 1, v[0:1]
	v_cvt_f16_f32_e32 v36, v36
	v_add_co_u32 v34, vcc_lo, v30, v34
	v_add_co_ci_u32_e64 v35, null, v31, v35, vcc_lo
	flat_store_short v[34:35], v36
	s_or_b32 exec_lo, exec_lo, s8
	s_and_b32 s14, s1, s4
	s_and_saveexec_b32 s8, s14
	s_cbranch_execz .LBB218_165
.LBB218_171:
	v_cmp_ne_u32_e32 vcc_lo, 1, v48
	s_cbranch_vccnz .LBB218_173
; %bb.172:
	v_lshlrev_b64 v[34:35], 1, v[42:43]
	v_add_co_u32 v34, vcc_lo, v32, v34
	v_add_co_ci_u32_e64 v35, null, v33, v35, vcc_lo
	flat_load_ushort v34, v[34:35]
	s_waitcnt vmcnt(0) lgkmcnt(0)
	v_mul_f16_e32 v34, s7, v34
	v_cvt_f32_f16_e32 v34, v34
	s_branch .LBB218_174
.LBB218_173:
	v_mov_b32_e32 v34, 0
.LBB218_174:
	v_pk_add_f16 v35, v12, v26
	v_pk_add_f16 v36, v13, v27
	v_max_f16_e32 v37, v91, v91
	v_lshrrev_b32_e32 v38, 16, v91
	v_max_f32_e32 v34, v34, v34
	v_lshrrev_b32_e32 v39, 16, v35
	v_lshrrev_b32_e32 v40, 16, v36
	v_min_f16_e32 v35, v37, v35
	v_min3_f16 v37, v38, v39, v40
	v_min3_f16 v35, v35, v36, v37
	v_cvt_f32_f16_e32 v35, v35
	v_min_f32_e32 v36, v34, v35
	v_lshlrev_b64 v[34:35], 1, v[42:43]
	v_cvt_f16_f32_e32 v36, v36
	v_add_co_u32 v34, vcc_lo, v30, v34
	v_add_co_ci_u32_e64 v35, null, v31, v35, vcc_lo
	flat_store_short v[34:35], v36
	s_or_b32 exec_lo, exec_lo, s8
	s_and_b32 s14, s2, s4
	s_and_saveexec_b32 s8, s14
	s_cbranch_execz .LBB218_166
.LBB218_175:
	v_cmp_ne_u32_e32 vcc_lo, 1, v48
	s_cbranch_vccnz .LBB218_177
; %bb.176:
	v_lshlrev_b64 v[34:35], 1, v[44:45]
	v_add_co_u32 v34, vcc_lo, v32, v34
	v_add_co_ci_u32_e64 v35, null, v33, v35, vcc_lo
	flat_load_ushort v34, v[34:35]
	s_waitcnt vmcnt(0) lgkmcnt(0)
	v_mul_f16_e32 v34, s7, v34
	v_cvt_f32_f16_e32 v34, v34
	s_branch .LBB218_178
.LBB218_177:
	v_mov_b32_e32 v34, 0
.LBB218_178:
	v_pk_add_f16 v35, v2, v26
	v_pk_add_f16 v36, v3, v27
	v_max_f16_e32 v37, v90, v90
	v_lshrrev_b32_e32 v38, 16, v90
	v_max_f32_e32 v34, v34, v34
	v_lshrrev_b32_e32 v39, 16, v35
	v_lshrrev_b32_e32 v40, 16, v36
	v_min_f16_e32 v35, v37, v35
	v_min3_f16 v37, v38, v39, v40
	v_min3_f16 v35, v35, v36, v37
	v_cvt_f32_f16_e32 v35, v35
	v_min_f32_e32 v36, v34, v35
	v_lshlrev_b64 v[34:35], 1, v[44:45]
	v_cvt_f16_f32_e32 v36, v36
	v_add_co_u32 v34, vcc_lo, v30, v34
	v_add_co_ci_u32_e64 v35, null, v31, v35, vcc_lo
	flat_store_short v[34:35], v36
	s_or_b32 exec_lo, exec_lo, s8
	s_and_b32 s8, s3, s4
	s_and_saveexec_b32 s4, s8
	s_cbranch_execz .LBB218_183
.LBB218_179:
	v_cmp_ne_u32_e32 vcc_lo, 1, v48
	s_cbranch_vccnz .LBB218_181
; %bb.180:
	v_lshlrev_b64 v[34:35], 1, v[46:47]
	v_add_co_u32 v32, vcc_lo, v32, v34
	v_add_co_ci_u32_e64 v33, null, v33, v35, vcc_lo
	flat_load_ushort v32, v[32:33]
	s_waitcnt vmcnt(0) lgkmcnt(0)
	v_mul_f16_e32 v32, s7, v32
	v_cvt_f32_f16_e32 v32, v32
	s_branch .LBB218_182
.LBB218_181:
	v_mov_b32_e32 v32, 0
.LBB218_182:
	v_pk_add_f16 v26, v4, v26
	v_pk_add_f16 v27, v5, v27
	v_max_f16_e32 v33, v89, v89
	v_lshrrev_b32_e32 v34, 16, v89
	v_lshrrev_b32_e32 v35, 16, v26
	;; [unrolled: 1-line block ×3, first 2 shown]
	v_min_f16_e32 v26, v33, v26
	v_min3_f16 v33, v34, v35, v36
	v_min3_f16 v26, v26, v27, v33
	v_max_f32_e32 v27, v32, v32
	v_cvt_f32_f16_e32 v26, v26
	v_min_f32_e32 v32, v27, v26
	v_lshlrev_b64 v[26:27], 1, v[46:47]
	v_cvt_f16_f32_e32 v32, v32
	v_add_co_u32 v26, vcc_lo, v30, v26
	v_add_co_ci_u32_e64 v27, null, v31, v27, vcc_lo
	flat_store_short v[26:27], v32
.LBB218_183:
	s_or_b32 exec_lo, exec_lo, s4
	v_add_nc_u32_e32 v32, 56, v49
	v_mad_i64_i32 v[26:27], null, v32, s10, 0
	v_mad_i64_i32 v[30:31], null, v32, s6, 0
	v_cmp_gt_i32_e64 s4, s9, v32
	v_lshlrev_b64 v[26:27], 1, v[26:27]
	s_and_b32 s14, s0, s4
	v_lshlrev_b64 v[32:33], 1, v[30:31]
	v_add_co_u32 v30, vcc_lo, s12, v26
	v_add_co_ci_u32_e64 v31, null, s13, v27, vcc_lo
	v_add_co_u32 v26, vcc_lo, s5, v32
	v_add_co_ci_u32_e64 v27, null, s11, v33, vcc_lo
	s_and_saveexec_b32 s8, s14
	s_cbranch_execnz .LBB218_187
; %bb.184:
	s_or_b32 exec_lo, exec_lo, s8
	s_and_b32 s14, s1, s4
	s_and_saveexec_b32 s8, s14
	s_cbranch_execnz .LBB218_191
.LBB218_185:
	s_or_b32 exec_lo, exec_lo, s8
	s_and_b32 s14, s2, s4
	s_and_saveexec_b32 s8, s14
	s_cbranch_execnz .LBB218_195
.LBB218_186:
	s_or_b32 exec_lo, exec_lo, s8
	s_and_b32 s8, s3, s4
	s_and_saveexec_b32 s4, s8
	s_cbranch_execnz .LBB218_199
	s_branch .LBB218_203
.LBB218_187:
	v_cmp_ne_u32_e32 vcc_lo, 1, v48
	s_cbranch_vccnz .LBB218_189
; %bb.188:
	v_lshlrev_b64 v[32:33], 1, v[0:1]
	v_add_co_u32 v32, vcc_lo, v30, v32
	v_add_co_ci_u32_e64 v33, null, v31, v33, vcc_lo
	flat_load_ushort v32, v[32:33]
	s_waitcnt vmcnt(0) lgkmcnt(0)
	v_mul_f16_e32 v32, s7, v32
	v_cvt_f32_f16_e32 v32, v32
	s_branch .LBB218_190
.LBB218_189:
	v_mov_b32_e32 v32, 0
.LBB218_190:
	v_pk_add_f16 v33, v10, v28
	v_pk_add_f16 v34, v11, v29
	v_max_f16_e32 v35, v88, v88
	v_lshrrev_b32_e32 v36, 16, v88
	v_max_f32_e32 v32, v32, v32
	v_lshrrev_b32_e32 v37, 16, v33
	v_lshrrev_b32_e32 v38, 16, v34
	v_min_f16_e32 v33, v35, v33
	v_min3_f16 v35, v36, v37, v38
	v_min3_f16 v33, v33, v34, v35
	v_cvt_f32_f16_e32 v33, v33
	v_min_f32_e32 v34, v32, v33
	v_lshlrev_b64 v[32:33], 1, v[0:1]
	v_cvt_f16_f32_e32 v34, v34
	v_add_co_u32 v32, vcc_lo, v26, v32
	v_add_co_ci_u32_e64 v33, null, v27, v33, vcc_lo
	flat_store_short v[32:33], v34
	s_or_b32 exec_lo, exec_lo, s8
	s_and_b32 s14, s1, s4
	s_and_saveexec_b32 s8, s14
	s_cbranch_execz .LBB218_185
.LBB218_191:
	v_cmp_ne_u32_e32 vcc_lo, 1, v48
	s_cbranch_vccnz .LBB218_193
; %bb.192:
	v_lshlrev_b64 v[32:33], 1, v[42:43]
	v_add_co_u32 v32, vcc_lo, v30, v32
	v_add_co_ci_u32_e64 v33, null, v31, v33, vcc_lo
	flat_load_ushort v32, v[32:33]
	s_waitcnt vmcnt(0) lgkmcnt(0)
	v_mul_f16_e32 v32, s7, v32
	v_cvt_f32_f16_e32 v32, v32
	s_branch .LBB218_194
.LBB218_193:
	v_mov_b32_e32 v32, 0
.LBB218_194:
	v_pk_add_f16 v33, v12, v28
	v_pk_add_f16 v34, v13, v29
	v_max_f16_e32 v35, v87, v87
	v_lshrrev_b32_e32 v36, 16, v87
	v_max_f32_e32 v32, v32, v32
	v_lshrrev_b32_e32 v37, 16, v33
	v_lshrrev_b32_e32 v38, 16, v34
	v_min_f16_e32 v33, v35, v33
	v_min3_f16 v35, v36, v37, v38
	v_min3_f16 v33, v33, v34, v35
	v_cvt_f32_f16_e32 v33, v33
	v_min_f32_e32 v34, v32, v33
	v_lshlrev_b64 v[32:33], 1, v[42:43]
	v_cvt_f16_f32_e32 v34, v34
	v_add_co_u32 v32, vcc_lo, v26, v32
	v_add_co_ci_u32_e64 v33, null, v27, v33, vcc_lo
	flat_store_short v[32:33], v34
	s_or_b32 exec_lo, exec_lo, s8
	s_and_b32 s14, s2, s4
	s_and_saveexec_b32 s8, s14
	s_cbranch_execz .LBB218_186
.LBB218_195:
	v_cmp_ne_u32_e32 vcc_lo, 1, v48
	s_cbranch_vccnz .LBB218_197
; %bb.196:
	v_lshlrev_b64 v[32:33], 1, v[44:45]
	v_add_co_u32 v32, vcc_lo, v30, v32
	v_add_co_ci_u32_e64 v33, null, v31, v33, vcc_lo
	flat_load_ushort v32, v[32:33]
	s_waitcnt vmcnt(0) lgkmcnt(0)
	v_mul_f16_e32 v32, s7, v32
	v_cvt_f32_f16_e32 v32, v32
	s_branch .LBB218_198
.LBB218_197:
	v_mov_b32_e32 v32, 0
.LBB218_198:
	v_pk_add_f16 v33, v2, v28
	v_pk_add_f16 v34, v3, v29
	v_max_f16_e32 v35, v86, v86
	v_lshrrev_b32_e32 v36, 16, v86
	v_max_f32_e32 v32, v32, v32
	v_lshrrev_b32_e32 v37, 16, v33
	v_lshrrev_b32_e32 v38, 16, v34
	v_min_f16_e32 v33, v35, v33
	v_min3_f16 v35, v36, v37, v38
	v_min3_f16 v33, v33, v34, v35
	v_cvt_f32_f16_e32 v33, v33
	v_min_f32_e32 v34, v32, v33
	v_lshlrev_b64 v[32:33], 1, v[44:45]
	v_cvt_f16_f32_e32 v34, v34
	v_add_co_u32 v32, vcc_lo, v26, v32
	v_add_co_ci_u32_e64 v33, null, v27, v33, vcc_lo
	flat_store_short v[32:33], v34
	s_or_b32 exec_lo, exec_lo, s8
	s_and_b32 s8, s3, s4
	s_and_saveexec_b32 s4, s8
	s_cbranch_execz .LBB218_203
.LBB218_199:
	v_cmp_ne_u32_e32 vcc_lo, 1, v48
	s_cbranch_vccnz .LBB218_201
; %bb.200:
	v_lshlrev_b64 v[32:33], 1, v[46:47]
	v_add_co_u32 v30, vcc_lo, v30, v32
	v_add_co_ci_u32_e64 v31, null, v31, v33, vcc_lo
	flat_load_ushort v30, v[30:31]
	s_waitcnt vmcnt(0) lgkmcnt(0)
	v_mul_f16_e32 v30, s7, v30
	v_cvt_f32_f16_e32 v30, v30
	s_branch .LBB218_202
.LBB218_201:
	v_mov_b32_e32 v30, 0
.LBB218_202:
	v_pk_add_f16 v28, v4, v28
	v_pk_add_f16 v29, v5, v29
	v_max_f16_e32 v31, v85, v85
	v_lshrrev_b32_e32 v32, 16, v85
	v_lshrrev_b32_e32 v33, 16, v28
	;; [unrolled: 1-line block ×3, first 2 shown]
	v_min_f16_e32 v28, v31, v28
	v_min3_f16 v31, v32, v33, v34
	v_min3_f16 v28, v28, v29, v31
	v_max_f32_e32 v29, v30, v30
	v_cvt_f32_f16_e32 v28, v28
	v_min_f32_e32 v30, v29, v28
	v_lshlrev_b64 v[28:29], 1, v[46:47]
	v_cvt_f16_f32_e32 v30, v30
	v_add_co_u32 v26, vcc_lo, v26, v28
	v_add_co_ci_u32_e64 v27, null, v27, v29, vcc_lo
	flat_store_short v[26:27], v30
.LBB218_203:
	s_or_b32 exec_lo, exec_lo, s4
	v_add_nc_u32_e32 v30, 64, v49
	v_mad_i64_i32 v[26:27], null, v30, s10, 0
	v_mad_i64_i32 v[28:29], null, v30, s6, 0
	v_cmp_gt_i32_e64 s4, s9, v30
	v_lshlrev_b64 v[26:27], 1, v[26:27]
	s_and_b32 s14, s0, s4
	v_lshlrev_b64 v[30:31], 1, v[28:29]
	v_add_co_u32 v28, vcc_lo, s12, v26
	v_add_co_ci_u32_e64 v29, null, s13, v27, vcc_lo
	v_add_co_u32 v26, vcc_lo, s5, v30
	v_add_co_ci_u32_e64 v27, null, s11, v31, vcc_lo
	s_and_saveexec_b32 s8, s14
	s_cbranch_execnz .LBB218_207
; %bb.204:
	s_or_b32 exec_lo, exec_lo, s8
	s_and_b32 s14, s1, s4
	s_and_saveexec_b32 s8, s14
	s_cbranch_execnz .LBB218_211
.LBB218_205:
	s_or_b32 exec_lo, exec_lo, s8
	s_and_b32 s14, s2, s4
	s_and_saveexec_b32 s8, s14
	s_cbranch_execnz .LBB218_215
.LBB218_206:
	s_or_b32 exec_lo, exec_lo, s8
	s_and_b32 s8, s3, s4
	s_and_saveexec_b32 s4, s8
	s_cbranch_execnz .LBB218_219
	s_branch .LBB218_223
.LBB218_207:
	v_cmp_ne_u32_e32 vcc_lo, 1, v48
	s_cbranch_vccnz .LBB218_209
; %bb.208:
	v_lshlrev_b64 v[30:31], 1, v[0:1]
	v_add_co_u32 v30, vcc_lo, v28, v30
	v_add_co_ci_u32_e64 v31, null, v29, v31, vcc_lo
	flat_load_ushort v30, v[30:31]
	s_waitcnt vmcnt(0) lgkmcnt(0)
	v_mul_f16_e32 v30, s7, v30
	v_cvt_f32_f16_e32 v30, v30
	s_branch .LBB218_210
.LBB218_209:
	v_mov_b32_e32 v30, 0
.LBB218_210:
	v_pk_add_f16 v31, v10, v22
	v_pk_add_f16 v32, v11, v23
	v_max_f16_e32 v33, v84, v84
	v_lshrrev_b32_e32 v34, 16, v84
	v_max_f32_e32 v30, v30, v30
	v_lshrrev_b32_e32 v35, 16, v31
	v_lshrrev_b32_e32 v36, 16, v32
	v_min_f16_e32 v31, v33, v31
	v_min3_f16 v33, v34, v35, v36
	v_min3_f16 v31, v31, v32, v33
	v_cvt_f32_f16_e32 v31, v31
	v_min_f32_e32 v32, v30, v31
	v_lshlrev_b64 v[30:31], 1, v[0:1]
	v_cvt_f16_f32_e32 v32, v32
	v_add_co_u32 v30, vcc_lo, v26, v30
	v_add_co_ci_u32_e64 v31, null, v27, v31, vcc_lo
	flat_store_short v[30:31], v32
	s_or_b32 exec_lo, exec_lo, s8
	s_and_b32 s14, s1, s4
	s_and_saveexec_b32 s8, s14
	s_cbranch_execz .LBB218_205
.LBB218_211:
	v_cmp_ne_u32_e32 vcc_lo, 1, v48
	s_cbranch_vccnz .LBB218_213
; %bb.212:
	v_lshlrev_b64 v[30:31], 1, v[42:43]
	v_add_co_u32 v30, vcc_lo, v28, v30
	v_add_co_ci_u32_e64 v31, null, v29, v31, vcc_lo
	flat_load_ushort v30, v[30:31]
	s_waitcnt vmcnt(0) lgkmcnt(0)
	v_mul_f16_e32 v30, s7, v30
	v_cvt_f32_f16_e32 v30, v30
	s_branch .LBB218_214
.LBB218_213:
	v_mov_b32_e32 v30, 0
.LBB218_214:
	v_pk_add_f16 v31, v12, v22
	v_pk_add_f16 v32, v13, v23
	v_max_f16_e32 v33, v83, v83
	v_lshrrev_b32_e32 v34, 16, v83
	v_max_f32_e32 v30, v30, v30
	v_lshrrev_b32_e32 v35, 16, v31
	v_lshrrev_b32_e32 v36, 16, v32
	v_min_f16_e32 v31, v33, v31
	v_min3_f16 v33, v34, v35, v36
	v_min3_f16 v31, v31, v32, v33
	v_cvt_f32_f16_e32 v31, v31
	v_min_f32_e32 v32, v30, v31
	v_lshlrev_b64 v[30:31], 1, v[42:43]
	v_cvt_f16_f32_e32 v32, v32
	v_add_co_u32 v30, vcc_lo, v26, v30
	v_add_co_ci_u32_e64 v31, null, v27, v31, vcc_lo
	flat_store_short v[30:31], v32
	s_or_b32 exec_lo, exec_lo, s8
	s_and_b32 s14, s2, s4
	s_and_saveexec_b32 s8, s14
	s_cbranch_execz .LBB218_206
.LBB218_215:
	v_cmp_ne_u32_e32 vcc_lo, 1, v48
	s_cbranch_vccnz .LBB218_217
; %bb.216:
	v_lshlrev_b64 v[30:31], 1, v[44:45]
	v_add_co_u32 v30, vcc_lo, v28, v30
	v_add_co_ci_u32_e64 v31, null, v29, v31, vcc_lo
	flat_load_ushort v30, v[30:31]
	s_waitcnt vmcnt(0) lgkmcnt(0)
	v_mul_f16_e32 v30, s7, v30
	v_cvt_f32_f16_e32 v30, v30
	s_branch .LBB218_218
.LBB218_217:
	v_mov_b32_e32 v30, 0
.LBB218_218:
	v_pk_add_f16 v31, v2, v22
	v_pk_add_f16 v32, v3, v23
	v_max_f16_e32 v33, v82, v82
	v_lshrrev_b32_e32 v34, 16, v82
	v_max_f32_e32 v30, v30, v30
	v_lshrrev_b32_e32 v35, 16, v31
	v_lshrrev_b32_e32 v36, 16, v32
	v_min_f16_e32 v31, v33, v31
	v_min3_f16 v33, v34, v35, v36
	v_min3_f16 v31, v31, v32, v33
	v_cvt_f32_f16_e32 v31, v31
	v_min_f32_e32 v32, v30, v31
	v_lshlrev_b64 v[30:31], 1, v[44:45]
	v_cvt_f16_f32_e32 v32, v32
	v_add_co_u32 v30, vcc_lo, v26, v30
	v_add_co_ci_u32_e64 v31, null, v27, v31, vcc_lo
	flat_store_short v[30:31], v32
	s_or_b32 exec_lo, exec_lo, s8
	s_and_b32 s8, s3, s4
	s_and_saveexec_b32 s4, s8
	s_cbranch_execz .LBB218_223
.LBB218_219:
	v_cmp_ne_u32_e32 vcc_lo, 1, v48
	s_cbranch_vccnz .LBB218_221
; %bb.220:
	v_lshlrev_b64 v[30:31], 1, v[46:47]
	v_add_co_u32 v28, vcc_lo, v28, v30
	v_add_co_ci_u32_e64 v29, null, v29, v31, vcc_lo
	flat_load_ushort v28, v[28:29]
	s_waitcnt vmcnt(0) lgkmcnt(0)
	v_mul_f16_e32 v28, s7, v28
	v_cvt_f32_f16_e32 v28, v28
	s_branch .LBB218_222
.LBB218_221:
	v_mov_b32_e32 v28, 0
.LBB218_222:
	v_pk_add_f16 v22, v4, v22
	v_pk_add_f16 v23, v5, v23
	v_max_f16_e32 v29, v81, v81
	v_lshrrev_b32_e32 v30, 16, v81
	v_lshrrev_b32_e32 v31, 16, v22
	;; [unrolled: 1-line block ×3, first 2 shown]
	v_min_f16_e32 v22, v29, v22
	v_min3_f16 v29, v30, v31, v32
	v_min3_f16 v22, v22, v23, v29
	v_max_f32_e32 v23, v28, v28
	v_cvt_f32_f16_e32 v22, v22
	v_min_f32_e32 v28, v23, v22
	v_lshlrev_b64 v[22:23], 1, v[46:47]
	v_cvt_f16_f32_e32 v28, v28
	v_add_co_u32 v22, vcc_lo, v26, v22
	v_add_co_ci_u32_e64 v23, null, v27, v23, vcc_lo
	flat_store_short v[22:23], v28
.LBB218_223:
	s_or_b32 exec_lo, exec_lo, s4
	v_add_nc_u32_e32 v28, 0x48, v49
	v_mad_i64_i32 v[22:23], null, v28, s10, 0
	v_mad_i64_i32 v[26:27], null, v28, s6, 0
	v_cmp_gt_i32_e64 s4, s9, v28
	v_lshlrev_b64 v[22:23], 1, v[22:23]
	s_and_b32 s14, s0, s4
	v_lshlrev_b64 v[28:29], 1, v[26:27]
	v_add_co_u32 v26, vcc_lo, s12, v22
	v_add_co_ci_u32_e64 v27, null, s13, v23, vcc_lo
	v_add_co_u32 v22, vcc_lo, s5, v28
	v_add_co_ci_u32_e64 v23, null, s11, v29, vcc_lo
	s_and_saveexec_b32 s8, s14
	s_cbranch_execnz .LBB218_227
; %bb.224:
	s_or_b32 exec_lo, exec_lo, s8
	s_and_b32 s14, s1, s4
	s_and_saveexec_b32 s8, s14
	s_cbranch_execnz .LBB218_231
.LBB218_225:
	s_or_b32 exec_lo, exec_lo, s8
	s_and_b32 s14, s2, s4
	s_and_saveexec_b32 s8, s14
	s_cbranch_execnz .LBB218_235
.LBB218_226:
	s_or_b32 exec_lo, exec_lo, s8
	s_and_b32 s8, s3, s4
	s_and_saveexec_b32 s4, s8
	s_cbranch_execnz .LBB218_239
	s_branch .LBB218_243
.LBB218_227:
	v_cmp_ne_u32_e32 vcc_lo, 1, v48
	s_cbranch_vccnz .LBB218_229
; %bb.228:
	v_lshlrev_b64 v[28:29], 1, v[0:1]
	v_add_co_u32 v28, vcc_lo, v26, v28
	v_add_co_ci_u32_e64 v29, null, v27, v29, vcc_lo
	flat_load_ushort v28, v[28:29]
	s_waitcnt vmcnt(0) lgkmcnt(0)
	v_mul_f16_e32 v28, s7, v28
	v_cvt_f32_f16_e32 v28, v28
	s_branch .LBB218_230
.LBB218_229:
	v_mov_b32_e32 v28, 0
.LBB218_230:
	v_pk_add_f16 v29, v10, v24
	v_pk_add_f16 v30, v11, v25
	v_max_f16_e32 v31, v80, v80
	v_lshrrev_b32_e32 v32, 16, v80
	v_max_f32_e32 v28, v28, v28
	v_lshrrev_b32_e32 v33, 16, v29
	v_lshrrev_b32_e32 v34, 16, v30
	v_min_f16_e32 v29, v31, v29
	v_min3_f16 v31, v32, v33, v34
	v_min3_f16 v29, v29, v30, v31
	v_cvt_f32_f16_e32 v29, v29
	v_min_f32_e32 v30, v28, v29
	v_lshlrev_b64 v[28:29], 1, v[0:1]
	v_cvt_f16_f32_e32 v30, v30
	v_add_co_u32 v28, vcc_lo, v22, v28
	v_add_co_ci_u32_e64 v29, null, v23, v29, vcc_lo
	flat_store_short v[28:29], v30
	s_or_b32 exec_lo, exec_lo, s8
	s_and_b32 s14, s1, s4
	s_and_saveexec_b32 s8, s14
	s_cbranch_execz .LBB218_225
.LBB218_231:
	v_cmp_ne_u32_e32 vcc_lo, 1, v48
	s_cbranch_vccnz .LBB218_233
; %bb.232:
	v_lshlrev_b64 v[28:29], 1, v[42:43]
	v_add_co_u32 v28, vcc_lo, v26, v28
	v_add_co_ci_u32_e64 v29, null, v27, v29, vcc_lo
	flat_load_ushort v28, v[28:29]
	s_waitcnt vmcnt(0) lgkmcnt(0)
	v_mul_f16_e32 v28, s7, v28
	v_cvt_f32_f16_e32 v28, v28
	s_branch .LBB218_234
.LBB218_233:
	v_mov_b32_e32 v28, 0
.LBB218_234:
	v_pk_add_f16 v29, v12, v24
	v_pk_add_f16 v30, v13, v25
	v_max_f16_e32 v31, v79, v79
	v_lshrrev_b32_e32 v32, 16, v79
	v_max_f32_e32 v28, v28, v28
	v_lshrrev_b32_e32 v33, 16, v29
	v_lshrrev_b32_e32 v34, 16, v30
	v_min_f16_e32 v29, v31, v29
	v_min3_f16 v31, v32, v33, v34
	v_min3_f16 v29, v29, v30, v31
	v_cvt_f32_f16_e32 v29, v29
	v_min_f32_e32 v30, v28, v29
	v_lshlrev_b64 v[28:29], 1, v[42:43]
	v_cvt_f16_f32_e32 v30, v30
	v_add_co_u32 v28, vcc_lo, v22, v28
	v_add_co_ci_u32_e64 v29, null, v23, v29, vcc_lo
	flat_store_short v[28:29], v30
	s_or_b32 exec_lo, exec_lo, s8
	s_and_b32 s14, s2, s4
	s_and_saveexec_b32 s8, s14
	s_cbranch_execz .LBB218_226
.LBB218_235:
	v_cmp_ne_u32_e32 vcc_lo, 1, v48
	s_cbranch_vccnz .LBB218_237
; %bb.236:
	v_lshlrev_b64 v[28:29], 1, v[44:45]
	v_add_co_u32 v28, vcc_lo, v26, v28
	v_add_co_ci_u32_e64 v29, null, v27, v29, vcc_lo
	flat_load_ushort v28, v[28:29]
	s_waitcnt vmcnt(0) lgkmcnt(0)
	v_mul_f16_e32 v28, s7, v28
	v_cvt_f32_f16_e32 v28, v28
	s_branch .LBB218_238
.LBB218_237:
	v_mov_b32_e32 v28, 0
.LBB218_238:
	v_pk_add_f16 v29, v2, v24
	v_pk_add_f16 v30, v3, v25
	v_max_f16_e32 v31, v78, v78
	v_lshrrev_b32_e32 v32, 16, v78
	v_max_f32_e32 v28, v28, v28
	v_lshrrev_b32_e32 v33, 16, v29
	v_lshrrev_b32_e32 v34, 16, v30
	v_min_f16_e32 v29, v31, v29
	v_min3_f16 v31, v32, v33, v34
	v_min3_f16 v29, v29, v30, v31
	v_cvt_f32_f16_e32 v29, v29
	v_min_f32_e32 v30, v28, v29
	v_lshlrev_b64 v[28:29], 1, v[44:45]
	v_cvt_f16_f32_e32 v30, v30
	v_add_co_u32 v28, vcc_lo, v22, v28
	v_add_co_ci_u32_e64 v29, null, v23, v29, vcc_lo
	flat_store_short v[28:29], v30
	s_or_b32 exec_lo, exec_lo, s8
	s_and_b32 s8, s3, s4
	s_and_saveexec_b32 s4, s8
	s_cbranch_execz .LBB218_243
.LBB218_239:
	v_cmp_ne_u32_e32 vcc_lo, 1, v48
	s_cbranch_vccnz .LBB218_241
; %bb.240:
	v_lshlrev_b64 v[28:29], 1, v[46:47]
	v_add_co_u32 v26, vcc_lo, v26, v28
	v_add_co_ci_u32_e64 v27, null, v27, v29, vcc_lo
	flat_load_ushort v26, v[26:27]
	s_waitcnt vmcnt(0) lgkmcnt(0)
	v_mul_f16_e32 v26, s7, v26
	v_cvt_f32_f16_e32 v26, v26
	s_branch .LBB218_242
.LBB218_241:
	v_mov_b32_e32 v26, 0
.LBB218_242:
	v_pk_add_f16 v24, v4, v24
	v_pk_add_f16 v25, v5, v25
	v_max_f16_e32 v27, v77, v77
	v_lshrrev_b32_e32 v28, 16, v77
	v_lshrrev_b32_e32 v29, 16, v24
	;; [unrolled: 1-line block ×3, first 2 shown]
	v_min_f16_e32 v24, v27, v24
	v_min3_f16 v27, v28, v29, v30
	v_min3_f16 v24, v24, v25, v27
	v_max_f32_e32 v25, v26, v26
	v_cvt_f32_f16_e32 v24, v24
	v_min_f32_e32 v26, v25, v24
	v_lshlrev_b64 v[24:25], 1, v[46:47]
	v_cvt_f16_f32_e32 v26, v26
	v_add_co_u32 v22, vcc_lo, v22, v24
	v_add_co_ci_u32_e64 v23, null, v23, v25, vcc_lo
	flat_store_short v[22:23], v26
.LBB218_243:
	s_or_b32 exec_lo, exec_lo, s4
	v_add_nc_u32_e32 v26, 0x50, v49
	v_mad_i64_i32 v[22:23], null, v26, s10, 0
	v_mad_i64_i32 v[24:25], null, v26, s6, 0
	v_cmp_gt_i32_e64 s4, s9, v26
	v_lshlrev_b64 v[22:23], 1, v[22:23]
	s_and_b32 s14, s0, s4
	v_lshlrev_b64 v[26:27], 1, v[24:25]
	v_add_co_u32 v24, vcc_lo, s12, v22
	v_add_co_ci_u32_e64 v25, null, s13, v23, vcc_lo
	v_add_co_u32 v22, vcc_lo, s5, v26
	v_add_co_ci_u32_e64 v23, null, s11, v27, vcc_lo
	s_and_saveexec_b32 s8, s14
	s_cbranch_execnz .LBB218_247
; %bb.244:
	s_or_b32 exec_lo, exec_lo, s8
	s_and_b32 s14, s1, s4
	s_and_saveexec_b32 s8, s14
	s_cbranch_execnz .LBB218_251
.LBB218_245:
	s_or_b32 exec_lo, exec_lo, s8
	s_and_b32 s14, s2, s4
	s_and_saveexec_b32 s8, s14
	s_cbranch_execnz .LBB218_255
.LBB218_246:
	s_or_b32 exec_lo, exec_lo, s8
	s_and_b32 s8, s3, s4
	s_and_saveexec_b32 s4, s8
	s_cbranch_execnz .LBB218_259
	s_branch .LBB218_263
.LBB218_247:
	v_cmp_ne_u32_e32 vcc_lo, 1, v48
	s_cbranch_vccnz .LBB218_249
; %bb.248:
	v_lshlrev_b64 v[26:27], 1, v[0:1]
	v_add_co_u32 v26, vcc_lo, v24, v26
	v_add_co_ci_u32_e64 v27, null, v25, v27, vcc_lo
	flat_load_ushort v26, v[26:27]
	s_waitcnt vmcnt(0) lgkmcnt(0)
	v_mul_f16_e32 v26, s7, v26
	v_cvt_f32_f16_e32 v26, v26
	s_branch .LBB218_250
.LBB218_249:
	v_mov_b32_e32 v26, 0
.LBB218_250:
	v_pk_add_f16 v27, v10, v18
	v_pk_add_f16 v28, v11, v19
	v_max_f16_e32 v29, v76, v76
	v_lshrrev_b32_e32 v30, 16, v76
	v_max_f32_e32 v26, v26, v26
	v_lshrrev_b32_e32 v31, 16, v27
	v_lshrrev_b32_e32 v32, 16, v28
	v_min_f16_e32 v27, v29, v27
	v_min3_f16 v29, v30, v31, v32
	v_min3_f16 v27, v27, v28, v29
	v_cvt_f32_f16_e32 v27, v27
	v_min_f32_e32 v28, v26, v27
	v_lshlrev_b64 v[26:27], 1, v[0:1]
	v_cvt_f16_f32_e32 v28, v28
	v_add_co_u32 v26, vcc_lo, v22, v26
	v_add_co_ci_u32_e64 v27, null, v23, v27, vcc_lo
	flat_store_short v[26:27], v28
	s_or_b32 exec_lo, exec_lo, s8
	s_and_b32 s14, s1, s4
	s_and_saveexec_b32 s8, s14
	s_cbranch_execz .LBB218_245
.LBB218_251:
	v_cmp_ne_u32_e32 vcc_lo, 1, v48
	s_cbranch_vccnz .LBB218_253
; %bb.252:
	v_lshlrev_b64 v[26:27], 1, v[42:43]
	v_add_co_u32 v26, vcc_lo, v24, v26
	v_add_co_ci_u32_e64 v27, null, v25, v27, vcc_lo
	flat_load_ushort v26, v[26:27]
	s_waitcnt vmcnt(0) lgkmcnt(0)
	v_mul_f16_e32 v26, s7, v26
	v_cvt_f32_f16_e32 v26, v26
	s_branch .LBB218_254
.LBB218_253:
	v_mov_b32_e32 v26, 0
.LBB218_254:
	v_pk_add_f16 v27, v12, v18
	v_pk_add_f16 v28, v13, v19
	v_max_f16_e32 v29, v75, v75
	v_lshrrev_b32_e32 v30, 16, v75
	v_max_f32_e32 v26, v26, v26
	v_lshrrev_b32_e32 v31, 16, v27
	v_lshrrev_b32_e32 v32, 16, v28
	v_min_f16_e32 v27, v29, v27
	v_min3_f16 v29, v30, v31, v32
	v_min3_f16 v27, v27, v28, v29
	v_cvt_f32_f16_e32 v27, v27
	v_min_f32_e32 v28, v26, v27
	v_lshlrev_b64 v[26:27], 1, v[42:43]
	v_cvt_f16_f32_e32 v28, v28
	v_add_co_u32 v26, vcc_lo, v22, v26
	v_add_co_ci_u32_e64 v27, null, v23, v27, vcc_lo
	flat_store_short v[26:27], v28
	s_or_b32 exec_lo, exec_lo, s8
	s_and_b32 s14, s2, s4
	s_and_saveexec_b32 s8, s14
	s_cbranch_execz .LBB218_246
.LBB218_255:
	v_cmp_ne_u32_e32 vcc_lo, 1, v48
	s_cbranch_vccnz .LBB218_257
; %bb.256:
	v_lshlrev_b64 v[26:27], 1, v[44:45]
	v_add_co_u32 v26, vcc_lo, v24, v26
	v_add_co_ci_u32_e64 v27, null, v25, v27, vcc_lo
	flat_load_ushort v26, v[26:27]
	s_waitcnt vmcnt(0) lgkmcnt(0)
	v_mul_f16_e32 v26, s7, v26
	v_cvt_f32_f16_e32 v26, v26
	s_branch .LBB218_258
.LBB218_257:
	v_mov_b32_e32 v26, 0
.LBB218_258:
	v_pk_add_f16 v27, v2, v18
	v_pk_add_f16 v28, v3, v19
	v_max_f16_e32 v29, v74, v74
	v_lshrrev_b32_e32 v30, 16, v74
	v_max_f32_e32 v26, v26, v26
	v_lshrrev_b32_e32 v31, 16, v27
	v_lshrrev_b32_e32 v32, 16, v28
	v_min_f16_e32 v27, v29, v27
	v_min3_f16 v29, v30, v31, v32
	v_min3_f16 v27, v27, v28, v29
	v_cvt_f32_f16_e32 v27, v27
	v_min_f32_e32 v28, v26, v27
	v_lshlrev_b64 v[26:27], 1, v[44:45]
	v_cvt_f16_f32_e32 v28, v28
	v_add_co_u32 v26, vcc_lo, v22, v26
	v_add_co_ci_u32_e64 v27, null, v23, v27, vcc_lo
	flat_store_short v[26:27], v28
	s_or_b32 exec_lo, exec_lo, s8
	s_and_b32 s8, s3, s4
	s_and_saveexec_b32 s4, s8
	s_cbranch_execz .LBB218_263
.LBB218_259:
	v_cmp_ne_u32_e32 vcc_lo, 1, v48
	s_cbranch_vccnz .LBB218_261
; %bb.260:
	v_lshlrev_b64 v[26:27], 1, v[46:47]
	v_add_co_u32 v24, vcc_lo, v24, v26
	v_add_co_ci_u32_e64 v25, null, v25, v27, vcc_lo
	flat_load_ushort v24, v[24:25]
	s_waitcnt vmcnt(0) lgkmcnt(0)
	v_mul_f16_e32 v24, s7, v24
	v_cvt_f32_f16_e32 v24, v24
	s_branch .LBB218_262
.LBB218_261:
	v_mov_b32_e32 v24, 0
.LBB218_262:
	v_pk_add_f16 v18, v4, v18
	v_pk_add_f16 v19, v5, v19
	v_max_f16_e32 v25, v73, v73
	v_lshrrev_b32_e32 v26, 16, v73
	v_lshrrev_b32_e32 v27, 16, v18
	;; [unrolled: 1-line block ×3, first 2 shown]
	v_min_f16_e32 v18, v25, v18
	v_min3_f16 v25, v26, v27, v28
	v_min3_f16 v18, v18, v19, v25
	v_max_f32_e32 v19, v24, v24
	v_cvt_f32_f16_e32 v18, v18
	v_min_f32_e32 v24, v19, v18
	v_lshlrev_b64 v[18:19], 1, v[46:47]
	v_cvt_f16_f32_e32 v24, v24
	v_add_co_u32 v18, vcc_lo, v22, v18
	v_add_co_ci_u32_e64 v19, null, v23, v19, vcc_lo
	flat_store_short v[18:19], v24
.LBB218_263:
	s_or_b32 exec_lo, exec_lo, s4
	v_add_nc_u32_e32 v24, 0x58, v49
	v_mad_i64_i32 v[18:19], null, v24, s10, 0
	v_mad_i64_i32 v[22:23], null, v24, s6, 0
	v_cmp_gt_i32_e64 s4, s9, v24
	v_lshlrev_b64 v[18:19], 1, v[18:19]
	s_and_b32 s14, s0, s4
	v_lshlrev_b64 v[24:25], 1, v[22:23]
	v_add_co_u32 v22, vcc_lo, s12, v18
	v_add_co_ci_u32_e64 v23, null, s13, v19, vcc_lo
	v_add_co_u32 v18, vcc_lo, s5, v24
	v_add_co_ci_u32_e64 v19, null, s11, v25, vcc_lo
	s_and_saveexec_b32 s8, s14
	s_cbranch_execnz .LBB218_267
; %bb.264:
	s_or_b32 exec_lo, exec_lo, s8
	s_and_b32 s14, s1, s4
	s_and_saveexec_b32 s8, s14
	s_cbranch_execnz .LBB218_271
.LBB218_265:
	s_or_b32 exec_lo, exec_lo, s8
	s_and_b32 s14, s2, s4
	s_and_saveexec_b32 s8, s14
	s_cbranch_execnz .LBB218_275
.LBB218_266:
	s_or_b32 exec_lo, exec_lo, s8
	s_and_b32 s8, s3, s4
	s_and_saveexec_b32 s4, s8
	s_cbranch_execnz .LBB218_279
	s_branch .LBB218_283
.LBB218_267:
	v_cmp_ne_u32_e32 vcc_lo, 1, v48
	s_cbranch_vccnz .LBB218_269
; %bb.268:
	v_lshlrev_b64 v[24:25], 1, v[0:1]
	v_add_co_u32 v24, vcc_lo, v22, v24
	v_add_co_ci_u32_e64 v25, null, v23, v25, vcc_lo
	flat_load_ushort v24, v[24:25]
	s_waitcnt vmcnt(0) lgkmcnt(0)
	v_mul_f16_e32 v24, s7, v24
	v_cvt_f32_f16_e32 v24, v24
	s_branch .LBB218_270
.LBB218_269:
	v_mov_b32_e32 v24, 0
.LBB218_270:
	v_pk_add_f16 v25, v10, v20
	v_pk_add_f16 v26, v11, v21
	v_max_f16_e32 v27, v72, v72
	v_lshrrev_b32_e32 v28, 16, v72
	v_max_f32_e32 v24, v24, v24
	v_lshrrev_b32_e32 v29, 16, v25
	v_lshrrev_b32_e32 v30, 16, v26
	v_min_f16_e32 v25, v27, v25
	v_min3_f16 v27, v28, v29, v30
	v_min3_f16 v25, v25, v26, v27
	v_cvt_f32_f16_e32 v25, v25
	v_min_f32_e32 v26, v24, v25
	v_lshlrev_b64 v[24:25], 1, v[0:1]
	v_cvt_f16_f32_e32 v26, v26
	v_add_co_u32 v24, vcc_lo, v18, v24
	v_add_co_ci_u32_e64 v25, null, v19, v25, vcc_lo
	flat_store_short v[24:25], v26
	s_or_b32 exec_lo, exec_lo, s8
	s_and_b32 s14, s1, s4
	s_and_saveexec_b32 s8, s14
	s_cbranch_execz .LBB218_265
.LBB218_271:
	v_cmp_ne_u32_e32 vcc_lo, 1, v48
	s_cbranch_vccnz .LBB218_273
; %bb.272:
	v_lshlrev_b64 v[24:25], 1, v[42:43]
	v_add_co_u32 v24, vcc_lo, v22, v24
	v_add_co_ci_u32_e64 v25, null, v23, v25, vcc_lo
	flat_load_ushort v24, v[24:25]
	s_waitcnt vmcnt(0) lgkmcnt(0)
	v_mul_f16_e32 v24, s7, v24
	v_cvt_f32_f16_e32 v24, v24
	s_branch .LBB218_274
.LBB218_273:
	v_mov_b32_e32 v24, 0
.LBB218_274:
	v_pk_add_f16 v25, v12, v20
	v_pk_add_f16 v26, v13, v21
	v_max_f16_e32 v27, v71, v71
	v_lshrrev_b32_e32 v28, 16, v71
	v_max_f32_e32 v24, v24, v24
	v_lshrrev_b32_e32 v29, 16, v25
	v_lshrrev_b32_e32 v30, 16, v26
	v_min_f16_e32 v25, v27, v25
	v_min3_f16 v27, v28, v29, v30
	v_min3_f16 v25, v25, v26, v27
	v_cvt_f32_f16_e32 v25, v25
	v_min_f32_e32 v26, v24, v25
	v_lshlrev_b64 v[24:25], 1, v[42:43]
	v_cvt_f16_f32_e32 v26, v26
	v_add_co_u32 v24, vcc_lo, v18, v24
	v_add_co_ci_u32_e64 v25, null, v19, v25, vcc_lo
	flat_store_short v[24:25], v26
	s_or_b32 exec_lo, exec_lo, s8
	s_and_b32 s14, s2, s4
	s_and_saveexec_b32 s8, s14
	s_cbranch_execz .LBB218_266
.LBB218_275:
	v_cmp_ne_u32_e32 vcc_lo, 1, v48
	s_cbranch_vccnz .LBB218_277
; %bb.276:
	v_lshlrev_b64 v[24:25], 1, v[44:45]
	v_add_co_u32 v24, vcc_lo, v22, v24
	v_add_co_ci_u32_e64 v25, null, v23, v25, vcc_lo
	flat_load_ushort v24, v[24:25]
	s_waitcnt vmcnt(0) lgkmcnt(0)
	v_mul_f16_e32 v24, s7, v24
	v_cvt_f32_f16_e32 v24, v24
	s_branch .LBB218_278
.LBB218_277:
	v_mov_b32_e32 v24, 0
.LBB218_278:
	v_pk_add_f16 v25, v2, v20
	v_pk_add_f16 v26, v3, v21
	v_max_f16_e32 v27, v70, v70
	v_lshrrev_b32_e32 v28, 16, v70
	v_max_f32_e32 v24, v24, v24
	v_lshrrev_b32_e32 v29, 16, v25
	v_lshrrev_b32_e32 v30, 16, v26
	v_min_f16_e32 v25, v27, v25
	v_min3_f16 v27, v28, v29, v30
	v_min3_f16 v25, v25, v26, v27
	v_cvt_f32_f16_e32 v25, v25
	v_min_f32_e32 v26, v24, v25
	v_lshlrev_b64 v[24:25], 1, v[44:45]
	v_cvt_f16_f32_e32 v26, v26
	v_add_co_u32 v24, vcc_lo, v18, v24
	v_add_co_ci_u32_e64 v25, null, v19, v25, vcc_lo
	flat_store_short v[24:25], v26
	s_or_b32 exec_lo, exec_lo, s8
	s_and_b32 s8, s3, s4
	s_and_saveexec_b32 s4, s8
	s_cbranch_execz .LBB218_283
.LBB218_279:
	v_cmp_ne_u32_e32 vcc_lo, 1, v48
	s_cbranch_vccnz .LBB218_281
; %bb.280:
	v_lshlrev_b64 v[24:25], 1, v[46:47]
	v_add_co_u32 v22, vcc_lo, v22, v24
	v_add_co_ci_u32_e64 v23, null, v23, v25, vcc_lo
	flat_load_ushort v22, v[22:23]
	s_waitcnt vmcnt(0) lgkmcnt(0)
	v_mul_f16_e32 v22, s7, v22
	v_cvt_f32_f16_e32 v22, v22
	s_branch .LBB218_282
.LBB218_281:
	v_mov_b32_e32 v22, 0
.LBB218_282:
	v_pk_add_f16 v20, v4, v20
	v_pk_add_f16 v21, v5, v21
	v_max_f16_e32 v23, v69, v69
	v_lshrrev_b32_e32 v24, 16, v69
	v_lshrrev_b32_e32 v25, 16, v20
	v_lshrrev_b32_e32 v26, 16, v21
	v_min_f16_e32 v20, v23, v20
	v_min3_f16 v23, v24, v25, v26
	v_min3_f16 v20, v20, v21, v23
	v_max_f32_e32 v21, v22, v22
	v_cvt_f32_f16_e32 v20, v20
	v_min_f32_e32 v22, v21, v20
	v_lshlrev_b64 v[20:21], 1, v[46:47]
	v_cvt_f16_f32_e32 v22, v22
	v_add_co_u32 v18, vcc_lo, v18, v20
	v_add_co_ci_u32_e64 v19, null, v19, v21, vcc_lo
	flat_store_short v[18:19], v22
.LBB218_283:
	s_or_b32 exec_lo, exec_lo, s4
	v_add_nc_u32_e32 v22, 0x60, v49
	v_mad_i64_i32 v[18:19], null, v22, s10, 0
	v_mad_i64_i32 v[20:21], null, v22, s6, 0
	v_cmp_gt_i32_e64 s4, s9, v22
	v_lshlrev_b64 v[18:19], 1, v[18:19]
	s_and_b32 s14, s0, s4
	v_lshlrev_b64 v[22:23], 1, v[20:21]
	v_add_co_u32 v20, vcc_lo, s12, v18
	v_add_co_ci_u32_e64 v21, null, s13, v19, vcc_lo
	v_add_co_u32 v18, vcc_lo, s5, v22
	v_add_co_ci_u32_e64 v19, null, s11, v23, vcc_lo
	s_and_saveexec_b32 s8, s14
	s_cbranch_execnz .LBB218_287
; %bb.284:
	s_or_b32 exec_lo, exec_lo, s8
	s_and_b32 s14, s1, s4
	s_and_saveexec_b32 s8, s14
	s_cbranch_execnz .LBB218_291
.LBB218_285:
	s_or_b32 exec_lo, exec_lo, s8
	s_and_b32 s14, s2, s4
	s_and_saveexec_b32 s8, s14
	s_cbranch_execnz .LBB218_295
.LBB218_286:
	s_or_b32 exec_lo, exec_lo, s8
	s_and_b32 s8, s3, s4
	s_and_saveexec_b32 s4, s8
	s_cbranch_execnz .LBB218_299
	s_branch .LBB218_303
.LBB218_287:
	v_cmp_ne_u32_e32 vcc_lo, 1, v48
	s_cbranch_vccnz .LBB218_289
; %bb.288:
	v_lshlrev_b64 v[22:23], 1, v[0:1]
	v_add_co_u32 v22, vcc_lo, v20, v22
	v_add_co_ci_u32_e64 v23, null, v21, v23, vcc_lo
	flat_load_ushort v22, v[22:23]
	s_waitcnt vmcnt(0) lgkmcnt(0)
	v_mul_f16_e32 v22, s7, v22
	v_cvt_f32_f16_e32 v22, v22
	s_branch .LBB218_290
.LBB218_289:
	v_mov_b32_e32 v22, 0
.LBB218_290:
	v_pk_add_f16 v23, v10, v14
	v_pk_add_f16 v24, v11, v15
	v_max_f16_e32 v25, v68, v68
	v_lshrrev_b32_e32 v26, 16, v68
	v_max_f32_e32 v22, v22, v22
	v_lshrrev_b32_e32 v27, 16, v23
	v_lshrrev_b32_e32 v28, 16, v24
	v_min_f16_e32 v23, v25, v23
	v_min3_f16 v25, v26, v27, v28
	v_min3_f16 v23, v23, v24, v25
	v_cvt_f32_f16_e32 v23, v23
	v_min_f32_e32 v24, v22, v23
	v_lshlrev_b64 v[22:23], 1, v[0:1]
	v_cvt_f16_f32_e32 v24, v24
	v_add_co_u32 v22, vcc_lo, v18, v22
	v_add_co_ci_u32_e64 v23, null, v19, v23, vcc_lo
	flat_store_short v[22:23], v24
	s_or_b32 exec_lo, exec_lo, s8
	s_and_b32 s14, s1, s4
	s_and_saveexec_b32 s8, s14
	s_cbranch_execz .LBB218_285
.LBB218_291:
	v_cmp_ne_u32_e32 vcc_lo, 1, v48
	s_cbranch_vccnz .LBB218_293
; %bb.292:
	v_lshlrev_b64 v[22:23], 1, v[42:43]
	v_add_co_u32 v22, vcc_lo, v20, v22
	v_add_co_ci_u32_e64 v23, null, v21, v23, vcc_lo
	flat_load_ushort v22, v[22:23]
	s_waitcnt vmcnt(0) lgkmcnt(0)
	v_mul_f16_e32 v22, s7, v22
	v_cvt_f32_f16_e32 v22, v22
	s_branch .LBB218_294
.LBB218_293:
	v_mov_b32_e32 v22, 0
.LBB218_294:
	v_pk_add_f16 v23, v12, v14
	v_pk_add_f16 v24, v13, v15
	v_max_f16_e32 v25, v67, v67
	v_lshrrev_b32_e32 v26, 16, v67
	v_max_f32_e32 v22, v22, v22
	v_lshrrev_b32_e32 v27, 16, v23
	v_lshrrev_b32_e32 v28, 16, v24
	v_min_f16_e32 v23, v25, v23
	v_min3_f16 v25, v26, v27, v28
	v_min3_f16 v23, v23, v24, v25
	v_cvt_f32_f16_e32 v23, v23
	v_min_f32_e32 v24, v22, v23
	v_lshlrev_b64 v[22:23], 1, v[42:43]
	v_cvt_f16_f32_e32 v24, v24
	v_add_co_u32 v22, vcc_lo, v18, v22
	v_add_co_ci_u32_e64 v23, null, v19, v23, vcc_lo
	flat_store_short v[22:23], v24
	s_or_b32 exec_lo, exec_lo, s8
	s_and_b32 s14, s2, s4
	s_and_saveexec_b32 s8, s14
	s_cbranch_execz .LBB218_286
.LBB218_295:
	v_cmp_ne_u32_e32 vcc_lo, 1, v48
	s_cbranch_vccnz .LBB218_297
; %bb.296:
	v_lshlrev_b64 v[22:23], 1, v[44:45]
	v_add_co_u32 v22, vcc_lo, v20, v22
	v_add_co_ci_u32_e64 v23, null, v21, v23, vcc_lo
	flat_load_ushort v22, v[22:23]
	s_waitcnt vmcnt(0) lgkmcnt(0)
	v_mul_f16_e32 v22, s7, v22
	v_cvt_f32_f16_e32 v22, v22
	s_branch .LBB218_298
.LBB218_297:
	v_mov_b32_e32 v22, 0
.LBB218_298:
	v_pk_add_f16 v23, v2, v14
	v_pk_add_f16 v24, v3, v15
	v_max_f16_e32 v25, v66, v66
	v_lshrrev_b32_e32 v26, 16, v66
	v_max_f32_e32 v22, v22, v22
	v_lshrrev_b32_e32 v27, 16, v23
	v_lshrrev_b32_e32 v28, 16, v24
	v_min_f16_e32 v23, v25, v23
	v_min3_f16 v25, v26, v27, v28
	v_min3_f16 v23, v23, v24, v25
	v_cvt_f32_f16_e32 v23, v23
	v_min_f32_e32 v24, v22, v23
	v_lshlrev_b64 v[22:23], 1, v[44:45]
	v_cvt_f16_f32_e32 v24, v24
	v_add_co_u32 v22, vcc_lo, v18, v22
	v_add_co_ci_u32_e64 v23, null, v19, v23, vcc_lo
	flat_store_short v[22:23], v24
	s_or_b32 exec_lo, exec_lo, s8
	s_and_b32 s8, s3, s4
	s_and_saveexec_b32 s4, s8
	s_cbranch_execz .LBB218_303
.LBB218_299:
	v_cmp_ne_u32_e32 vcc_lo, 1, v48
	s_cbranch_vccnz .LBB218_301
; %bb.300:
	v_lshlrev_b64 v[22:23], 1, v[46:47]
	v_add_co_u32 v20, vcc_lo, v20, v22
	v_add_co_ci_u32_e64 v21, null, v21, v23, vcc_lo
	flat_load_ushort v20, v[20:21]
	s_waitcnt vmcnt(0) lgkmcnt(0)
	v_mul_f16_e32 v20, s7, v20
	v_cvt_f32_f16_e32 v20, v20
	s_branch .LBB218_302
.LBB218_301:
	v_mov_b32_e32 v20, 0
.LBB218_302:
	v_pk_add_f16 v14, v4, v14
	v_pk_add_f16 v15, v5, v15
	v_max_f16_e32 v21, v65, v65
	v_lshrrev_b32_e32 v22, 16, v65
	v_lshrrev_b32_e32 v23, 16, v14
	;; [unrolled: 1-line block ×3, first 2 shown]
	v_min_f16_e32 v14, v21, v14
	v_min3_f16 v21, v22, v23, v24
	v_min3_f16 v14, v14, v15, v21
	v_max_f32_e32 v15, v20, v20
	v_cvt_f32_f16_e32 v14, v14
	v_min_f32_e32 v20, v15, v14
	v_lshlrev_b64 v[14:15], 1, v[46:47]
	v_cvt_f16_f32_e32 v20, v20
	v_add_co_u32 v14, vcc_lo, v18, v14
	v_add_co_ci_u32_e64 v15, null, v19, v15, vcc_lo
	flat_store_short v[14:15], v20
.LBB218_303:
	s_or_b32 exec_lo, exec_lo, s4
	v_add_nc_u32_e32 v20, 0x68, v49
	v_mad_i64_i32 v[14:15], null, v20, s10, 0
	v_mad_i64_i32 v[18:19], null, v20, s6, 0
	v_cmp_gt_i32_e64 s4, s9, v20
	v_lshlrev_b64 v[14:15], 1, v[14:15]
	s_and_b32 s14, s0, s4
	v_lshlrev_b64 v[20:21], 1, v[18:19]
	v_add_co_u32 v18, vcc_lo, s12, v14
	v_add_co_ci_u32_e64 v19, null, s13, v15, vcc_lo
	v_add_co_u32 v14, vcc_lo, s5, v20
	v_add_co_ci_u32_e64 v15, null, s11, v21, vcc_lo
	s_and_saveexec_b32 s8, s14
	s_cbranch_execnz .LBB218_307
; %bb.304:
	s_or_b32 exec_lo, exec_lo, s8
	s_and_b32 s14, s1, s4
	s_and_saveexec_b32 s8, s14
	s_cbranch_execnz .LBB218_311
.LBB218_305:
	s_or_b32 exec_lo, exec_lo, s8
	s_and_b32 s14, s2, s4
	s_and_saveexec_b32 s8, s14
	s_cbranch_execnz .LBB218_315
.LBB218_306:
	s_or_b32 exec_lo, exec_lo, s8
	s_and_b32 s8, s3, s4
	s_and_saveexec_b32 s4, s8
	s_cbranch_execnz .LBB218_319
	s_branch .LBB218_323
.LBB218_307:
	v_cmp_ne_u32_e32 vcc_lo, 1, v48
	s_cbranch_vccnz .LBB218_309
; %bb.308:
	v_lshlrev_b64 v[20:21], 1, v[0:1]
	v_add_co_u32 v20, vcc_lo, v18, v20
	v_add_co_ci_u32_e64 v21, null, v19, v21, vcc_lo
	flat_load_ushort v20, v[20:21]
	s_waitcnt vmcnt(0) lgkmcnt(0)
	v_mul_f16_e32 v20, s7, v20
	v_cvt_f32_f16_e32 v20, v20
	s_branch .LBB218_310
.LBB218_309:
	v_mov_b32_e32 v20, 0
.LBB218_310:
	v_pk_add_f16 v21, v10, v16
	v_pk_add_f16 v22, v11, v17
	v_max_f16_e32 v23, v64, v64
	v_lshrrev_b32_e32 v24, 16, v64
	v_max_f32_e32 v20, v20, v20
	v_lshrrev_b32_e32 v25, 16, v21
	v_lshrrev_b32_e32 v26, 16, v22
	v_min_f16_e32 v21, v23, v21
	v_min3_f16 v23, v24, v25, v26
	v_min3_f16 v21, v21, v22, v23
	v_cvt_f32_f16_e32 v21, v21
	v_min_f32_e32 v22, v20, v21
	v_lshlrev_b64 v[20:21], 1, v[0:1]
	v_cvt_f16_f32_e32 v22, v22
	v_add_co_u32 v20, vcc_lo, v14, v20
	v_add_co_ci_u32_e64 v21, null, v15, v21, vcc_lo
	flat_store_short v[20:21], v22
	s_or_b32 exec_lo, exec_lo, s8
	s_and_b32 s14, s1, s4
	s_and_saveexec_b32 s8, s14
	s_cbranch_execz .LBB218_305
.LBB218_311:
	v_cmp_ne_u32_e32 vcc_lo, 1, v48
	s_cbranch_vccnz .LBB218_313
; %bb.312:
	v_lshlrev_b64 v[20:21], 1, v[42:43]
	v_add_co_u32 v20, vcc_lo, v18, v20
	v_add_co_ci_u32_e64 v21, null, v19, v21, vcc_lo
	flat_load_ushort v20, v[20:21]
	s_waitcnt vmcnt(0) lgkmcnt(0)
	v_mul_f16_e32 v20, s7, v20
	v_cvt_f32_f16_e32 v20, v20
	s_branch .LBB218_314
.LBB218_313:
	v_mov_b32_e32 v20, 0
.LBB218_314:
	v_pk_add_f16 v21, v12, v16
	v_pk_add_f16 v22, v13, v17
	v_max_f16_e32 v23, v63, v63
	v_lshrrev_b32_e32 v24, 16, v63
	v_max_f32_e32 v20, v20, v20
	v_lshrrev_b32_e32 v25, 16, v21
	v_lshrrev_b32_e32 v26, 16, v22
	v_min_f16_e32 v21, v23, v21
	v_min3_f16 v23, v24, v25, v26
	v_min3_f16 v21, v21, v22, v23
	v_cvt_f32_f16_e32 v21, v21
	v_min_f32_e32 v22, v20, v21
	v_lshlrev_b64 v[20:21], 1, v[42:43]
	v_cvt_f16_f32_e32 v22, v22
	v_add_co_u32 v20, vcc_lo, v14, v20
	v_add_co_ci_u32_e64 v21, null, v15, v21, vcc_lo
	flat_store_short v[20:21], v22
	s_or_b32 exec_lo, exec_lo, s8
	s_and_b32 s14, s2, s4
	s_and_saveexec_b32 s8, s14
	s_cbranch_execz .LBB218_306
.LBB218_315:
	v_cmp_ne_u32_e32 vcc_lo, 1, v48
	s_cbranch_vccnz .LBB218_317
; %bb.316:
	v_lshlrev_b64 v[20:21], 1, v[44:45]
	v_add_co_u32 v20, vcc_lo, v18, v20
	v_add_co_ci_u32_e64 v21, null, v19, v21, vcc_lo
	flat_load_ushort v20, v[20:21]
	s_waitcnt vmcnt(0) lgkmcnt(0)
	v_mul_f16_e32 v20, s7, v20
	v_cvt_f32_f16_e32 v20, v20
	s_branch .LBB218_318
.LBB218_317:
	v_mov_b32_e32 v20, 0
.LBB218_318:
	v_pk_add_f16 v21, v2, v16
	v_pk_add_f16 v22, v3, v17
	v_max_f16_e32 v23, v62, v62
	v_lshrrev_b32_e32 v24, 16, v62
	v_max_f32_e32 v20, v20, v20
	v_lshrrev_b32_e32 v25, 16, v21
	v_lshrrev_b32_e32 v26, 16, v22
	v_min_f16_e32 v21, v23, v21
	v_min3_f16 v23, v24, v25, v26
	v_min3_f16 v21, v21, v22, v23
	v_cvt_f32_f16_e32 v21, v21
	v_min_f32_e32 v22, v20, v21
	v_lshlrev_b64 v[20:21], 1, v[44:45]
	v_cvt_f16_f32_e32 v22, v22
	v_add_co_u32 v20, vcc_lo, v14, v20
	v_add_co_ci_u32_e64 v21, null, v15, v21, vcc_lo
	flat_store_short v[20:21], v22
	s_or_b32 exec_lo, exec_lo, s8
	s_and_b32 s8, s3, s4
	s_and_saveexec_b32 s4, s8
	s_cbranch_execz .LBB218_323
.LBB218_319:
	v_cmp_ne_u32_e32 vcc_lo, 1, v48
	s_cbranch_vccnz .LBB218_321
; %bb.320:
	v_lshlrev_b64 v[20:21], 1, v[46:47]
	v_add_co_u32 v18, vcc_lo, v18, v20
	v_add_co_ci_u32_e64 v19, null, v19, v21, vcc_lo
	flat_load_ushort v18, v[18:19]
	s_waitcnt vmcnt(0) lgkmcnt(0)
	v_mul_f16_e32 v18, s7, v18
	v_cvt_f32_f16_e32 v18, v18
	s_branch .LBB218_322
.LBB218_321:
	v_mov_b32_e32 v18, 0
.LBB218_322:
	v_pk_add_f16 v16, v4, v16
	v_pk_add_f16 v17, v5, v17
	v_max_f16_e32 v19, v61, v61
	v_lshrrev_b32_e32 v20, 16, v61
	v_lshrrev_b32_e32 v21, 16, v16
	;; [unrolled: 1-line block ×3, first 2 shown]
	v_min_f16_e32 v16, v19, v16
	v_min3_f16 v19, v20, v21, v22
	v_min3_f16 v16, v16, v17, v19
	v_max_f32_e32 v17, v18, v18
	v_cvt_f32_f16_e32 v16, v16
	v_min_f32_e32 v18, v17, v16
	v_lshlrev_b64 v[16:17], 1, v[46:47]
	v_cvt_f16_f32_e32 v18, v18
	v_add_co_u32 v14, vcc_lo, v14, v16
	v_add_co_ci_u32_e64 v15, null, v15, v17, vcc_lo
	flat_store_short v[14:15], v18
.LBB218_323:
	s_or_b32 exec_lo, exec_lo, s4
	v_add_nc_u32_e32 v18, 0x70, v49
	v_mad_i64_i32 v[14:15], null, v18, s10, 0
	v_mad_i64_i32 v[16:17], null, v18, s6, 0
	v_cmp_gt_i32_e64 s4, s9, v18
	v_lshlrev_b64 v[14:15], 1, v[14:15]
	s_and_b32 s14, s0, s4
	v_lshlrev_b64 v[18:19], 1, v[16:17]
	v_add_co_u32 v16, vcc_lo, s12, v14
	v_add_co_ci_u32_e64 v17, null, s13, v15, vcc_lo
	v_add_co_u32 v14, vcc_lo, s5, v18
	v_add_co_ci_u32_e64 v15, null, s11, v19, vcc_lo
	s_and_saveexec_b32 s8, s14
	s_cbranch_execnz .LBB218_327
; %bb.324:
	s_or_b32 exec_lo, exec_lo, s8
	s_and_b32 s14, s1, s4
	s_and_saveexec_b32 s8, s14
	s_cbranch_execnz .LBB218_331
.LBB218_325:
	s_or_b32 exec_lo, exec_lo, s8
	s_and_b32 s14, s2, s4
	s_and_saveexec_b32 s8, s14
	s_cbranch_execnz .LBB218_335
.LBB218_326:
	s_or_b32 exec_lo, exec_lo, s8
	s_and_b32 s8, s3, s4
	s_and_saveexec_b32 s4, s8
	s_cbranch_execnz .LBB218_339
	s_branch .LBB218_343
.LBB218_327:
	v_cmp_ne_u32_e32 vcc_lo, 1, v48
	s_cbranch_vccnz .LBB218_329
; %bb.328:
	v_lshlrev_b64 v[18:19], 1, v[0:1]
	v_add_co_u32 v18, vcc_lo, v16, v18
	v_add_co_ci_u32_e64 v19, null, v17, v19, vcc_lo
	flat_load_ushort v18, v[18:19]
	s_waitcnt vmcnt(0) lgkmcnt(0)
	v_mul_f16_e32 v18, s7, v18
	v_cvt_f32_f16_e32 v18, v18
	s_branch .LBB218_330
.LBB218_329:
	v_mov_b32_e32 v18, 0
.LBB218_330:
	v_pk_add_f16 v19, v10, v6
	v_pk_add_f16 v20, v11, v7
	v_max_f16_e32 v21, v60, v60
	v_lshrrev_b32_e32 v22, 16, v60
	v_max_f32_e32 v18, v18, v18
	v_lshrrev_b32_e32 v23, 16, v19
	v_lshrrev_b32_e32 v24, 16, v20
	v_min_f16_e32 v19, v21, v19
	v_min3_f16 v21, v22, v23, v24
	v_min3_f16 v19, v19, v20, v21
	v_cvt_f32_f16_e32 v19, v19
	v_min_f32_e32 v20, v18, v19
	v_lshlrev_b64 v[18:19], 1, v[0:1]
	v_cvt_f16_f32_e32 v20, v20
	v_add_co_u32 v18, vcc_lo, v14, v18
	v_add_co_ci_u32_e64 v19, null, v15, v19, vcc_lo
	flat_store_short v[18:19], v20
	s_or_b32 exec_lo, exec_lo, s8
	s_and_b32 s14, s1, s4
	s_and_saveexec_b32 s8, s14
	s_cbranch_execz .LBB218_325
.LBB218_331:
	v_cmp_ne_u32_e32 vcc_lo, 1, v48
	s_cbranch_vccnz .LBB218_333
; %bb.332:
	v_lshlrev_b64 v[18:19], 1, v[42:43]
	v_add_co_u32 v18, vcc_lo, v16, v18
	v_add_co_ci_u32_e64 v19, null, v17, v19, vcc_lo
	flat_load_ushort v18, v[18:19]
	s_waitcnt vmcnt(0) lgkmcnt(0)
	v_mul_f16_e32 v18, s7, v18
	v_cvt_f32_f16_e32 v18, v18
	s_branch .LBB218_334
.LBB218_333:
	v_mov_b32_e32 v18, 0
.LBB218_334:
	v_pk_add_f16 v19, v12, v6
	v_pk_add_f16 v20, v13, v7
	v_max_f16_e32 v21, v59, v59
	v_lshrrev_b32_e32 v22, 16, v59
	v_max_f32_e32 v18, v18, v18
	v_lshrrev_b32_e32 v23, 16, v19
	v_lshrrev_b32_e32 v24, 16, v20
	v_min_f16_e32 v19, v21, v19
	v_min3_f16 v21, v22, v23, v24
	v_min3_f16 v19, v19, v20, v21
	v_cvt_f32_f16_e32 v19, v19
	v_min_f32_e32 v20, v18, v19
	v_lshlrev_b64 v[18:19], 1, v[42:43]
	v_cvt_f16_f32_e32 v20, v20
	v_add_co_u32 v18, vcc_lo, v14, v18
	v_add_co_ci_u32_e64 v19, null, v15, v19, vcc_lo
	flat_store_short v[18:19], v20
	s_or_b32 exec_lo, exec_lo, s8
	s_and_b32 s14, s2, s4
	s_and_saveexec_b32 s8, s14
	s_cbranch_execz .LBB218_326
.LBB218_335:
	v_cmp_ne_u32_e32 vcc_lo, 1, v48
	s_cbranch_vccnz .LBB218_337
; %bb.336:
	v_lshlrev_b64 v[18:19], 1, v[44:45]
	v_add_co_u32 v18, vcc_lo, v16, v18
	v_add_co_ci_u32_e64 v19, null, v17, v19, vcc_lo
	flat_load_ushort v18, v[18:19]
	s_waitcnt vmcnt(0) lgkmcnt(0)
	v_mul_f16_e32 v18, s7, v18
	v_cvt_f32_f16_e32 v18, v18
	s_branch .LBB218_338
.LBB218_337:
	v_mov_b32_e32 v18, 0
.LBB218_338:
	v_pk_add_f16 v19, v2, v6
	v_pk_add_f16 v20, v3, v7
	v_max_f16_e32 v21, v58, v58
	v_lshrrev_b32_e32 v22, 16, v58
	v_max_f32_e32 v18, v18, v18
	v_lshrrev_b32_e32 v23, 16, v19
	v_lshrrev_b32_e32 v24, 16, v20
	v_min_f16_e32 v19, v21, v19
	v_min3_f16 v21, v22, v23, v24
	v_min3_f16 v19, v19, v20, v21
	v_cvt_f32_f16_e32 v19, v19
	v_min_f32_e32 v20, v18, v19
	v_lshlrev_b64 v[18:19], 1, v[44:45]
	v_cvt_f16_f32_e32 v20, v20
	v_add_co_u32 v18, vcc_lo, v14, v18
	v_add_co_ci_u32_e64 v19, null, v15, v19, vcc_lo
	flat_store_short v[18:19], v20
	s_or_b32 exec_lo, exec_lo, s8
	s_and_b32 s8, s3, s4
	s_and_saveexec_b32 s4, s8
	s_cbranch_execz .LBB218_343
.LBB218_339:
	v_cmp_ne_u32_e32 vcc_lo, 1, v48
	s_cbranch_vccnz .LBB218_341
; %bb.340:
	v_lshlrev_b64 v[18:19], 1, v[46:47]
	v_add_co_u32 v16, vcc_lo, v16, v18
	v_add_co_ci_u32_e64 v17, null, v17, v19, vcc_lo
	flat_load_ushort v16, v[16:17]
	s_waitcnt vmcnt(0) lgkmcnt(0)
	v_mul_f16_e32 v16, s7, v16
	v_cvt_f32_f16_e32 v16, v16
	s_branch .LBB218_342
.LBB218_341:
	v_mov_b32_e32 v16, 0
.LBB218_342:
	v_pk_add_f16 v6, v4, v6
	v_pk_add_f16 v7, v5, v7
	v_max_f16_e32 v17, v57, v57
	v_lshrrev_b32_e32 v18, 16, v57
	v_lshrrev_b32_e32 v19, 16, v6
	;; [unrolled: 1-line block ×3, first 2 shown]
	v_min_f16_e32 v6, v17, v6
	v_min3_f16 v17, v18, v19, v20
	v_min3_f16 v6, v6, v7, v17
	v_max_f32_e32 v7, v16, v16
	v_cvt_f32_f16_e32 v6, v6
	v_min_f32_e32 v16, v7, v6
	v_lshlrev_b64 v[6:7], 1, v[46:47]
	v_cvt_f16_f32_e32 v16, v16
	v_add_co_u32 v6, vcc_lo, v14, v6
	v_add_co_ci_u32_e64 v7, null, v15, v7, vcc_lo
	flat_store_short v[6:7], v16
.LBB218_343:
	s_or_b32 exec_lo, exec_lo, s4
	v_add_nc_u32_e32 v16, 0x78, v49
	v_mad_i64_i32 v[6:7], null, v16, s10, 0
	v_mad_i64_i32 v[14:15], null, v16, s6, 0
	v_cmp_gt_i32_e64 s4, s9, v16
	v_lshlrev_b64 v[6:7], 1, v[6:7]
	v_lshlrev_b64 v[16:17], 1, v[14:15]
	v_add_co_u32 v14, vcc_lo, s12, v6
	v_add_co_ci_u32_e64 v15, null, s13, v7, vcc_lo
	v_add_co_u32 v6, vcc_lo, s5, v16
	v_add_co_ci_u32_e64 v7, null, s11, v17, vcc_lo
	s_and_b32 s5, s0, s4
	s_and_saveexec_b32 s0, s5
	s_cbranch_execnz .LBB218_348
; %bb.344:
	s_or_b32 exec_lo, exec_lo, s0
	s_and_b32 s1, s1, s4
	s_and_saveexec_b32 s0, s1
	s_cbranch_execnz .LBB218_352
.LBB218_345:
	s_or_b32 exec_lo, exec_lo, s0
	s_and_b32 s1, s2, s4
	s_and_saveexec_b32 s0, s1
	s_cbranch_execnz .LBB218_356
.LBB218_346:
	s_or_b32 exec_lo, exec_lo, s0
	s_and_b32 s0, s3, s4
	s_and_saveexec_b32 s1, s0
	s_cbranch_execnz .LBB218_360
.LBB218_347:
	s_endpgm
.LBB218_348:
	v_cmp_ne_u32_e32 vcc_lo, 1, v48
	v_lshlrev_b64 v[0:1], 1, v[0:1]
	s_cbranch_vccnz .LBB218_350
; %bb.349:
	v_add_co_u32 v16, vcc_lo, v14, v0
	v_add_co_ci_u32_e64 v17, null, v15, v1, vcc_lo
	flat_load_ushort v16, v[16:17]
	s_waitcnt vmcnt(0) lgkmcnt(0)
	v_mul_f16_e32 v16, s7, v16
	v_cvt_f32_f16_e32 v16, v16
	s_branch .LBB218_351
.LBB218_350:
	v_mov_b32_e32 v16, 0
.LBB218_351:
	v_pk_add_f16 v10, v10, v8
	v_pk_add_f16 v11, v11, v9
	v_max_f16_e32 v17, v56, v56
	v_lshrrev_b32_e32 v18, 16, v56
	v_add_co_u32 v0, vcc_lo, v6, v0
	v_lshrrev_b32_e32 v19, 16, v10
	v_lshrrev_b32_e32 v20, 16, v11
	v_min_f16_e32 v10, v17, v10
	v_add_co_ci_u32_e64 v1, null, v7, v1, vcc_lo
	v_min3_f16 v17, v18, v19, v20
	v_min3_f16 v10, v10, v11, v17
	v_max_f32_e32 v11, v16, v16
	v_cvt_f32_f16_e32 v10, v10
	v_min_f32_e32 v10, v11, v10
	v_cvt_f16_f32_e32 v10, v10
	flat_store_short v[0:1], v10
	s_or_b32 exec_lo, exec_lo, s0
	s_and_b32 s1, s1, s4
	s_and_saveexec_b32 s0, s1
	s_cbranch_execz .LBB218_345
.LBB218_352:
	v_cmp_ne_u32_e32 vcc_lo, 1, v48
	v_lshlrev_b64 v[0:1], 1, v[42:43]
	s_cbranch_vccnz .LBB218_354
; %bb.353:
	v_add_co_u32 v10, vcc_lo, v14, v0
	v_add_co_ci_u32_e64 v11, null, v15, v1, vcc_lo
	flat_load_ushort v10, v[10:11]
	s_waitcnt vmcnt(0) lgkmcnt(0)
	v_mul_f16_e32 v10, s7, v10
	v_cvt_f32_f16_e32 v10, v10
	s_branch .LBB218_355
.LBB218_354:
	v_mov_b32_e32 v10, 0
.LBB218_355:
	v_pk_add_f16 v11, v12, v8
	v_pk_add_f16 v12, v13, v9
	v_max_f16_e32 v13, v55, v55
	v_lshrrev_b32_e32 v16, 16, v55
	v_max_f32_e32 v10, v10, v10
	v_lshrrev_b32_e32 v17, 16, v11
	v_lshrrev_b32_e32 v18, 16, v12
	v_min_f16_e32 v11, v13, v11
	v_add_co_u32 v0, vcc_lo, v6, v0
	v_add_co_ci_u32_e64 v1, null, v7, v1, vcc_lo
	v_min3_f16 v13, v16, v17, v18
	v_min3_f16 v11, v11, v12, v13
	v_cvt_f32_f16_e32 v11, v11
	v_min_f32_e32 v10, v10, v11
	v_cvt_f16_f32_e32 v10, v10
	flat_store_short v[0:1], v10
	s_or_b32 exec_lo, exec_lo, s0
	s_and_b32 s1, s2, s4
	s_and_saveexec_b32 s0, s1
	s_cbranch_execz .LBB218_346
.LBB218_356:
	v_cmp_ne_u32_e32 vcc_lo, 1, v48
	v_lshlrev_b64 v[0:1], 1, v[44:45]
	s_cbranch_vccnz .LBB218_358
; %bb.357:
	v_add_co_u32 v10, vcc_lo, v14, v0
	v_add_co_ci_u32_e64 v11, null, v15, v1, vcc_lo
	flat_load_ushort v10, v[10:11]
	s_waitcnt vmcnt(0) lgkmcnt(0)
	v_mul_f16_e32 v10, s7, v10
	v_cvt_f32_f16_e32 v10, v10
	s_branch .LBB218_359
.LBB218_358:
	v_mov_b32_e32 v10, 0
.LBB218_359:
	v_pk_add_f16 v2, v2, v8
	v_pk_add_f16 v3, v3, v9
	v_max_f16_e32 v11, v54, v54
	v_lshrrev_b32_e32 v12, 16, v54
	v_add_co_u32 v0, vcc_lo, v6, v0
	v_lshrrev_b32_e32 v13, 16, v2
	v_lshrrev_b32_e32 v16, 16, v3
	v_min_f16_e32 v2, v11, v2
	v_add_co_ci_u32_e64 v1, null, v7, v1, vcc_lo
	v_min3_f16 v11, v12, v13, v16
	v_min3_f16 v2, v2, v3, v11
	v_max_f32_e32 v3, v10, v10
	v_cvt_f32_f16_e32 v2, v2
	v_min_f32_e32 v2, v3, v2
	v_cvt_f16_f32_e32 v2, v2
	flat_store_short v[0:1], v2
	s_or_b32 exec_lo, exec_lo, s0
	s_and_b32 s0, s3, s4
	s_and_saveexec_b32 s1, s0
	s_cbranch_execz .LBB218_347
.LBB218_360:
	v_cmp_ne_u32_e32 vcc_lo, 1, v48
	v_lshlrev_b64 v[0:1], 1, v[46:47]
	s_cbranch_vccnz .LBB218_362
; %bb.361:
	v_add_co_u32 v2, vcc_lo, v14, v0
	v_add_co_ci_u32_e64 v3, null, v15, v1, vcc_lo
	flat_load_ushort v2, v[2:3]
	s_waitcnt vmcnt(0) lgkmcnt(0)
	v_mul_f16_e32 v2, s7, v2
	v_cvt_f32_f16_e32 v2, v2
	s_branch .LBB218_363
.LBB218_362:
	v_mov_b32_e32 v2, 0
.LBB218_363:
	v_pk_add_f16 v3, v4, v8
	v_pk_add_f16 v4, v5, v9
	v_max_f16_e32 v5, v53, v53
	v_lshrrev_b32_e32 v8, 16, v53
	v_max_f32_e32 v2, v2, v2
	v_lshrrev_b32_e32 v9, 16, v3
	v_lshrrev_b32_e32 v10, 16, v4
	v_min_f16_e32 v3, v5, v3
	v_add_co_u32 v0, vcc_lo, v6, v0
	v_add_co_ci_u32_e64 v1, null, v7, v1, vcc_lo
	v_min3_f16 v5, v8, v9, v10
	v_min3_f16 v3, v3, v4, v5
	v_cvt_f32_f16_e32 v3, v3
	v_min_f32_e32 v2, v2, v3
	v_cvt_f16_f32_e32 v2, v2
	flat_store_short v[0:1], v2
	s_endpgm
	.section	.rodata,"a",@progbits
	.p2align	6, 0x0
	.amdhsa_kernel _ZN12_GLOBAL__N_120geam_min_plus_kernelIDF16_Dv2_DF16_S1_Li32ELi8ELi128ELi128ELi4ELi4ELi64ELi4ELi64ELc84ELc78ELb0ELb1ELb1EDF16_KPKDF16_KPDF16_EEviiiT16_PT17_ilS9_ilS7_S9_ilPT18_ili26rocblas_geam_ex_operation_
		.amdhsa_group_segment_fixed_size 4096
		.amdhsa_private_segment_fixed_size 0
		.amdhsa_kernarg_size 128
		.amdhsa_user_sgpr_count 6
		.amdhsa_user_sgpr_private_segment_buffer 1
		.amdhsa_user_sgpr_dispatch_ptr 0
		.amdhsa_user_sgpr_queue_ptr 0
		.amdhsa_user_sgpr_kernarg_segment_ptr 1
		.amdhsa_user_sgpr_dispatch_id 0
		.amdhsa_user_sgpr_flat_scratch_init 0
		.amdhsa_user_sgpr_private_segment_size 0
		.amdhsa_wavefront_size32 1
		.amdhsa_uses_dynamic_stack 0
		.amdhsa_system_sgpr_private_segment_wavefront_offset 0
		.amdhsa_system_sgpr_workgroup_id_x 1
		.amdhsa_system_sgpr_workgroup_id_y 0
		.amdhsa_system_sgpr_workgroup_id_z 1
		.amdhsa_system_sgpr_workgroup_info 0
		.amdhsa_system_vgpr_workitem_id 1
		.amdhsa_next_free_vgpr 170
		.amdhsa_next_free_sgpr 28
		.amdhsa_reserve_vcc 1
		.amdhsa_reserve_flat_scratch 0
		.amdhsa_float_round_mode_32 0
		.amdhsa_float_round_mode_16_64 0
		.amdhsa_float_denorm_mode_32 3
		.amdhsa_float_denorm_mode_16_64 3
		.amdhsa_dx10_clamp 1
		.amdhsa_ieee_mode 1
		.amdhsa_fp16_overflow 0
		.amdhsa_workgroup_processor_mode 1
		.amdhsa_memory_ordered 1
		.amdhsa_forward_progress 1
		.amdhsa_shared_vgpr_count 0
		.amdhsa_exception_fp_ieee_invalid_op 0
		.amdhsa_exception_fp_denorm_src 0
		.amdhsa_exception_fp_ieee_div_zero 0
		.amdhsa_exception_fp_ieee_overflow 0
		.amdhsa_exception_fp_ieee_underflow 0
		.amdhsa_exception_fp_ieee_inexact 0
		.amdhsa_exception_int_div_zero 0
	.end_amdhsa_kernel
	.section	.text._ZN12_GLOBAL__N_120geam_min_plus_kernelIDF16_Dv2_DF16_S1_Li32ELi8ELi128ELi128ELi4ELi4ELi64ELi4ELi64ELc84ELc78ELb0ELb1ELb1EDF16_KPKDF16_KPDF16_EEviiiT16_PT17_ilS9_ilS7_S9_ilPT18_ili26rocblas_geam_ex_operation_,"axG",@progbits,_ZN12_GLOBAL__N_120geam_min_plus_kernelIDF16_Dv2_DF16_S1_Li32ELi8ELi128ELi128ELi4ELi4ELi64ELi4ELi64ELc84ELc78ELb0ELb1ELb1EDF16_KPKDF16_KPDF16_EEviiiT16_PT17_ilS9_ilS7_S9_ilPT18_ili26rocblas_geam_ex_operation_,comdat
.Lfunc_end218:
	.size	_ZN12_GLOBAL__N_120geam_min_plus_kernelIDF16_Dv2_DF16_S1_Li32ELi8ELi128ELi128ELi4ELi4ELi64ELi4ELi64ELc84ELc78ELb0ELb1ELb1EDF16_KPKDF16_KPDF16_EEviiiT16_PT17_ilS9_ilS7_S9_ilPT18_ili26rocblas_geam_ex_operation_, .Lfunc_end218-_ZN12_GLOBAL__N_120geam_min_plus_kernelIDF16_Dv2_DF16_S1_Li32ELi8ELi128ELi128ELi4ELi4ELi64ELi4ELi64ELc84ELc78ELb0ELb1ELb1EDF16_KPKDF16_KPDF16_EEviiiT16_PT17_ilS9_ilS7_S9_ilPT18_ili26rocblas_geam_ex_operation_
                                        ; -- End function
	.set _ZN12_GLOBAL__N_120geam_min_plus_kernelIDF16_Dv2_DF16_S1_Li32ELi8ELi128ELi128ELi4ELi4ELi64ELi4ELi64ELc84ELc78ELb0ELb1ELb1EDF16_KPKDF16_KPDF16_EEviiiT16_PT17_ilS9_ilS7_S9_ilPT18_ili26rocblas_geam_ex_operation_.num_vgpr, 170
	.set _ZN12_GLOBAL__N_120geam_min_plus_kernelIDF16_Dv2_DF16_S1_Li32ELi8ELi128ELi128ELi4ELi4ELi64ELi4ELi64ELc84ELc78ELb0ELb1ELb1EDF16_KPKDF16_KPDF16_EEviiiT16_PT17_ilS9_ilS7_S9_ilPT18_ili26rocblas_geam_ex_operation_.num_agpr, 0
	.set _ZN12_GLOBAL__N_120geam_min_plus_kernelIDF16_Dv2_DF16_S1_Li32ELi8ELi128ELi128ELi4ELi4ELi64ELi4ELi64ELc84ELc78ELb0ELb1ELb1EDF16_KPKDF16_KPDF16_EEviiiT16_PT17_ilS9_ilS7_S9_ilPT18_ili26rocblas_geam_ex_operation_.numbered_sgpr, 28
	.set _ZN12_GLOBAL__N_120geam_min_plus_kernelIDF16_Dv2_DF16_S1_Li32ELi8ELi128ELi128ELi4ELi4ELi64ELi4ELi64ELc84ELc78ELb0ELb1ELb1EDF16_KPKDF16_KPDF16_EEviiiT16_PT17_ilS9_ilS7_S9_ilPT18_ili26rocblas_geam_ex_operation_.num_named_barrier, 0
	.set _ZN12_GLOBAL__N_120geam_min_plus_kernelIDF16_Dv2_DF16_S1_Li32ELi8ELi128ELi128ELi4ELi4ELi64ELi4ELi64ELc84ELc78ELb0ELb1ELb1EDF16_KPKDF16_KPDF16_EEviiiT16_PT17_ilS9_ilS7_S9_ilPT18_ili26rocblas_geam_ex_operation_.private_seg_size, 0
	.set _ZN12_GLOBAL__N_120geam_min_plus_kernelIDF16_Dv2_DF16_S1_Li32ELi8ELi128ELi128ELi4ELi4ELi64ELi4ELi64ELc84ELc78ELb0ELb1ELb1EDF16_KPKDF16_KPDF16_EEviiiT16_PT17_ilS9_ilS7_S9_ilPT18_ili26rocblas_geam_ex_operation_.uses_vcc, 1
	.set _ZN12_GLOBAL__N_120geam_min_plus_kernelIDF16_Dv2_DF16_S1_Li32ELi8ELi128ELi128ELi4ELi4ELi64ELi4ELi64ELc84ELc78ELb0ELb1ELb1EDF16_KPKDF16_KPDF16_EEviiiT16_PT17_ilS9_ilS7_S9_ilPT18_ili26rocblas_geam_ex_operation_.uses_flat_scratch, 0
	.set _ZN12_GLOBAL__N_120geam_min_plus_kernelIDF16_Dv2_DF16_S1_Li32ELi8ELi128ELi128ELi4ELi4ELi64ELi4ELi64ELc84ELc78ELb0ELb1ELb1EDF16_KPKDF16_KPDF16_EEviiiT16_PT17_ilS9_ilS7_S9_ilPT18_ili26rocblas_geam_ex_operation_.has_dyn_sized_stack, 0
	.set _ZN12_GLOBAL__N_120geam_min_plus_kernelIDF16_Dv2_DF16_S1_Li32ELi8ELi128ELi128ELi4ELi4ELi64ELi4ELi64ELc84ELc78ELb0ELb1ELb1EDF16_KPKDF16_KPDF16_EEviiiT16_PT17_ilS9_ilS7_S9_ilPT18_ili26rocblas_geam_ex_operation_.has_recursion, 0
	.set _ZN12_GLOBAL__N_120geam_min_plus_kernelIDF16_Dv2_DF16_S1_Li32ELi8ELi128ELi128ELi4ELi4ELi64ELi4ELi64ELc84ELc78ELb0ELb1ELb1EDF16_KPKDF16_KPDF16_EEviiiT16_PT17_ilS9_ilS7_S9_ilPT18_ili26rocblas_geam_ex_operation_.has_indirect_call, 0
	.section	.AMDGPU.csdata,"",@progbits
; Kernel info:
; codeLenInByte = 23524
; TotalNumSgprs: 30
; NumVgprs: 170
; ScratchSize: 0
; MemoryBound: 0
; FloatMode: 240
; IeeeMode: 1
; LDSByteSize: 4096 bytes/workgroup (compile time only)
; SGPRBlocks: 0
; VGPRBlocks: 21
; NumSGPRsForWavesPerEU: 30
; NumVGPRsForWavesPerEU: 170
; Occupancy: 5
; WaveLimiterHint : 1
; COMPUTE_PGM_RSRC2:SCRATCH_EN: 0
; COMPUTE_PGM_RSRC2:USER_SGPR: 6
; COMPUTE_PGM_RSRC2:TRAP_HANDLER: 0
; COMPUTE_PGM_RSRC2:TGID_X_EN: 1
; COMPUTE_PGM_RSRC2:TGID_Y_EN: 0
; COMPUTE_PGM_RSRC2:TGID_Z_EN: 1
; COMPUTE_PGM_RSRC2:TIDIG_COMP_CNT: 1
	.section	.text._ZN12_GLOBAL__N_120geam_min_plus_kernelIDF16_Dv2_DF16_S1_Li8ELi32ELi64ELi256ELi4ELi64ELi4ELi64ELi4ELc78ELc84ELb0ELb0ELb1EPKDF16_KS3_KPDF16_EEviiiT16_PT17_ilS9_ilS7_S9_ilPT18_ili26rocblas_geam_ex_operation_,"axG",@progbits,_ZN12_GLOBAL__N_120geam_min_plus_kernelIDF16_Dv2_DF16_S1_Li8ELi32ELi64ELi256ELi4ELi64ELi4ELi64ELi4ELc78ELc84ELb0ELb0ELb1EPKDF16_KS3_KPDF16_EEviiiT16_PT17_ilS9_ilS7_S9_ilPT18_ili26rocblas_geam_ex_operation_,comdat
	.globl	_ZN12_GLOBAL__N_120geam_min_plus_kernelIDF16_Dv2_DF16_S1_Li8ELi32ELi64ELi256ELi4ELi64ELi4ELi64ELi4ELc78ELc84ELb0ELb0ELb1EPKDF16_KS3_KPDF16_EEviiiT16_PT17_ilS9_ilS7_S9_ilPT18_ili26rocblas_geam_ex_operation_ ; -- Begin function _ZN12_GLOBAL__N_120geam_min_plus_kernelIDF16_Dv2_DF16_S1_Li8ELi32ELi64ELi256ELi4ELi64ELi4ELi64ELi4ELc78ELc84ELb0ELb0ELb1EPKDF16_KS3_KPDF16_EEviiiT16_PT17_ilS9_ilS7_S9_ilPT18_ili26rocblas_geam_ex_operation_
	.p2align	8
	.type	_ZN12_GLOBAL__N_120geam_min_plus_kernelIDF16_Dv2_DF16_S1_Li8ELi32ELi64ELi256ELi4ELi64ELi4ELi64ELi4ELc78ELc84ELb0ELb0ELb1EPKDF16_KS3_KPDF16_EEviiiT16_PT17_ilS9_ilS7_S9_ilPT18_ili26rocblas_geam_ex_operation_,@function
_ZN12_GLOBAL__N_120geam_min_plus_kernelIDF16_Dv2_DF16_S1_Li8ELi32ELi64ELi256ELi4ELi64ELi4ELi64ELi4ELc78ELc84ELb0ELb0ELb1EPKDF16_KS3_KPDF16_EEviiiT16_PT17_ilS9_ilS7_S9_ilPT18_ili26rocblas_geam_ex_operation_: ; @_ZN12_GLOBAL__N_120geam_min_plus_kernelIDF16_Dv2_DF16_S1_Li8ELi32ELi64ELi256ELi4ELi64ELi4ELi64ELi4ELc78ELc84ELb0ELb0ELb1EPKDF16_KS3_KPDF16_EEviiiT16_PT17_ilS9_ilS7_S9_ilPT18_ili26rocblas_geam_ex_operation_
; %bb.0:
	s_clause 0x1
	s_load_dwordx4 s[0:3], s[4:5], 0x10
	s_load_dwordx4 s[8:11], s[4:5], 0x28
	s_mov_b32 s18, s7
	s_mov_b32 s19, 0
	v_mov_b32_e32 v2, 0
	s_lshl_b64 s[16:17], s[18:19], 1
	s_waitcnt lgkmcnt(0)
	s_add_u32 s0, s0, s16
	s_addc_u32 s1, s1, s17
	global_load_ushort v84, v2, s[0:1]
	s_clause 0x1
	s_load_dwordx4 s[12:15], s[4:5], 0x40
	s_load_dwordx2 s[20:21], s[4:5], 0x50
	s_waitcnt lgkmcnt(0)
	s_add_u32 s22, s14, s16
	s_addc_u32 s23, s15, s17
	s_mov_b64 s[14:15], 0
	s_mov_b64 s[16:17], 0
	s_waitcnt vmcnt(0)
	v_cmp_eq_f16_e32 vcc_lo, 0, v84
	v_cmp_neq_f16_e64 s0, 0, v84
	s_and_b32 s1, exec_lo, vcc_lo
	s_mov_b32 vcc_lo, s1
	s_cbranch_vccnz .LBB219_2
; %bb.1:
	s_lshl_b64 s[16:17], s[18:19], 3
	s_add_u32 s2, s2, s16
	s_addc_u32 s3, s3, s17
	s_lshl_b64 s[8:9], s[8:9], 1
	s_load_dwordx2 s[2:3], s[2:3], 0x0
	s_waitcnt lgkmcnt(0)
	s_add_u32 s16, s2, s8
	s_addc_u32 s17, s3, s9
.LBB219_2:
	global_load_ushort v49, v2, s[22:23]
	v_cndmask_b32_e64 v2, 0, 1, s0
	s_andn2_b32 vcc_lo, exec_lo, s0
	v_cmp_ne_u32_e64 s2, 1, v2
	s_cbranch_vccnz .LBB219_4
; %bb.3:
	s_lshl_b64 s[8:9], s[18:19], 3
	s_add_u32 s8, s10, s8
	s_addc_u32 s9, s11, s9
	s_lshl_b64 s[10:11], s[12:13], 1
	s_load_dwordx2 s[8:9], s[8:9], 0x0
	s_waitcnt lgkmcnt(0)
	s_add_u32 s14, s8, s10
	s_addc_u32 s15, s9, s11
.LBB219_4:
	s_load_dwordx4 s[8:11], s[4:5], 0x60
	s_waitcnt vmcnt(0)
	v_cmp_eq_f16_e32 vcc_lo, 0, v49
	s_and_b32 s0, exec_lo, vcc_lo
	s_mov_b32 vcc_lo, s0
	s_cbranch_vccnz .LBB219_6
; %bb.5:
	s_lshl_b64 s[12:13], s[18:19], 3
	s_add_u32 s12, s20, s12
	s_addc_u32 s13, s21, s13
	s_waitcnt lgkmcnt(0)
	s_lshl_b64 s[8:9], s[8:9], 1
	s_load_dwordx2 s[12:13], s[12:13], 0x0
	s_waitcnt lgkmcnt(0)
	s_add_u32 s8, s12, s8
	s_addc_u32 s9, s13, s9
	s_branch .LBB219_7
.LBB219_6:
	s_waitcnt lgkmcnt(0)
	s_mov_b64 s[8:9], 0
.LBB219_7:
	s_clause 0x1
	s_load_dword s12, s[4:5], 0x20
	s_load_dword s3, s[4:5], 0x0
	s_lshl_b64 s[18:19], s[18:19], 3
	v_mov_b32_e32 v8, 0
	v_mov_b32_e32 v10, 0
	s_waitcnt lgkmcnt(0)
	s_ashr_i32 s13, s12, 31
	s_add_u32 s10, s10, s18
	s_addc_u32 s11, s11, s19
	s_add_i32 s3, s3, -1
	s_ashr_i32 s7, s3, 31
	s_lshr_b32 s7, s7, 26
	s_add_i32 s3, s3, s7
	s_ashr_i32 s3, s3, 6
	s_add_i32 s7, s3, 1
	s_not_b32 s3, s3
	v_cvt_f32_u32_e32 v2, s7
	v_rcp_iflag_f32_e32 v2, v2
	v_mul_f32_e32 v2, 0x4f7ffffe, v2
	v_cvt_u32_f32_e32 v2, v2
	v_readfirstlane_b32 s18, v2
	v_lshl_add_u32 v2, v1, 3, v0
	s_mul_i32 s3, s3, s18
	v_and_b32_e32 v7, 63, v2
	s_mul_hi_u32 s3, s18, s3
	v_lshrrev_b32_e32 v6, 6, v2
	s_add_i32 s18, s18, s3
	s_mul_hi_u32 s3, s6, s18
	s_mul_i32 s18, s3, s7
	s_add_i32 s19, s3, 1
	s_sub_i32 s18, s6, s18
	s_sub_i32 s20, s18, s7
	s_cmp_ge_u32 s18, s7
	s_cselect_b32 s3, s19, s3
	s_cselect_b32 s18, s20, s18
	s_add_i32 s19, s3, 1
	s_cmp_ge_u32 s18, s7
	s_cselect_b32 s19, s19, s3
	s_and_b32 vcc_lo, exec_lo, s2
	s_mul_i32 s7, s19, s7
	s_sub_i32 s3, s6, s7
	s_lshl_b32 s3, s3, 6
	v_or_b32_e32 v4, s3, v7
	v_ashrrev_i32_e32 v5, 31, v4
	s_cbranch_vccnz .LBB219_9
; %bb.8:
	v_mad_i64_i32 v[2:3], null, s12, v6, 0
	v_lshlrev_b64 v[9:10], 1, v[4:5]
	v_lshlrev_b64 v[2:3], 1, v[2:3]
	v_add_co_u32 v2, vcc_lo, s16, v2
	v_add_co_ci_u32_e64 v3, null, s17, v3, vcc_lo
	v_add_co_u32 v2, vcc_lo, v2, v9
	v_add_co_ci_u32_e64 v3, null, v3, v10, vcc_lo
	flat_load_ushort v2, v[2:3]
	s_waitcnt vmcnt(0) lgkmcnt(0)
	v_mul_f16_e32 v10, v84, v2
.LBB219_9:
	s_load_dword s18, s[4:5], 0x38
	s_lshl_b32 s20, s19, 8
	s_waitcnt lgkmcnt(0)
	v_mad_i64_i32 v[2:3], null, v6, s18, 0
	v_lshlrev_b64 v[11:12], 1, v[2:3]
	v_or_b32_e32 v2, s20, v7
	v_ashrrev_i32_e32 v3, 31, v2
	v_add_co_u32 v11, vcc_lo, s14, v11
	v_add_co_ci_u32_e64 v12, null, s15, v12, vcc_lo
	s_and_b32 vcc_lo, exec_lo, s2
	s_cbranch_vccnz .LBB219_11
; %bb.10:
	v_lshlrev_b64 v[8:9], 1, v[2:3]
	v_add_co_u32 v8, vcc_lo, v11, v8
	v_add_co_ci_u32_e64 v9, null, v12, v9, vcc_lo
	s_clause 0x1
	flat_load_ushort v13, v[8:9]
	flat_load_ushort v8, v[8:9] offset:128
	s_waitcnt vmcnt(1) lgkmcnt(1)
	v_mul_f16_e32 v9, v84, v13
	s_waitcnt vmcnt(0) lgkmcnt(0)
	v_mul_f16_e32 v8, v84, v8
	v_pack_b32_f16 v9, v9, 0
	s_branch .LBB219_12
.LBB219_11:
	v_mov_b32_e32 v9, 0
.LBB219_12:
	v_mov_b32_e32 v13, 0
	v_perm_b32 v35, v8, v9, 0x5040100
	s_ashr_i32 s19, s18, 31
	s_mov_b32 vcc_lo, s1
	s_cbranch_vccz .LBB219_14
; %bb.13:
	v_and_b32_e32 v36, 0xffff0000, v13
	v_mov_b32_e32 v9, 0
	v_mov_b32_e32 v8, 0
	s_cbranch_execz .LBB219_15
	s_branch .LBB219_16
.LBB219_14:
	v_mov_b32_e32 v9, 0
	v_mov_b32_e32 v8, 0
.LBB219_15:
	v_lshlrev_b64 v[14:15], 1, v[2:3]
	v_add_co_u32 v11, vcc_lo, v11, v14
	v_add_co_ci_u32_e64 v12, null, v12, v15, vcc_lo
	s_clause 0x1
	flat_load_ushort v8, v[11:12] offset:256
	flat_load_ushort v11, v[11:12] offset:384
	s_waitcnt vmcnt(1) lgkmcnt(1)
	v_mul_f16_e32 v8, v84, v8
	v_bfi_b32 v36, 0xffff, v8, v13
	s_waitcnt vmcnt(0) lgkmcnt(0)
	v_mul_f16_e32 v8, v84, v11
.LBB219_16:
	v_add_nc_u32_e32 v11, 4, v6
	s_and_b32 vcc_lo, exec_lo, s2
	s_cbranch_vccnz .LBB219_18
; %bb.17:
	v_mad_i64_i32 v[12:13], null, s12, v11, 0
	v_lshlrev_b64 v[4:5], 1, v[4:5]
	v_lshlrev_b64 v[12:13], 1, v[12:13]
	v_add_co_u32 v9, vcc_lo, s16, v12
	v_add_co_ci_u32_e64 v12, null, s17, v13, vcc_lo
	v_add_co_u32 v4, vcc_lo, v9, v4
	v_add_co_ci_u32_e64 v5, null, v12, v5, vcc_lo
	flat_load_ushort v4, v[4:5]
	s_waitcnt vmcnt(0) lgkmcnt(0)
	v_mul_f16_e32 v9, v84, v4
.LBB219_18:
	v_mad_i64_i32 v[4:5], null, v11, s18, 0
	v_lshlrev_b64 v[11:12], 1, v[4:5]
	v_add_co_u32 v5, vcc_lo, s14, v11
	v_add_co_ci_u32_e64 v11, null, s15, v12, vcc_lo
	s_and_b32 vcc_lo, exec_lo, s2
	s_cbranch_vccnz .LBB219_21
; %bb.19:
	v_lshlrev_b64 v[12:13], 1, v[2:3]
	v_add_co_u32 v12, vcc_lo, v5, v12
	v_add_co_ci_u32_e64 v13, null, v11, v13, vcc_lo
	s_clause 0x1
	flat_load_ushort v4, v[12:13]
	flat_load_ushort v12, v[12:13] offset:128
	s_waitcnt vmcnt(1) lgkmcnt(1)
	v_mul_f16_e32 v13, v84, v4
	s_waitcnt vmcnt(0) lgkmcnt(0)
	v_mul_f16_e32 v4, v84, v12
	v_pack_b32_f16 v13, v13, 0
	v_mov_b32_e32 v12, 0
	v_perm_b32 v45, v4, v13, 0x5040100
	s_mov_b32 vcc_lo, s1
	s_cbranch_vccz .LBB219_22
.LBB219_20:
	v_and_b32_e32 v46, 0xffff0000, v12
	v_mov_b32_e32 v4, 0
	s_cbranch_execz .LBB219_23
	s_branch .LBB219_24
.LBB219_21:
	v_mov_b32_e32 v13, 0
	v_mov_b32_e32 v4, 0
	;; [unrolled: 1-line block ×3, first 2 shown]
	v_perm_b32 v45, v4, v13, 0x5040100
	s_mov_b32 vcc_lo, s1
	s_cbranch_vccnz .LBB219_20
.LBB219_22:
	v_mov_b32_e32 v4, 0
.LBB219_23:
	v_lshlrev_b64 v[2:3], 1, v[2:3]
	v_add_co_u32 v2, vcc_lo, v5, v2
	v_add_co_ci_u32_e64 v3, null, v11, v3, vcc_lo
	s_clause 0x1
	flat_load_ushort v4, v[2:3] offset:256
	flat_load_ushort v2, v[2:3] offset:384
	s_waitcnt vmcnt(1) lgkmcnt(1)
	v_mul_f16_e32 v3, v84, v4
	s_waitcnt vmcnt(0) lgkmcnt(0)
	v_mul_f16_e32 v4, v84, v2
	v_bfi_b32 v46, 0xffff, v3, v12
.LBB219_24:
	v_lshlrev_b32_e32 v2, 3, v7
	v_lshlrev_b32_e32 v89, 3, v0
	;; [unrolled: 1-line block ×3, first 2 shown]
	s_load_dwordx2 s[10:11], s[10:11], 0x0
	s_load_dword s21, s[4:5], 0x8
	v_lshl_add_u32 v98, v6, 1, v2
	v_add_nc_u32_e32 v2, 0x1000, v89
	ds_write_b16 v98, v10 offset:4096
	ds_write_b16 v98, v35
	ds_write_b16_d16_hi v98, v35 offset:512
	ds_write_b16 v98, v36 offset:1024
	ds_write_b16 v98, v8 offset:1536
	s_waitcnt lgkmcnt(0)
	s_barrier
	buffer_gl0_inv
	ds_read2_b64 v[10:13], v2 offset1:8
	ds_read2_b64 v[14:17], v90 offset1:32
	ds_read2_b64 v[18:21], v2 offset0:16 offset1:24
	ds_read2_b64 v[22:25], v2 offset0:32 offset1:40
	ds_read2_b64 v[26:29], v2 offset0:48 offset1:56
	ds_read2_b64 v[30:33], v90 offset0:64 offset1:96
	s_cmp_lt_i32 s21, 9
	s_waitcnt lgkmcnt(4)
	v_pk_add_f16 v2, v10, v14
	v_pk_add_f16 v3, v12, v14
	s_waitcnt lgkmcnt(2)
	v_pk_add_f16 v37, v22, v14
	v_pk_add_f16 v52, v11, v15
	;; [unrolled: 1-line block ×3, first 2 shown]
	v_pk_min_f16 v2, 0x7c00, v2 op_sel_hi:[0,1]
	s_waitcnt lgkmcnt(1)
	v_pk_add_f16 v39, v26, v14
	v_pk_add_f16 v53, v13, v15
	;; [unrolled: 1-line block ×3, first 2 shown]
	v_pk_min_f16 v3, 0x7c00, v3 op_sel_hi:[0,1]
	v_pk_min_f16 v127, v2, v52
	v_pk_min_f16 v2, 0x7c00, v37 op_sel_hi:[0,1]
	v_pk_add_f16 v42, v12, v16
	v_pk_add_f16 v43, v18, v16
	;; [unrolled: 1-line block ×4, first 2 shown]
	v_pk_min_f16 v122, v3, v53
	v_pk_min_f16 v3, 0x7c00, v38 op_sel_hi:[0,1]
	v_pk_min_f16 v113, v2, v56
	v_pk_min_f16 v2, 0x7c00, v39 op_sel_hi:[0,1]
	v_pk_add_f16 v44, v20, v16
	v_pk_add_f16 v50, v26, v16
	;; [unrolled: 1-line block ×4, first 2 shown]
	v_pk_min_f16 v112, v3, v57
	v_pk_min_f16 v3, 0x7c00, v42 op_sel_hi:[0,1]
	v_pk_min_f16 v111, v2, v58
	v_pk_min_f16 v2, 0x7c00, v43 op_sel_hi:[0,1]
	v_pk_add_f16 v5, v18, v14
	v_pk_add_f16 v34, v20, v14
	;; [unrolled: 1-line block ×16, first 2 shown]
	s_waitcnt lgkmcnt(0)
	v_pk_add_f16 v68, v10, v30
	v_pk_add_f16 v69, v12, v30
	;; [unrolled: 1-line block ×13, first 2 shown]
	ds_read2_b64 v[14:17], v90 offset0:128 offset1:160
	v_pk_add_f16 v81, v24, v32
	v_pk_add_f16 v82, v26, v32
	;; [unrolled: 1-line block ×19, first 2 shown]
	ds_read2_b64 v[30:33], v90 offset0:192 offset1:224
	v_pk_min_f16 v108, v3, v61
	v_pk_min_f16 v3, 0x7c00, v44 op_sel_hi:[0,1]
	v_pk_min_f16 v107, v2, v62
	v_pk_min_f16 v2, 0x7c00, v50 op_sel_hi:[0,1]
	v_pk_min_f16 v5, 0x7c00, v5 op_sel_hi:[0,1]
	s_waitcnt lgkmcnt(1)
	v_pk_add_f16 v126, v10, v14
	v_pk_min_f16 v106, v3, v63
	v_pk_min_f16 v3, 0x7c00, v51 op_sel_hi:[0,1]
	v_pk_min_f16 v103, v2, v66
	v_pk_min_f16 v2, 0x7c00, v68 op_sel_hi:[0,1]
	;; [unrolled: 2-line block ×5, first 2 shown]
	v_pk_add_f16 v128, v12, v14
	v_pk_add_f16 v129, v18, v14
	v_pk_min_f16 v97, v3, v88
	v_pk_min_f16 v3, 0x7c00, v73 op_sel_hi:[0,1]
	v_pk_min_f16 v96, v2, v91
	v_pk_min_f16 v2, 0x7c00, v76 op_sel_hi:[0,1]
	v_pk_add_f16 v130, v20, v14
	v_pk_add_f16 v131, v22, v14
	;; [unrolled: 1-line block ×29, first 2 shown]
	s_waitcnt lgkmcnt(0)
	v_pk_add_f16 v155, v10, v30
	v_pk_add_f16 v156, v12, v30
	;; [unrolled: 1-line block ×32, first 2 shown]
	v_pk_min_f16 v33, 0x7c00, v34 op_sel_hi:[0,1]
	v_pk_min_f16 v110, v5, v59
	v_pk_min_f16 v5, 0x7c00, v47 op_sel_hi:[0,1]
	v_pk_min_f16 v95, v3, v92
	;; [unrolled: 2-line block ×16, first 2 shown]
	v_pk_min_f16 v87, v5, v120
	v_pk_min_f16 v5, 0x7c00, v126 op_sel_hi:[0,1]
	v_pk_min_f16 v78, v3, v144
	v_pk_min_f16 v3, 0x7c00, v14 op_sel_hi:[0,1]
	;; [unrolled: 2-line block ×9, first 2 shown]
	v_pk_min_f16 v33, 0x7c00, v75 op_sel_hi:[0,1]
	v_pk_min_f16 v71, v5, v150
	v_pk_min_f16 v5, 0x7c00, v16 op_sel_hi:[0,1]
	v_pk_min_f16 v68, v3, v153
	;; [unrolled: 2-line block ×4, first 2 shown]
	v_pk_min_f16 v33, 0x7c00, v80 op_sel_hi:[0,1]
	v_pk_min_f16 v14, 0x7c00, v137 op_sel_hi:[0,1]
	v_pk_min_f16 v66, v5, v17
	v_pk_min_f16 v64, v3, v158
	v_pk_min_f16 v3, 0x7c00, v160 op_sel_hi:[0,1]
	v_pk_min_f16 v5, 0x7c00, v163 op_sel_hi:[0,1]
	v_pk_min_f16 v63, v2, v161
	v_pk_min_f16 v2, 0x7c00, v167 op_sel_hi:[0,1]
	v_pk_min_f16 v86, v33, v121
	v_pk_min_f16 v33, 0x7c00, v128 op_sel_hi:[0,1]
	v_pk_min_f16 v70, v14, v151
	v_pk_min_f16 v14, 0x7c00, v155 op_sel_hi:[0,1]
	v_pk_min_f16 v62, v3, v162
	v_pk_min_f16 v61, v5, v165
	v_pk_min_f16 v3, 0x7c00, v30 op_sel_hi:[0,1]
	v_pk_min_f16 v59, v2, v32
	v_pk_min_f16 v2, 0x7c00, v10 op_sel_hi:[0,1]
	v_pk_min_f16 v5, 0x7c00, v12 op_sel_hi:[0,1]
	;; [unrolled: 1-line block ×3, first 2 shown]
	v_pk_min_f16 v80, v33, v142
	v_pk_min_f16 v33, 0x7c00, v133 op_sel_hi:[0,1]
	v_pk_min_f16 v65, v14, v157
	v_pk_min_f16 v14, 0x7c00, v164 op_sel_hi:[0,1]
	v_pk_min_f16 v58, v3, v31
	v_pk_min_f16 v57, v2, v11
	;; [unrolled: 1-line block ×4, first 2 shown]
	v_pk_min_f16 v2, 0x7c00, v20 op_sel_hi:[0,1]
	v_pk_min_f16 v3, 0x7c00, v22 op_sel_hi:[0,1]
	;; [unrolled: 1-line block ×5, first 2 shown]
	v_pk_min_f16 v75, v33, v147
	v_pk_min_f16 v60, v14, v166
	;; [unrolled: 1-line block ×7, first 2 shown]
	ds_write_b16 v98, v9 offset:4608
	ds_write_b16 v98, v45 offset:2048
	ds_write_b16_d16_hi v98, v45 offset:2560
	ds_write_b16 v98, v46 offset:3072
	ds_write_b16 v98, v4 offset:3584
	s_waitcnt lgkmcnt(0)
	s_barrier
	buffer_gl0_inv
	s_cbranch_scc1 .LBB219_47
; %bb.25:
	v_add_nc_u32_e32 v11, 12, v6
	v_lshl_or_b32 v5, s6, 6, v7
	s_lshl_b32 s6, s7, 6
	v_perm_b32 v46, v4, v46, 0x5040100
	v_perm_b32 v36, v8, v36, 0x5040100
	v_mad_i64_i32 v[2:3], null, v11, s12, 0
	v_subrev_nc_u32_e32 v9, s6, v5
	v_or_b32_e32 v115, 0x1000, v98
	v_or_b32_e32 v116, 0x1000, v89
	v_add_nc_u32_e32 v118, 0x1200, v98
	v_or_b32_e32 v119, 0x800, v98
	v_ashrrev_i32_e32 v10, 31, v9
	v_lshlrev_b64 v[37:38], 1, v[2:3]
	v_add_nc_u32_e32 v2, s20, v7
	v_lshl_add_u32 v120, v0, 3, 0x1200
	v_lshl_or_b32 v121, v1, 3, 0x800
	v_lshlrev_b64 v[4:5], 1, v[9:10]
	v_add_nc_u32_e32 v10, 8, v6
	v_ashrrev_i32_e32 v3, 31, v2
	v_mad_i64_i32 v[6:7], null, v11, s18, 0
	s_add_i32 s21, s21, -8
	v_mad_i64_i32 v[8:9], null, v10, s12, 0
	v_mad_i64_i32 v[10:11], null, v10, s18, 0
	v_lshlrev_b64 v[2:3], 1, v[2:3]
	v_add_co_u32 v123, vcc_lo, s16, v4
	v_add_co_ci_u32_e64 v124, null, s17, v5, vcc_lo
	v_lshlrev_b64 v[39:40], 1, v[6:7]
	v_add_co_u32 v125, vcc_lo, s14, v2
	v_lshlrev_b64 v[41:42], 1, v[8:9]
	v_lshlrev_b64 v[43:44], 1, v[10:11]
	v_add_co_ci_u32_e64 v126, null, s15, v3, vcc_lo
	s_lshl_b64 s[6:7], s[12:13], 4
	s_lshl_b64 s[12:13], s[18:19], 4
	s_mov_b32 s14, 0
	s_and_b32 vcc_lo, exec_lo, s2
	s_cbranch_vccz .LBB219_28
	s_branch .LBB219_27
.LBB219_26:
	v_mov_b32_e32 v45, v47
	s_and_b32 vcc_lo, exec_lo, s2
	s_cbranch_vccz .LBB219_28
.LBB219_27:
	v_mov_b32_e32 v14, 0
	s_mov_b32 s15, -1
	s_mov_b32 vcc_lo, s1
                                        ; implicit-def: $vgpr2_vgpr3
	s_cbranch_vccnz .LBB219_29
	s_branch .LBB219_30
.LBB219_28:
	v_add_co_u32 v2, vcc_lo, v123, v41
	v_add_co_ci_u32_e64 v3, null, v124, v42, vcc_lo
	flat_load_ushort v2, v[2:3]
	s_waitcnt vmcnt(0) lgkmcnt(0)
	v_mul_f16_e32 v14, v84, v2
	s_mov_b32 s15, -1
	s_mov_b32 vcc_lo, s1
                                        ; implicit-def: $vgpr2_vgpr3
	s_cbranch_vccz .LBB219_30
.LBB219_29:
	v_and_b32_e32 v2, 0xffff0000, v35
	v_mov_b32_e32 v3, v36
	s_mov_b32 s15, 0
.LBB219_30:
	v_mov_b32_e32 v4, 0
	s_andn2_b32 vcc_lo, exec_lo, s15
	s_cbranch_vccnz .LBB219_38
; %bb.31:
	v_add_co_u32 v2, vcc_lo, v125, v43
	v_add_co_ci_u32_e64 v3, null, v126, v44, vcc_lo
	s_clause 0x1
	flat_load_ushort v4, v[2:3]
	flat_load_ushort v2, v[2:3] offset:128
	s_waitcnt vmcnt(1) lgkmcnt(1)
	v_mul_f16_e32 v3, v84, v4
	s_waitcnt vmcnt(0) lgkmcnt(0)
	v_mul_f16_e32 v4, v84, v2
	v_bfi_b32 v35, 0xffff, v3, v35
	v_mov_b32_e32 v2, v35
	v_mov_b32_e32 v3, v36
	v_perm_b32 v35, v4, v2, 0x5040100
	s_mov_b32 s15, -1
	s_mov_b32 vcc_lo, s1
	s_cbranch_vccnz .LBB219_39
.LBB219_32:
	v_mov_b32_e32 v128, 0
	v_mov_b32_e32 v131, 0
	s_andn2_b32 vcc_lo, exec_lo, s15
	s_cbranch_vccnz .LBB219_34
.LBB219_33:
	v_add_co_u32 v4, vcc_lo, v125, v43
	v_add_co_ci_u32_e64 v5, null, v126, v44, vcc_lo
	s_clause 0x1
	flat_load_ushort v2, v[4:5] offset:256
	flat_load_ushort v4, v[4:5] offset:384
	s_waitcnt vmcnt(1) lgkmcnt(1)
	v_mul_f16_e32 v2, v84, v2
	s_waitcnt vmcnt(0) lgkmcnt(0)
	v_mul_f16_e32 v131, v84, v4
	v_bfi_b32 v36, 0xffff, v2, v3
.LBB219_34:
	ds_read2_b64 v[19:22], v120 offset1:8
	ds_read2_b64 v[2:5], v120 offset0:16 offset1:24
	ds_read2_b64 v[6:9], v120 offset0:32 offset1:40
	;; [unrolled: 1-line block ×3, first 2 shown]
	ds_read2_b64 v[31:34], v121 offset1:32
	ds_read2_b64 v[27:30], v121 offset0:64 offset1:96
	ds_read2_b64 v[23:26], v121 offset0:128 offset1:160
	;; [unrolled: 1-line block ×3, first 2 shown]
	s_and_b32 vcc_lo, exec_lo, s2
	ds_write_b16 v115, v14
	ds_write_b16 v98, v35
	ds_write_b16_d16_hi v98, v35 offset:512
	ds_write_b16 v98, v36 offset:1024
	ds_write_b16 v98, v131 offset:1536
	s_waitcnt lgkmcnt(0)
	s_barrier
	buffer_gl0_inv
	s_cbranch_vccnz .LBB219_36
; %bb.35:
	v_add_co_u32 v47, vcc_lo, v123, v37
	v_add_co_ci_u32_e64 v48, null, v124, v38, vcc_lo
	flat_load_ushort v14, v[47:48]
	s_waitcnt vmcnt(0) lgkmcnt(0)
	v_mul_f16_e32 v128, v84, v14
.LBB219_36:
	s_mov_b32 s15, -1
	s_mov_b32 vcc_lo, s1
                                        ; implicit-def: $vgpr47_vgpr48
	s_cbranch_vccz .LBB219_40
; %bb.37:
	v_and_b32_e32 v47, 0xffff0000, v45
	v_mov_b32_e32 v48, v46
	v_mov_b32_e32 v14, 0
	s_cbranch_execnz .LBB219_42
	s_branch .LBB219_41
.LBB219_38:
	v_perm_b32 v35, v4, v2, 0x5040100
	s_mov_b32 s15, -1
	s_mov_b32 vcc_lo, s1
	s_cbranch_vccz .LBB219_32
.LBB219_39:
	v_and_b32_e32 v36, 0xffff0000, v3
	v_mov_b32_e32 v128, 0
	v_mov_b32_e32 v131, 0
	s_cbranch_execz .LBB219_33
	s_branch .LBB219_34
.LBB219_40:
	v_mov_b32_e32 v14, 0
	s_andn2_b32 vcc_lo, exec_lo, s15
	s_cbranch_vccnz .LBB219_42
.LBB219_41:
	v_add_co_u32 v47, vcc_lo, v125, v39
	v_add_co_ci_u32_e64 v48, null, v126, v40, vcc_lo
	s_clause 0x1
	flat_load_ushort v14, v[47:48]
	flat_load_ushort v47, v[47:48] offset:128
	s_waitcnt vmcnt(1) lgkmcnt(1)
	v_mul_f16_e32 v14, v84, v14
	v_bfi_b32 v45, 0xffff, v14, v45
	s_waitcnt vmcnt(0) lgkmcnt(0)
	v_mul_f16_e32 v14, v84, v47
	v_mov_b32_e32 v48, v46
	v_mov_b32_e32 v47, v45
.LBB219_42:
	v_perm_b32 v47, v14, v47, 0x5040100
	s_mov_b32 s15, -1
	s_mov_b32 vcc_lo, s1
                                        ; implicit-def: $vgpr129
	s_cbranch_vccz .LBB219_44
; %bb.43:
	v_and_b32_e32 v129, 0xffff0000, v48
	v_mov_b32_e32 v130, 0
	s_cbranch_execz .LBB219_45
	s_branch .LBB219_46
.LBB219_44:
	v_mov_b32_e32 v130, 0
	s_andn2_b32 vcc_lo, exec_lo, s15
	s_cbranch_vccnz .LBB219_46
.LBB219_45:
	v_add_co_u32 v45, vcc_lo, v125, v39
	v_add_co_ci_u32_e64 v46, null, v126, v40, vcc_lo
	s_clause 0x1
	flat_load_ushort v14, v[45:46] offset:256
	flat_load_ushort v45, v[45:46] offset:384
	s_waitcnt vmcnt(1) lgkmcnt(1)
	v_mul_f16_e32 v14, v84, v14
	s_waitcnt vmcnt(0) lgkmcnt(0)
	v_mul_f16_e32 v130, v84, v45
	v_bfi_b32 v129, 0xffff, v14, v48
.LBB219_46:
	v_pk_add_f16 v14, v19, v31
	v_pk_max_f16 v45, v127, v127
	v_pk_add_f16 v46, v21, v31
	v_pk_max_f16 v48, v122, v122
	;; [unrolled: 2-line block ×3, first 2 shown]
	v_pk_min_f16 v14, v45, v14
	v_pk_max_f16 v45, v117, v117
	v_pk_add_f16 v117, v4, v31
	v_pk_add_f16 v127, v6, v31
	v_pk_max_f16 v113, v113, v113
	v_pk_add_f16 v132, v8, v31
	v_pk_min_f16 v46, v48, v46
	v_pk_min_f16 v45, v45, v122
	;; [unrolled: 1-line block ×3, first 2 shown]
	v_pk_add_f16 v114, v10, v31
	v_pk_max_f16 v111, v111, v111
	v_pk_add_f16 v31, v12, v31
	v_pk_max_f16 v110, v110, v110
	;; [unrolled: 2-line block ×4, first 2 shown]
	v_pk_min_f16 v113, v113, v127
	v_pk_add_f16 v127, v2, v33
	v_pk_min_f16 v111, v111, v114
	v_pk_min_f16 v31, v110, v31
	;; [unrolled: 1-line block ×4, first 2 shown]
	v_pk_add_f16 v110, v4, v33
	v_pk_max_f16 v106, v106, v106
	v_pk_add_f16 v114, v6, v33
	v_pk_add_f16 v117, v8, v33
	;; [unrolled: 1-line block ×4, first 2 shown]
	v_pk_max_f16 v102, v102, v102
	v_pk_max_f16 v105, v105, v105
	;; [unrolled: 1-line block ×4, first 2 shown]
	v_pk_min_f16 v106, v106, v110
	v_pk_min_f16 v33, v102, v33
	v_pk_add_f16 v102, v19, v27
	v_pk_max_f16 v101, v101, v101
	v_pk_add_f16 v110, v21, v27
	v_pk_max_f16 v100, v100, v100
	v_pk_min_f16 v105, v105, v114
	v_pk_min_f16 v104, v104, v117
	;; [unrolled: 1-line block ×3, first 2 shown]
	v_pk_add_f16 v114, v2, v27
	v_pk_max_f16 v99, v99, v99
	v_pk_add_f16 v117, v4, v27
	v_pk_max_f16 v97, v97, v97
	v_pk_add_f16 v122, v6, v27
	v_pk_min_f16 v101, v101, v102
	v_pk_min_f16 v100, v100, v110
	v_pk_add_f16 v102, v8, v27
	v_pk_max_f16 v95, v95, v95
	v_pk_add_f16 v110, v10, v27
	v_pk_add_f16 v27, v12, v27
	v_pk_max_f16 v93, v93, v93
	v_pk_min_f16 v99, v99, v114
	v_pk_min_f16 v97, v97, v117
	v_pk_max_f16 v94, v94, v94
	v_pk_add_f16 v114, v19, v29
	v_pk_max_f16 v92, v92, v92
	v_pk_add_f16 v117, v21, v29
	v_pk_max_f16 v91, v91, v91
	v_pk_min_f16 v95, v95, v102
	v_pk_min_f16 v27, v93, v27
	v_pk_add_f16 v93, v2, v29
	v_pk_max_f16 v88, v88, v88
	v_pk_add_f16 v102, v4, v29
	v_pk_max_f16 v87, v87, v87
	v_pk_min_f16 v94, v94, v110
	v_pk_min_f16 v92, v92, v114
	;; [unrolled: 1-line block ×3, first 2 shown]
	v_pk_add_f16 v110, v6, v29
	v_pk_max_f16 v86, v86, v86
	v_pk_add_f16 v114, v8, v29
	v_pk_max_f16 v85, v85, v85
	v_pk_add_f16 v117, v10, v29
	v_pk_min_f16 v88, v88, v93
	v_pk_min_f16 v87, v87, v102
	v_pk_add_f16 v29, v12, v29
	v_pk_max_f16 v82, v82, v82
	v_pk_add_f16 v93, v19, v23
	v_pk_max_f16 v81, v81, v81
	;; [unrolled: 2-line block ×3, first 2 shown]
	v_pk_min_f16 v86, v86, v110
	v_pk_min_f16 v85, v85, v114
	v_pk_add_f16 v110, v2, v23
	v_pk_max_f16 v79, v79, v79
	v_pk_add_f16 v114, v4, v23
	v_pk_min_f16 v29, v82, v29
	v_pk_min_f16 v81, v81, v93
	;; [unrolled: 1-line block ×3, first 2 shown]
	v_pk_add_f16 v82, v6, v23
	v_pk_add_f16 v93, v8, v23
	;; [unrolled: 1-line block ×4, first 2 shown]
	v_pk_max_f16 v74, v74, v74
	v_pk_min_f16 v79, v79, v110
	v_pk_max_f16 v77, v77, v77
	v_pk_max_f16 v76, v76, v76
	;; [unrolled: 1-line block ×3, first 2 shown]
	v_pk_add_f16 v110, v19, v25
	v_pk_max_f16 v73, v73, v73
	v_pk_min_f16 v23, v74, v23
	v_pk_add_f16 v74, v21, v25
	v_pk_max_f16 v72, v72, v72
	v_pk_min_f16 v77, v77, v82
	v_pk_min_f16 v76, v76, v93
	;; [unrolled: 1-line block ×4, first 2 shown]
	v_pk_add_f16 v82, v2, v25
	v_pk_max_f16 v71, v71, v71
	v_pk_add_f16 v93, v4, v25
	v_pk_add_f16 v102, v6, v25
	;; [unrolled: 1-line block ×3, first 2 shown]
	v_pk_min_f16 v72, v72, v74
	v_pk_add_f16 v74, v10, v25
	v_pk_add_f16 v25, v12, v25
	v_pk_max_f16 v66, v66, v66
	v_pk_max_f16 v70, v70, v70
	v_pk_min_f16 v71, v71, v82
	v_pk_add_f16 v82, v19, v15
	v_pk_max_f16 v65, v65, v65
	v_pk_min_f16 v25, v66, v25
	v_pk_add_f16 v66, v4, v15
	v_pk_max_f16 v62, v62, v62
	v_pk_add_f16 v4, v4, v17
	v_pk_max_f16 v54, v54, v54
	v_pk_max_f16 v69, v69, v69
	v_pk_min_f16 v70, v70, v93
	v_pk_max_f16 v67, v67, v67
	v_pk_add_f16 v93, v21, v15
	v_pk_max_f16 v64, v64, v64
	v_pk_min_f16 v65, v65, v82
	v_pk_add_f16 v82, v8, v15
	v_pk_min_f16 v62, v62, v66
	v_pk_min_f16 v66, v54, v4
	v_pk_add_f16 v4, v8, v17
	v_pk_max_f16 v8, v52, v52
	v_pk_min_f16 v69, v69, v102
	v_pk_add_f16 v102, v2, v15
	v_pk_max_f16 v63, v63, v63
	v_pk_min_f16 v67, v67, v74
	v_pk_min_f16 v64, v64, v93
	v_pk_add_f16 v74, v6, v15
	v_pk_max_f16 v61, v61, v61
	v_pk_add_f16 v93, v10, v15
	v_pk_add_f16 v10, v10, v17
	v_pk_max_f16 v51, v51, v51
	v_pk_min_f16 v8, v8, v4
	v_pk_add_f16 v4, v22, v32
	v_pk_max_f16 v78, v78, v78
	v_pk_max_f16 v68, v68, v68
	v_pk_min_f16 v63, v63, v102
	v_pk_min_f16 v61, v61, v74
	;; [unrolled: 1-line block ×3, first 2 shown]
	v_pk_add_f16 v10, v3, v32
	v_pk_min_f16 v102, v46, v4
	v_pk_add_f16 v4, v5, v32
	v_pk_min_f16 v78, v78, v114
	v_pk_min_f16 v68, v68, v110
	;; [unrolled: 1-line block ×3, first 2 shown]
	v_pk_add_f16 v10, v11, v32
	v_pk_min_f16 v114, v48, v4
	v_pk_add_f16 v4, v13, v32
	v_pk_max_f16 v60, v60, v60
	v_pk_add_f16 v15, v12, v15
	v_pk_min_f16 v111, v111, v10
	v_pk_add_f16 v10, v20, v34
	v_pk_min_f16 v135, v31, v4
	v_pk_add_f16 v4, v5, v34
	v_pk_add_f16 v19, v19, v17
	;; [unrolled: 1-line block ×3, first 2 shown]
	v_pk_min_f16 v109, v109, v10
	v_pk_add_f16 v10, v7, v34
	v_pk_min_f16 v106, v106, v4
	v_pk_add_f16 v4, v9, v34
	v_pk_add_f16 v2, v2, v17
	;; [unrolled: 1-line block ×4, first 2 shown]
	v_pk_max_f16 v17, v50, v50
	v_pk_min_f16 v105, v105, v10
	v_pk_add_f16 v10, v20, v28
	v_pk_min_f16 v104, v104, v4
	v_pk_add_f16 v4, v22, v28
	v_pk_min_f16 v60, v60, v82
	v_pk_min_f16 v82, v17, v12
	v_pk_add_f16 v12, v7, v32
	v_pk_min_f16 v101, v101, v10
	v_pk_add_f16 v10, v3, v28
	;; [unrolled: 2-line block ×3, first 2 shown]
	v_pk_max_f16 v112, v112, v112
	v_pk_max_f16 v59, v59, v59
	v_pk_add_f16 v50, v20, v32
	v_pk_min_f16 v113, v113, v12
	v_pk_add_f16 v12, v22, v34
	v_pk_min_f16 v99, v99, v10
	;; [unrolled: 2-line block ×4, first 2 shown]
	v_pk_max_f16 v107, v107, v107
	v_pk_min_f16 v59, v59, v93
	v_pk_min_f16 v93, v14, v50
	v_pk_add_f16 v14, v9, v32
	v_pk_min_f16 v108, v108, v12
	v_pk_add_f16 v12, v11, v34
	;; [unrolled: 2-line block ×4, first 2 shown]
	v_pk_min_f16 v107, v107, v127
	v_pk_min_f16 v112, v112, v14
	v_pk_add_f16 v14, v3, v34
	v_pk_min_f16 v103, v103, v12
	v_pk_add_f16 v12, v5, v28
	;; [unrolled: 2-line block ×4, first 2 shown]
	v_pk_max_f16 v96, v96, v96
	v_pk_min_f16 v107, v107, v14
	v_pk_add_f16 v14, v13, v34
	v_pk_min_f16 v97, v97, v12
	v_pk_add_f16 v12, v20, v30
	;; [unrolled: 2-line block ×4, first 2 shown]
	v_pk_min_f16 v96, v96, v122
	v_pk_min_f16 v136, v33, v14
	v_pk_add_f16 v14, v7, v28
	v_pk_min_f16 v92, v92, v12
	v_pk_add_f16 v12, v9, v30
	;; [unrolled: 2-line block ×4, first 2 shown]
	v_pk_max_f16 v83, v83, v83
	v_pk_max_f16 v55, v55, v55
	v_pk_min_f16 v96, v96, v14
	v_pk_add_f16 v14, v22, v30
	v_pk_min_f16 v85, v85, v12
	v_pk_add_f16 v12, v3, v24
	;; [unrolled: 2-line block ×4, first 2 shown]
	v_pk_min_f16 v83, v83, v117
	v_pk_max_f16 v58, v58, v58
	v_pk_max_f16 v57, v57, v57
	v_pk_min_f16 v2, v55, v2
	v_pk_min_f16 v91, v91, v14
	v_pk_add_f16 v14, v11, v30
	v_pk_min_f16 v79, v79, v12
	v_pk_add_f16 v12, v13, v24
	;; [unrolled: 2-line block ×4, first 2 shown]
	v_pk_min_f16 v15, v58, v15
	v_pk_max_f16 v53, v53, v53
	v_pk_min_f16 v19, v57, v19
	v_pk_min_f16 v83, v83, v14
	v_pk_add_f16 v14, v5, v24
	v_pk_min_f16 v58, v23, v12
	v_pk_add_f16 v12, v7, v26
	;; [unrolled: 2-line block ×4, first 2 shown]
	v_pk_max_f16 v56, v56, v56
	v_pk_min_f16 v6, v53, v6
	v_pk_min_f16 v78, v78, v14
	v_pk_add_f16 v14, v20, v26
	v_pk_min_f16 v53, v69, v12
	v_pk_min_f16 v51, v67, v10
	v_pk_add_f16 v10, v20, v16
	v_pk_add_f16 v12, v22, v16
	v_pk_min_f16 v50, v25, v4
	v_pk_add_f16 v4, v5, v16
	v_pk_min_f16 v21, v56, v21
	v_pk_min_f16 v56, v73, v14
	v_pk_add_f16 v14, v9, v26
	v_pk_min_f16 v48, v65, v10
	;; [unrolled: 3-line block ×3, first 2 shown]
	v_pk_add_f16 v4, v9, v16
	v_pk_add_f16 v12, v11, v16
	v_pk_min_f16 v52, v68, v14
	v_pk_add_f16 v14, v3, v16
	v_pk_min_f16 v31, v61, v10
	;; [unrolled: 2-line block ×3, first 2 shown]
	v_pk_min_f16 v27, v59, v12
	v_pk_add_f16 v4, v22, v18
	ds_read2_b64 v[23:26], v116 offset1:8
	ds_read2_b64 v[59:62], v90 offset1:32
	v_pk_min_f16 v45, v63, v14
	v_pk_add_f16 v14, v13, v16
	v_pk_min_f16 v10, v19, v10
	v_pk_min_f16 v34, v21, v4
	ds_read2_b64 v[19:22], v116 offset0:16 offset1:24
	v_pk_add_f16 v3, v3, v18
	v_pk_min_f16 v12, v15, v14
	ds_read2_b64 v[14:17], v116 offset0:32 offset1:40
	v_pk_add_f16 v28, v5, v18
	v_pk_max_f16 v93, v93, v93
	v_pk_min_f16 v33, v2, v3
	ds_read2_b64 v[2:5], v116 offset0:48 offset1:56
	v_pk_add_f16 v11, v11, v18
	v_pk_add_f16 v63, v13, v18
	v_pk_min_f16 v32, v66, v28
	v_pk_add_f16 v7, v7, v18
	v_pk_add_f16 v9, v9, v18
	v_pk_min_f16 v13, v74, v11
	v_pk_min_f16 v11, v82, v63
	s_waitcnt lgkmcnt(3)
	v_pk_add_f16 v67, v23, v59
	v_pk_add_f16 v68, v25, v59
	;; [unrolled: 1-line block ×5, first 2 shown]
	s_waitcnt lgkmcnt(2)
	v_pk_add_f16 v69, v19, v59
	v_pk_min_f16 v67, v93, v67
	v_pk_max_f16 v93, v110, v110
	s_waitcnt lgkmcnt(1)
	v_pk_add_f16 v72, v16, v59
	v_pk_add_f16 v154, v17, v60
	;; [unrolled: 1-line block ×4, first 2 shown]
	v_pk_min_f16 v69, v93, v69
	v_pk_max_f16 v93, v112, v112
	s_waitcnt lgkmcnt(0)
	v_pk_add_f16 v73, v2, v59
	v_pk_add_f16 v59, v4, v59
	;; [unrolled: 1-line block ×4, first 2 shown]
	v_pk_min_f16 v72, v93, v72
	v_pk_add_f16 v153, v15, v60
	v_pk_add_f16 v155, v3, v60
	;; [unrolled: 1-line block ×3, first 2 shown]
	v_pk_max_f16 v93, v109, v109
	v_pk_min_f16 v112, v72, v154
	v_pk_max_f16 v72, v135, v135
	v_pk_add_f16 v82, v25, v61
	v_pk_add_f16 v156, v24, v62
	v_pk_min_f16 v74, v93, v74
	v_pk_add_f16 v139, v19, v61
	v_pk_min_f16 v59, v72, v59
	v_pk_add_f16 v140, v21, v61
	ds_read2_b64 v[63:66], v90 offset0:64 offset1:96
	v_pk_min_f16 v109, v74, v156
	v_pk_max_f16 v74, v107, v107
	v_pk_min_f16 v110, v59, v60
	v_pk_max_f16 v59, v108, v108
	v_pk_add_f16 v158, v20, v62
	v_pk_add_f16 v159, v22, v62
	v_pk_min_f16 v74, v74, v139
	v_pk_add_f16 v141, v14, v61
	v_pk_min_f16 v59, v59, v82
	v_pk_max_f16 v82, v106, v106
	v_pk_add_f16 v142, v16, v61
	v_pk_min_f16 v107, v74, v158
	v_pk_max_f16 v74, v105, v105
	v_pk_add_f16 v143, v2, v61
	v_pk_min_f16 v82, v82, v140
	v_pk_add_f16 v160, v15, v62
	v_pk_add_f16 v161, v17, v62
	v_pk_min_f16 v74, v74, v141
	v_pk_max_f16 v93, v103, v103
	v_pk_min_f16 v106, v82, v159
	v_pk_max_f16 v82, v104, v104
	v_pk_min_f16 v28, v6, v7
	v_pk_min_f16 v18, v8, v9
	v_perm_b32 v36, v131, v36, 0x5040100
	ds_read2_b64 v[131:134], v90 offset0:128 offset1:160
	ds_read2_b64 v[6:9], v90 offset0:192 offset1:224
	v_pk_min_f16 v82, v82, v142
	v_pk_add_f16 v61, v4, v61
	v_pk_add_f16 v162, v3, v62
	v_pk_max_f16 v102, v102, v102
	v_pk_min_f16 v127, v67, v117
	v_pk_min_f16 v117, v69, v151
	v_pk_max_f16 v69, v113, v113
	v_pk_min_f16 v105, v74, v160
	v_pk_min_f16 v74, v93, v143
	;; [unrolled: 1-line block ×3, first 2 shown]
	v_pk_max_f16 v82, v136, v136
	s_waitcnt lgkmcnt(2)
	v_pk_add_f16 v144, v23, v63
	v_pk_add_f16 v146, v19, v63
	;; [unrolled: 1-line block ×4, first 2 shown]
	v_pk_min_f16 v68, v102, v68
	v_pk_min_f16 v69, v69, v71
	v_pk_min_f16 v103, v74, v162
	v_pk_max_f16 v74, v101, v101
	v_pk_min_f16 v61, v82, v61
	v_pk_max_f16 v93, v99, v99
	v_pk_add_f16 v145, v25, v63
	v_pk_min_f16 v122, v68, v122
	v_pk_max_f16 v68, v114, v114
	v_pk_min_f16 v113, v69, v153
	v_pk_max_f16 v69, v111, v111
	v_pk_max_f16 v82, v100, v100
	v_pk_min_f16 v74, v74, v144
	v_pk_add_f16 v99, v24, v64
	v_pk_min_f16 v93, v93, v146
	v_pk_min_f16 v102, v61, v62
	v_pk_add_f16 v61, v20, v64
	v_pk_add_f16 v148, v14, v63
	v_pk_min_f16 v68, v68, v70
	v_pk_min_f16 v69, v69, v73
	;; [unrolled: 1-line block ×3, first 2 shown]
	v_pk_add_f16 v100, v26, v64
	v_pk_min_f16 v101, v74, v99
	v_pk_min_f16 v99, v93, v61
	v_pk_max_f16 v61, v96, v96
	v_pk_add_f16 v147, v21, v63
	v_pk_add_f16 v149, v16, v63
	;; [unrolled: 1-line block ×12, first 2 shown]
	s_waitcnt lgkmcnt(1)
	v_pk_add_f16 v151, v23, v131
	v_pk_add_f16 v70, v25, v131
	;; [unrolled: 1-line block ×3, first 2 shown]
	v_pk_min_f16 v114, v68, v152
	v_pk_add_f16 v68, v21, v131
	v_pk_add_f16 v152, v14, v131
	;; [unrolled: 1-line block ×6, first 2 shown]
	v_pk_min_f16 v111, v69, v155
	v_pk_add_f16 v69, v25, v133
	v_pk_add_f16 v131, v19, v133
	;; [unrolled: 1-line block ×6, first 2 shown]
	v_pk_min_f16 v108, v59, v157
	v_pk_add_f16 v59, v4, v133
	s_waitcnt lgkmcnt(0)
	v_pk_add_f16 v133, v23, v6
	v_pk_add_f16 v140, v25, v6
	;; [unrolled: 1-line block ×12, first 2 shown]
	v_pk_max_f16 v62, v97, v97
	v_pk_min_f16 v100, v82, v100
	v_pk_add_f16 v14, v14, v8
	v_pk_add_f16 v16, v16, v8
	v_pk_add_f16 v2, v2, v8
	v_pk_max_f16 v82, v94, v94
	v_pk_min_f16 v61, v61, v148
	v_pk_add_f16 v94, v15, v64
	v_pk_add_f16 v4, v4, v8
	v_pk_max_f16 v8, v137, v137
	v_pk_min_f16 v62, v62, v147
	v_pk_add_f16 v93, v22, v64
	v_pk_min_f16 v96, v61, v94
	v_pk_add_f16 v61, v5, v64
	v_pk_min_f16 v8, v8, v63
	v_pk_min_f16 v82, v82, v150
	;; [unrolled: 1-line block ×3, first 2 shown]
	v_pk_add_f16 v62, v3, v64
	v_pk_max_f16 v63, v91, v91
	v_pk_min_f16 v93, v8, v61
	v_pk_max_f16 v8, v87, v87
	v_pk_add_f16 v61, v22, v66
	v_pk_min_f16 v94, v82, v62
	v_pk_add_f16 v82, v26, v66
	v_pk_min_f16 v63, v63, v164
	v_pk_min_f16 v8, v8, v166
	v_pk_max_f16 v74, v95, v95
	v_pk_add_f16 v95, v17, v64
	v_pk_max_f16 v62, v92, v92
	v_pk_min_f16 v91, v63, v82
	v_pk_max_f16 v63, v85, v85
	v_pk_min_f16 v87, v8, v61
	;; [unrolled: 2-line block ×3, first 2 shown]
	v_pk_add_f16 v82, v17, v66
	v_pk_min_f16 v63, v63, v67
	v_pk_add_f16 v61, v5, v66
	v_pk_min_f16 v8, v8, v65
	v_pk_min_f16 v95, v74, v95
	v_pk_max_f16 v74, v88, v88
	v_pk_min_f16 v85, v63, v82
	v_pk_add_f16 v64, v24, v66
	v_pk_min_f16 v82, v8, v61
	v_pk_max_f16 v8, v78, v78
	v_pk_min_f16 v62, v62, v163
	v_pk_add_f16 v88, v20, v66
	v_pk_min_f16 v74, v74, v165
	v_pk_add_f16 v61, v22, v132
	v_pk_min_f16 v8, v8, v68
	v_pk_min_f16 v92, v62, v64
	v_pk_max_f16 v62, v86, v86
	v_pk_min_f16 v88, v74, v88
	v_pk_max_f16 v74, v83, v83
	;; [unrolled: 2-line block ×3, first 2 shown]
	v_pk_add_f16 v64, v15, v66
	v_pk_min_f16 v62, v62, v167
	v_pk_add_f16 v67, v3, v66
	v_pk_min_f16 v74, v74, v168
	;; [unrolled: 2-line block ×3, first 2 shown]
	v_pk_min_f16 v86, v62, v64
	v_pk_max_f16 v62, v81, v81
	v_pk_min_f16 v83, v74, v67
	v_pk_max_f16 v63, v80, v80
	;; [unrolled: 2-line block ×3, first 2 shown]
	v_pk_add_f16 v64, v24, v132
	v_pk_min_f16 v62, v62, v151
	v_pk_add_f16 v66, v26, v132
	v_pk_min_f16 v63, v63, v70
	;; [unrolled: 2-line block ×3, first 2 shown]
	v_pk_max_f16 v65, v79, v79
	v_pk_min_f16 v81, v62, v64
	v_pk_min_f16 v80, v63, v66
	v_pk_max_f16 v62, v77, v77
	v_pk_max_f16 v63, v76, v76
	v_pk_min_f16 v70, v8, v54
	v_pk_max_f16 v8, v50, v50
	v_pk_add_f16 v67, v20, v132
	v_pk_min_f16 v65, v65, v71
	v_pk_add_f16 v64, v15, v132
	v_pk_min_f16 v62, v62, v152
	;; [unrolled: 2-line block ×3, first 2 shown]
	v_pk_max_f16 v56, v56, v56
	v_pk_max_f16 v55, v55, v55
	;; [unrolled: 1-line block ×3, first 2 shown]
	v_pk_add_f16 v50, v5, v134
	v_pk_min_f16 v8, v8, v59
	v_pk_min_f16 v79, v65, v67
	v_pk_max_f16 v65, v75, v75
	v_pk_min_f16 v77, v62, v64
	v_pk_min_f16 v76, v63, v66
	v_pk_add_f16 v61, v24, v134
	v_pk_min_f16 v56, v56, v72
	v_pk_add_f16 v62, v26, v134
	;; [unrolled: 2-line block ×3, first 2 shown]
	v_pk_min_f16 v57, v57, v131
	v_pk_max_f16 v53, v53, v53
	v_pk_max_f16 v52, v52, v52
	;; [unrolled: 1-line block ×3, first 2 shown]
	v_pk_min_f16 v66, v8, v50
	v_pk_max_f16 v8, v30, v30
	v_pk_add_f16 v67, v3, v132
	v_pk_min_f16 v65, v65, v135
	v_pk_min_f16 v73, v56, v61
	;; [unrolled: 1-line block ×4, first 2 shown]
	v_pk_add_f16 v55, v15, v134
	v_pk_min_f16 v53, v53, v154
	v_pk_add_f16 v56, v17, v134
	v_pk_min_f16 v52, v52, v155
	;; [unrolled: 2-line block ×3, first 2 shown]
	v_pk_max_f16 v48, v48, v48
	v_pk_max_f16 v46, v46, v46
	;; [unrolled: 1-line block ×3, first 2 shown]
	v_pk_add_f16 v30, v22, v7
	v_pk_min_f16 v8, v8, v141
	v_pk_min_f16 v75, v65, v67
	;; [unrolled: 1-line block ×5, first 2 shown]
	v_pk_add_f16 v51, v24, v7
	v_pk_min_f16 v48, v48, v133
	v_pk_add_f16 v52, v26, v7
	v_pk_min_f16 v46, v46, v140
	v_pk_add_f16 v53, v20, v7
	v_pk_min_f16 v45, v45, v156
	v_pk_min_f16 v62, v8, v30
	v_pk_max_f16 v8, v12, v12
	v_pk_max_f16 v10, v10, v10
	v_pk_min_f16 v65, v48, v51
	v_pk_min_f16 v64, v46, v52
	;; [unrolled: 1-line block ×3, first 2 shown]
	v_pk_add_f16 v45, v15, v7
	v_pk_add_f16 v46, v17, v7
	;; [unrolled: 1-line block ×4, first 2 shown]
	v_pk_min_f16 v6, v8, v6
	v_pk_max_f16 v8, v34, v34
	v_pk_add_f16 v12, v24, v9
	v_pk_min_f16 v10, v10, v23
	v_pk_max_f16 v31, v31, v31
	v_pk_max_f16 v29, v29, v29
	;; [unrolled: 1-line block ×4, first 2 shown]
	v_pk_add_f16 v23, v26, v9
	v_pk_min_f16 v8, v8, v25
	v_pk_min_f16 v58, v6, v7
	;; [unrolled: 1-line block ×3, first 2 shown]
	v_pk_max_f16 v6, v32, v32
	v_pk_max_f16 v7, v28, v28
	;; [unrolled: 1-line block ×5, first 2 shown]
	v_pk_min_f16 v31, v31, v142
	v_pk_min_f16 v29, v29, v157
	;; [unrolled: 1-line block ×3, first 2 shown]
	v_pk_add_f16 v20, v20, v9
	v_pk_min_f16 v19, v24, v19
	v_pk_min_f16 v56, v8, v23
	v_pk_add_f16 v8, v22, v9
	v_pk_min_f16 v6, v6, v21
	v_pk_add_f16 v10, v15, v9
	;; [unrolled: 2-line block ×5, first 2 shown]
	v_pk_min_f16 v4, v11, v4
	v_add_co_u32 v123, vcc_lo, v123, s6
	v_add_co_ci_u32_e64 v124, null, s7, v124, vcc_lo
	v_add_co_u32 v125, vcc_lo, v125, s12
	v_pk_min_f16 v61, v31, v45
	v_pk_min_f16 v60, v29, v46
	;; [unrolled: 1-line block ×9, first 2 shown]
	v_perm_b32 v46, v130, v129, 0x5040100
	v_add_co_ci_u32_e64 v126, null, s13, v126, vcc_lo
	s_add_i32 s14, s14, 8
	ds_write_b16 v118, v128
	ds_write_b16 v119, v47
	ds_write_b16_d16_hi v119, v47 offset:512
	ds_write_b16 v119, v129 offset:1024
	ds_write_b16 v119, v130 offset:1536
	s_cmp_ge_i32 s14, s21
	s_waitcnt lgkmcnt(0)
	s_barrier
	buffer_gl0_inv
	s_cbranch_scc0 .LBB219_26
.LBB219_47:
	s_load_dword s6, s[4:5], 0x58
	v_add_nc_u32_e32 v48, s20, v1
	ds_read_b64 v[30:31], v89 offset:4608
	ds_read_b64 v[46:47], v90 offset:2048
	v_add_nc_u32_e32 v44, s3, v0
	v_cmp_neq_f16_e64 s2, 0, v49
	v_mov_b32_e32 v34, 0
	v_ashrrev_i32_e32 v45, 31, v44
	s_and_b32 vcc_lo, exec_lo, s2
	v_lshlrev_b64 v[28:29], 1, v[44:45]
	s_waitcnt lgkmcnt(0)
	v_mad_i64_i32 v[1:2], null, v48, s6, 0
	v_lshlrev_b64 v[0:1], 1, v[1:2]
	v_add_co_u32 v84, s1, s8, v0
	v_add_co_ci_u32_e64 v98, null, s9, v1, s1
	v_mov_b32_e32 v0, 0
	s_cbranch_vccz .LBB219_49
; %bb.48:
	v_add_co_u32 v0, vcc_lo, v84, v28
	v_add_co_ci_u32_e64 v1, null, v98, v29, vcc_lo
	flat_load_ushort v0, v[0:1]
	s_waitcnt vmcnt(0) lgkmcnt(0)
	v_mul_f16_e32 v0, v49, v0
	v_cvt_f32_f16_e32 v0, v0
.LBB219_49:
	s_clause 0x1
	s_load_dword s3, s[4:5], 0x70
	s_load_dwordx2 s[4:5], s[4:5], 0x78
	v_pk_add_f16 v2, v30, v46
	v_pk_add_f16 v13, v31, v47
	v_max_f16_e32 v3, v127, v127
	v_lshrrev_b32_e32 v4, 16, v127
	v_add_nc_u32_e32 v1, 0x1000, v89
	v_lshrrev_b32_e32 v5, 16, v2
	v_lshrrev_b32_e32 v6, 16, v13
	v_add_nc_u32_e32 v12, 0x800, v90
	v_min_f16_e32 v14, v3, v2
	ds_read_b64 v[24:25], v89 offset:5056
	ds_read_b64 v[26:27], v90 offset:3840
	v_min3_f16 v15, v4, v5, v6
	v_max_f32_e32 v37, v0, v0
	ds_read2_b64 v[8:11], v1 offset0:72 offset1:80
	ds_read2_b64 v[4:7], v1 offset0:88 offset1:96
	;; [unrolled: 1-line block ×3, first 2 shown]
	v_min3_f16 v33, v14, v13, v15
	ds_read2_b64 v[20:23], v12 offset0:32 offset1:64
	ds_read2_b64 v[16:19], v12 offset0:96 offset1:128
	;; [unrolled: 1-line block ×3, first 2 shown]
	s_waitcnt lgkmcnt(0)
	v_mad_i64_i32 v[35:36], null, v48, s3, 0
	v_add_nc_u32_e32 v32, 8, v44
	s_lshl_b64 s[4:5], s[4:5], 1
	v_cvt_f32_f16_e32 v39, v33
	s_add_u32 s4, s10, s4
	s_addc_u32 s5, s11, s5
	v_ashrrev_i32_e32 v33, 31, v32
	v_lshlrev_b64 v[35:36], 1, v[35:36]
	v_cndmask_b32_e64 v38, 0, 1, s2
	v_min_f32_e32 v37, v37, v39
	v_lshlrev_b64 v[32:33], 1, v[32:33]
	v_cmp_ne_u32_e64 s1, 1, v38
	v_add_co_u32 v89, vcc_lo, s4, v35
	v_add_co_ci_u32_e64 v90, null, s5, v36, vcc_lo
	v_cvt_f16_f32_e32 v37, v37
	v_add_co_u32 v35, vcc_lo, v89, v28
	v_add_co_ci_u32_e64 v36, null, v90, v29, vcc_lo
	s_andn2_b32 vcc_lo, exec_lo, s2
	flat_store_short v[35:36], v37
	s_cbranch_vccnz .LBB219_51
; %bb.50:
	v_add_co_u32 v34, vcc_lo, v84, v32
	v_add_co_ci_u32_e64 v35, null, v98, v33, vcc_lo
	flat_load_ushort v34, v[34:35]
	s_waitcnt vmcnt(0) lgkmcnt(0)
	v_mul_f16_e32 v34, v49, v34
	v_cvt_f32_f16_e32 v34, v34
.LBB219_51:
	v_pk_add_f16 v35, v8, v46
	v_pk_add_f16 v36, v9, v47
	v_max_f16_e32 v37, v122, v122
	v_lshrrev_b32_e32 v38, 16, v122
	v_max_f32_e32 v34, v34, v34
	v_lshrrev_b32_e32 v39, 16, v35
	v_lshrrev_b32_e32 v40, 16, v36
	v_min_f16_e32 v35, v37, v35
	v_min3_f16 v37, v38, v39, v40
	v_add_co_u32 v39, vcc_lo, v89, v32
	v_add_co_ci_u32_e64 v40, null, v90, v33, vcc_lo
	v_min3_f16 v36, v35, v36, v37
	v_add_nc_u32_e32 v35, 16, v44
	v_mov_b32_e32 v38, 0
	s_and_b32 vcc_lo, exec_lo, s1
	v_cvt_f32_f16_e32 v37, v36
	v_ashrrev_i32_e32 v36, 31, v35
	v_min_f32_e32 v34, v34, v37
	v_cvt_f16_f32_e32 v37, v34
	v_lshlrev_b64 v[34:35], 1, v[35:36]
	v_mov_b32_e32 v36, 0
	flat_store_short v[39:40], v37
	s_cbranch_vccnz .LBB219_53
; %bb.52:
	v_add_co_u32 v36, vcc_lo, v84, v34
	v_add_co_ci_u32_e64 v37, null, v98, v35, vcc_lo
	flat_load_ushort v36, v[36:37]
	s_waitcnt vmcnt(0) lgkmcnt(0)
	v_mul_f16_e32 v36, v49, v36
	v_cvt_f32_f16_e32 v36, v36
.LBB219_53:
	v_pk_add_f16 v37, v10, v46
	v_pk_add_f16 v39, v11, v47
	v_max_f16_e32 v40, v117, v117
	v_lshrrev_b32_e32 v41, 16, v117
	v_max_f32_e32 v36, v36, v36
	v_lshrrev_b32_e32 v42, 16, v37
	v_lshrrev_b32_e32 v43, 16, v39
	v_min_f16_e32 v37, v40, v37
	v_min3_f16 v40, v41, v42, v43
	v_add_co_u32 v41, vcc_lo, v89, v34
	v_add_co_ci_u32_e64 v42, null, v90, v35, vcc_lo
	v_min3_f16 v37, v37, v39, v40
	v_add_nc_u32_e32 v39, 24, v44
	s_and_b32 vcc_lo, exec_lo, s1
	v_cvt_f32_f16_e32 v37, v37
	v_ashrrev_i32_e32 v40, 31, v39
	v_min_f32_e32 v36, v36, v37
	v_cvt_f16_f32_e32 v43, v36
	v_lshlrev_b64 v[36:37], 1, v[39:40]
	flat_store_short v[41:42], v43
	s_cbranch_vccnz .LBB219_55
; %bb.54:
	v_add_co_u32 v38, vcc_lo, v84, v36
	v_add_co_ci_u32_e64 v39, null, v98, v37, vcc_lo
	flat_load_ushort v38, v[38:39]
	s_waitcnt vmcnt(0) lgkmcnt(0)
	v_mul_f16_e32 v38, v49, v38
	v_cvt_f32_f16_e32 v38, v38
.LBB219_55:
	v_pk_add_f16 v39, v4, v46
	v_pk_add_f16 v40, v5, v47
	v_max_f16_e32 v41, v114, v114
	v_lshrrev_b32_e32 v42, 16, v114
	v_max_f32_e32 v38, v38, v38
	v_lshrrev_b32_e32 v43, 16, v39
	v_lshrrev_b32_e32 v45, 16, v40
	v_min_f16_e32 v39, v41, v39
	v_add_co_u32 v114, vcc_lo, v89, v36
	v_add_co_ci_u32_e64 v115, null, v90, v37, vcc_lo
	v_min3_f16 v41, v42, v43, v45
	s_and_b32 vcc_lo, exec_lo, s1
	v_min3_f16 v40, v39, v40, v41
	v_add_nc_u32_e32 v39, 32, v44
	v_cvt_f32_f16_e32 v41, v40
	v_ashrrev_i32_e32 v40, 31, v39
	v_min_f32_e32 v41, v38, v41
	v_lshlrev_b64 v[42:43], 1, v[39:40]
	v_mov_b32_e32 v38, 0
	v_mov_b32_e32 v39, 0
	v_cvt_f16_f32_e32 v41, v41
	flat_store_short v[114:115], v41
	s_cbranch_vccnz .LBB219_57
; %bb.56:
	v_add_co_u32 v39, vcc_lo, v84, v42
	v_add_co_ci_u32_e64 v40, null, v98, v43, vcc_lo
	flat_load_ushort v39, v[39:40]
	s_waitcnt vmcnt(0) lgkmcnt(0)
	v_mul_f16_e32 v39, v49, v39
	v_cvt_f32_f16_e32 v39, v39
.LBB219_57:
	v_pk_add_f16 v40, v6, v46
	v_pk_add_f16 v41, v7, v47
	v_max_f16_e32 v45, v113, v113
	v_lshrrev_b32_e32 v113, 16, v113
	v_max_f32_e32 v39, v39, v39
	v_lshrrev_b32_e32 v114, 16, v40
	v_lshrrev_b32_e32 v115, 16, v41
	v_min_f16_e32 v40, v45, v40
	v_min3_f16 v45, v113, v114, v115
	v_add_co_u32 v113, vcc_lo, v89, v42
	v_add_co_ci_u32_e64 v114, null, v90, v43, vcc_lo
	v_min3_f16 v41, v40, v41, v45
	v_add_nc_u32_e32 v40, 40, v44
	s_and_b32 vcc_lo, exec_lo, s1
	v_cvt_f32_f16_e32 v45, v41
	v_ashrrev_i32_e32 v41, 31, v40
	v_min_f32_e32 v39, v39, v45
	v_lshlrev_b64 v[40:41], 1, v[40:41]
	v_cvt_f16_f32_e32 v39, v39
	flat_store_short v[113:114], v39
	s_cbranch_vccnz .LBB219_59
; %bb.58:
	v_add_co_u32 v38, vcc_lo, v84, v40
	v_add_co_ci_u32_e64 v39, null, v98, v41, vcc_lo
	flat_load_ushort v38, v[38:39]
	s_waitcnt vmcnt(0) lgkmcnt(0)
	v_mul_f16_e32 v38, v49, v38
	v_cvt_f32_f16_e32 v38, v38
.LBB219_59:
	v_pk_add_f16 v39, v0, v46
	v_pk_add_f16 v45, v1, v47
	v_max_f16_e32 v113, v112, v112
	v_lshrrev_b32_e32 v112, 16, v112
	v_max_f32_e32 v38, v38, v38
	v_lshrrev_b32_e32 v114, 16, v39
	v_lshrrev_b32_e32 v115, 16, v45
	v_min_f16_e32 v39, v113, v39
	v_add_nc_u32_e32 v113, 48, v44
	v_min3_f16 v112, v112, v114, v115
	v_add_co_u32 v115, vcc_lo, v89, v40
	v_ashrrev_i32_e32 v114, 31, v113
	v_add_co_ci_u32_e64 v116, null, v90, v41, vcc_lo
	v_min3_f16 v39, v39, v45, v112
	v_mov_b32_e32 v112, 0
	v_mov_b32_e32 v45, 0
	s_and_b32 vcc_lo, exec_lo, s1
	v_cvt_f32_f16_e32 v39, v39
	v_min_f32_e32 v38, v38, v39
	v_cvt_f16_f32_e32 v117, v38
	v_lshlrev_b64 v[38:39], 1, v[113:114]
	flat_store_short v[115:116], v117
	s_cbranch_vccnz .LBB219_61
; %bb.60:
	v_add_co_u32 v113, vcc_lo, v84, v38
	v_add_co_ci_u32_e64 v114, null, v98, v39, vcc_lo
	flat_load_ushort v45, v[113:114]
	s_waitcnt vmcnt(0) lgkmcnt(0)
	v_mul_f16_e32 v45, v49, v45
	v_cvt_f32_f16_e32 v45, v45
.LBB219_61:
	v_pk_add_f16 v113, v2, v46
	v_pk_add_f16 v114, v3, v47
	v_max_f16_e32 v115, v111, v111
	v_lshrrev_b32_e32 v111, 16, v111
	v_add_nc_u32_e32 v44, 56, v44
	v_lshrrev_b32_e32 v116, 16, v113
	v_lshrrev_b32_e32 v117, 16, v114
	v_min_f16_e32 v113, v115, v113
	v_min3_f16 v111, v111, v116, v117
	v_min3_f16 v111, v113, v114, v111
	v_max_f32_e32 v113, v45, v45
	v_ashrrev_i32_e32 v45, 31, v44
	v_cvt_f32_f16_e32 v111, v111
	v_lshlrev_b64 v[44:45], 1, v[44:45]
	v_min_f32_e32 v111, v113, v111
	v_add_co_u32 v113, vcc_lo, v89, v38
	v_add_co_ci_u32_e64 v114, null, v90, v39, vcc_lo
	v_cvt_f16_f32_e32 v111, v111
	s_and_b32 vcc_lo, exec_lo, s1
	flat_store_short v[113:114], v111
	s_cbranch_vccnz .LBB219_63
; %bb.62:
	v_add_co_u32 v111, vcc_lo, v84, v44
	v_add_co_ci_u32_e64 v112, null, v98, v45, vcc_lo
	flat_load_ushort v84, v[111:112]
	s_waitcnt vmcnt(0) lgkmcnt(0)
	v_mul_f16_e32 v84, v49, v84
	v_cvt_f32_f16_e32 v112, v84
.LBB219_63:
	v_pk_add_f16 v46, v24, v46
	v_pk_add_f16 v98, v25, v47
	v_max_f16_e32 v47, v110, v110
	v_lshrrev_b32_e32 v110, 16, v110
	v_add_nc_u32_e32 v84, 32, v48
	v_lshrrev_b32_e32 v111, 16, v46
	v_lshrrev_b32_e32 v113, 16, v98
	v_min_f16_e32 v114, v47, v46
	v_max_f32_e32 v112, v112, v112
	v_mad_i64_i32 v[46:47], null, v84, s6, 0
	v_min3_f16 v110, v110, v111, v113
	v_min3_f16 v98, v114, v98, v110
	v_lshlrev_b64 v[46:47], 1, v[46:47]
	v_add_co_u32 v110, vcc_lo, v89, v44
	v_add_co_ci_u32_e64 v111, null, v90, v45, vcc_lo
	v_cvt_f32_f16_e32 v98, v98
	v_add_co_u32 v46, vcc_lo, s8, v46
	v_add_co_ci_u32_e64 v47, null, s9, v47, vcc_lo
	v_min_f32_e32 v89, v112, v98
	v_mov_b32_e32 v90, 0
	s_and_b32 vcc_lo, exec_lo, s1
	v_cvt_f16_f32_e32 v98, v89
	v_mov_b32_e32 v89, 0
	flat_store_short v[110:111], v98
	s_cbranch_vccnz .LBB219_65
; %bb.64:
	v_add_co_u32 v110, vcc_lo, v46, v28
	v_add_co_ci_u32_e64 v111, null, v47, v29, vcc_lo
	flat_load_ushort v89, v[110:111]
	s_waitcnt vmcnt(0) lgkmcnt(0)
	v_mul_f16_e32 v89, v49, v89
	v_cvt_f32_f16_e32 v89, v89
.LBB219_65:
	v_pk_add_f16 v98, v30, v20
	v_pk_add_f16 v111, v31, v21
	v_max_f16_e32 v110, v109, v109
	v_lshrrev_b32_e32 v109, 16, v109
	v_max_f32_e32 v89, v89, v89
	v_lshrrev_b32_e32 v112, 16, v98
	v_lshrrev_b32_e32 v113, 16, v111
	v_min_f16_e32 v98, v110, v98
	v_min3_f16 v112, v109, v112, v113
	v_mad_i64_i32 v[109:110], null, v84, s3, 0
	v_min3_f16 v84, v98, v111, v112
	v_lshlrev_b64 v[109:110], 1, v[109:110]
	v_cvt_f32_f16_e32 v84, v84
	v_min_f32_e32 v98, v89, v84
	v_add_co_u32 v84, vcc_lo, s4, v109
	v_add_co_ci_u32_e64 v89, null, s5, v110, vcc_lo
	v_cvt_f16_f32_e32 v98, v98
	v_add_co_u32 v109, vcc_lo, v84, v28
	v_add_co_ci_u32_e64 v110, null, v89, v29, vcc_lo
	s_and_b32 vcc_lo, exec_lo, s1
	flat_store_short v[109:110], v98
	s_cbranch_vccnz .LBB219_67
; %bb.66:
	v_add_co_u32 v109, vcc_lo, v46, v32
	v_add_co_ci_u32_e64 v110, null, v47, v33, vcc_lo
	flat_load_ushort v90, v[109:110]
	s_waitcnt vmcnt(0) lgkmcnt(0)
	v_mul_f16_e32 v90, v49, v90
	v_cvt_f32_f16_e32 v90, v90
.LBB219_67:
	v_pk_add_f16 v98, v8, v20
	v_pk_add_f16 v109, v9, v21
	v_max_f16_e32 v110, v108, v108
	v_lshrrev_b32_e32 v108, 16, v108
	v_max_f32_e32 v90, v90, v90
	v_lshrrev_b32_e32 v111, 16, v98
	v_lshrrev_b32_e32 v112, 16, v109
	v_min_f16_e32 v98, v110, v98
	v_min3_f16 v108, v108, v111, v112
	v_min3_f16 v98, v98, v109, v108
	v_add_co_u32 v108, vcc_lo, v84, v32
	v_add_co_ci_u32_e64 v109, null, v89, v33, vcc_lo
	v_cvt_f32_f16_e32 v98, v98
	s_and_b32 vcc_lo, exec_lo, s1
	v_min_f32_e32 v90, v90, v98
	v_mov_b32_e32 v98, 0
	v_cvt_f16_f32_e32 v110, v90
	v_mov_b32_e32 v90, 0
	flat_store_short v[108:109], v110
	s_cbranch_vccnz .LBB219_69
; %bb.68:
	v_add_co_u32 v108, vcc_lo, v46, v34
	v_add_co_ci_u32_e64 v109, null, v47, v35, vcc_lo
	flat_load_ushort v98, v[108:109]
	s_waitcnt vmcnt(0) lgkmcnt(0)
	v_mul_f16_e32 v98, v49, v98
	v_cvt_f32_f16_e32 v98, v98
.LBB219_69:
	v_pk_add_f16 v108, v10, v20
	v_pk_add_f16 v109, v11, v21
	v_max_f16_e32 v110, v107, v107
	v_lshrrev_b32_e32 v107, 16, v107
	v_max_f32_e32 v98, v98, v98
	v_lshrrev_b32_e32 v111, 16, v108
	v_lshrrev_b32_e32 v112, 16, v109
	v_min_f16_e32 v108, v110, v108
	v_min3_f16 v107, v107, v111, v112
	v_min3_f16 v107, v108, v109, v107
	v_cvt_f32_f16_e32 v107, v107
	v_min_f32_e32 v98, v98, v107
	v_add_co_u32 v107, vcc_lo, v84, v34
	v_add_co_ci_u32_e64 v108, null, v89, v35, vcc_lo
	v_cvt_f16_f32_e32 v98, v98
	s_and_b32 vcc_lo, exec_lo, s1
	flat_store_short v[107:108], v98
	s_cbranch_vccnz .LBB219_71
; %bb.70:
	v_add_co_u32 v107, vcc_lo, v46, v36
	v_add_co_ci_u32_e64 v108, null, v47, v37, vcc_lo
	flat_load_ushort v90, v[107:108]
	s_waitcnt vmcnt(0) lgkmcnt(0)
	v_mul_f16_e32 v90, v49, v90
	v_cvt_f32_f16_e32 v90, v90
.LBB219_71:
	v_pk_add_f16 v98, v4, v20
	v_pk_add_f16 v107, v5, v21
	v_max_f16_e32 v108, v106, v106
	v_lshrrev_b32_e32 v106, 16, v106
	v_max_f32_e32 v90, v90, v90
	v_lshrrev_b32_e32 v109, 16, v98
	v_lshrrev_b32_e32 v110, 16, v107
	v_min_f16_e32 v98, v108, v98
	v_min3_f16 v106, v106, v109, v110
	v_min3_f16 v98, v98, v107, v106
	v_add_co_u32 v106, vcc_lo, v84, v36
	v_add_co_ci_u32_e64 v107, null, v89, v37, vcc_lo
	v_cvt_f32_f16_e32 v98, v98
	s_and_b32 vcc_lo, exec_lo, s1
	v_min_f32_e32 v90, v90, v98
	v_mov_b32_e32 v98, 0
	v_cvt_f16_f32_e32 v108, v90
	v_mov_b32_e32 v90, 0
	flat_store_short v[106:107], v108
	s_cbranch_vccnz .LBB219_73
; %bb.72:
	v_add_co_u32 v106, vcc_lo, v46, v42
	v_add_co_ci_u32_e64 v107, null, v47, v43, vcc_lo
	flat_load_ushort v98, v[106:107]
	s_waitcnt vmcnt(0) lgkmcnt(0)
	v_mul_f16_e32 v98, v49, v98
	v_cvt_f32_f16_e32 v98, v98
.LBB219_73:
	v_pk_add_f16 v106, v6, v20
	v_pk_add_f16 v107, v7, v21
	v_max_f16_e32 v108, v105, v105
	v_lshrrev_b32_e32 v105, 16, v105
	v_max_f32_e32 v98, v98, v98
	v_lshrrev_b32_e32 v109, 16, v106
	v_lshrrev_b32_e32 v110, 16, v107
	v_min_f16_e32 v106, v108, v106
	v_min3_f16 v105, v105, v109, v110
	v_min3_f16 v105, v106, v107, v105
	v_cvt_f32_f16_e32 v105, v105
	v_min_f32_e32 v98, v98, v105
	v_add_co_u32 v105, vcc_lo, v84, v42
	v_add_co_ci_u32_e64 v106, null, v89, v43, vcc_lo
	v_cvt_f16_f32_e32 v98, v98
	;; [unrolled: 54-line block ×3, first 2 shown]
	s_and_b32 vcc_lo, exec_lo, s1
	flat_store_short v[103:104], v98
	s_cbranch_vccnz .LBB219_79
; %bb.78:
	v_add_co_u32 v46, vcc_lo, v46, v44
	v_add_co_ci_u32_e64 v47, null, v47, v45, vcc_lo
	flat_load_ushort v46, v[46:47]
	s_waitcnt vmcnt(0) lgkmcnt(0)
	v_mul_f16_e32 v46, v49, v46
	v_cvt_f32_f16_e32 v90, v46
.LBB219_79:
	v_pk_add_f16 v20, v24, v20
	v_pk_add_f16 v47, v25, v21
	v_max_f16_e32 v21, v102, v102
	v_lshrrev_b32_e32 v98, 16, v102
	v_add_nc_u32_e32 v46, 64, v48
	v_lshrrev_b32_e32 v102, 16, v20
	v_lshrrev_b32_e32 v103, 16, v47
	v_min_f16_e32 v104, v21, v20
	v_max_f32_e32 v90, v90, v90
	v_mad_i64_i32 v[20:21], null, v46, s6, 0
	v_min3_f16 v98, v98, v102, v103
	v_add_co_u32 v102, vcc_lo, v84, v44
	v_add_co_ci_u32_e64 v103, null, v89, v45, vcc_lo
	v_min3_f16 v47, v104, v47, v98
	v_lshlrev_b64 v[20:21], 1, v[20:21]
	v_mov_b32_e32 v84, 0
	v_cvt_f32_f16_e32 v47, v47
	v_add_co_u32 v20, vcc_lo, s8, v20
	v_add_co_ci_u32_e64 v21, null, s9, v21, vcc_lo
	v_min_f32_e32 v47, v90, v47
	s_and_b32 vcc_lo, exec_lo, s1
	v_cvt_f16_f32_e32 v89, v47
	v_mov_b32_e32 v47, 0
	flat_store_short v[102:103], v89
	s_cbranch_vccnz .LBB219_81
; %bb.80:
	v_add_co_u32 v89, vcc_lo, v20, v28
	v_add_co_ci_u32_e64 v90, null, v21, v29, vcc_lo
	flat_load_ushort v47, v[89:90]
	s_waitcnt vmcnt(0) lgkmcnt(0)
	v_mul_f16_e32 v47, v49, v47
	v_cvt_f32_f16_e32 v47, v47
.LBB219_81:
	v_pk_add_f16 v89, v30, v22
	v_pk_add_f16 v98, v31, v23
	v_max_f16_e32 v90, v101, v101
	v_lshrrev_b32_e32 v101, 16, v101
	v_lshrrev_b32_e32 v102, 16, v89
	;; [unrolled: 1-line block ×3, first 2 shown]
	v_min_f16_e32 v104, v90, v89
	v_mad_i64_i32 v[89:90], null, v46, s3, 0
	v_min3_f16 v101, v101, v102, v103
	v_min3_f16 v46, v104, v98, v101
	v_max_f32_e32 v98, v47, v47
	v_cvt_f32_f16_e32 v101, v46
	v_lshlrev_b64 v[46:47], 1, v[89:90]
	v_min_f32_e32 v89, v98, v101
	v_add_co_u32 v46, vcc_lo, s4, v46
	v_add_co_ci_u32_e64 v47, null, s5, v47, vcc_lo
	v_cvt_f16_f32_e32 v98, v89
	v_add_co_u32 v89, vcc_lo, v46, v28
	v_add_co_ci_u32_e64 v90, null, v47, v29, vcc_lo
	s_and_b32 vcc_lo, exec_lo, s1
	flat_store_short v[89:90], v98
	s_cbranch_vccnz .LBB219_83
; %bb.82:
	v_add_co_u32 v89, vcc_lo, v20, v32
	v_add_co_ci_u32_e64 v90, null, v21, v33, vcc_lo
	flat_load_ushort v84, v[89:90]
	s_waitcnt vmcnt(0) lgkmcnt(0)
	v_mul_f16_e32 v84, v49, v84
	v_cvt_f32_f16_e32 v84, v84
.LBB219_83:
	v_pk_add_f16 v89, v8, v22
	v_pk_add_f16 v90, v9, v23
	v_max_f16_e32 v98, v100, v100
	v_lshrrev_b32_e32 v100, 16, v100
	v_max_f32_e32 v84, v84, v84
	v_lshrrev_b32_e32 v101, 16, v89
	v_lshrrev_b32_e32 v102, 16, v90
	v_min_f16_e32 v89, v98, v89
	v_min3_f16 v98, v100, v101, v102
	v_add_co_u32 v100, vcc_lo, v46, v32
	v_add_co_ci_u32_e64 v101, null, v47, v33, vcc_lo
	v_min3_f16 v89, v89, v90, v98
	s_and_b32 vcc_lo, exec_lo, s1
	v_cvt_f32_f16_e32 v89, v89
	v_min_f32_e32 v84, v84, v89
	v_mov_b32_e32 v89, 0
	v_cvt_f16_f32_e32 v90, v84
	v_mov_b32_e32 v84, 0
	flat_store_short v[100:101], v90
	s_cbranch_vccnz .LBB219_85
; %bb.84:
	v_add_co_u32 v89, vcc_lo, v20, v34
	v_add_co_ci_u32_e64 v90, null, v21, v35, vcc_lo
	flat_load_ushort v89, v[89:90]
	s_waitcnt vmcnt(0) lgkmcnt(0)
	v_mul_f16_e32 v89, v49, v89
	v_cvt_f32_f16_e32 v89, v89
.LBB219_85:
	v_pk_add_f16 v90, v10, v22
	v_pk_add_f16 v98, v11, v23
	v_max_f16_e32 v100, v99, v99
	v_lshrrev_b32_e32 v99, 16, v99
	v_max_f32_e32 v89, v89, v89
	v_lshrrev_b32_e32 v101, 16, v90
	v_lshrrev_b32_e32 v102, 16, v98
	v_min_f16_e32 v90, v100, v90
	v_min3_f16 v99, v99, v101, v102
	v_min3_f16 v90, v90, v98, v99
	v_cvt_f32_f16_e32 v90, v90
	v_min_f32_e32 v89, v89, v90
	v_cvt_f16_f32_e32 v98, v89
	v_add_co_u32 v89, vcc_lo, v46, v34
	v_add_co_ci_u32_e64 v90, null, v47, v35, vcc_lo
	s_and_b32 vcc_lo, exec_lo, s1
	flat_store_short v[89:90], v98
	s_cbranch_vccnz .LBB219_87
; %bb.86:
	v_add_co_u32 v89, vcc_lo, v20, v36
	v_add_co_ci_u32_e64 v90, null, v21, v37, vcc_lo
	flat_load_ushort v84, v[89:90]
	s_waitcnt vmcnt(0) lgkmcnt(0)
	v_mul_f16_e32 v84, v49, v84
	v_cvt_f32_f16_e32 v84, v84
.LBB219_87:
	v_pk_add_f16 v89, v4, v22
	v_pk_add_f16 v90, v5, v23
	v_max_f16_e32 v98, v97, v97
	v_lshrrev_b32_e32 v97, 16, v97
	v_max_f32_e32 v84, v84, v84
	v_lshrrev_b32_e32 v99, 16, v89
	v_lshrrev_b32_e32 v100, 16, v90
	v_min_f16_e32 v89, v98, v89
	v_min3_f16 v97, v97, v99, v100
	v_min3_f16 v89, v89, v90, v97
	v_add_co_u32 v97, vcc_lo, v46, v36
	v_add_co_ci_u32_e64 v98, null, v47, v37, vcc_lo
	v_cvt_f32_f16_e32 v89, v89
	s_and_b32 vcc_lo, exec_lo, s1
	v_min_f32_e32 v84, v84, v89
	v_mov_b32_e32 v89, 0
	v_cvt_f16_f32_e32 v90, v84
	v_mov_b32_e32 v84, 0
	flat_store_short v[97:98], v90
	s_cbranch_vccnz .LBB219_89
; %bb.88:
	v_add_co_u32 v89, vcc_lo, v20, v42
	v_add_co_ci_u32_e64 v90, null, v21, v43, vcc_lo
	flat_load_ushort v89, v[89:90]
	s_waitcnt vmcnt(0) lgkmcnt(0)
	v_mul_f16_e32 v89, v49, v89
	v_cvt_f32_f16_e32 v89, v89
.LBB219_89:
	v_pk_add_f16 v90, v6, v22
	v_pk_add_f16 v97, v7, v23
	v_max_f16_e32 v98, v96, v96
	v_lshrrev_b32_e32 v96, 16, v96
	v_max_f32_e32 v89, v89, v89
	v_lshrrev_b32_e32 v99, 16, v90
	v_lshrrev_b32_e32 v100, 16, v97
	v_min_f16_e32 v90, v98, v90
	v_min3_f16 v96, v96, v99, v100
	v_min3_f16 v90, v90, v97, v96
	v_cvt_f32_f16_e32 v90, v90
	v_min_f32_e32 v89, v89, v90
	v_cvt_f16_f32_e32 v96, v89
	v_add_co_u32 v89, vcc_lo, v46, v42
	v_add_co_ci_u32_e64 v90, null, v47, v43, vcc_lo
	s_and_b32 vcc_lo, exec_lo, s1
	flat_store_short v[89:90], v96
	s_cbranch_vccnz .LBB219_91
; %bb.90:
	v_add_co_u32 v89, vcc_lo, v20, v40
	v_add_co_ci_u32_e64 v90, null, v21, v41, vcc_lo
	flat_load_ushort v84, v[89:90]
	s_waitcnt vmcnt(0) lgkmcnt(0)
	v_mul_f16_e32 v84, v49, v84
	v_cvt_f32_f16_e32 v84, v84
.LBB219_91:
	v_pk_add_f16 v89, v0, v22
	v_pk_add_f16 v90, v1, v23
	v_max_f16_e32 v96, v95, v95
	v_lshrrev_b32_e32 v95, 16, v95
	v_max_f32_e32 v84, v84, v84
	v_lshrrev_b32_e32 v97, 16, v89
	v_lshrrev_b32_e32 v98, 16, v90
	v_min_f16_e32 v89, v96, v89
	v_min3_f16 v95, v95, v97, v98
	v_min3_f16 v89, v89, v90, v95
	v_add_co_u32 v95, vcc_lo, v46, v40
	v_add_co_ci_u32_e64 v96, null, v47, v41, vcc_lo
	v_cvt_f32_f16_e32 v89, v89
	s_and_b32 vcc_lo, exec_lo, s1
	v_min_f32_e32 v84, v84, v89
	v_mov_b32_e32 v89, 0
	v_cvt_f16_f32_e32 v90, v84
	v_mov_b32_e32 v84, 0
	flat_store_short v[95:96], v90
	s_cbranch_vccnz .LBB219_93
; %bb.92:
	v_add_co_u32 v89, vcc_lo, v20, v38
	v_add_co_ci_u32_e64 v90, null, v21, v39, vcc_lo
	flat_load_ushort v89, v[89:90]
	s_waitcnt vmcnt(0) lgkmcnt(0)
	v_mul_f16_e32 v89, v49, v89
	v_cvt_f32_f16_e32 v89, v89
.LBB219_93:
	v_pk_add_f16 v90, v2, v22
	v_pk_add_f16 v95, v3, v23
	v_max_f16_e32 v96, v94, v94
	v_lshrrev_b32_e32 v94, 16, v94
	v_max_f32_e32 v89, v89, v89
	v_lshrrev_b32_e32 v97, 16, v90
	v_lshrrev_b32_e32 v98, 16, v95
	v_min_f16_e32 v90, v96, v90
	v_min3_f16 v94, v94, v97, v98
	v_min3_f16 v90, v90, v95, v94
	v_cvt_f32_f16_e32 v90, v90
	v_min_f32_e32 v89, v89, v90
	v_cvt_f16_f32_e32 v94, v89
	v_add_co_u32 v89, vcc_lo, v46, v38
	v_add_co_ci_u32_e64 v90, null, v47, v39, vcc_lo
	s_and_b32 vcc_lo, exec_lo, s1
	flat_store_short v[89:90], v94
	s_cbranch_vccnz .LBB219_95
; %bb.94:
	v_add_co_u32 v20, vcc_lo, v20, v44
	v_add_co_ci_u32_e64 v21, null, v21, v45, vcc_lo
	flat_load_ushort v20, v[20:21]
	s_waitcnt vmcnt(0) lgkmcnt(0)
	v_mul_f16_e32 v20, v49, v20
	v_cvt_f32_f16_e32 v84, v20
.LBB219_95:
	v_pk_add_f16 v20, v24, v22
	v_pk_add_f16 v23, v25, v23
	v_max_f16_e32 v21, v93, v93
	v_lshrrev_b32_e32 v89, 16, v93
	v_add_nc_u32_e32 v22, 0x60, v48
	v_lshrrev_b32_e32 v90, 16, v20
	v_lshrrev_b32_e32 v93, 16, v23
	v_min_f16_e32 v94, v21, v20
	v_max_f32_e32 v84, v84, v84
	v_mad_i64_i32 v[20:21], null, v22, s6, 0
	v_min3_f16 v89, v89, v90, v93
	v_min3_f16 v23, v94, v23, v89
	v_lshlrev_b64 v[20:21], 1, v[20:21]
	v_add_co_u32 v89, vcc_lo, v46, v44
	v_add_co_ci_u32_e64 v90, null, v47, v45, vcc_lo
	v_cvt_f32_f16_e32 v23, v23
	v_add_co_u32 v20, vcc_lo, s8, v20
	v_add_co_ci_u32_e64 v21, null, s9, v21, vcc_lo
	v_min_f32_e32 v23, v84, v23
	v_mov_b32_e32 v46, 0
	s_and_b32 vcc_lo, exec_lo, s1
	v_cvt_f16_f32_e32 v47, v23
	v_mov_b32_e32 v23, 0
	flat_store_short v[89:90], v47
	s_cbranch_vccnz .LBB219_97
; %bb.96:
	v_add_co_u32 v89, vcc_lo, v20, v28
	v_add_co_ci_u32_e64 v90, null, v21, v29, vcc_lo
	flat_load_ushort v23, v[89:90]
	s_waitcnt vmcnt(0) lgkmcnt(0)
	v_mul_f16_e32 v23, v49, v23
	v_cvt_f32_f16_e32 v23, v23
.LBB219_97:
	v_pk_add_f16 v47, v30, v16
	v_pk_add_f16 v84, v31, v17
	v_max_f16_e32 v89, v92, v92
	v_lshrrev_b32_e32 v90, 16, v92
	v_lshrrev_b32_e32 v92, 16, v47
	;; [unrolled: 1-line block ×3, first 2 shown]
	v_min_f16_e32 v47, v89, v47
	v_min3_f16 v92, v90, v92, v93
	v_mad_i64_i32 v[89:90], null, v22, s3, 0
	v_min3_f16 v22, v47, v84, v92
	v_max_f32_e32 v47, v23, v23
	v_cvt_f32_f16_e32 v84, v22
	v_lshlrev_b64 v[22:23], 1, v[89:90]
	v_min_f32_e32 v47, v47, v84
	v_add_co_u32 v22, vcc_lo, s4, v22
	v_add_co_ci_u32_e64 v23, null, s5, v23, vcc_lo
	v_cvt_f16_f32_e32 v47, v47
	v_add_co_u32 v89, vcc_lo, v22, v28
	v_add_co_ci_u32_e64 v90, null, v23, v29, vcc_lo
	s_and_b32 vcc_lo, exec_lo, s1
	flat_store_short v[89:90], v47
	s_cbranch_vccnz .LBB219_99
; %bb.98:
	v_add_co_u32 v46, vcc_lo, v20, v32
	v_add_co_ci_u32_e64 v47, null, v21, v33, vcc_lo
	flat_load_ushort v46, v[46:47]
	s_waitcnt vmcnt(0) lgkmcnt(0)
	v_mul_f16_e32 v46, v49, v46
	v_cvt_f32_f16_e32 v46, v46
.LBB219_99:
	v_pk_add_f16 v47, v8, v16
	v_pk_add_f16 v84, v9, v17
	v_max_f16_e32 v89, v91, v91
	v_lshrrev_b32_e32 v90, 16, v91
	v_max_f32_e32 v46, v46, v46
	v_lshrrev_b32_e32 v91, 16, v47
	v_lshrrev_b32_e32 v92, 16, v84
	v_min_f16_e32 v47, v89, v47
	v_min3_f16 v89, v90, v91, v92
	v_min3_f16 v47, v47, v84, v89
	v_add_co_u32 v89, vcc_lo, v22, v32
	v_add_co_ci_u32_e64 v90, null, v23, v33, vcc_lo
	v_cvt_f32_f16_e32 v47, v47
	s_and_b32 vcc_lo, exec_lo, s1
	v_min_f32_e32 v46, v46, v47
	v_mov_b32_e32 v47, 0
	v_cvt_f16_f32_e32 v84, v46
	v_mov_b32_e32 v46, 0
	flat_store_short v[89:90], v84
	s_cbranch_vccnz .LBB219_101
; %bb.100:
	v_add_co_u32 v89, vcc_lo, v20, v34
	v_add_co_ci_u32_e64 v90, null, v21, v35, vcc_lo
	flat_load_ushort v47, v[89:90]
	s_waitcnt vmcnt(0) lgkmcnt(0)
	v_mul_f16_e32 v47, v49, v47
	v_cvt_f32_f16_e32 v47, v47
.LBB219_101:
	v_pk_add_f16 v84, v10, v16
	v_pk_add_f16 v89, v11, v17
	v_max_f16_e32 v90, v88, v88
	v_lshrrev_b32_e32 v88, 16, v88
	v_max_f32_e32 v47, v47, v47
	v_lshrrev_b32_e32 v91, 16, v84
	v_lshrrev_b32_e32 v92, 16, v89
	v_min_f16_e32 v84, v90, v84
	v_min3_f16 v88, v88, v91, v92
	v_min3_f16 v84, v84, v89, v88
	v_add_co_u32 v88, vcc_lo, v22, v34
	v_add_co_ci_u32_e64 v89, null, v23, v35, vcc_lo
	v_cvt_f32_f16_e32 v84, v84
	s_and_b32 vcc_lo, exec_lo, s1
	v_min_f32_e32 v47, v47, v84
	v_cvt_f16_f32_e32 v47, v47
	flat_store_short v[88:89], v47
	s_cbranch_vccnz .LBB219_103
; %bb.102:
	v_add_co_u32 v46, vcc_lo, v20, v36
	v_add_co_ci_u32_e64 v47, null, v21, v37, vcc_lo
	flat_load_ushort v46, v[46:47]
	s_waitcnt vmcnt(0) lgkmcnt(0)
	v_mul_f16_e32 v46, v49, v46
	v_cvt_f32_f16_e32 v46, v46
.LBB219_103:
	v_pk_add_f16 v47, v4, v16
	v_pk_add_f16 v84, v5, v17
	v_max_f16_e32 v88, v87, v87
	v_lshrrev_b32_e32 v87, 16, v87
	v_max_f32_e32 v46, v46, v46
	v_lshrrev_b32_e32 v89, 16, v47
	v_lshrrev_b32_e32 v90, 16, v84
	v_min_f16_e32 v47, v88, v47
	v_min3_f16 v87, v87, v89, v90
	v_min3_f16 v47, v47, v84, v87
	v_add_co_u32 v87, vcc_lo, v22, v36
	v_add_co_ci_u32_e64 v88, null, v23, v37, vcc_lo
	v_cvt_f32_f16_e32 v47, v47
	s_and_b32 vcc_lo, exec_lo, s1
	v_min_f32_e32 v46, v46, v47
	v_mov_b32_e32 v47, 0
	v_cvt_f16_f32_e32 v84, v46
	v_mov_b32_e32 v46, 0
	flat_store_short v[87:88], v84
	s_cbranch_vccnz .LBB219_105
; %bb.104:
	v_add_co_u32 v87, vcc_lo, v20, v42
	v_add_co_ci_u32_e64 v88, null, v21, v43, vcc_lo
	flat_load_ushort v47, v[87:88]
	s_waitcnt vmcnt(0) lgkmcnt(0)
	v_mul_f16_e32 v47, v49, v47
	v_cvt_f32_f16_e32 v47, v47
.LBB219_105:
	v_pk_add_f16 v84, v6, v16
	v_pk_add_f16 v87, v7, v17
	v_max_f16_e32 v88, v86, v86
	v_lshrrev_b32_e32 v86, 16, v86
	v_max_f32_e32 v47, v47, v47
	v_lshrrev_b32_e32 v89, 16, v84
	v_lshrrev_b32_e32 v90, 16, v87
	v_min_f16_e32 v84, v88, v84
	v_min3_f16 v86, v86, v89, v90
	v_min3_f16 v84, v84, v87, v86
	v_add_co_u32 v86, vcc_lo, v22, v42
	v_add_co_ci_u32_e64 v87, null, v23, v43, vcc_lo
	v_cvt_f32_f16_e32 v84, v84
	s_and_b32 vcc_lo, exec_lo, s1
	v_min_f32_e32 v47, v47, v84
	v_cvt_f16_f32_e32 v47, v47
	flat_store_short v[86:87], v47
	s_cbranch_vccnz .LBB219_107
; %bb.106:
	v_add_co_u32 v46, vcc_lo, v20, v40
	v_add_co_ci_u32_e64 v47, null, v21, v41, vcc_lo
	flat_load_ushort v46, v[46:47]
	s_waitcnt vmcnt(0) lgkmcnt(0)
	v_mul_f16_e32 v46, v49, v46
	v_cvt_f32_f16_e32 v46, v46
.LBB219_107:
	v_pk_add_f16 v47, v0, v16
	v_pk_add_f16 v84, v1, v17
	v_max_f16_e32 v86, v85, v85
	v_lshrrev_b32_e32 v85, 16, v85
	v_max_f32_e32 v46, v46, v46
	v_lshrrev_b32_e32 v87, 16, v47
	v_lshrrev_b32_e32 v88, 16, v84
	v_min_f16_e32 v47, v86, v47
	v_min3_f16 v85, v85, v87, v88
	v_min3_f16 v47, v47, v84, v85
	v_add_co_u32 v84, vcc_lo, v22, v40
	v_add_co_ci_u32_e64 v85, null, v23, v41, vcc_lo
	v_cvt_f32_f16_e32 v47, v47
	s_and_b32 vcc_lo, exec_lo, s1
	v_min_f32_e32 v46, v46, v47
	v_mov_b32_e32 v47, 0
	v_cvt_f16_f32_e32 v86, v46
	v_mov_b32_e32 v46, 0
	flat_store_short v[84:85], v86
	s_cbranch_vccnz .LBB219_109
; %bb.108:
	v_add_co_u32 v84, vcc_lo, v20, v38
	v_add_co_ci_u32_e64 v85, null, v21, v39, vcc_lo
	flat_load_ushort v47, v[84:85]
	s_waitcnt vmcnt(0) lgkmcnt(0)
	v_mul_f16_e32 v47, v49, v47
	v_cvt_f32_f16_e32 v47, v47
.LBB219_109:
	v_pk_add_f16 v84, v2, v16
	v_pk_add_f16 v85, v3, v17
	v_max_f16_e32 v86, v83, v83
	v_lshrrev_b32_e32 v83, 16, v83
	v_max_f32_e32 v47, v47, v47
	v_lshrrev_b32_e32 v87, 16, v84
	v_lshrrev_b32_e32 v88, 16, v85
	v_min_f16_e32 v84, v86, v84
	v_min3_f16 v83, v83, v87, v88
	v_min3_f16 v83, v84, v85, v83
	v_cvt_f32_f16_e32 v83, v83
	v_min_f32_e32 v47, v47, v83
	v_add_co_u32 v83, vcc_lo, v22, v38
	v_add_co_ci_u32_e64 v84, null, v23, v39, vcc_lo
	v_cvt_f16_f32_e32 v47, v47
	s_and_b32 vcc_lo, exec_lo, s1
	flat_store_short v[83:84], v47
	s_cbranch_vccnz .LBB219_111
; %bb.110:
	v_add_co_u32 v20, vcc_lo, v20, v44
	v_add_co_ci_u32_e64 v21, null, v21, v45, vcc_lo
	flat_load_ushort v20, v[20:21]
	s_waitcnt vmcnt(0) lgkmcnt(0)
	v_mul_f16_e32 v20, v49, v20
	v_cvt_f32_f16_e32 v46, v20
.LBB219_111:
	v_pk_add_f16 v16, v24, v16
	v_pk_add_f16 v21, v25, v17
	v_max_f16_e32 v17, v82, v82
	v_lshrrev_b32_e32 v47, 16, v82
	v_add_nc_u32_e32 v20, 0x80, v48
	v_lshrrev_b32_e32 v82, 16, v16
	v_lshrrev_b32_e32 v83, 16, v21
	v_min_f16_e32 v84, v17, v16
	v_mad_i64_i32 v[16:17], null, v20, s6, 0
	v_min3_f16 v47, v47, v82, v83
	v_max_f32_e32 v82, v46, v46
	v_add_co_u32 v46, vcc_lo, v22, v44
	v_mov_b32_e32 v22, 0
	v_min3_f16 v21, v84, v21, v47
	v_lshlrev_b64 v[16:17], 1, v[16:17]
	v_add_co_ci_u32_e64 v47, null, v23, v45, vcc_lo
	v_cvt_f32_f16_e32 v21, v21
	v_add_co_u32 v16, vcc_lo, s8, v16
	v_add_co_ci_u32_e64 v17, null, s9, v17, vcc_lo
	v_min_f32_e32 v21, v82, v21
	s_and_b32 vcc_lo, exec_lo, s1
	v_cvt_f16_f32_e32 v23, v21
	v_mov_b32_e32 v21, 0
	flat_store_short v[46:47], v23
	s_cbranch_vccnz .LBB219_113
; %bb.112:
	v_add_co_u32 v46, vcc_lo, v16, v28
	v_add_co_ci_u32_e64 v47, null, v17, v29, vcc_lo
	flat_load_ushort v21, v[46:47]
	s_waitcnt vmcnt(0) lgkmcnt(0)
	v_mul_f16_e32 v21, v49, v21
	v_cvt_f32_f16_e32 v21, v21
.LBB219_113:
	v_pk_add_f16 v23, v30, v18
	v_pk_add_f16 v82, v31, v19
	v_max_f16_e32 v46, v81, v81
	v_lshrrev_b32_e32 v47, 16, v81
	v_lshrrev_b32_e32 v81, 16, v23
	;; [unrolled: 1-line block ×3, first 2 shown]
	v_min_f16_e32 v23, v46, v23
	v_min3_f16 v81, v47, v81, v83
	v_mad_i64_i32 v[46:47], null, v20, s3, 0
	v_min3_f16 v20, v23, v82, v81
	v_max_f32_e32 v23, v21, v21
	v_cvt_f32_f16_e32 v81, v20
	v_lshlrev_b64 v[20:21], 1, v[46:47]
	v_min_f32_e32 v23, v23, v81
	v_add_co_u32 v20, vcc_lo, s4, v20
	v_add_co_ci_u32_e64 v21, null, s5, v21, vcc_lo
	v_cvt_f16_f32_e32 v23, v23
	v_add_co_u32 v46, vcc_lo, v20, v28
	v_add_co_ci_u32_e64 v47, null, v21, v29, vcc_lo
	s_and_b32 vcc_lo, exec_lo, s1
	flat_store_short v[46:47], v23
	s_cbranch_vccnz .LBB219_115
; %bb.114:
	v_add_co_u32 v22, vcc_lo, v16, v32
	v_add_co_ci_u32_e64 v23, null, v17, v33, vcc_lo
	flat_load_ushort v22, v[22:23]
	s_waitcnt vmcnt(0) lgkmcnt(0)
	v_mul_f16_e32 v22, v49, v22
	v_cvt_f32_f16_e32 v22, v22
.LBB219_115:
	v_pk_add_f16 v23, v8, v18
	v_pk_add_f16 v46, v9, v19
	v_max_f16_e32 v47, v80, v80
	v_lshrrev_b32_e32 v80, 16, v80
	v_max_f32_e32 v22, v22, v22
	v_lshrrev_b32_e32 v81, 16, v23
	v_lshrrev_b32_e32 v82, 16, v46
	v_min_f16_e32 v23, v47, v23
	v_min3_f16 v47, v80, v81, v82
	v_min3_f16 v23, v23, v46, v47
	v_add_co_u32 v46, vcc_lo, v20, v32
	v_add_co_ci_u32_e64 v47, null, v21, v33, vcc_lo
	v_cvt_f32_f16_e32 v23, v23
	s_and_b32 vcc_lo, exec_lo, s1
	v_min_f32_e32 v22, v22, v23
	v_mov_b32_e32 v23, 0
	v_cvt_f16_f32_e32 v80, v22
	v_mov_b32_e32 v22, 0
	flat_store_short v[46:47], v80
	s_cbranch_vccnz .LBB219_117
; %bb.116:
	v_add_co_u32 v46, vcc_lo, v16, v34
	v_add_co_ci_u32_e64 v47, null, v17, v35, vcc_lo
	flat_load_ushort v23, v[46:47]
	s_waitcnt vmcnt(0) lgkmcnt(0)
	v_mul_f16_e32 v23, v49, v23
	v_cvt_f32_f16_e32 v23, v23
.LBB219_117:
	v_pk_add_f16 v46, v10, v18
	v_pk_add_f16 v47, v11, v19
	v_max_f16_e32 v80, v79, v79
	v_lshrrev_b32_e32 v79, 16, v79
	v_max_f32_e32 v23, v23, v23
	v_lshrrev_b32_e32 v81, 16, v46
	v_lshrrev_b32_e32 v82, 16, v47
	v_min_f16_e32 v46, v80, v46
	v_min3_f16 v79, v79, v81, v82
	v_min3_f16 v46, v46, v47, v79
	v_cvt_f32_f16_e32 v46, v46
	v_min_f32_e32 v23, v23, v46
	v_add_co_u32 v46, vcc_lo, v20, v34
	v_add_co_ci_u32_e64 v47, null, v21, v35, vcc_lo
	v_cvt_f16_f32_e32 v23, v23
	s_and_b32 vcc_lo, exec_lo, s1
	flat_store_short v[46:47], v23
	s_cbranch_vccnz .LBB219_119
; %bb.118:
	v_add_co_u32 v22, vcc_lo, v16, v36
	v_add_co_ci_u32_e64 v23, null, v17, v37, vcc_lo
	flat_load_ushort v22, v[22:23]
	s_waitcnt vmcnt(0) lgkmcnt(0)
	v_mul_f16_e32 v22, v49, v22
	v_cvt_f32_f16_e32 v22, v22
.LBB219_119:
	v_pk_add_f16 v23, v4, v18
	v_pk_add_f16 v46, v5, v19
	v_max_f16_e32 v47, v78, v78
	v_lshrrev_b32_e32 v78, 16, v78
	v_max_f32_e32 v22, v22, v22
	v_lshrrev_b32_e32 v79, 16, v23
	v_lshrrev_b32_e32 v80, 16, v46
	v_min_f16_e32 v23, v47, v23
	v_min3_f16 v47, v78, v79, v80
	v_min3_f16 v23, v23, v46, v47
	v_add_co_u32 v46, vcc_lo, v20, v36
	v_add_co_ci_u32_e64 v47, null, v21, v37, vcc_lo
	v_cvt_f32_f16_e32 v23, v23
	s_and_b32 vcc_lo, exec_lo, s1
	v_min_f32_e32 v22, v22, v23
	v_mov_b32_e32 v23, 0
	v_cvt_f16_f32_e32 v78, v22
	v_mov_b32_e32 v22, 0
	flat_store_short v[46:47], v78
	s_cbranch_vccnz .LBB219_121
; %bb.120:
	v_add_co_u32 v46, vcc_lo, v16, v42
	v_add_co_ci_u32_e64 v47, null, v17, v43, vcc_lo
	flat_load_ushort v23, v[46:47]
	s_waitcnt vmcnt(0) lgkmcnt(0)
	v_mul_f16_e32 v23, v49, v23
	v_cvt_f32_f16_e32 v23, v23
.LBB219_121:
	v_pk_add_f16 v46, v6, v18
	v_pk_add_f16 v47, v7, v19
	v_max_f16_e32 v78, v77, v77
	v_lshrrev_b32_e32 v77, 16, v77
	v_max_f32_e32 v23, v23, v23
	v_lshrrev_b32_e32 v79, 16, v46
	v_lshrrev_b32_e32 v80, 16, v47
	v_min_f16_e32 v46, v78, v46
	v_min3_f16 v77, v77, v79, v80
	v_min3_f16 v46, v46, v47, v77
	v_cvt_f32_f16_e32 v46, v46
	v_min_f32_e32 v23, v23, v46
	v_add_co_u32 v46, vcc_lo, v20, v42
	v_add_co_ci_u32_e64 v47, null, v21, v43, vcc_lo
	v_cvt_f16_f32_e32 v23, v23
	s_and_b32 vcc_lo, exec_lo, s1
	flat_store_short v[46:47], v23
	s_cbranch_vccnz .LBB219_123
; %bb.122:
	v_add_co_u32 v22, vcc_lo, v16, v40
	v_add_co_ci_u32_e64 v23, null, v17, v41, vcc_lo
	flat_load_ushort v22, v[22:23]
	s_waitcnt vmcnt(0) lgkmcnt(0)
	v_mul_f16_e32 v22, v49, v22
	v_cvt_f32_f16_e32 v22, v22
.LBB219_123:
	v_pk_add_f16 v23, v0, v18
	v_pk_add_f16 v46, v1, v19
	v_max_f16_e32 v47, v76, v76
	v_lshrrev_b32_e32 v76, 16, v76
	v_max_f32_e32 v22, v22, v22
	v_lshrrev_b32_e32 v77, 16, v23
	v_lshrrev_b32_e32 v78, 16, v46
	v_min_f16_e32 v23, v47, v23
	v_min3_f16 v47, v76, v77, v78
	v_min3_f16 v23, v23, v46, v47
	v_add_co_u32 v46, vcc_lo, v20, v40
	v_add_co_ci_u32_e64 v47, null, v21, v41, vcc_lo
	v_cvt_f32_f16_e32 v23, v23
	s_and_b32 vcc_lo, exec_lo, s1
	v_min_f32_e32 v22, v22, v23
	v_mov_b32_e32 v23, 0
	v_cvt_f16_f32_e32 v76, v22
	v_mov_b32_e32 v22, 0
	flat_store_short v[46:47], v76
	s_cbranch_vccnz .LBB219_125
; %bb.124:
	v_add_co_u32 v46, vcc_lo, v16, v38
	v_add_co_ci_u32_e64 v47, null, v17, v39, vcc_lo
	flat_load_ushort v23, v[46:47]
	s_waitcnt vmcnt(0) lgkmcnt(0)
	v_mul_f16_e32 v23, v49, v23
	v_cvt_f32_f16_e32 v23, v23
.LBB219_125:
	v_pk_add_f16 v46, v2, v18
	v_pk_add_f16 v47, v3, v19
	v_max_f16_e32 v76, v75, v75
	v_lshrrev_b32_e32 v75, 16, v75
	v_max_f32_e32 v23, v23, v23
	v_lshrrev_b32_e32 v77, 16, v46
	v_lshrrev_b32_e32 v78, 16, v47
	v_min_f16_e32 v46, v76, v46
	v_min3_f16 v75, v75, v77, v78
	v_min3_f16 v46, v46, v47, v75
	v_cvt_f32_f16_e32 v46, v46
	v_min_f32_e32 v23, v23, v46
	v_add_co_u32 v46, vcc_lo, v20, v38
	v_add_co_ci_u32_e64 v47, null, v21, v39, vcc_lo
	v_cvt_f16_f32_e32 v23, v23
	s_and_b32 vcc_lo, exec_lo, s1
	flat_store_short v[46:47], v23
	s_cbranch_vccnz .LBB219_127
; %bb.126:
	v_add_co_u32 v16, vcc_lo, v16, v44
	v_add_co_ci_u32_e64 v17, null, v17, v45, vcc_lo
	flat_load_ushort v16, v[16:17]
	s_waitcnt vmcnt(0) lgkmcnt(0)
	v_mul_f16_e32 v16, v49, v16
	v_cvt_f32_f16_e32 v22, v16
.LBB219_127:
	v_pk_add_f16 v16, v24, v18
	v_pk_add_f16 v19, v25, v19
	v_max_f16_e32 v17, v74, v74
	v_lshrrev_b32_e32 v23, 16, v74
	v_add_nc_u32_e32 v18, 0xa0, v48
	v_lshrrev_b32_e32 v46, 16, v16
	v_lshrrev_b32_e32 v47, 16, v19
	v_min_f16_e32 v74, v17, v16
	v_mad_i64_i32 v[16:17], null, v18, s6, 0
	v_min3_f16 v23, v23, v46, v47
	v_max_f32_e32 v46, v22, v22
	v_add_co_u32 v22, vcc_lo, v20, v44
	v_mov_b32_e32 v20, 0
	v_min3_f16 v19, v74, v19, v23
	v_lshlrev_b64 v[16:17], 1, v[16:17]
	v_add_co_ci_u32_e64 v23, null, v21, v45, vcc_lo
	v_cvt_f32_f16_e32 v19, v19
	v_add_co_u32 v16, vcc_lo, s8, v16
	v_add_co_ci_u32_e64 v17, null, s9, v17, vcc_lo
	v_min_f32_e32 v19, v46, v19
	s_and_b32 vcc_lo, exec_lo, s1
	v_cvt_f16_f32_e32 v21, v19
	v_mov_b32_e32 v19, 0
	flat_store_short v[22:23], v21
	s_cbranch_vccnz .LBB219_129
; %bb.128:
	v_add_co_u32 v21, vcc_lo, v16, v28
	v_add_co_ci_u32_e64 v22, null, v17, v29, vcc_lo
	flat_load_ushort v19, v[21:22]
	s_waitcnt vmcnt(0) lgkmcnt(0)
	v_mul_f16_e32 v19, v49, v19
	v_cvt_f32_f16_e32 v19, v19
.LBB219_129:
	v_pk_add_f16 v21, v30, v12
	v_pk_add_f16 v23, v31, v13
	v_max_f16_e32 v22, v73, v73
	v_lshrrev_b32_e32 v46, 16, v73
	v_lshrrev_b32_e32 v47, 16, v21
	v_lshrrev_b32_e32 v73, 16, v23
	v_min_f16_e32 v74, v22, v21
	v_mad_i64_i32 v[21:22], null, v18, s3, 0
	v_min3_f16 v46, v46, v47, v73
	v_min3_f16 v18, v74, v23, v46
	v_max_f32_e32 v23, v19, v19
	v_cvt_f32_f16_e32 v46, v18
	v_lshlrev_b64 v[18:19], 1, v[21:22]
	v_min_f32_e32 v21, v23, v46
	v_add_co_u32 v18, vcc_lo, s4, v18
	v_add_co_ci_u32_e64 v19, null, s5, v19, vcc_lo
	v_cvt_f16_f32_e32 v23, v21
	v_add_co_u32 v21, vcc_lo, v18, v28
	v_add_co_ci_u32_e64 v22, null, v19, v29, vcc_lo
	s_and_b32 vcc_lo, exec_lo, s1
	flat_store_short v[21:22], v23
	s_cbranch_vccnz .LBB219_131
; %bb.130:
	v_add_co_u32 v20, vcc_lo, v16, v32
	v_add_co_ci_u32_e64 v21, null, v17, v33, vcc_lo
	flat_load_ushort v20, v[20:21]
	s_waitcnt vmcnt(0) lgkmcnt(0)
	v_mul_f16_e32 v20, v49, v20
	v_cvt_f32_f16_e32 v20, v20
.LBB219_131:
	v_pk_add_f16 v21, v8, v12
	v_pk_add_f16 v22, v9, v13
	v_max_f16_e32 v23, v72, v72
	v_lshrrev_b32_e32 v46, 16, v72
	v_max_f32_e32 v20, v20, v20
	v_lshrrev_b32_e32 v47, 16, v21
	v_lshrrev_b32_e32 v72, 16, v22
	v_min_f16_e32 v21, v23, v21
	v_min3_f16 v23, v46, v47, v72
	v_min3_f16 v21, v21, v22, v23
	v_add_co_u32 v22, vcc_lo, v18, v32
	v_add_co_ci_u32_e64 v23, null, v19, v33, vcc_lo
	v_cvt_f32_f16_e32 v21, v21
	s_and_b32 vcc_lo, exec_lo, s1
	v_min_f32_e32 v20, v20, v21
	v_mov_b32_e32 v21, 0
	v_cvt_f16_f32_e32 v46, v20
	v_mov_b32_e32 v20, 0
	flat_store_short v[22:23], v46
	s_cbranch_vccnz .LBB219_133
; %bb.132:
	v_add_co_u32 v21, vcc_lo, v16, v34
	v_add_co_ci_u32_e64 v22, null, v17, v35, vcc_lo
	flat_load_ushort v21, v[21:22]
	s_waitcnt vmcnt(0) lgkmcnt(0)
	v_mul_f16_e32 v21, v49, v21
	v_cvt_f32_f16_e32 v21, v21
.LBB219_133:
	v_pk_add_f16 v22, v10, v12
	v_pk_add_f16 v23, v11, v13
	v_max_f16_e32 v46, v71, v71
	v_lshrrev_b32_e32 v47, 16, v71
	v_max_f32_e32 v21, v21, v21
	v_lshrrev_b32_e32 v71, 16, v22
	v_lshrrev_b32_e32 v72, 16, v23
	v_min_f16_e32 v22, v46, v22
	v_min3_f16 v46, v47, v71, v72
	v_min3_f16 v22, v22, v23, v46
	v_cvt_f32_f16_e32 v22, v22
	v_min_f32_e32 v21, v21, v22
	v_cvt_f16_f32_e32 v23, v21
	v_add_co_u32 v21, vcc_lo, v18, v34
	v_add_co_ci_u32_e64 v22, null, v19, v35, vcc_lo
	s_and_b32 vcc_lo, exec_lo, s1
	flat_store_short v[21:22], v23
	s_cbranch_vccnz .LBB219_135
; %bb.134:
	v_add_co_u32 v20, vcc_lo, v16, v36
	v_add_co_ci_u32_e64 v21, null, v17, v37, vcc_lo
	flat_load_ushort v20, v[20:21]
	s_waitcnt vmcnt(0) lgkmcnt(0)
	v_mul_f16_e32 v20, v49, v20
	v_cvt_f32_f16_e32 v20, v20
.LBB219_135:
	v_pk_add_f16 v21, v4, v12
	v_pk_add_f16 v22, v5, v13
	v_max_f16_e32 v23, v70, v70
	v_lshrrev_b32_e32 v46, 16, v70
	v_max_f32_e32 v20, v20, v20
	v_lshrrev_b32_e32 v47, 16, v21
	v_lshrrev_b32_e32 v70, 16, v22
	v_min_f16_e32 v21, v23, v21
	v_min3_f16 v23, v46, v47, v70
	v_min3_f16 v21, v21, v22, v23
	v_add_co_u32 v22, vcc_lo, v18, v36
	v_add_co_ci_u32_e64 v23, null, v19, v37, vcc_lo
	v_cvt_f32_f16_e32 v21, v21
	s_and_b32 vcc_lo, exec_lo, s1
	v_min_f32_e32 v20, v20, v21
	v_mov_b32_e32 v21, 0
	v_cvt_f16_f32_e32 v46, v20
	v_mov_b32_e32 v20, 0
	flat_store_short v[22:23], v46
	s_cbranch_vccnz .LBB219_137
; %bb.136:
	v_add_co_u32 v21, vcc_lo, v16, v42
	v_add_co_ci_u32_e64 v22, null, v17, v43, vcc_lo
	flat_load_ushort v21, v[21:22]
	s_waitcnt vmcnt(0) lgkmcnt(0)
	v_mul_f16_e32 v21, v49, v21
	v_cvt_f32_f16_e32 v21, v21
.LBB219_137:
	v_pk_add_f16 v22, v6, v12
	v_pk_add_f16 v23, v7, v13
	v_max_f16_e32 v46, v69, v69
	v_lshrrev_b32_e32 v47, 16, v69
	v_max_f32_e32 v21, v21, v21
	v_lshrrev_b32_e32 v69, 16, v22
	v_lshrrev_b32_e32 v70, 16, v23
	v_min_f16_e32 v22, v46, v22
	v_min3_f16 v46, v47, v69, v70
	v_min3_f16 v22, v22, v23, v46
	v_cvt_f32_f16_e32 v22, v22
	v_min_f32_e32 v21, v21, v22
	;; [unrolled: 54-line block ×3, first 2 shown]
	v_cvt_f16_f32_e32 v23, v21
	v_add_co_u32 v21, vcc_lo, v18, v38
	v_add_co_ci_u32_e64 v22, null, v19, v39, vcc_lo
	s_and_b32 vcc_lo, exec_lo, s1
	flat_store_short v[21:22], v23
	s_cbranch_vccnz .LBB219_143
; %bb.142:
	v_add_co_u32 v16, vcc_lo, v16, v44
	v_add_co_ci_u32_e64 v17, null, v17, v45, vcc_lo
	flat_load_ushort v16, v[16:17]
	s_waitcnt vmcnt(0) lgkmcnt(0)
	v_mul_f16_e32 v16, v49, v16
	v_cvt_f32_f16_e32 v20, v16
.LBB219_143:
	v_pk_add_f16 v12, v24, v12
	v_pk_add_f16 v17, v25, v13
	v_max_f16_e32 v13, v66, v66
	v_lshrrev_b32_e32 v21, 16, v66
	v_add_nc_u32_e32 v16, 0xc0, v48
	v_lshrrev_b32_e32 v22, 16, v12
	v_lshrrev_b32_e32 v23, 16, v17
	v_min_f16_e32 v46, v13, v12
	v_mad_i64_i32 v[12:13], null, v16, s6, 0
	v_min3_f16 v21, v21, v22, v23
	v_max_f32_e32 v22, v20, v20
	v_add_co_u32 v20, vcc_lo, v18, v44
	v_mov_b32_e32 v18, 0
	v_min3_f16 v17, v46, v17, v21
	v_lshlrev_b64 v[12:13], 1, v[12:13]
	v_add_co_ci_u32_e64 v21, null, v19, v45, vcc_lo
	v_cvt_f32_f16_e32 v17, v17
	v_add_co_u32 v12, vcc_lo, s8, v12
	v_add_co_ci_u32_e64 v13, null, s9, v13, vcc_lo
	v_min_f32_e32 v17, v22, v17
	s_and_b32 vcc_lo, exec_lo, s1
	v_cvt_f16_f32_e32 v19, v17
	v_mov_b32_e32 v17, 0
	flat_store_short v[20:21], v19
	s_cbranch_vccnz .LBB219_145
; %bb.144:
	v_add_co_u32 v19, vcc_lo, v12, v28
	v_add_co_ci_u32_e64 v20, null, v13, v29, vcc_lo
	flat_load_ushort v17, v[19:20]
	s_waitcnt vmcnt(0) lgkmcnt(0)
	v_mul_f16_e32 v17, v49, v17
	v_cvt_f32_f16_e32 v17, v17
.LBB219_145:
	v_pk_add_f16 v19, v30, v14
	v_pk_add_f16 v21, v31, v15
	v_max_f16_e32 v20, v65, v65
	v_lshrrev_b32_e32 v22, 16, v65
	v_lshrrev_b32_e32 v23, 16, v19
	;; [unrolled: 1-line block ×3, first 2 shown]
	v_min_f16_e32 v47, v20, v19
	v_mad_i64_i32 v[19:20], null, v16, s3, 0
	v_min3_f16 v22, v22, v23, v46
	v_min3_f16 v16, v47, v21, v22
	v_max_f32_e32 v21, v17, v17
	v_cvt_f32_f16_e32 v22, v16
	v_lshlrev_b64 v[16:17], 1, v[19:20]
	v_min_f32_e32 v19, v21, v22
	v_add_co_u32 v16, vcc_lo, s4, v16
	v_add_co_ci_u32_e64 v17, null, s5, v17, vcc_lo
	v_cvt_f16_f32_e32 v21, v19
	v_add_co_u32 v19, vcc_lo, v16, v28
	v_add_co_ci_u32_e64 v20, null, v17, v29, vcc_lo
	s_and_b32 vcc_lo, exec_lo, s1
	flat_store_short v[19:20], v21
	s_cbranch_vccnz .LBB219_147
; %bb.146:
	v_add_co_u32 v18, vcc_lo, v12, v32
	v_add_co_ci_u32_e64 v19, null, v13, v33, vcc_lo
	flat_load_ushort v18, v[18:19]
	s_waitcnt vmcnt(0) lgkmcnt(0)
	v_mul_f16_e32 v18, v49, v18
	v_cvt_f32_f16_e32 v18, v18
.LBB219_147:
	v_pk_add_f16 v19, v8, v14
	v_pk_add_f16 v20, v9, v15
	v_max_f16_e32 v21, v64, v64
	v_lshrrev_b32_e32 v22, 16, v64
	v_max_f32_e32 v18, v18, v18
	v_lshrrev_b32_e32 v23, 16, v19
	v_lshrrev_b32_e32 v46, 16, v20
	v_min_f16_e32 v19, v21, v19
	v_min3_f16 v21, v22, v23, v46
	v_min3_f16 v19, v19, v20, v21
	v_add_co_u32 v20, vcc_lo, v16, v32
	v_add_co_ci_u32_e64 v21, null, v17, v33, vcc_lo
	v_cvt_f32_f16_e32 v19, v19
	s_and_b32 vcc_lo, exec_lo, s1
	v_min_f32_e32 v18, v18, v19
	v_mov_b32_e32 v19, 0
	v_cvt_f16_f32_e32 v22, v18
	v_mov_b32_e32 v18, 0
	flat_store_short v[20:21], v22
	s_cbranch_vccnz .LBB219_149
; %bb.148:
	v_add_co_u32 v19, vcc_lo, v12, v34
	v_add_co_ci_u32_e64 v20, null, v13, v35, vcc_lo
	flat_load_ushort v19, v[19:20]
	s_waitcnt vmcnt(0) lgkmcnt(0)
	v_mul_f16_e32 v19, v49, v19
	v_cvt_f32_f16_e32 v19, v19
.LBB219_149:
	v_pk_add_f16 v20, v10, v14
	v_pk_add_f16 v21, v11, v15
	v_max_f16_e32 v22, v63, v63
	v_lshrrev_b32_e32 v23, 16, v63
	v_max_f32_e32 v19, v19, v19
	v_lshrrev_b32_e32 v46, 16, v20
	v_lshrrev_b32_e32 v47, 16, v21
	v_min_f16_e32 v20, v22, v20
	v_min3_f16 v22, v23, v46, v47
	v_min3_f16 v20, v20, v21, v22
	v_cvt_f32_f16_e32 v20, v20
	v_min_f32_e32 v19, v19, v20
	v_cvt_f16_f32_e32 v21, v19
	v_add_co_u32 v19, vcc_lo, v16, v34
	v_add_co_ci_u32_e64 v20, null, v17, v35, vcc_lo
	s_and_b32 vcc_lo, exec_lo, s1
	flat_store_short v[19:20], v21
	s_cbranch_vccnz .LBB219_151
; %bb.150:
	v_add_co_u32 v18, vcc_lo, v12, v36
	v_add_co_ci_u32_e64 v19, null, v13, v37, vcc_lo
	flat_load_ushort v18, v[18:19]
	s_waitcnt vmcnt(0) lgkmcnt(0)
	v_mul_f16_e32 v18, v49, v18
	v_cvt_f32_f16_e32 v18, v18
.LBB219_151:
	v_pk_add_f16 v19, v4, v14
	v_pk_add_f16 v20, v5, v15
	v_max_f16_e32 v21, v62, v62
	v_lshrrev_b32_e32 v22, 16, v62
	v_max_f32_e32 v18, v18, v18
	v_lshrrev_b32_e32 v23, 16, v19
	v_lshrrev_b32_e32 v46, 16, v20
	v_min_f16_e32 v19, v21, v19
	v_min3_f16 v21, v22, v23, v46
	v_min3_f16 v19, v19, v20, v21
	v_add_co_u32 v20, vcc_lo, v16, v36
	v_add_co_ci_u32_e64 v21, null, v17, v37, vcc_lo
	v_cvt_f32_f16_e32 v19, v19
	s_and_b32 vcc_lo, exec_lo, s1
	v_min_f32_e32 v18, v18, v19
	v_mov_b32_e32 v19, 0
	v_cvt_f16_f32_e32 v22, v18
	v_mov_b32_e32 v18, 0
	flat_store_short v[20:21], v22
	s_cbranch_vccnz .LBB219_153
; %bb.152:
	v_add_co_u32 v19, vcc_lo, v12, v42
	v_add_co_ci_u32_e64 v20, null, v13, v43, vcc_lo
	flat_load_ushort v19, v[19:20]
	s_waitcnt vmcnt(0) lgkmcnt(0)
	v_mul_f16_e32 v19, v49, v19
	v_cvt_f32_f16_e32 v19, v19
.LBB219_153:
	v_pk_add_f16 v20, v6, v14
	v_pk_add_f16 v21, v7, v15
	v_max_f16_e32 v22, v61, v61
	v_lshrrev_b32_e32 v23, 16, v61
	v_max_f32_e32 v19, v19, v19
	v_lshrrev_b32_e32 v46, 16, v20
	v_lshrrev_b32_e32 v47, 16, v21
	v_min_f16_e32 v20, v22, v20
	v_min3_f16 v22, v23, v46, v47
	v_min3_f16 v20, v20, v21, v22
	v_cvt_f32_f16_e32 v20, v20
	v_min_f32_e32 v19, v19, v20
	;; [unrolled: 54-line block ×3, first 2 shown]
	v_cvt_f16_f32_e32 v21, v19
	v_add_co_u32 v19, vcc_lo, v16, v38
	v_add_co_ci_u32_e64 v20, null, v17, v39, vcc_lo
	s_and_b32 vcc_lo, exec_lo, s1
	flat_store_short v[19:20], v21
	s_cbranch_vccnz .LBB219_159
; %bb.158:
	v_add_co_u32 v12, vcc_lo, v12, v44
	v_add_co_ci_u32_e64 v13, null, v13, v45, vcc_lo
	flat_load_ushort v12, v[12:13]
	s_waitcnt vmcnt(0) lgkmcnt(0)
	v_mul_f16_e32 v12, v49, v12
	v_cvt_f32_f16_e32 v18, v12
.LBB219_159:
	v_pk_add_f16 v12, v24, v14
	v_pk_add_f16 v15, v25, v15
	v_max_f16_e32 v13, v58, v58
	v_lshrrev_b32_e32 v19, 16, v58
	v_add_nc_u32_e32 v14, 0xe0, v48
	v_lshrrev_b32_e32 v20, 16, v12
	v_lshrrev_b32_e32 v21, 16, v15
	v_min_f16_e32 v22, v13, v12
	v_mad_i64_i32 v[12:13], null, v14, s6, 0
	v_min3_f16 v19, v19, v20, v21
	v_max_f32_e32 v20, v18, v18
	v_add_co_u32 v18, vcc_lo, v16, v44
	v_mov_b32_e32 v16, 0
	v_min3_f16 v15, v22, v15, v19
	v_lshlrev_b64 v[12:13], 1, v[12:13]
	v_add_co_ci_u32_e64 v19, null, v17, v45, vcc_lo
	v_cvt_f32_f16_e32 v15, v15
	v_add_co_u32 v12, vcc_lo, s8, v12
	v_add_co_ci_u32_e64 v13, null, s9, v13, vcc_lo
	v_min_f32_e32 v15, v20, v15
	s_and_b32 vcc_lo, exec_lo, s1
	v_cvt_f16_f32_e32 v17, v15
	v_mov_b32_e32 v15, 0
	flat_store_short v[18:19], v17
	s_cbranch_vccnz .LBB219_161
; %bb.160:
	v_add_co_u32 v17, vcc_lo, v12, v28
	v_add_co_ci_u32_e64 v18, null, v13, v29, vcc_lo
	flat_load_ushort v15, v[17:18]
	s_waitcnt vmcnt(0) lgkmcnt(0)
	v_mul_f16_e32 v15, v49, v15
	v_cvt_f32_f16_e32 v15, v15
.LBB219_161:
	v_pk_add_f16 v17, v30, v26
	v_pk_add_f16 v19, v31, v27
	v_max_f16_e32 v18, v57, v57
	v_lshrrev_b32_e32 v20, 16, v57
	v_lshrrev_b32_e32 v21, 16, v17
	v_lshrrev_b32_e32 v22, 16, v19
	v_min_f16_e32 v23, v18, v17
	v_mad_i64_i32 v[17:18], null, v14, s3, 0
	v_min3_f16 v20, v20, v21, v22
	v_min3_f16 v14, v23, v19, v20
	v_max_f32_e32 v19, v15, v15
	v_cvt_f32_f16_e32 v20, v14
	v_lshlrev_b64 v[14:15], 1, v[17:18]
	v_min_f32_e32 v17, v19, v20
	v_add_co_u32 v14, vcc_lo, s4, v14
	v_add_co_ci_u32_e64 v15, null, s5, v15, vcc_lo
	v_cvt_f16_f32_e32 v19, v17
	v_add_co_u32 v17, vcc_lo, v14, v28
	v_add_co_ci_u32_e64 v18, null, v15, v29, vcc_lo
	s_and_b32 vcc_lo, exec_lo, s1
	flat_store_short v[17:18], v19
	s_cbranch_vccnz .LBB219_163
; %bb.162:
	v_add_co_u32 v16, vcc_lo, v12, v32
	v_add_co_ci_u32_e64 v17, null, v13, v33, vcc_lo
	flat_load_ushort v16, v[16:17]
	s_waitcnt vmcnt(0) lgkmcnt(0)
	v_mul_f16_e32 v16, v49, v16
	v_cvt_f32_f16_e32 v16, v16
.LBB219_163:
	v_pk_add_f16 v8, v8, v26
	v_pk_add_f16 v9, v9, v27
	v_max_f16_e32 v17, v56, v56
	v_lshrrev_b32_e32 v18, 16, v56
	v_lshrrev_b32_e32 v19, 16, v8
	;; [unrolled: 1-line block ×3, first 2 shown]
	v_min_f16_e32 v8, v17, v8
	v_min3_f16 v17, v18, v19, v20
	v_min3_f16 v8, v8, v9, v17
	v_max_f32_e32 v9, v16, v16
	v_add_co_u32 v16, vcc_lo, v14, v32
	v_add_co_ci_u32_e64 v17, null, v15, v33, vcc_lo
	v_cvt_f32_f16_e32 v8, v8
	s_and_b32 vcc_lo, exec_lo, s1
	v_min_f32_e32 v8, v9, v8
	v_mov_b32_e32 v9, 0
	v_cvt_f16_f32_e32 v18, v8
	v_mov_b32_e32 v8, 0
	flat_store_short v[16:17], v18
	s_cbranch_vccnz .LBB219_165
; %bb.164:
	v_add_co_u32 v16, vcc_lo, v12, v34
	v_add_co_ci_u32_e64 v17, null, v13, v35, vcc_lo
	flat_load_ushort v9, v[16:17]
	s_waitcnt vmcnt(0) lgkmcnt(0)
	v_mul_f16_e32 v9, v49, v9
	v_cvt_f32_f16_e32 v9, v9
.LBB219_165:
	v_pk_add_f16 v10, v10, v26
	v_pk_add_f16 v11, v11, v27
	v_max_f16_e32 v16, v55, v55
	v_lshrrev_b32_e32 v17, 16, v55
	v_max_f32_e32 v9, v9, v9
	v_lshrrev_b32_e32 v18, 16, v10
	v_lshrrev_b32_e32 v19, 16, v11
	v_min_f16_e32 v10, v16, v10
	v_min3_f16 v16, v17, v18, v19
	v_min3_f16 v10, v10, v11, v16
	v_cvt_f32_f16_e32 v10, v10
	v_min_f32_e32 v9, v9, v10
	v_cvt_f16_f32_e32 v11, v9
	v_add_co_u32 v9, vcc_lo, v14, v34
	v_add_co_ci_u32_e64 v10, null, v15, v35, vcc_lo
	s_and_b32 vcc_lo, exec_lo, s1
	flat_store_short v[9:10], v11
	s_cbranch_vccnz .LBB219_167
; %bb.166:
	v_add_co_u32 v8, vcc_lo, v12, v36
	v_add_co_ci_u32_e64 v9, null, v13, v37, vcc_lo
	flat_load_ushort v8, v[8:9]
	s_waitcnt vmcnt(0) lgkmcnt(0)
	v_mul_f16_e32 v8, v49, v8
	v_cvt_f32_f16_e32 v8, v8
.LBB219_167:
	v_pk_add_f16 v4, v4, v26
	v_pk_add_f16 v5, v5, v27
	v_max_f16_e32 v9, v54, v54
	v_lshrrev_b32_e32 v10, 16, v54
	v_lshrrev_b32_e32 v11, 16, v4
	;; [unrolled: 1-line block ×3, first 2 shown]
	v_min_f16_e32 v4, v9, v4
	v_min3_f16 v9, v10, v11, v16
	v_min3_f16 v4, v4, v5, v9
	v_max_f32_e32 v5, v8, v8
	v_add_co_u32 v8, vcc_lo, v14, v36
	v_add_co_ci_u32_e64 v9, null, v15, v37, vcc_lo
	v_cvt_f32_f16_e32 v4, v4
	s_and_b32 vcc_lo, exec_lo, s1
	v_min_f32_e32 v4, v5, v4
	v_mov_b32_e32 v5, 0
	v_cvt_f16_f32_e32 v10, v4
	v_mov_b32_e32 v4, 0
	flat_store_short v[8:9], v10
	s_cbranch_vccnz .LBB219_169
; %bb.168:
	v_add_co_u32 v8, vcc_lo, v12, v42
	v_add_co_ci_u32_e64 v9, null, v13, v43, vcc_lo
	flat_load_ushort v5, v[8:9]
	s_waitcnt vmcnt(0) lgkmcnt(0)
	v_mul_f16_e32 v5, v49, v5
	v_cvt_f32_f16_e32 v5, v5
.LBB219_169:
	v_pk_add_f16 v6, v6, v26
	v_pk_add_f16 v7, v7, v27
	v_max_f16_e32 v8, v53, v53
	v_lshrrev_b32_e32 v9, 16, v53
	v_max_f32_e32 v5, v5, v5
	v_lshrrev_b32_e32 v10, 16, v6
	v_lshrrev_b32_e32 v11, 16, v7
	v_min_f16_e32 v6, v8, v6
	v_min3_f16 v8, v9, v10, v11
	v_min3_f16 v6, v6, v7, v8
	v_cvt_f32_f16_e32 v6, v6
	v_min_f32_e32 v5, v5, v6
	v_cvt_f16_f32_e32 v7, v5
	v_add_co_u32 v5, vcc_lo, v14, v42
	v_add_co_ci_u32_e64 v6, null, v15, v43, vcc_lo
	s_and_b32 vcc_lo, exec_lo, s1
	flat_store_short v[5:6], v7
	s_cbranch_vccnz .LBB219_171
; %bb.170:
	v_add_co_u32 v4, vcc_lo, v12, v40
	v_add_co_ci_u32_e64 v5, null, v13, v41, vcc_lo
	flat_load_ushort v4, v[4:5]
	s_waitcnt vmcnt(0) lgkmcnt(0)
	v_mul_f16_e32 v4, v49, v4
	v_cvt_f32_f16_e32 v4, v4
.LBB219_171:
	v_pk_add_f16 v0, v0, v26
	v_pk_add_f16 v1, v1, v27
	v_max_f16_e32 v5, v52, v52
	v_lshrrev_b32_e32 v6, 16, v52
	v_pk_add_f16 v3, v3, v27
	v_lshrrev_b32_e32 v7, 16, v0
	v_lshrrev_b32_e32 v8, 16, v1
	v_min_f16_e32 v0, v5, v0
	s_mov_b32 s1, -1
	v_min3_f16 v5, v6, v7, v8
	v_lshrrev_b32_e32 v6, 16, v51
	v_lshrrev_b32_e32 v8, 16, v3
	v_min3_f16 v0, v0, v1, v5
	v_pk_add_f16 v5, v2, v26
	v_max_f32_e32 v1, v4, v4
	v_max_f16_e32 v4, v51, v51
	v_cvt_f32_f16_e32 v0, v0
	v_lshrrev_b32_e32 v7, 16, v5
	v_min_f16_e32 v4, v4, v5
	v_min_f32_e32 v0, v1, v0
	v_min3_f16 v5, v6, v7, v8
	v_add_co_u32 v1, vcc_lo, v14, v40
	v_add_co_ci_u32_e64 v2, null, v15, v41, vcc_lo
	v_cvt_f16_f32_e32 v6, v0
	v_min3_f16 v0, v4, v3, v5
	s_mov_b32 vcc_lo, s0
	flat_store_short v[1:2], v6
	s_cbranch_vccz .LBB219_173
; %bb.172:
	v_cvt_f32_f16_e32 v1, v0
	s_mov_b32 s1, 0
	v_min_f32_e32 v1, 0, v1
	v_cvt_f16_f32_e32 v3, v1
	v_add_co_u32 v1, vcc_lo, v14, v38
	v_add_co_ci_u32_e64 v2, null, v15, v39, vcc_lo
	flat_store_short v[1:2], v3
.LBB219_173:
	v_mov_b32_e32 v1, 0
	s_andn2_b32 vcc_lo, exec_lo, s1
	s_cbranch_vccnz .LBB219_175
; %bb.174:
	v_add_co_u32 v1, vcc_lo, v12, v38
	v_add_co_ci_u32_e64 v2, null, v13, v39, vcc_lo
	flat_load_ushort v1, v[1:2]
	v_max_f16_e32 v2, v0, v0
	v_add_co_u32 v0, vcc_lo, v14, v38
	s_waitcnt vmcnt(0) lgkmcnt(0)
	v_mul_f16_e32 v3, v49, v1
	v_add_co_ci_u32_e64 v1, null, v15, v39, vcc_lo
	v_min_f16_e32 v4, v3, v2
	v_add_co_u32 v2, vcc_lo, v12, v44
	v_add_co_ci_u32_e64 v3, null, v13, v45, vcc_lo
	flat_store_short v[0:1], v4
	flat_load_ushort v0, v[2:3]
	s_waitcnt vmcnt(0) lgkmcnt(0)
	v_mul_f16_e32 v0, v49, v0
	v_cvt_f32_f16_e32 v1, v0
.LBB219_175:
	v_pk_add_f16 v0, v24, v26
	v_pk_add_f16 v2, v25, v27
	v_max_f16_e32 v3, v50, v50
	v_lshrrev_b32_e32 v4, 16, v50
	v_max_f32_e32 v1, v1, v1
	v_lshrrev_b32_e32 v5, 16, v0
	v_lshrrev_b32_e32 v6, 16, v2
	v_min_f16_e32 v0, v3, v0
	v_min3_f16 v3, v4, v5, v6
	v_min3_f16 v0, v0, v2, v3
	v_cvt_f32_f16_e32 v0, v0
	v_min_f32_e32 v0, v1, v0
	v_cvt_f16_f32_e32 v2, v0
	v_add_co_u32 v0, vcc_lo, v14, v44
	v_add_co_ci_u32_e64 v1, null, v15, v45, vcc_lo
	flat_store_short v[0:1], v2
	s_endpgm
	.section	.rodata,"a",@progbits
	.p2align	6, 0x0
	.amdhsa_kernel _ZN12_GLOBAL__N_120geam_min_plus_kernelIDF16_Dv2_DF16_S1_Li8ELi32ELi64ELi256ELi4ELi64ELi4ELi64ELi4ELc78ELc84ELb0ELb0ELb1EPKDF16_KS3_KPDF16_EEviiiT16_PT17_ilS9_ilS7_S9_ilPT18_ili26rocblas_geam_ex_operation_
		.amdhsa_group_segment_fixed_size 5120
		.amdhsa_private_segment_fixed_size 0
		.amdhsa_kernarg_size 136
		.amdhsa_user_sgpr_count 6
		.amdhsa_user_sgpr_private_segment_buffer 1
		.amdhsa_user_sgpr_dispatch_ptr 0
		.amdhsa_user_sgpr_queue_ptr 0
		.amdhsa_user_sgpr_kernarg_segment_ptr 1
		.amdhsa_user_sgpr_dispatch_id 0
		.amdhsa_user_sgpr_flat_scratch_init 0
		.amdhsa_user_sgpr_private_segment_size 0
		.amdhsa_wavefront_size32 1
		.amdhsa_uses_dynamic_stack 0
		.amdhsa_system_sgpr_private_segment_wavefront_offset 0
		.amdhsa_system_sgpr_workgroup_id_x 1
		.amdhsa_system_sgpr_workgroup_id_y 0
		.amdhsa_system_sgpr_workgroup_id_z 1
		.amdhsa_system_sgpr_workgroup_info 0
		.amdhsa_system_vgpr_workitem_id 1
		.amdhsa_next_free_vgpr 169
		.amdhsa_next_free_sgpr 24
		.amdhsa_reserve_vcc 1
		.amdhsa_reserve_flat_scratch 1
		.amdhsa_float_round_mode_32 0
		.amdhsa_float_round_mode_16_64 0
		.amdhsa_float_denorm_mode_32 3
		.amdhsa_float_denorm_mode_16_64 3
		.amdhsa_dx10_clamp 1
		.amdhsa_ieee_mode 1
		.amdhsa_fp16_overflow 0
		.amdhsa_workgroup_processor_mode 1
		.amdhsa_memory_ordered 1
		.amdhsa_forward_progress 1
		.amdhsa_shared_vgpr_count 0
		.amdhsa_exception_fp_ieee_invalid_op 0
		.amdhsa_exception_fp_denorm_src 0
		.amdhsa_exception_fp_ieee_div_zero 0
		.amdhsa_exception_fp_ieee_overflow 0
		.amdhsa_exception_fp_ieee_underflow 0
		.amdhsa_exception_fp_ieee_inexact 0
		.amdhsa_exception_int_div_zero 0
	.end_amdhsa_kernel
	.section	.text._ZN12_GLOBAL__N_120geam_min_plus_kernelIDF16_Dv2_DF16_S1_Li8ELi32ELi64ELi256ELi4ELi64ELi4ELi64ELi4ELc78ELc84ELb0ELb0ELb1EPKDF16_KS3_KPDF16_EEviiiT16_PT17_ilS9_ilS7_S9_ilPT18_ili26rocblas_geam_ex_operation_,"axG",@progbits,_ZN12_GLOBAL__N_120geam_min_plus_kernelIDF16_Dv2_DF16_S1_Li8ELi32ELi64ELi256ELi4ELi64ELi4ELi64ELi4ELc78ELc84ELb0ELb0ELb1EPKDF16_KS3_KPDF16_EEviiiT16_PT17_ilS9_ilS7_S9_ilPT18_ili26rocblas_geam_ex_operation_,comdat
.Lfunc_end219:
	.size	_ZN12_GLOBAL__N_120geam_min_plus_kernelIDF16_Dv2_DF16_S1_Li8ELi32ELi64ELi256ELi4ELi64ELi4ELi64ELi4ELc78ELc84ELb0ELb0ELb1EPKDF16_KS3_KPDF16_EEviiiT16_PT17_ilS9_ilS7_S9_ilPT18_ili26rocblas_geam_ex_operation_, .Lfunc_end219-_ZN12_GLOBAL__N_120geam_min_plus_kernelIDF16_Dv2_DF16_S1_Li8ELi32ELi64ELi256ELi4ELi64ELi4ELi64ELi4ELc78ELc84ELb0ELb0ELb1EPKDF16_KS3_KPDF16_EEviiiT16_PT17_ilS9_ilS7_S9_ilPT18_ili26rocblas_geam_ex_operation_
                                        ; -- End function
	.set _ZN12_GLOBAL__N_120geam_min_plus_kernelIDF16_Dv2_DF16_S1_Li8ELi32ELi64ELi256ELi4ELi64ELi4ELi64ELi4ELc78ELc84ELb0ELb0ELb1EPKDF16_KS3_KPDF16_EEviiiT16_PT17_ilS9_ilS7_S9_ilPT18_ili26rocblas_geam_ex_operation_.num_vgpr, 169
	.set _ZN12_GLOBAL__N_120geam_min_plus_kernelIDF16_Dv2_DF16_S1_Li8ELi32ELi64ELi256ELi4ELi64ELi4ELi64ELi4ELc78ELc84ELb0ELb0ELb1EPKDF16_KS3_KPDF16_EEviiiT16_PT17_ilS9_ilS7_S9_ilPT18_ili26rocblas_geam_ex_operation_.num_agpr, 0
	.set _ZN12_GLOBAL__N_120geam_min_plus_kernelIDF16_Dv2_DF16_S1_Li8ELi32ELi64ELi256ELi4ELi64ELi4ELi64ELi4ELc78ELc84ELb0ELb0ELb1EPKDF16_KS3_KPDF16_EEviiiT16_PT17_ilS9_ilS7_S9_ilPT18_ili26rocblas_geam_ex_operation_.numbered_sgpr, 24
	.set _ZN12_GLOBAL__N_120geam_min_plus_kernelIDF16_Dv2_DF16_S1_Li8ELi32ELi64ELi256ELi4ELi64ELi4ELi64ELi4ELc78ELc84ELb0ELb0ELb1EPKDF16_KS3_KPDF16_EEviiiT16_PT17_ilS9_ilS7_S9_ilPT18_ili26rocblas_geam_ex_operation_.num_named_barrier, 0
	.set _ZN12_GLOBAL__N_120geam_min_plus_kernelIDF16_Dv2_DF16_S1_Li8ELi32ELi64ELi256ELi4ELi64ELi4ELi64ELi4ELc78ELc84ELb0ELb0ELb1EPKDF16_KS3_KPDF16_EEviiiT16_PT17_ilS9_ilS7_S9_ilPT18_ili26rocblas_geam_ex_operation_.private_seg_size, 0
	.set _ZN12_GLOBAL__N_120geam_min_plus_kernelIDF16_Dv2_DF16_S1_Li8ELi32ELi64ELi256ELi4ELi64ELi4ELi64ELi4ELc78ELc84ELb0ELb0ELb1EPKDF16_KS3_KPDF16_EEviiiT16_PT17_ilS9_ilS7_S9_ilPT18_ili26rocblas_geam_ex_operation_.uses_vcc, 1
	.set _ZN12_GLOBAL__N_120geam_min_plus_kernelIDF16_Dv2_DF16_S1_Li8ELi32ELi64ELi256ELi4ELi64ELi4ELi64ELi4ELc78ELc84ELb0ELb0ELb1EPKDF16_KS3_KPDF16_EEviiiT16_PT17_ilS9_ilS7_S9_ilPT18_ili26rocblas_geam_ex_operation_.uses_flat_scratch, 1
	.set _ZN12_GLOBAL__N_120geam_min_plus_kernelIDF16_Dv2_DF16_S1_Li8ELi32ELi64ELi256ELi4ELi64ELi4ELi64ELi4ELc78ELc84ELb0ELb0ELb1EPKDF16_KS3_KPDF16_EEviiiT16_PT17_ilS9_ilS7_S9_ilPT18_ili26rocblas_geam_ex_operation_.has_dyn_sized_stack, 0
	.set _ZN12_GLOBAL__N_120geam_min_plus_kernelIDF16_Dv2_DF16_S1_Li8ELi32ELi64ELi256ELi4ELi64ELi4ELi64ELi4ELc78ELc84ELb0ELb0ELb1EPKDF16_KS3_KPDF16_EEviiiT16_PT17_ilS9_ilS7_S9_ilPT18_ili26rocblas_geam_ex_operation_.has_recursion, 0
	.set _ZN12_GLOBAL__N_120geam_min_plus_kernelIDF16_Dv2_DF16_S1_Li8ELi32ELi64ELi256ELi4ELi64ELi4ELi64ELi4ELc78ELc84ELb0ELb0ELb1EPKDF16_KS3_KPDF16_EEviiiT16_PT17_ilS9_ilS7_S9_ilPT18_ili26rocblas_geam_ex_operation_.has_indirect_call, 0
	.section	.AMDGPU.csdata,"",@progbits
; Kernel info:
; codeLenInByte = 19924
; TotalNumSgprs: 26
; NumVgprs: 169
; ScratchSize: 0
; MemoryBound: 0
; FloatMode: 240
; IeeeMode: 1
; LDSByteSize: 5120 bytes/workgroup (compile time only)
; SGPRBlocks: 0
; VGPRBlocks: 21
; NumSGPRsForWavesPerEU: 26
; NumVGPRsForWavesPerEU: 169
; Occupancy: 5
; WaveLimiterHint : 1
; COMPUTE_PGM_RSRC2:SCRATCH_EN: 0
; COMPUTE_PGM_RSRC2:USER_SGPR: 6
; COMPUTE_PGM_RSRC2:TRAP_HANDLER: 0
; COMPUTE_PGM_RSRC2:TGID_X_EN: 1
; COMPUTE_PGM_RSRC2:TGID_Y_EN: 0
; COMPUTE_PGM_RSRC2:TGID_Z_EN: 1
; COMPUTE_PGM_RSRC2:TIDIG_COMP_CNT: 1
	.section	.text._ZN12_GLOBAL__N_120geam_min_plus_kernelIDF16_Dv2_DF16_S1_Li8ELi32ELi64ELi256ELi4ELi64ELi4ELi64ELi4ELc78ELc84ELb1ELb0ELb1EDF16_KPKDF16_KPDF16_EEviiiT16_PT17_ilS9_ilS7_S9_ilPT18_ili26rocblas_geam_ex_operation_,"axG",@progbits,_ZN12_GLOBAL__N_120geam_min_plus_kernelIDF16_Dv2_DF16_S1_Li8ELi32ELi64ELi256ELi4ELi64ELi4ELi64ELi4ELc78ELc84ELb1ELb0ELb1EDF16_KPKDF16_KPDF16_EEviiiT16_PT17_ilS9_ilS7_S9_ilPT18_ili26rocblas_geam_ex_operation_,comdat
	.globl	_ZN12_GLOBAL__N_120geam_min_plus_kernelIDF16_Dv2_DF16_S1_Li8ELi32ELi64ELi256ELi4ELi64ELi4ELi64ELi4ELc78ELc84ELb1ELb0ELb1EDF16_KPKDF16_KPDF16_EEviiiT16_PT17_ilS9_ilS7_S9_ilPT18_ili26rocblas_geam_ex_operation_ ; -- Begin function _ZN12_GLOBAL__N_120geam_min_plus_kernelIDF16_Dv2_DF16_S1_Li8ELi32ELi64ELi256ELi4ELi64ELi4ELi64ELi4ELc78ELc84ELb1ELb0ELb1EDF16_KPKDF16_KPDF16_EEviiiT16_PT17_ilS9_ilS7_S9_ilPT18_ili26rocblas_geam_ex_operation_
	.p2align	8
	.type	_ZN12_GLOBAL__N_120geam_min_plus_kernelIDF16_Dv2_DF16_S1_Li8ELi32ELi64ELi256ELi4ELi64ELi4ELi64ELi4ELc78ELc84ELb1ELb0ELb1EDF16_KPKDF16_KPDF16_EEviiiT16_PT17_ilS9_ilS7_S9_ilPT18_ili26rocblas_geam_ex_operation_,@function
_ZN12_GLOBAL__N_120geam_min_plus_kernelIDF16_Dv2_DF16_S1_Li8ELi32ELi64ELi256ELi4ELi64ELi4ELi64ELi4ELc78ELc84ELb1ELb0ELb1EDF16_KPKDF16_KPDF16_EEviiiT16_PT17_ilS9_ilS7_S9_ilPT18_ili26rocblas_geam_ex_operation_: ; @_ZN12_GLOBAL__N_120geam_min_plus_kernelIDF16_Dv2_DF16_S1_Li8ELi32ELi64ELi256ELi4ELi64ELi4ELi64ELi4ELc78ELc84ELb1ELb0ELb1EDF16_KPKDF16_KPDF16_EEviiiT16_PT17_ilS9_ilS7_S9_ilPT18_ili26rocblas_geam_ex_operation_
; %bb.0:
	s_mov_b64 s[26:27], s[2:3]
	s_mov_b64 s[24:25], s[0:1]
	s_clause 0x1
	s_load_dwordx2 s[14:15], s[4:5], 0x8
	s_load_dwordx4 s[0:3], s[4:5], 0x20
	s_add_u32 s24, s24, s8
	s_mov_b32 s8, s7
	s_addc_u32 s25, s25, 0
	s_mov_b32 s9, 0
	s_waitcnt lgkmcnt(0)
	v_cmp_eq_f16_e64 s7, s15, 0
	s_and_b32 vcc_lo, exec_lo, s7
	s_cbranch_vccnz .LBB220_3
; %bb.1:
	s_load_dwordx2 s[10:11], s[4:5], 0x10
	s_lshl_b64 s[12:13], s[8:9], 3
	s_waitcnt lgkmcnt(0)
	s_add_u32 s10, s10, s12
	s_addc_u32 s11, s11, s13
	s_lshl_b64 s[0:1], s[0:1], 1
	s_load_dwordx2 s[10:11], s[10:11], 0x0
	s_waitcnt lgkmcnt(0)
	s_add_u32 s16, s10, s0
	s_addc_u32 s17, s11, s1
	s_andn2_b32 vcc_lo, exec_lo, s7
	s_cbranch_vccnz .LBB220_4
.LBB220_2:
	s_mov_b32 s21, 0
	s_mov_b32 s20, s8
	;; [unrolled: 1-line block ×3, first 2 shown]
	s_mov_b64 s[12:13], 0
	s_andn2_b32 vcc_lo, exec_lo, s0
	s_mov_b64 s[18:19], 0
	s_cbranch_vccz .LBB220_5
	s_branch .LBB220_6
.LBB220_3:
	s_mov_b64 s[16:17], 0
	s_andn2_b32 vcc_lo, exec_lo, s7
	s_cbranch_vccz .LBB220_2
.LBB220_4:
	s_mov_b64 s[20:21], s[8:9]
	s_mov_b64 s[12:13], 0
	;; [unrolled: 1-line block ×3, first 2 shown]
.LBB220_5:
	s_lshl_b64 s[0:1], s[8:9], 3
	s_load_dwordx2 s[8:9], s[4:5], 0x38
	s_add_u32 s0, s2, s0
	s_addc_u32 s1, s3, s1
	s_load_dwordx2 s[0:1], s[0:1], 0x0
	s_waitcnt lgkmcnt(0)
	s_lshl_b64 s[2:3], s[8:9], 1
	s_add_u32 s18, s0, s2
	s_addc_u32 s19, s1, s3
.LBB220_6:
	s_clause 0x1
	s_load_dword s15, s[4:5], 0x40
	s_load_dwordx4 s[8:11], s[4:5], 0x58
	s_waitcnt lgkmcnt(0)
	v_cmp_eq_f16_e64 s0, s15, 0
	s_and_b32 s0, exec_lo, s0
	s_mov_b32 vcc_lo, s0
	s_cbranch_vccnz .LBB220_8
; %bb.7:
	s_load_dwordx2 s[2:3], s[4:5], 0x48
	s_lshl_b64 s[12:13], s[20:21], 3
	s_waitcnt lgkmcnt(0)
	s_add_u32 s2, s2, s12
	s_addc_u32 s3, s3, s13
	s_lshl_b64 s[8:9], s[8:9], 1
	s_load_dwordx2 s[2:3], s[2:3], 0x0
	s_waitcnt lgkmcnt(0)
	s_add_u32 s12, s2, s8
	s_addc_u32 s13, s3, s9
.LBB220_8:
	s_load_dword s1, s[4:5], 0x0
	s_lshl_b64 s[2:3], s[20:21], 3
	s_clause 0x1
	s_load_dword s8, s[4:5], 0x18
	s_load_dword s20, s[4:5], 0x30
	s_add_u32 s2, s10, s2
	s_addc_u32 s3, s11, s3
	v_lshlrev_b32_e32 v187, 3, v1
	v_lshlrev_b32_e32 v132, 3, v0
	v_add_nc_u32_e32 v3, v187, v0
	v_add_nc_u32_e32 v22, 0x1000, v132
	v_lshrrev_b32_e32 v42, 6, v3
	v_and_b32_e32 v15, 63, v3
	v_add_nc_u32_e32 v7, 4, v42
	s_waitcnt lgkmcnt(0)
	s_add_i32 s1, s1, -1
	v_mad_i64_i32 v[9:10], null, s8, v42, 0
	s_ashr_i32 s7, s1, 31
	v_mad_i64_i32 v[3:4], null, s20, v42, 0
	s_lshr_b32 s7, s7, 26
	v_mad_i64_i32 v[5:6], null, s8, v7, 0
	s_add_i32 s1, s1, s7
	v_lshlrev_b64 v[16:17], 1, v[9:10]
	s_ashr_i32 s1, s1, 6
	v_lshlrev_b64 v[11:12], 1, v[3:4]
	s_add_i32 s7, s1, 1
	s_not_b32 s1, s1
	v_cvt_f32_u32_e32 v2, s7
	v_lshlrev_b64 v[13:14], 1, v[5:6]
	v_add_co_u32 v16, vcc_lo, s16, v16
	v_add_co_ci_u32_e64 v6, null, s17, v17, vcc_lo
	v_rcp_iflag_f32_e32 v2, v2
	v_mad_i64_i32 v[7:8], null, s20, v7, 0
	v_mul_f32_e32 v2, 0x4f7ffffe, v2
	v_cvt_u32_f32_e32 v2, v2
	v_readfirstlane_b32 s9, v2
	s_mul_i32 s1, s1, s9
	s_mul_hi_u32 s1, s9, s1
	s_add_i32 s9, s9, s1
	s_mul_hi_u32 s1, s6, s9
	s_mul_i32 s9, s1, s7
	s_add_i32 s10, s1, 1
	s_sub_i32 s9, s6, s9
	s_sub_i32 s11, s9, s7
	s_cmp_ge_u32 s9, s7
	s_cselect_b32 s1, s10, s1
	s_cselect_b32 s9, s11, s9
	s_add_i32 s10, s1, 1
	s_cmp_ge_u32 s9, s7
	s_cselect_b32 s1, s10, s1
	s_mul_i32 s7, s1, s7
	s_lshl_b32 s10, s1, 8
	s_sub_i32 s1, s6, s7
	v_or_b32_e32 v9, s10, v15
	s_lshl_b32 s1, s1, 6
	s_cmp_lt_i32 s14, 9
	v_or_b32_e32 v4, s1, v15
	v_ashrrev_i32_e32 v10, 31, v9
	v_ashrrev_i32_e32 v5, 31, v4
	v_lshlrev_b64 v[2:3], 1, v[9:10]
	v_add_co_u32 v9, vcc_lo, s18, v11
	v_add_co_ci_u32_e64 v10, null, s19, v12, vcc_lo
	v_lshlrev_b64 v[4:5], 1, v[4:5]
	v_add_co_u32 v9, vcc_lo, v9, v2
	v_add_co_ci_u32_e64 v10, null, v10, v3, vcc_lo
	v_add_co_u32 v11, vcc_lo, v16, v4
	v_add_co_ci_u32_e64 v12, null, v6, v5, vcc_lo
	s_clause 0x3
	flat_load_ushort v16, v[9:10]
	flat_load_ushort v17, v[9:10] offset:128
	flat_load_ushort v18, v[9:10] offset:256
	;; [unrolled: 1-line block ×3, first 2 shown]
	flat_load_ushort v11, v[11:12]
	v_lshlrev_b64 v[6:7], 1, v[7:8]
	v_add_co_u32 v13, vcc_lo, s16, v13
	v_add_co_ci_u32_e64 v8, null, s17, v14, vcc_lo
	v_add_co_u32 v9, vcc_lo, s18, v6
	v_add_co_ci_u32_e64 v12, null, s19, v7, vcc_lo
	;; [unrolled: 2-line block ×4, first 2 shown]
	flat_load_ushort v38, v[6:7]
	s_clause 0x3
	flat_load_ushort v39, v[8:9]
	flat_load_ushort v40, v[8:9] offset:128
	flat_load_ushort v41, v[8:9] offset:256
	;; [unrolled: 1-line block ×3, first 2 shown]
	v_lshlrev_b32_e32 v6, 3, v15
	s_load_dwordx2 s[2:3], s[2:3], 0x0
	v_lshl_add_u32 v44, v42, 1, v6
	s_waitcnt vmcnt(9) lgkmcnt(0)
	ds_write_b16 v44, v16
	s_waitcnt vmcnt(8)
	ds_write_b16 v44, v17 offset:512
	s_waitcnt vmcnt(7)
	ds_write_b16 v44, v18 offset:1024
	;; [unrolled: 2-line block ×4, first 2 shown]
	s_waitcnt vmcnt(0) lgkmcnt(0)
	s_barrier
	buffer_gl0_inv
	ds_read2_b64 v[6:9], v22 offset1:8
	ds_read2_b64 v[10:13], v187 offset1:32
	ds_read2_b64 v[14:17], v22 offset0:16 offset1:24
	ds_read2_b64 v[18:21], v22 offset0:32 offset1:40
	;; [unrolled: 1-line block ×6, first 2 shown]
	ds_write_b16 v44, v38 offset:4608
	ds_write_b16 v44, v39 offset:2048
	;; [unrolled: 1-line block ×4, first 2 shown]
	s_waitcnt lgkmcnt(10)
	v_pk_add_f16 v38, v6, v10
	v_pk_add_f16 v39, v8, v10
	s_waitcnt lgkmcnt(9)
	v_pk_add_f16 v40, v14, v10
	v_pk_add_f16 v41, v16, v10
	;; [unrolled: 3-line block ×4, first 2 shown]
	v_pk_add_f16 v47, v6, v12
	v_pk_add_f16 v48, v8, v12
	v_pk_add_f16 v49, v14, v12
	v_pk_add_f16 v50, v16, v12
	v_pk_add_f16 v51, v18, v12
	v_pk_add_f16 v52, v20, v12
	v_pk_add_f16 v53, v22, v12
	v_pk_add_f16 v12, v24, v12
	s_waitcnt lgkmcnt(6)
	v_pk_add_f16 v68, v6, v26
	v_pk_add_f16 v69, v8, v26
	v_pk_add_f16 v70, v14, v26
	v_pk_add_f16 v71, v16, v26
	v_pk_add_f16 v72, v18, v26
	v_pk_add_f16 v73, v20, v26
	v_pk_add_f16 v74, v22, v26
	v_pk_add_f16 v26, v24, v26
	v_pk_add_f16 v75, v6, v28
	v_pk_add_f16 v76, v8, v28
	v_pk_add_f16 v77, v14, v28
	v_pk_add_f16 v78, v16, v28
	v_pk_add_f16 v79, v18, v28
	v_pk_add_f16 v80, v20, v28
	v_pk_add_f16 v81, v22, v28
	v_pk_add_f16 v28, v24, v28
	s_waitcnt lgkmcnt(5)
	v_pk_add_f16 v89, v6, v30
	v_pk_add_f16 v90, v8, v30
	v_pk_add_f16 v91, v14, v30
	v_pk_add_f16 v92, v16, v30
	v_pk_add_f16 v93, v18, v30
	v_pk_add_f16 v94, v20, v30
	v_pk_add_f16 v95, v22, v30
	v_pk_add_f16 v30, v24, v30
	;; [unrolled: 17-line block ×3, first 2 shown]
	v_pk_add_f16 v107, v18, v34
	v_pk_add_f16 v108, v20, v34
	;; [unrolled: 1-line block ×72, first 2 shown]
	v_pk_min_f16 v37, 0x7c00, v38 op_sel_hi:[0,1]
	v_pk_min_f16 v38, 0x7c00, v39 op_sel_hi:[0,1]
	;; [unrolled: 1-line block ×64, first 2 shown]
	v_pk_min_f16 v37, v37, v54
	v_pk_min_f16 v91, v38, v55
	;; [unrolled: 1-line block ×64, first 2 shown]
	ds_write_b16 v44, v129 offset:3584
	s_waitcnt lgkmcnt(0)
	s_barrier
	buffer_gl0_inv
	s_cbranch_scc1 .LBB220_12
; %bb.9:
	v_add_nc_u32_e32 v10, 8, v42
	buffer_store_dword v0, off, s[24:27], 0 offset:164 ; 4-byte Folded Spill
	v_lshl_add_u32 v0, v0, 3, 0x1200
	v_add_nc_u32_e32 v8, 12, v42
	buffer_store_dword v1, off, s[24:27], 0 offset:168 ; 4-byte Folded Spill
	v_mad_i64_i32 v[12:13], null, v10, s20, 0
	v_or_b32_e32 v1, 0x1000, v132
	buffer_store_dword v0, off, s[24:27], 0 offset:124 ; 4-byte Folded Spill
	v_or_b32_e32 v0, 0x800, v187
	v_mad_i64_i32 v[6:7], null, v8, s8, 0
	buffer_store_dword v1, off, s[24:27], 0 offset:120 ; 4-byte Folded Spill
	buffer_store_dword v132, off, s[24:27], 0 offset:172 ; 4-byte Folded Spill
	;; [unrolled: 1-line block ×3, first 2 shown]
	v_lshlrev_b64 v[0:1], 1, v[12:13]
	v_mad_i64_i32 v[8:9], null, v8, s20, 0
	v_mad_i64_i32 v[10:11], null, v10, s8, 0
	buffer_store_dword v0, off, s[24:27], 0 offset:132 ; 4-byte Folded Spill
	buffer_store_dword v1, off, s[24:27], 0 offset:136 ; 4-byte Folded Spill
	v_lshlrev_b64 v[0:1], 1, v[6:7]
	v_add_co_u32 v47, vcc_lo, s16, v4
	v_add_co_ci_u32_e64 v112, null, s17, v5, vcc_lo
	buffer_store_dword v0, off, s[24:27], 0 offset:140 ; 4-byte Folded Spill
	buffer_store_dword v1, off, s[24:27], 0 offset:144 ; 4-byte Folded Spill
	v_lshlrev_b64 v[0:1], 1, v[8:9]
	v_add_co_u32 v115, vcc_lo, s18, v2
	v_add_co_ci_u32_e64 v116, null, s19, v3, vcc_lo
	buffer_store_dword v0, off, s[24:27], 0 offset:148 ; 4-byte Folded Spill
	buffer_store_dword v1, off, s[24:27], 0 offset:152 ; 4-byte Folded Spill
	v_lshlrev_b64 v[0:1], 1, v[10:11]
	v_mov_b32_e32 v136, v81
	v_mov_b32_e32 v140, v89
	;; [unrolled: 1-line block ×8, first 2 shown]
	s_ashr_i32 s9, s8, 31
	s_ashr_i32 s21, s20, 31
	s_add_i32 s11, s14, -8
	s_lshl_b64 s[6:7], s[20:21], 4
	s_lshl_b64 s[8:9], s[8:9], 4
	s_mov_b32 s14, 0
	buffer_store_dword v0, off, s[24:27], 0 offset:156 ; 4-byte Folded Spill
	buffer_store_dword v1, off, s[24:27], 0 offset:160 ; 4-byte Folded Spill
.LBB220_10:                             ; =>This Inner Loop Header: Depth=1
	buffer_store_dword v73, off, s[24:27], 0 offset:52 ; 4-byte Folded Spill
	s_clause 0x1
	buffer_load_dword v0, off, s[24:27], 0 offset:156
	buffer_load_dword v1, off, s[24:27], 0 offset:160
	v_mov_b32_e32 v132, v247
	v_mov_b32_e32 v131, v245
	;; [unrolled: 1-line block ×19, first 2 shown]
	s_add_i32 s14, s14, 8
	s_cmp_ge_i32 s14, s11
	s_waitcnt vmcnt(1)
	v_add_co_u32 v0, vcc_lo, v47, v0
	s_waitcnt vmcnt(0)
	v_add_co_ci_u32_e64 v1, null, v112, v1, vcc_lo
	flat_load_ushort v22, v[0:1]
	s_clause 0x1
	buffer_load_dword v0, off, s[24:27], 0 offset:132
	buffer_load_dword v1, off, s[24:27], 0 offset:136
	s_waitcnt vmcnt(1)
	v_add_co_u32 v0, vcc_lo, v115, v0
	s_waitcnt vmcnt(0)
	v_add_co_ci_u32_e64 v1, null, v116, v1, vcc_lo
	s_clause 0x3
	flat_load_ushort v23, v[0:1]
	flat_load_ushort v24, v[0:1] offset:128
	flat_load_ushort v25, v[0:1] offset:256
	;; [unrolled: 1-line block ×3, first 2 shown]
	buffer_load_dword v0, off, s[24:27], 0 offset:124 ; 4-byte Folded Reload
	s_waitcnt vmcnt(0)
	ds_read2_b64 v[18:21], v0 offset1:8
	ds_read2_b64 v[14:17], v0 offset0:16 offset1:24
	ds_read2_b64 v[10:13], v0 offset0:32 offset1:40
	;; [unrolled: 1-line block ×3, first 2 shown]
	buffer_load_dword v0, off, s[24:27], 0 offset:128 ; 4-byte Folded Reload
	s_waitcnt vmcnt(0)
	ds_read2_b64 v[27:30], v0 offset1:32
	ds_read2_b64 v[37:40], v0 offset0:64 offset1:96
	ds_read2_b64 v[49:52], v0 offset0:128 offset1:160
	;; [unrolled: 1-line block ×3, first 2 shown]
	s_waitcnt lgkmcnt(3)
	v_pk_add_f16 v247, v2, v27
	v_pk_add_f16 v226, v2, v29
	s_waitcnt lgkmcnt(1)
	v_pk_add_f16 v1, v12, v51
	v_pk_add_f16 v197, v2, v37
	v_pk_add_f16 v177, v2, v39
	v_pk_add_f16 v155, v2, v49
	v_pk_add_f16 v170, v18, v49
	buffer_store_dword v1, off, s[24:27], 0 offset:112 ; 4-byte Folded Spill
	v_pk_add_f16 v1, v2, v51
	v_pk_add_f16 v168, v20, v49
	v_pk_add_f16 v166, v14, v49
	v_pk_add_f16 v163, v16, v49
	v_pk_add_f16 v157, v10, v49
	buffer_store_dword v1, off, s[24:27], 0 offset:100 ; 4-byte Folded Spill
	;; [unrolled: 6-line block ×3, first 2 shown]
	s_waitcnt lgkmcnt(0)
	v_pk_add_f16 v1, v18, v6
	v_pk_add_f16 v228, v3, v38
	v_pk_add_f16 v207, v3, v40
	v_pk_add_f16 v184, v3, v50
	v_pk_add_f16 v171, v3, v52
	buffer_store_dword v1, off, s[24:27], 0 offset:88 ; 4-byte Folded Spill
	v_pk_add_f16 v1, v20, v6
	v_pk_add_f16 v159, v3, v7
	v_pk_add_f16 v245, v4, v27
	v_pk_add_f16 v223, v4, v29
	v_pk_add_f16 v194, v4, v37
	buffer_store_dword v1, off, s[24:27], 0 offset:80 ; 4-byte Folded Spill
	;; [unrolled: 6-line block ×15, first 2 shown]
	buffer_store_dword v2, off, s[24:27], 0 offset:116 ; 4-byte Folded Spill
	v_pk_add_f16 v2, v11, v9
	v_pk_add_f16 v1, v4, v8
	;; [unrolled: 1-line block ×5, first 2 shown]
	buffer_store_dword v2, off, s[24:27], 0 offset:108 ; 4-byte Folded Spill
	v_pk_add_f16 v2, v13, v9
	buffer_store_dword v1, off, s[24:27], 0 offset:20 ; 4-byte Folded Spill
	v_pk_add_f16 v1, v11, v30
	v_pk_add_f16 v213, v11, v40
	v_pk_add_f16 v210, v13, v40
	buffer_store_dword v2, off, s[24:27], 0 offset:96 ; 4-byte Folded Spill
	v_pk_add_f16 v2, v3, v9
	v_pk_add_f16 v204, v5, v40
	v_pk_add_f16 v201, v19, v50
	v_pk_add_f16 v198, v21, v50
	v_pk_add_f16 v195, v15, v50
	buffer_store_dword v2, off, s[24:27], 0 offset:104 ; 4-byte Folded Spill
	v_pk_add_f16 v2, v5, v9
	v_pk_add_f16 v193, v17, v50
	;; [unrolled: 1-line block ×5, first 2 shown]
	buffer_store_dword v2, off, s[24:27], 0 offset:84 ; 4-byte Folded Spill
	v_or_b32_e32 v2, 0x1000, v44
	ds_write_b16 v2, v22
	ds_write_b16 v44, v23
	ds_write_b16 v44, v24 offset:512
	ds_write_b16 v44, v25 offset:1024
	;; [unrolled: 1-line block ×3, first 2 shown]
	s_waitcnt lgkmcnt(0)
	s_waitcnt_vscnt null, 0x0
	s_barrier
	buffer_gl0_inv
	s_clause 0x1
	buffer_load_dword v2, off, s[24:27], 0 offset:140
	buffer_load_dword v3, off, s[24:27], 0 offset:144
	v_pk_add_f16 v180, v19, v52
	v_pk_add_f16 v178, v21, v52
	;; [unrolled: 1-line block ×17, first 2 shown]
	s_waitcnt vmcnt(1)
	v_add_co_u32 v2, vcc_lo, v47, v2
	s_waitcnt vmcnt(0)
	v_add_co_ci_u32_e64 v3, null, v112, v3, vcc_lo
	flat_load_ushort v2, v[2:3]
	s_waitcnt vmcnt(0) lgkmcnt(0)
	buffer_store_dword v2, off, s[24:27], 0 offset:16 ; 4-byte Folded Spill
	s_clause 0x1
	buffer_load_dword v2, off, s[24:27], 0 offset:148
	buffer_load_dword v3, off, s[24:27], 0 offset:152
	s_waitcnt vmcnt(1)
	v_add_co_u32 v2, vcc_lo, v115, v2
	s_waitcnt vmcnt(0)
	v_add_co_ci_u32_e64 v3, null, v116, v3, vcc_lo
	v_add_co_u32 v115, vcc_lo, v115, s6
	v_add_co_ci_u32_e64 v116, null, s7, v116, vcc_lo
	flat_load_ushort v4, v[2:3]
	v_add_co_u32 v47, vcc_lo, v47, s8
	v_add_co_ci_u32_e64 v112, null, s9, v112, vcc_lo
	s_waitcnt vmcnt(0) lgkmcnt(0)
	buffer_store_dword v4, off, s[24:27], 0 ; 4-byte Folded Spill
	flat_load_ushort v4, v[2:3] offset:128
	s_waitcnt vmcnt(0) lgkmcnt(0)
	buffer_store_dword v4, off, s[24:27], 0 offset:4 ; 4-byte Folded Spill
	s_clause 0x1
	flat_load_ushort v4, v[2:3] offset:256
	flat_load_ushort v2, v[2:3] offset:384
	s_waitcnt vmcnt(1) lgkmcnt(1)
	buffer_store_dword v4, off, s[24:27], 0 offset:8 ; 4-byte Folded Spill
	s_waitcnt vmcnt(0) lgkmcnt(0)
	buffer_store_dword v2, off, s[24:27], 0 offset:12 ; 4-byte Folded Spill
	buffer_load_dword v2, off, s[24:27], 0 offset:120 ; 4-byte Folded Reload
	s_waitcnt vmcnt(0)
	ds_read2_b64 v[18:21], v2 offset1:8
	ds_read2_b64 v[14:17], v2 offset0:16 offset1:24
	ds_read2_b64 v[6:9], v2 offset0:32 offset1:40
	;; [unrolled: 1-line block ×3, first 2 shown]
	ds_read2_b64 v[30:33], v187 offset1:32
	ds_read2_b64 v[26:29], v187 offset0:64 offset1:96
	ds_read2_b64 v[22:25], v187 offset0:128 offset1:160
	;; [unrolled: 1-line block ×3, first 2 shown]
	s_waitcnt lgkmcnt(3)
	v_pk_add_f16 v63, v18, v30
	v_pk_add_f16 v64, v20, v30
	v_pk_add_f16 v65, v14, v30
	v_pk_add_f16 v66, v16, v30
	v_pk_add_f16 v67, v6, v30
	v_pk_add_f16 v68, v8, v30
	v_pk_add_f16 v69, v2, v30
	v_pk_add_f16 v70, v4, v30
	v_pk_add_f16 v71, v18, v32
	v_pk_add_f16 v121, v20, v32
	v_pk_add_f16 v72, v14, v32
	v_pk_add_f16 v62, v16, v32
	v_pk_add_f16 v61, v6, v32
	v_pk_add_f16 v60, v8, v32
	v_pk_add_f16 v59, v2, v32
	v_pk_add_f16 v120, v4, v32
	s_waitcnt lgkmcnt(2)
	v_pk_add_f16 v118, v18, v26
	v_pk_add_f16 v58, v20, v26
	v_pk_add_f16 v56, v14, v26
	v_pk_add_f16 v54, v16, v26
	v_pk_add_f16 v52, v6, v26
	v_pk_add_f16 v50, v8, v26
	v_pk_add_f16 v48, v2, v26
	v_pk_add_f16 v40, v4, v26
	v_pk_add_f16 v38, v18, v28
	v_pk_add_f16 v36, v20, v28
	v_pk_add_f16 v114, v14, v28
	v_pk_add_f16 v45, v16, v28
	v_pk_add_f16 v43, v6, v28
	v_pk_add_f16 v253, v8, v28
	v_pk_add_f16 v250, v2, v28
	v_pk_add_f16 v246, v4, v28
	;; [unrolled: 17-line block ×4, first 2 shown]
	v_pk_max_f16 v12, v145, v145
	v_pk_add_f16 v4, v19, v31
	v_pk_min_f16 v12, v12, v35
	v_pk_min_f16 v12, v12, v119
	v_pk_min_f16 v12, v12, v63
	v_pk_min_f16 v145, v12, v4
	v_pk_max_f16 v12, v144, v144
	v_pk_add_f16 v4, v21, v31
	v_pk_min_f16 v12, v12, v113
	v_pk_min_f16 v12, v12, v117
	v_pk_min_f16 v12, v12, v64
	v_pk_min_f16 v144, v12, v4
	;; [unrolled: 6-line block ×12, first 2 shown]
	v_pk_max_f16 v4, v133, v133
	v_pk_add_f16 v0, v7, v33
	v_pk_min_f16 v4, v4, v232
	v_pk_min_f16 v1, v4, v1
	buffer_load_dword v4, off, s[24:27], 0 offset:112 ; 4-byte Folded Reload
	v_pk_min_f16 v1, v1, v61
	v_pk_min_f16 v249, v1, v0
	v_pk_max_f16 v1, v132, v132
	v_pk_add_f16 v0, v9, v33
	v_pk_min_f16 v1, v1, v229
	v_pk_min_f16 v1, v1, v254
	v_pk_min_f16 v1, v1, v60
	v_pk_min_f16 v247, v1, v0
	v_pk_max_f16 v1, v131, v131
	v_pk_add_f16 v0, v3, v33
	v_pk_min_f16 v1, v1, v226
	v_pk_min_f16 v1, v1, v251
	;; [unrolled: 6-line block ×32, first 2 shown]
	v_pk_min_f16 v1, v1, v205
	v_pk_min_f16 v120, v1, v0
	v_pk_max_f16 v1, v122, v122
	v_pk_add_f16 v0, v9, v25
	s_waitcnt vmcnt(0)
	v_pk_min_f16 v1, v1, v4
	buffer_load_dword v4, off, s[24:27], 0 offset:100 ; 4-byte Folded Reload
	v_pk_min_f16 v1, v1, v172
	v_pk_min_f16 v1, v1, v202
	v_pk_min_f16 v122, v1, v0
	v_pk_max_f16 v1, v90, v90
	v_pk_add_f16 v0, v3, v25
	s_waitcnt vmcnt(0)
	v_pk_min_f16 v1, v1, v4
	buffer_load_dword v4, off, s[24:27], 0 offset:92 ; 4-byte Folded Reload
	v_pk_min_f16 v1, v1, v171
	;; [unrolled: 8-line block ×4, first 2 shown]
	v_pk_min_f16 v1, v1, v192
	v_pk_min_f16 v88, v1, v0
	buffer_load_dword v1, off, s[24:27], 0 offset:52 ; 4-byte Folded Reload
	v_pk_add_f16 v0, v21, v11
	s_waitcnt vmcnt(0)
	v_pk_max_f16 v1, v1, v1
	v_pk_min_f16 v1, v1, v4
	buffer_load_dword v4, off, s[24:27], 0 offset:76 ; 4-byte Folded Reload
	v_pk_min_f16 v1, v1, v165
	v_pk_min_f16 v1, v1, v189
	v_pk_min_f16 v73, v1, v0
	v_pk_max_f16 v1, v86, v86
	v_pk_add_f16 v0, v15, v11
	s_waitcnt vmcnt(0)
	v_pk_min_f16 v1, v1, v4
	buffer_load_dword v4, off, s[24:27], 0 offset:72 ; 4-byte Folded Reload
	v_pk_min_f16 v1, v1, v164
	v_pk_min_f16 v1, v1, v111
	v_pk_min_f16 v86, v1, v0
	v_pk_max_f16 v1, v85, v85
	v_pk_add_f16 v0, v17, v11
	s_waitcnt vmcnt(0)
	;; [unrolled: 8-line block ×10, first 2 shown]
	v_pk_min_f16 v1, v1, v4
	buffer_load_dword v4, off, s[24:27], 0 offset:116 ; 4-byte Folded Reload
	s_waitcnt vmcnt(0)
	v_pk_min_f16 v1, v1, v4
	buffer_load_dword v4, off, s[24:27], 0 offset:32 ; 4-byte Folded Reload
	v_pk_min_f16 v1, v1, v14
	v_pk_min_f16 v77, v1, v0
	v_pk_max_f16 v1, v76, v76
	v_pk_add_f16 v0, v7, v13
	s_waitcnt vmcnt(0)
	v_pk_min_f16 v1, v1, v4
	buffer_load_dword v4, off, s[24:27], 0 offset:108 ; 4-byte Folded Reload
	s_waitcnt vmcnt(0)
	v_pk_min_f16 v1, v1, v4
	buffer_load_dword v4, off, s[24:27], 0 offset:28 ; 4-byte Folded Reload
	v_pk_min_f16 v1, v1, v10
	v_pk_min_f16 v76, v1, v0
	v_pk_max_f16 v1, v75, v75
	v_pk_add_f16 v0, v9, v13
	s_waitcnt vmcnt(0)
	v_pk_min_f16 v1, v1, v4
	buffer_load_dword v4, off, s[24:27], 0 offset:96 ; 4-byte Folded Reload
	s_waitcnt vmcnt(0)
	v_pk_min_f16 v1, v1, v4
	v_pk_min_f16 v1, v1, v8
	;; [unrolled: 1-line block ×3, first 2 shown]
	v_pk_add_f16 v0, v3, v13
	buffer_load_dword v3, off, s[24:27], 0 offset:24 ; 4-byte Folded Reload
	v_pk_max_f16 v1, v74, v74
	s_waitcnt vmcnt(0)
	v_pk_min_f16 v1, v1, v3
	buffer_load_dword v3, off, s[24:27], 0 offset:104 ; 4-byte Folded Reload
	s_waitcnt vmcnt(0)
	v_pk_min_f16 v1, v1, v3
	buffer_load_dword v3, off, s[24:27], 0 offset:20 ; 4-byte Folded Reload
	v_pk_min_f16 v1, v1, v6
	v_pk_min_f16 v74, v1, v0
	v_pk_max_f16 v1, v135, v135
	v_pk_add_f16 v0, v5, v13
	s_waitcnt vmcnt(0)
	v_pk_min_f16 v1, v1, v3
	buffer_load_dword v3, off, s[24:27], 0 offset:84 ; 4-byte Folded Reload
	s_waitcnt vmcnt(0)
	v_pk_min_f16 v1, v1, v3
	v_pk_min_f16 v1, v1, v2
	;; [unrolled: 1-line block ×3, first 2 shown]
	buffer_load_dword v1, off, s[24:27], 0 offset:16 ; 4-byte Folded Reload
	v_add_nc_u32_e32 v0, 0x1200, v44
	s_waitcnt vmcnt(0)
	ds_write_b16 v0, v1
	buffer_load_dword v1, off, s[24:27], 0  ; 4-byte Folded Reload
	v_or_b32_e32 v0, 0x800, v44
	s_waitcnt vmcnt(0)
	ds_write_b16 v0, v1
	buffer_load_dword v1, off, s[24:27], 0 offset:4 ; 4-byte Folded Reload
	s_waitcnt vmcnt(0)
	ds_write_b16 v0, v1 offset:512
	buffer_load_dword v1, off, s[24:27], 0 offset:8 ; 4-byte Folded Reload
	s_waitcnt vmcnt(0)
	ds_write_b16 v0, v1 offset:1024
	;; [unrolled: 3-line block ×3, first 2 shown]
	s_waitcnt lgkmcnt(0)
	s_waitcnt_vscnt null, 0x0
	s_barrier
	buffer_gl0_inv
	s_cbranch_scc0 .LBB220_10
; %bb.11:
	s_clause 0x2
	buffer_load_dword v0, off, s[24:27], 0 offset:164
	buffer_load_dword v1, off, s[24:27], 0 offset:168
	;; [unrolled: 1-line block ×3, first 2 shown]
	v_mov_b32_e32 v81, v136
	v_mov_b32_e32 v89, v140
	;; [unrolled: 1-line block ×8, first 2 shown]
.LBB220_12:
	s_load_dword s6, s[4:5], 0x50
	s_waitcnt vmcnt(1)
	v_add_nc_u32_e32 v112, s10, v1
	s_waitcnt vmcnt(0)
	ds_read_b64 v[30:31], v132 offset:4608
	ds_read_b64 v[46:47], v187 offset:2048
	v_add_nc_u32_e32 v44, s1, v0
	v_cmp_neq_f16_e64 s8, s15, 0
	v_mov_b32_e32 v34, 0
	v_ashrrev_i32_e32 v45, 31, v44
	s_and_b32 vcc_lo, exec_lo, s8
	v_lshlrev_b64 v[28:29], 1, v[44:45]
	s_waitcnt lgkmcnt(0)
	v_mad_i64_i32 v[1:2], null, v112, s6, 0
	v_lshlrev_b64 v[0:1], 1, v[1:2]
	v_add_co_u32 v48, s1, s12, v0
	v_add_co_ci_u32_e64 v49, null, s13, v1, s1
	v_mov_b32_e32 v0, 0
	s_cbranch_vccz .LBB220_14
; %bb.13:
	v_add_co_u32 v0, vcc_lo, v48, v28
	v_add_co_ci_u32_e64 v1, null, v49, v29, vcc_lo
	flat_load_ushort v0, v[0:1]
	s_waitcnt vmcnt(0) lgkmcnt(0)
	v_mul_f16_e32 v0, s15, v0
	v_cvt_f32_f16_e32 v0, v0
.LBB220_14:
	s_clause 0x1
	s_load_dword s7, s[4:5], 0x68
	s_load_dwordx2 s[4:5], s[4:5], 0x70
	v_pk_add_f16 v2, v30, v46
	v_pk_add_f16 v13, v31, v47
	v_max_f16_e32 v3, v37, v37
	v_lshrrev_b32_e32 v4, 16, v37
	v_add_nc_u32_e32 v1, 0x1000, v132
	v_lshrrev_b32_e32 v5, 16, v2
	v_lshrrev_b32_e32 v6, 16, v13
	v_add_nc_u32_e32 v12, 0x800, v187
	v_min_f16_e32 v14, v3, v2
	ds_read_b64 v[24:25], v132 offset:5056
	ds_read_b64 v[26:27], v187 offset:3840
	v_min3_f16 v15, v4, v5, v6
	v_max_f32_e32 v37, v0, v0
	ds_read2_b64 v[8:11], v1 offset0:72 offset1:80
	ds_read2_b64 v[4:7], v1 offset0:88 offset1:96
	;; [unrolled: 1-line block ×3, first 2 shown]
	v_min3_f16 v33, v14, v13, v15
	ds_read2_b64 v[20:23], v12 offset0:32 offset1:64
	ds_read2_b64 v[16:19], v12 offset0:96 offset1:128
	;; [unrolled: 1-line block ×3, first 2 shown]
	s_waitcnt lgkmcnt(0)
	v_mad_i64_i32 v[35:36], null, v112, s7, 0
	v_add_nc_u32_e32 v32, 8, v44
	s_lshl_b64 s[4:5], s[4:5], 1
	v_cvt_f32_f16_e32 v39, v33
	s_add_u32 s2, s2, s4
	s_addc_u32 s3, s3, s5
	v_ashrrev_i32_e32 v33, 31, v32
	v_lshlrev_b64 v[35:36], 1, v[35:36]
	v_cndmask_b32_e64 v38, 0, 1, s8
	v_min_f32_e32 v37, v37, v39
	v_lshlrev_b64 v[32:33], 1, v[32:33]
	v_cmp_ne_u32_e64 s1, 1, v38
	v_add_co_u32 v50, vcc_lo, s2, v35
	v_add_co_ci_u32_e64 v51, null, s3, v36, vcc_lo
	v_cvt_f16_f32_e32 v37, v37
	v_add_co_u32 v35, vcc_lo, v50, v28
	v_add_co_ci_u32_e64 v36, null, v51, v29, vcc_lo
	s_andn2_b32 vcc_lo, exec_lo, s8
	flat_store_short v[35:36], v37
	s_cbranch_vccnz .LBB220_16
; %bb.15:
	v_add_co_u32 v34, vcc_lo, v48, v32
	v_add_co_ci_u32_e64 v35, null, v49, v33, vcc_lo
	flat_load_ushort v34, v[34:35]
	s_waitcnt vmcnt(0) lgkmcnt(0)
	v_mul_f16_e32 v34, s15, v34
	v_cvt_f32_f16_e32 v34, v34
.LBB220_16:
	v_pk_add_f16 v35, v8, v46
	v_pk_add_f16 v36, v9, v47
	v_max_f16_e32 v37, v91, v91
	v_lshrrev_b32_e32 v38, 16, v91
	v_max_f32_e32 v34, v34, v34
	v_lshrrev_b32_e32 v39, 16, v35
	v_lshrrev_b32_e32 v40, 16, v36
	v_min_f16_e32 v35, v37, v35
	v_min3_f16 v37, v38, v39, v40
	v_add_co_u32 v39, vcc_lo, v50, v32
	v_add_co_ci_u32_e64 v40, null, v51, v33, vcc_lo
	v_min3_f16 v36, v35, v36, v37
	v_add_nc_u32_e32 v35, 16, v44
	v_mov_b32_e32 v38, 0
	s_and_b32 vcc_lo, exec_lo, s1
	v_cvt_f32_f16_e32 v37, v36
	v_ashrrev_i32_e32 v36, 31, v35
	v_min_f32_e32 v34, v34, v37
	v_cvt_f16_f32_e32 v37, v34
	v_lshlrev_b64 v[34:35], 1, v[35:36]
	v_mov_b32_e32 v36, 0
	flat_store_short v[39:40], v37
	s_cbranch_vccnz .LBB220_18
; %bb.17:
	v_add_co_u32 v36, vcc_lo, v48, v34
	v_add_co_ci_u32_e64 v37, null, v49, v35, vcc_lo
	flat_load_ushort v36, v[36:37]
	s_waitcnt vmcnt(0) lgkmcnt(0)
	v_mul_f16_e32 v36, s15, v36
	v_cvt_f32_f16_e32 v36, v36
.LBB220_18:
	v_pk_add_f16 v37, v10, v46
	v_pk_add_f16 v39, v11, v47
	v_max_f16_e32 v40, v56, v56
	v_lshrrev_b32_e32 v41, 16, v56
	v_max_f32_e32 v36, v36, v36
	v_lshrrev_b32_e32 v42, 16, v37
	v_lshrrev_b32_e32 v43, 16, v39
	v_min_f16_e32 v37, v40, v37
	v_min3_f16 v40, v41, v42, v43
	v_add_co_u32 v41, vcc_lo, v50, v34
	v_add_co_ci_u32_e64 v42, null, v51, v35, vcc_lo
	v_min3_f16 v37, v37, v39, v40
	v_add_nc_u32_e32 v39, 24, v44
	s_and_b32 vcc_lo, exec_lo, s1
	v_cvt_f32_f16_e32 v37, v37
	v_ashrrev_i32_e32 v40, 31, v39
	v_min_f32_e32 v36, v36, v37
	v_cvt_f16_f32_e32 v43, v36
	v_lshlrev_b64 v[36:37], 1, v[39:40]
	flat_store_short v[41:42], v43
	s_cbranch_vccnz .LBB220_20
; %bb.19:
	v_add_co_u32 v38, vcc_lo, v48, v36
	v_add_co_ci_u32_e64 v39, null, v49, v37, vcc_lo
	flat_load_ushort v38, v[38:39]
	s_waitcnt vmcnt(0) lgkmcnt(0)
	v_mul_f16_e32 v38, s15, v38
	v_cvt_f32_f16_e32 v38, v38
.LBB220_20:
	v_pk_add_f16 v39, v4, v46
	v_pk_add_f16 v40, v5, v47
	v_max_f16_e32 v41, v54, v54
	v_lshrrev_b32_e32 v42, 16, v54
	v_max_f32_e32 v38, v38, v38
	v_lshrrev_b32_e32 v43, 16, v39
	v_lshrrev_b32_e32 v45, 16, v40
	v_min_f16_e32 v39, v41, v39
	v_add_co_u32 v52, vcc_lo, v50, v36
	v_add_co_ci_u32_e64 v53, null, v51, v37, vcc_lo
	v_min3_f16 v41, v42, v43, v45
	s_and_b32 vcc_lo, exec_lo, s1
	v_min3_f16 v40, v39, v40, v41
	v_add_nc_u32_e32 v39, 32, v44
	v_cvt_f32_f16_e32 v41, v40
	v_ashrrev_i32_e32 v40, 31, v39
	v_min_f32_e32 v41, v38, v41
	v_lshlrev_b64 v[42:43], 1, v[39:40]
	v_mov_b32_e32 v38, 0
	v_mov_b32_e32 v39, 0
	v_cvt_f16_f32_e32 v41, v41
	flat_store_short v[52:53], v41
	s_cbranch_vccnz .LBB220_22
; %bb.21:
	v_add_co_u32 v39, vcc_lo, v48, v42
	v_add_co_ci_u32_e64 v40, null, v49, v43, vcc_lo
	flat_load_ushort v39, v[39:40]
	s_waitcnt vmcnt(0) lgkmcnt(0)
	v_mul_f16_e32 v39, s15, v39
	v_cvt_f32_f16_e32 v39, v39
.LBB220_22:
	v_pk_add_f16 v40, v6, v46
	v_pk_add_f16 v41, v7, v47
	v_max_f16_e32 v45, v57, v57
	v_lshrrev_b32_e32 v52, 16, v57
	v_max_f32_e32 v39, v39, v39
	v_lshrrev_b32_e32 v53, 16, v40
	v_lshrrev_b32_e32 v54, 16, v41
	v_min_f16_e32 v40, v45, v40
	v_min3_f16 v45, v52, v53, v54
	v_add_co_u32 v52, vcc_lo, v50, v42
	v_add_co_ci_u32_e64 v53, null, v51, v43, vcc_lo
	v_min3_f16 v41, v40, v41, v45
	v_add_nc_u32_e32 v40, 40, v44
	s_and_b32 vcc_lo, exec_lo, s1
	v_cvt_f32_f16_e32 v45, v41
	v_ashrrev_i32_e32 v41, 31, v40
	v_min_f32_e32 v39, v39, v45
	v_lshlrev_b64 v[40:41], 1, v[40:41]
	v_cvt_f16_f32_e32 v39, v39
	flat_store_short v[52:53], v39
	s_cbranch_vccnz .LBB220_24
; %bb.23:
	v_add_co_u32 v38, vcc_lo, v48, v40
	v_add_co_ci_u32_e64 v39, null, v49, v41, vcc_lo
	flat_load_ushort v38, v[38:39]
	s_waitcnt vmcnt(0) lgkmcnt(0)
	v_mul_f16_e32 v38, s15, v38
	v_cvt_f32_f16_e32 v38, v38
.LBB220_24:
	v_pk_add_f16 v39, v0, v46
	v_pk_add_f16 v45, v1, v47
	v_max_f16_e32 v52, v55, v55
	v_lshrrev_b32_e32 v53, 16, v55
	v_max_f32_e32 v38, v38, v38
	v_lshrrev_b32_e32 v54, 16, v39
	v_lshrrev_b32_e32 v55, 16, v45
	v_min_f16_e32 v39, v52, v39
	v_min3_f16 v52, v53, v54, v55
	v_add_nc_u32_e32 v53, 48, v44
	v_add_co_u32 v55, vcc_lo, v50, v40
	v_add_co_ci_u32_e64 v56, null, v51, v41, vcc_lo
	v_min3_f16 v39, v39, v45, v52
	v_ashrrev_i32_e32 v54, 31, v53
	v_mov_b32_e32 v52, 0
	v_mov_b32_e32 v45, 0
	s_and_b32 vcc_lo, exec_lo, s1
	v_cvt_f32_f16_e32 v39, v39
	v_min_f32_e32 v38, v38, v39
	v_cvt_f16_f32_e32 v57, v38
	v_lshlrev_b64 v[38:39], 1, v[53:54]
	flat_store_short v[55:56], v57
	s_cbranch_vccnz .LBB220_26
; %bb.25:
	v_add_co_u32 v53, vcc_lo, v48, v38
	v_add_co_ci_u32_e64 v54, null, v49, v39, vcc_lo
	flat_load_ushort v45, v[53:54]
	s_waitcnt vmcnt(0) lgkmcnt(0)
	v_mul_f16_e32 v45, s15, v45
	v_cvt_f32_f16_e32 v45, v45
.LBB220_26:
	v_pk_add_f16 v53, v2, v46
	v_pk_add_f16 v54, v3, v47
	v_max_f16_e32 v55, v58, v58
	v_lshrrev_b32_e32 v56, 16, v58
	v_add_nc_u32_e32 v44, 56, v44
	v_lshrrev_b32_e32 v57, 16, v53
	v_lshrrev_b32_e32 v58, 16, v54
	v_min_f16_e32 v53, v55, v53
	v_min3_f16 v55, v56, v57, v58
	v_min3_f16 v53, v53, v54, v55
	v_max_f32_e32 v54, v45, v45
	v_ashrrev_i32_e32 v45, 31, v44
	v_cvt_f32_f16_e32 v53, v53
	v_lshlrev_b64 v[44:45], 1, v[44:45]
	v_min_f32_e32 v55, v54, v53
	v_add_co_u32 v53, vcc_lo, v50, v38
	v_add_co_ci_u32_e64 v54, null, v51, v39, vcc_lo
	v_cvt_f16_f32_e32 v55, v55
	s_and_b32 vcc_lo, exec_lo, s1
	flat_store_short v[53:54], v55
	s_cbranch_vccnz .LBB220_28
; %bb.27:
	v_add_co_u32 v48, vcc_lo, v48, v44
	v_add_co_ci_u32_e64 v49, null, v49, v45, vcc_lo
	flat_load_ushort v48, v[48:49]
	s_waitcnt vmcnt(0) lgkmcnt(0)
	v_mul_f16_e32 v48, s15, v48
	v_cvt_f32_f16_e32 v52, v48
.LBB220_28:
	v_pk_add_f16 v46, v24, v46
	v_pk_add_f16 v49, v25, v47
	v_max_f16_e32 v47, v90, v90
	v_lshrrev_b32_e32 v53, 16, v90
	v_add_nc_u32_e32 v48, 32, v112
	v_lshrrev_b32_e32 v54, 16, v46
	v_lshrrev_b32_e32 v55, 16, v49
	v_min_f16_e32 v56, v47, v46
	v_mad_i64_i32 v[46:47], null, v48, s6, 0
	v_min3_f16 v53, v53, v54, v55
	v_max_f32_e32 v54, v52, v52
	v_add_co_u32 v52, vcc_lo, v50, v44
	v_mov_b32_e32 v50, 0
	v_min3_f16 v49, v56, v49, v53
	v_lshlrev_b64 v[46:47], 1, v[46:47]
	v_add_co_ci_u32_e64 v53, null, v51, v45, vcc_lo
	v_cvt_f32_f16_e32 v49, v49
	v_add_co_u32 v46, vcc_lo, s12, v46
	v_add_co_ci_u32_e64 v47, null, s13, v47, vcc_lo
	v_min_f32_e32 v49, v54, v49
	s_and_b32 vcc_lo, exec_lo, s1
	v_cvt_f16_f32_e32 v51, v49
	v_mov_b32_e32 v49, 0
	flat_store_short v[52:53], v51
	s_cbranch_vccnz .LBB220_30
; %bb.29:
	v_add_co_u32 v51, vcc_lo, v46, v28
	v_add_co_ci_u32_e64 v52, null, v47, v29, vcc_lo
	flat_load_ushort v49, v[51:52]
	s_waitcnt vmcnt(0) lgkmcnt(0)
	v_mul_f16_e32 v49, s15, v49
	v_cvt_f32_f16_e32 v49, v49
.LBB220_30:
	v_pk_add_f16 v51, v30, v20
	v_pk_add_f16 v53, v31, v21
	v_max_f16_e32 v52, v89, v89
	v_lshrrev_b32_e32 v54, 16, v89
	v_lshrrev_b32_e32 v55, 16, v51
	;; [unrolled: 1-line block ×3, first 2 shown]
	v_min_f16_e32 v57, v52, v51
	v_mad_i64_i32 v[51:52], null, v48, s7, 0
	v_min3_f16 v54, v54, v55, v56
	v_min3_f16 v48, v57, v53, v54
	v_max_f32_e32 v53, v49, v49
	v_cvt_f32_f16_e32 v54, v48
	v_lshlrev_b64 v[48:49], 1, v[51:52]
	v_min_f32_e32 v51, v53, v54
	v_add_co_u32 v48, vcc_lo, s2, v48
	v_add_co_ci_u32_e64 v49, null, s3, v49, vcc_lo
	v_cvt_f16_f32_e32 v53, v51
	v_add_co_u32 v51, vcc_lo, v48, v28
	v_add_co_ci_u32_e64 v52, null, v49, v29, vcc_lo
	s_and_b32 vcc_lo, exec_lo, s1
	flat_store_short v[51:52], v53
	s_cbranch_vccnz .LBB220_32
; %bb.31:
	v_add_co_u32 v50, vcc_lo, v46, v32
	v_add_co_ci_u32_e64 v51, null, v47, v33, vcc_lo
	flat_load_ushort v50, v[50:51]
	s_waitcnt vmcnt(0) lgkmcnt(0)
	v_mul_f16_e32 v50, s15, v50
	v_cvt_f32_f16_e32 v50, v50
.LBB220_32:
	v_pk_add_f16 v51, v8, v20
	v_pk_add_f16 v52, v9, v21
	v_max_f16_e32 v53, v81, v81
	v_lshrrev_b32_e32 v54, 16, v81
	v_max_f32_e32 v50, v50, v50
	v_lshrrev_b32_e32 v55, 16, v51
	v_lshrrev_b32_e32 v56, 16, v52
	v_min_f16_e32 v51, v53, v51
	v_min3_f16 v53, v54, v55, v56
	v_min3_f16 v51, v51, v52, v53
	v_add_co_u32 v52, vcc_lo, v48, v32
	v_add_co_ci_u32_e64 v53, null, v49, v33, vcc_lo
	v_cvt_f32_f16_e32 v51, v51
	s_and_b32 vcc_lo, exec_lo, s1
	v_min_f32_e32 v50, v50, v51
	v_mov_b32_e32 v51, 0
	v_cvt_f16_f32_e32 v54, v50
	v_mov_b32_e32 v50, 0
	flat_store_short v[52:53], v54
	s_cbranch_vccnz .LBB220_34
; %bb.33:
	v_add_co_u32 v51, vcc_lo, v46, v34
	v_add_co_ci_u32_e64 v52, null, v47, v35, vcc_lo
	flat_load_ushort v51, v[51:52]
	s_waitcnt vmcnt(0) lgkmcnt(0)
	v_mul_f16_e32 v51, s15, v51
	v_cvt_f32_f16_e32 v51, v51
.LBB220_34:
	v_pk_add_f16 v52, v10, v20
	v_pk_add_f16 v53, v11, v21
	v_max_f16_e32 v54, v255, v255
	v_lshrrev_b32_e32 v55, 16, v255
	v_max_f32_e32 v51, v51, v51
	v_lshrrev_b32_e32 v56, 16, v52
	v_lshrrev_b32_e32 v57, 16, v53
	v_min_f16_e32 v52, v54, v52
	v_min3_f16 v54, v55, v56, v57
	v_min3_f16 v52, v52, v53, v54
	v_cvt_f32_f16_e32 v52, v52
	v_min_f32_e32 v51, v51, v52
	v_cvt_f16_f32_e32 v53, v51
	v_add_co_u32 v51, vcc_lo, v48, v34
	v_add_co_ci_u32_e64 v52, null, v49, v35, vcc_lo
	s_and_b32 vcc_lo, exec_lo, s1
	flat_store_short v[51:52], v53
	s_cbranch_vccnz .LBB220_36
; %bb.35:
	v_add_co_u32 v50, vcc_lo, v46, v36
	v_add_co_ci_u32_e64 v51, null, v47, v37, vcc_lo
	flat_load_ushort v50, v[50:51]
	s_waitcnt vmcnt(0) lgkmcnt(0)
	v_mul_f16_e32 v50, s15, v50
	v_cvt_f32_f16_e32 v50, v50
.LBB220_36:
	v_pk_add_f16 v51, v4, v20
	v_pk_add_f16 v52, v5, v21
	v_max_f16_e32 v53, v134, v134
	v_lshrrev_b32_e32 v54, 16, v134
	v_max_f32_e32 v50, v50, v50
	v_lshrrev_b32_e32 v55, 16, v51
	v_lshrrev_b32_e32 v56, 16, v52
	v_min_f16_e32 v51, v53, v51
	v_min3_f16 v53, v54, v55, v56
	v_min3_f16 v51, v51, v52, v53
	v_add_co_u32 v52, vcc_lo, v48, v36
	v_add_co_ci_u32_e64 v53, null, v49, v37, vcc_lo
	v_cvt_f32_f16_e32 v51, v51
	s_and_b32 vcc_lo, exec_lo, s1
	v_min_f32_e32 v50, v50, v51
	v_mov_b32_e32 v51, 0
	v_cvt_f16_f32_e32 v54, v50
	v_mov_b32_e32 v50, 0
	flat_store_short v[52:53], v54
	s_cbranch_vccnz .LBB220_38
; %bb.37:
	v_add_co_u32 v51, vcc_lo, v46, v42
	v_add_co_ci_u32_e64 v52, null, v47, v43, vcc_lo
	flat_load_ushort v51, v[51:52]
	s_waitcnt vmcnt(0) lgkmcnt(0)
	v_mul_f16_e32 v51, s15, v51
	v_cvt_f32_f16_e32 v51, v51
.LBB220_38:
	v_pk_add_f16 v52, v6, v20
	v_pk_add_f16 v53, v7, v21
	v_max_f16_e32 v54, v249, v249
	v_lshrrev_b32_e32 v55, 16, v249
	v_max_f32_e32 v51, v51, v51
	v_lshrrev_b32_e32 v56, 16, v52
	v_lshrrev_b32_e32 v57, 16, v53
	v_min_f16_e32 v52, v54, v52
	v_min3_f16 v54, v55, v56, v57
	v_min3_f16 v52, v52, v53, v54
	v_cvt_f32_f16_e32 v52, v52
	v_min_f32_e32 v51, v51, v52
	;; [unrolled: 54-line block ×3, first 2 shown]
	v_cvt_f16_f32_e32 v53, v51
	v_add_co_u32 v51, vcc_lo, v48, v38
	v_add_co_ci_u32_e64 v52, null, v49, v39, vcc_lo
	s_and_b32 vcc_lo, exec_lo, s1
	flat_store_short v[51:52], v53
	s_cbranch_vccnz .LBB220_44
; %bb.43:
	v_add_co_u32 v46, vcc_lo, v46, v44
	v_add_co_ci_u32_e64 v47, null, v47, v45, vcc_lo
	flat_load_ushort v46, v[46:47]
	s_waitcnt vmcnt(0) lgkmcnt(0)
	v_mul_f16_e32 v46, s15, v46
	v_cvt_f32_f16_e32 v50, v46
.LBB220_44:
	v_pk_add_f16 v20, v24, v20
	v_pk_add_f16 v47, v25, v21
	v_max_f16_e32 v21, v243, v243
	v_lshrrev_b32_e32 v51, 16, v243
	v_add_nc_u32_e32 v46, 64, v112
	v_lshrrev_b32_e32 v52, 16, v20
	v_lshrrev_b32_e32 v53, 16, v47
	v_min_f16_e32 v54, v21, v20
	v_mad_i64_i32 v[20:21], null, v46, s6, 0
	v_min3_f16 v51, v51, v52, v53
	v_max_f32_e32 v52, v50, v50
	v_add_co_u32 v50, vcc_lo, v48, v44
	v_mov_b32_e32 v48, 0
	v_min3_f16 v47, v54, v47, v51
	v_lshlrev_b64 v[20:21], 1, v[20:21]
	v_add_co_ci_u32_e64 v51, null, v49, v45, vcc_lo
	v_cvt_f32_f16_e32 v47, v47
	v_add_co_u32 v20, vcc_lo, s12, v20
	v_add_co_ci_u32_e64 v21, null, s13, v21, vcc_lo
	v_min_f32_e32 v47, v52, v47
	s_and_b32 vcc_lo, exec_lo, s1
	v_cvt_f16_f32_e32 v49, v47
	v_mov_b32_e32 v47, 0
	flat_store_short v[50:51], v49
	s_cbranch_vccnz .LBB220_46
; %bb.45:
	v_add_co_u32 v49, vcc_lo, v20, v28
	v_add_co_ci_u32_e64 v50, null, v21, v29, vcc_lo
	flat_load_ushort v47, v[49:50]
	s_waitcnt vmcnt(0) lgkmcnt(0)
	v_mul_f16_e32 v47, s15, v47
	v_cvt_f32_f16_e32 v47, v47
.LBB220_46:
	v_pk_add_f16 v49, v30, v22
	v_pk_add_f16 v51, v31, v23
	v_max_f16_e32 v50, v241, v241
	v_lshrrev_b32_e32 v52, 16, v241
	v_lshrrev_b32_e32 v53, 16, v49
	;; [unrolled: 1-line block ×3, first 2 shown]
	v_min_f16_e32 v55, v50, v49
	v_mad_i64_i32 v[49:50], null, v46, s7, 0
	v_min3_f16 v52, v52, v53, v54
	v_min3_f16 v46, v55, v51, v52
	v_max_f32_e32 v51, v47, v47
	v_cvt_f32_f16_e32 v52, v46
	v_lshlrev_b64 v[46:47], 1, v[49:50]
	v_min_f32_e32 v49, v51, v52
	v_add_co_u32 v46, vcc_lo, s2, v46
	v_add_co_ci_u32_e64 v47, null, s3, v47, vcc_lo
	v_cvt_f16_f32_e32 v51, v49
	v_add_co_u32 v49, vcc_lo, v46, v28
	v_add_co_ci_u32_e64 v50, null, v47, v29, vcc_lo
	s_and_b32 vcc_lo, exec_lo, s1
	flat_store_short v[49:50], v51
	s_cbranch_vccnz .LBB220_48
; %bb.47:
	v_add_co_u32 v48, vcc_lo, v20, v32
	v_add_co_ci_u32_e64 v49, null, v21, v33, vcc_lo
	flat_load_ushort v48, v[48:49]
	s_waitcnt vmcnt(0) lgkmcnt(0)
	v_mul_f16_e32 v48, s15, v48
	v_cvt_f32_f16_e32 v48, v48
.LBB220_48:
	v_pk_add_f16 v49, v8, v22
	v_pk_add_f16 v50, v9, v23
	v_max_f16_e32 v51, v238, v238
	v_lshrrev_b32_e32 v52, 16, v238
	v_max_f32_e32 v48, v48, v48
	v_lshrrev_b32_e32 v53, 16, v49
	v_lshrrev_b32_e32 v54, 16, v50
	v_min_f16_e32 v49, v51, v49
	v_min3_f16 v51, v52, v53, v54
	v_min3_f16 v49, v49, v50, v51
	v_add_co_u32 v50, vcc_lo, v46, v32
	v_add_co_ci_u32_e64 v51, null, v47, v33, vcc_lo
	v_cvt_f32_f16_e32 v49, v49
	s_and_b32 vcc_lo, exec_lo, s1
	v_min_f32_e32 v48, v48, v49
	v_mov_b32_e32 v49, 0
	v_cvt_f16_f32_e32 v52, v48
	v_mov_b32_e32 v48, 0
	flat_store_short v[50:51], v52
	s_cbranch_vccnz .LBB220_50
; %bb.49:
	v_add_co_u32 v49, vcc_lo, v20, v34
	v_add_co_ci_u32_e64 v50, null, v21, v35, vcc_lo
	flat_load_ushort v49, v[49:50]
	s_waitcnt vmcnt(0) lgkmcnt(0)
	v_mul_f16_e32 v49, s15, v49
	v_cvt_f32_f16_e32 v49, v49
.LBB220_50:
	v_pk_add_f16 v50, v10, v22
	v_pk_add_f16 v51, v11, v23
	v_max_f16_e32 v52, v109, v109
	v_lshrrev_b32_e32 v53, 16, v109
	v_max_f32_e32 v49, v49, v49
	v_lshrrev_b32_e32 v54, 16, v50
	v_lshrrev_b32_e32 v55, 16, v51
	v_min_f16_e32 v50, v52, v50
	v_min3_f16 v52, v53, v54, v55
	v_min3_f16 v50, v50, v51, v52
	v_cvt_f32_f16_e32 v50, v50
	v_min_f32_e32 v49, v49, v50
	v_cvt_f16_f32_e32 v51, v49
	v_add_co_u32 v49, vcc_lo, v46, v34
	v_add_co_ci_u32_e64 v50, null, v47, v35, vcc_lo
	s_and_b32 vcc_lo, exec_lo, s1
	flat_store_short v[49:50], v51
	s_cbranch_vccnz .LBB220_52
; %bb.51:
	v_add_co_u32 v48, vcc_lo, v20, v36
	v_add_co_ci_u32_e64 v49, null, v21, v37, vcc_lo
	flat_load_ushort v48, v[48:49]
	s_waitcnt vmcnt(0) lgkmcnt(0)
	v_mul_f16_e32 v48, s15, v48
	v_cvt_f32_f16_e32 v48, v48
.LBB220_52:
	v_pk_add_f16 v49, v4, v22
	v_pk_add_f16 v50, v5, v23
	v_max_f16_e32 v51, v108, v108
	v_lshrrev_b32_e32 v52, 16, v108
	v_max_f32_e32 v48, v48, v48
	v_lshrrev_b32_e32 v53, 16, v49
	v_lshrrev_b32_e32 v54, 16, v50
	v_min_f16_e32 v49, v51, v49
	v_min3_f16 v51, v52, v53, v54
	v_min3_f16 v49, v49, v50, v51
	v_add_co_u32 v50, vcc_lo, v46, v36
	v_add_co_ci_u32_e64 v51, null, v47, v37, vcc_lo
	v_cvt_f32_f16_e32 v49, v49
	s_and_b32 vcc_lo, exec_lo, s1
	v_min_f32_e32 v48, v48, v49
	v_mov_b32_e32 v49, 0
	v_cvt_f16_f32_e32 v52, v48
	v_mov_b32_e32 v48, 0
	flat_store_short v[50:51], v52
	s_cbranch_vccnz .LBB220_54
; %bb.53:
	v_add_co_u32 v49, vcc_lo, v20, v42
	v_add_co_ci_u32_e64 v50, null, v21, v43, vcc_lo
	flat_load_ushort v49, v[49:50]
	s_waitcnt vmcnt(0) lgkmcnt(0)
	v_mul_f16_e32 v49, s15, v49
	v_cvt_f32_f16_e32 v49, v49
.LBB220_54:
	v_pk_add_f16 v50, v6, v22
	v_pk_add_f16 v51, v7, v23
	v_max_f16_e32 v52, v107, v107
	v_lshrrev_b32_e32 v53, 16, v107
	v_max_f32_e32 v49, v49, v49
	v_lshrrev_b32_e32 v54, 16, v50
	v_lshrrev_b32_e32 v55, 16, v51
	v_min_f16_e32 v50, v52, v50
	v_min3_f16 v52, v53, v54, v55
	v_min3_f16 v50, v50, v51, v52
	v_cvt_f32_f16_e32 v50, v50
	v_min_f32_e32 v49, v49, v50
	;; [unrolled: 54-line block ×3, first 2 shown]
	v_cvt_f16_f32_e32 v51, v49
	v_add_co_u32 v49, vcc_lo, v46, v38
	v_add_co_ci_u32_e64 v50, null, v47, v39, vcc_lo
	s_and_b32 vcc_lo, exec_lo, s1
	flat_store_short v[49:50], v51
	s_cbranch_vccnz .LBB220_60
; %bb.59:
	v_add_co_u32 v20, vcc_lo, v20, v44
	v_add_co_ci_u32_e64 v21, null, v21, v45, vcc_lo
	flat_load_ushort v20, v[20:21]
	s_waitcnt vmcnt(0) lgkmcnt(0)
	v_mul_f16_e32 v20, s15, v20
	v_cvt_f32_f16_e32 v48, v20
.LBB220_60:
	v_pk_add_f16 v20, v24, v22
	v_pk_add_f16 v23, v25, v23
	v_max_f16_e32 v21, v105, v105
	v_lshrrev_b32_e32 v49, 16, v105
	v_add_nc_u32_e32 v22, 0x60, v112
	v_lshrrev_b32_e32 v50, 16, v20
	v_lshrrev_b32_e32 v51, 16, v23
	v_min_f16_e32 v52, v21, v20
	v_mad_i64_i32 v[20:21], null, v22, s6, 0
	v_min3_f16 v49, v49, v50, v51
	v_max_f32_e32 v50, v48, v48
	v_add_co_u32 v48, vcc_lo, v46, v44
	v_mov_b32_e32 v46, 0
	v_min3_f16 v23, v52, v23, v49
	v_lshlrev_b64 v[20:21], 1, v[20:21]
	v_add_co_ci_u32_e64 v49, null, v47, v45, vcc_lo
	v_cvt_f32_f16_e32 v23, v23
	v_add_co_u32 v20, vcc_lo, s12, v20
	v_add_co_ci_u32_e64 v21, null, s13, v21, vcc_lo
	v_min_f32_e32 v23, v50, v23
	s_and_b32 vcc_lo, exec_lo, s1
	v_cvt_f16_f32_e32 v47, v23
	v_mov_b32_e32 v23, 0
	flat_store_short v[48:49], v47
	s_cbranch_vccnz .LBB220_62
; %bb.61:
	v_add_co_u32 v47, vcc_lo, v20, v28
	v_add_co_ci_u32_e64 v48, null, v21, v29, vcc_lo
	flat_load_ushort v23, v[47:48]
	s_waitcnt vmcnt(0) lgkmcnt(0)
	v_mul_f16_e32 v23, s15, v23
	v_cvt_f32_f16_e32 v23, v23
.LBB220_62:
	v_pk_add_f16 v47, v30, v16
	v_pk_add_f16 v49, v31, v17
	v_max_f16_e32 v48, v212, v212
	v_lshrrev_b32_e32 v50, 16, v212
	v_lshrrev_b32_e32 v51, 16, v47
	v_lshrrev_b32_e32 v52, 16, v49
	v_min_f16_e32 v53, v48, v47
	v_mad_i64_i32 v[47:48], null, v22, s7, 0
	v_min3_f16 v50, v50, v51, v52
	v_min3_f16 v22, v53, v49, v50
	v_max_f32_e32 v49, v23, v23
	v_cvt_f32_f16_e32 v50, v22
	v_lshlrev_b64 v[22:23], 1, v[47:48]
	v_min_f32_e32 v47, v49, v50
	v_add_co_u32 v22, vcc_lo, s2, v22
	v_add_co_ci_u32_e64 v23, null, s3, v23, vcc_lo
	v_cvt_f16_f32_e32 v49, v47
	v_add_co_u32 v47, vcc_lo, v22, v28
	v_add_co_ci_u32_e64 v48, null, v23, v29, vcc_lo
	s_and_b32 vcc_lo, exec_lo, s1
	flat_store_short v[47:48], v49
	s_cbranch_vccnz .LBB220_64
; %bb.63:
	v_add_co_u32 v46, vcc_lo, v20, v32
	v_add_co_ci_u32_e64 v47, null, v21, v33, vcc_lo
	flat_load_ushort v46, v[46:47]
	s_waitcnt vmcnt(0) lgkmcnt(0)
	v_mul_f16_e32 v46, s15, v46
	v_cvt_f32_f16_e32 v46, v46
.LBB220_64:
	v_pk_add_f16 v47, v8, v16
	v_pk_add_f16 v48, v9, v17
	v_max_f16_e32 v49, v104, v104
	v_lshrrev_b32_e32 v50, 16, v104
	v_max_f32_e32 v46, v46, v46
	v_lshrrev_b32_e32 v51, 16, v47
	v_lshrrev_b32_e32 v52, 16, v48
	v_min_f16_e32 v47, v49, v47
	v_min3_f16 v49, v50, v51, v52
	v_min3_f16 v47, v47, v48, v49
	v_add_co_u32 v48, vcc_lo, v22, v32
	v_add_co_ci_u32_e64 v49, null, v23, v33, vcc_lo
	v_cvt_f32_f16_e32 v47, v47
	s_and_b32 vcc_lo, exec_lo, s1
	v_min_f32_e32 v46, v46, v47
	v_mov_b32_e32 v47, 0
	v_cvt_f16_f32_e32 v50, v46
	v_mov_b32_e32 v46, 0
	flat_store_short v[48:49], v50
	s_cbranch_vccnz .LBB220_66
; %bb.65:
	v_add_co_u32 v47, vcc_lo, v20, v34
	v_add_co_ci_u32_e64 v48, null, v21, v35, vcc_lo
	flat_load_ushort v47, v[47:48]
	s_waitcnt vmcnt(0) lgkmcnt(0)
	v_mul_f16_e32 v47, s15, v47
	v_cvt_f32_f16_e32 v47, v47
.LBB220_66:
	v_pk_add_f16 v48, v10, v16
	v_pk_add_f16 v49, v11, v17
	v_max_f16_e32 v50, v206, v206
	v_lshrrev_b32_e32 v51, 16, v206
	v_max_f32_e32 v47, v47, v47
	v_lshrrev_b32_e32 v52, 16, v48
	v_lshrrev_b32_e32 v53, 16, v49
	v_min_f16_e32 v48, v50, v48
	v_min3_f16 v50, v51, v52, v53
	v_min3_f16 v48, v48, v49, v50
	v_cvt_f32_f16_e32 v48, v48
	v_min_f32_e32 v47, v47, v48
	v_cvt_f16_f32_e32 v49, v47
	v_add_co_u32 v47, vcc_lo, v22, v34
	v_add_co_ci_u32_e64 v48, null, v23, v35, vcc_lo
	s_and_b32 vcc_lo, exec_lo, s1
	flat_store_short v[47:48], v49
	s_cbranch_vccnz .LBB220_68
; %bb.67:
	v_add_co_u32 v46, vcc_lo, v20, v36
	v_add_co_ci_u32_e64 v47, null, v21, v37, vcc_lo
	flat_load_ushort v46, v[46:47]
	s_waitcnt vmcnt(0) lgkmcnt(0)
	v_mul_f16_e32 v46, s15, v46
	v_cvt_f32_f16_e32 v46, v46
.LBB220_68:
	v_pk_add_f16 v47, v4, v16
	v_pk_add_f16 v48, v5, v17
	v_max_f16_e32 v49, v103, v103
	v_lshrrev_b32_e32 v50, 16, v103
	v_max_f32_e32 v46, v46, v46
	v_lshrrev_b32_e32 v51, 16, v47
	v_lshrrev_b32_e32 v52, 16, v48
	v_min_f16_e32 v47, v49, v47
	v_min3_f16 v49, v50, v51, v52
	v_min3_f16 v47, v47, v48, v49
	v_add_co_u32 v48, vcc_lo, v22, v36
	v_add_co_ci_u32_e64 v49, null, v23, v37, vcc_lo
	v_cvt_f32_f16_e32 v47, v47
	s_and_b32 vcc_lo, exec_lo, s1
	v_min_f32_e32 v46, v46, v47
	v_mov_b32_e32 v47, 0
	v_cvt_f16_f32_e32 v50, v46
	v_mov_b32_e32 v46, 0
	flat_store_short v[48:49], v50
	s_cbranch_vccnz .LBB220_70
; %bb.69:
	v_add_co_u32 v47, vcc_lo, v20, v42
	v_add_co_ci_u32_e64 v48, null, v21, v43, vcc_lo
	flat_load_ushort v47, v[47:48]
	s_waitcnt vmcnt(0) lgkmcnt(0)
	v_mul_f16_e32 v47, s15, v47
	v_cvt_f32_f16_e32 v47, v47
.LBB220_70:
	v_pk_add_f16 v48, v6, v16
	v_pk_add_f16 v49, v7, v17
	v_max_f16_e32 v50, v102, v102
	v_lshrrev_b32_e32 v51, 16, v102
	v_max_f32_e32 v47, v47, v47
	v_lshrrev_b32_e32 v52, 16, v48
	v_lshrrev_b32_e32 v53, 16, v49
	v_min_f16_e32 v48, v50, v48
	v_min3_f16 v50, v51, v52, v53
	v_min3_f16 v48, v48, v49, v50
	v_cvt_f32_f16_e32 v48, v48
	v_min_f32_e32 v47, v47, v48
	;; [unrolled: 54-line block ×3, first 2 shown]
	v_cvt_f16_f32_e32 v49, v47
	v_add_co_u32 v47, vcc_lo, v22, v38
	v_add_co_ci_u32_e64 v48, null, v23, v39, vcc_lo
	s_and_b32 vcc_lo, exec_lo, s1
	flat_store_short v[47:48], v49
	s_cbranch_vccnz .LBB220_76
; %bb.75:
	v_add_co_u32 v20, vcc_lo, v20, v44
	v_add_co_ci_u32_e64 v21, null, v21, v45, vcc_lo
	flat_load_ushort v20, v[20:21]
	s_waitcnt vmcnt(0) lgkmcnt(0)
	v_mul_f16_e32 v20, s15, v20
	v_cvt_f32_f16_e32 v46, v20
.LBB220_76:
	v_pk_add_f16 v16, v24, v16
	v_pk_add_f16 v21, v25, v17
	v_max_f16_e32 v17, v100, v100
	v_lshrrev_b32_e32 v47, 16, v100
	v_add_nc_u32_e32 v20, 0x80, v112
	v_lshrrev_b32_e32 v48, 16, v16
	v_lshrrev_b32_e32 v49, 16, v21
	v_min_f16_e32 v50, v17, v16
	v_mad_i64_i32 v[16:17], null, v20, s6, 0
	v_min3_f16 v47, v47, v48, v49
	v_max_f32_e32 v48, v46, v46
	v_add_co_u32 v46, vcc_lo, v22, v44
	v_mov_b32_e32 v22, 0
	v_min3_f16 v21, v50, v21, v47
	v_lshlrev_b64 v[16:17], 1, v[16:17]
	v_add_co_ci_u32_e64 v47, null, v23, v45, vcc_lo
	v_cvt_f32_f16_e32 v21, v21
	v_add_co_u32 v16, vcc_lo, s12, v16
	v_add_co_ci_u32_e64 v17, null, s13, v17, vcc_lo
	v_min_f32_e32 v21, v48, v21
	s_and_b32 vcc_lo, exec_lo, s1
	v_cvt_f16_f32_e32 v23, v21
	v_mov_b32_e32 v21, 0
	flat_store_short v[46:47], v23
	s_cbranch_vccnz .LBB220_78
; %bb.77:
	v_add_co_u32 v46, vcc_lo, v16, v28
	v_add_co_ci_u32_e64 v47, null, v17, v29, vcc_lo
	flat_load_ushort v21, v[46:47]
	s_waitcnt vmcnt(0) lgkmcnt(0)
	v_mul_f16_e32 v21, s15, v21
	v_cvt_f32_f16_e32 v21, v21
.LBB220_78:
	v_pk_add_f16 v23, v30, v18
	v_pk_add_f16 v48, v31, v19
	v_max_f16_e32 v46, v188, v188
	v_lshrrev_b32_e32 v47, 16, v188
	v_lshrrev_b32_e32 v49, 16, v23
	;; [unrolled: 1-line block ×3, first 2 shown]
	v_min_f16_e32 v23, v46, v23
	v_min3_f16 v49, v47, v49, v50
	v_mad_i64_i32 v[46:47], null, v20, s7, 0
	v_min3_f16 v20, v23, v48, v49
	v_max_f32_e32 v23, v21, v21
	v_cvt_f32_f16_e32 v48, v20
	v_lshlrev_b64 v[20:21], 1, v[46:47]
	v_min_f32_e32 v23, v23, v48
	v_add_co_u32 v20, vcc_lo, s2, v20
	v_add_co_ci_u32_e64 v21, null, s3, v21, vcc_lo
	v_cvt_f16_f32_e32 v23, v23
	v_add_co_u32 v46, vcc_lo, v20, v28
	v_add_co_ci_u32_e64 v47, null, v21, v29, vcc_lo
	s_and_b32 vcc_lo, exec_lo, s1
	flat_store_short v[46:47], v23
	s_cbranch_vccnz .LBB220_80
; %bb.79:
	v_add_co_u32 v22, vcc_lo, v16, v32
	v_add_co_ci_u32_e64 v23, null, v17, v33, vcc_lo
	flat_load_ushort v22, v[22:23]
	s_waitcnt vmcnt(0) lgkmcnt(0)
	v_mul_f16_e32 v22, s15, v22
	v_cvt_f32_f16_e32 v22, v22
.LBB220_80:
	v_pk_add_f16 v23, v8, v18
	v_pk_add_f16 v46, v9, v19
	v_max_f16_e32 v47, v99, v99
	v_lshrrev_b32_e32 v48, 16, v99
	v_max_f32_e32 v22, v22, v22
	v_lshrrev_b32_e32 v49, 16, v23
	v_lshrrev_b32_e32 v50, 16, v46
	v_min_f16_e32 v23, v47, v23
	v_min3_f16 v47, v48, v49, v50
	v_min3_f16 v23, v23, v46, v47
	v_add_co_u32 v46, vcc_lo, v20, v32
	v_add_co_ci_u32_e64 v47, null, v21, v33, vcc_lo
	v_cvt_f32_f16_e32 v23, v23
	s_and_b32 vcc_lo, exec_lo, s1
	v_min_f32_e32 v22, v22, v23
	v_mov_b32_e32 v23, 0
	v_cvt_f16_f32_e32 v48, v22
	v_mov_b32_e32 v22, 0
	flat_store_short v[46:47], v48
	s_cbranch_vccnz .LBB220_82
; %bb.81:
	v_add_co_u32 v46, vcc_lo, v16, v34
	v_add_co_ci_u32_e64 v47, null, v17, v35, vcc_lo
	flat_load_ushort v23, v[46:47]
	s_waitcnt vmcnt(0) lgkmcnt(0)
	v_mul_f16_e32 v23, s15, v23
	v_cvt_f32_f16_e32 v23, v23
.LBB220_82:
	v_pk_add_f16 v46, v10, v18
	v_pk_add_f16 v47, v11, v19
	v_max_f16_e32 v48, v98, v98
	v_lshrrev_b32_e32 v49, 16, v98
	v_max_f32_e32 v23, v23, v23
	v_lshrrev_b32_e32 v50, 16, v46
	v_lshrrev_b32_e32 v51, 16, v47
	v_min_f16_e32 v46, v48, v46
	v_min3_f16 v48, v49, v50, v51
	v_min3_f16 v46, v46, v47, v48
	v_cvt_f32_f16_e32 v46, v46
	v_min_f32_e32 v23, v23, v46
	v_add_co_u32 v46, vcc_lo, v20, v34
	v_add_co_ci_u32_e64 v47, null, v21, v35, vcc_lo
	v_cvt_f16_f32_e32 v23, v23
	s_and_b32 vcc_lo, exec_lo, s1
	flat_store_short v[46:47], v23
	s_cbranch_vccnz .LBB220_84
; %bb.83:
	v_add_co_u32 v22, vcc_lo, v16, v36
	v_add_co_ci_u32_e64 v23, null, v17, v37, vcc_lo
	flat_load_ushort v22, v[22:23]
	s_waitcnt vmcnt(0) lgkmcnt(0)
	v_mul_f16_e32 v22, s15, v22
	v_cvt_f32_f16_e32 v22, v22
.LBB220_84:
	v_pk_add_f16 v23, v4, v18
	v_pk_add_f16 v46, v5, v19
	v_max_f16_e32 v47, v97, v97
	v_lshrrev_b32_e32 v48, 16, v97
	v_max_f32_e32 v22, v22, v22
	v_lshrrev_b32_e32 v49, 16, v23
	v_lshrrev_b32_e32 v50, 16, v46
	v_min_f16_e32 v23, v47, v23
	v_min3_f16 v47, v48, v49, v50
	v_min3_f16 v23, v23, v46, v47
	v_add_co_u32 v46, vcc_lo, v20, v36
	v_add_co_ci_u32_e64 v47, null, v21, v37, vcc_lo
	v_cvt_f32_f16_e32 v23, v23
	s_and_b32 vcc_lo, exec_lo, s1
	v_min_f32_e32 v22, v22, v23
	v_mov_b32_e32 v23, 0
	v_cvt_f16_f32_e32 v48, v22
	v_mov_b32_e32 v22, 0
	flat_store_short v[46:47], v48
	s_cbranch_vccnz .LBB220_86
; %bb.85:
	v_add_co_u32 v46, vcc_lo, v16, v42
	v_add_co_ci_u32_e64 v47, null, v17, v43, vcc_lo
	flat_load_ushort v23, v[46:47]
	s_waitcnt vmcnt(0) lgkmcnt(0)
	v_mul_f16_e32 v23, s15, v23
	v_cvt_f32_f16_e32 v23, v23
.LBB220_86:
	v_pk_add_f16 v46, v6, v18
	v_pk_add_f16 v47, v7, v19
	v_max_f16_e32 v48, v179, v179
	v_lshrrev_b32_e32 v49, 16, v179
	v_max_f32_e32 v23, v23, v23
	v_lshrrev_b32_e32 v50, 16, v46
	v_lshrrev_b32_e32 v51, 16, v47
	v_min_f16_e32 v46, v48, v46
	v_min3_f16 v48, v49, v50, v51
	v_min3_f16 v46, v46, v47, v48
	v_cvt_f32_f16_e32 v46, v46
	v_min_f32_e32 v23, v23, v46
	v_add_co_u32 v46, vcc_lo, v20, v42
	v_add_co_ci_u32_e64 v47, null, v21, v43, vcc_lo
	v_cvt_f16_f32_e32 v23, v23
	s_and_b32 vcc_lo, exec_lo, s1
	flat_store_short v[46:47], v23
	s_cbranch_vccnz .LBB220_88
; %bb.87:
	v_add_co_u32 v22, vcc_lo, v16, v40
	v_add_co_ci_u32_e64 v23, null, v17, v41, vcc_lo
	flat_load_ushort v22, v[22:23]
	s_waitcnt vmcnt(0) lgkmcnt(0)
	v_mul_f16_e32 v22, s15, v22
	v_cvt_f32_f16_e32 v22, v22
.LBB220_88:
	v_pk_add_f16 v23, v0, v18
	v_pk_add_f16 v46, v1, v19
	v_max_f16_e32 v47, v96, v96
	v_lshrrev_b32_e32 v48, 16, v96
	v_max_f32_e32 v22, v22, v22
	v_lshrrev_b32_e32 v49, 16, v23
	v_lshrrev_b32_e32 v50, 16, v46
	v_min_f16_e32 v23, v47, v23
	v_min3_f16 v47, v48, v49, v50
	v_min3_f16 v23, v23, v46, v47
	v_add_co_u32 v46, vcc_lo, v20, v40
	v_add_co_ci_u32_e64 v47, null, v21, v41, vcc_lo
	v_cvt_f32_f16_e32 v23, v23
	s_and_b32 vcc_lo, exec_lo, s1
	v_min_f32_e32 v22, v22, v23
	v_mov_b32_e32 v23, 0
	v_cvt_f16_f32_e32 v48, v22
	v_mov_b32_e32 v22, 0
	flat_store_short v[46:47], v48
	s_cbranch_vccnz .LBB220_90
; %bb.89:
	v_add_co_u32 v46, vcc_lo, v16, v38
	v_add_co_ci_u32_e64 v47, null, v17, v39, vcc_lo
	flat_load_ushort v23, v[46:47]
	s_waitcnt vmcnt(0) lgkmcnt(0)
	v_mul_f16_e32 v23, s15, v23
	v_cvt_f32_f16_e32 v23, v23
.LBB220_90:
	v_pk_add_f16 v46, v2, v18
	v_pk_add_f16 v47, v3, v19
	v_max_f16_e32 v48, v124, v124
	v_lshrrev_b32_e32 v49, 16, v124
	v_max_f32_e32 v23, v23, v23
	v_lshrrev_b32_e32 v50, 16, v46
	v_lshrrev_b32_e32 v51, 16, v47
	v_min_f16_e32 v46, v48, v46
	v_min3_f16 v48, v49, v50, v51
	v_min3_f16 v46, v46, v47, v48
	v_cvt_f32_f16_e32 v46, v46
	v_min_f32_e32 v23, v23, v46
	v_add_co_u32 v46, vcc_lo, v20, v38
	v_add_co_ci_u32_e64 v47, null, v21, v39, vcc_lo
	v_cvt_f16_f32_e32 v23, v23
	s_and_b32 vcc_lo, exec_lo, s1
	flat_store_short v[46:47], v23
	s_cbranch_vccnz .LBB220_92
; %bb.91:
	v_add_co_u32 v16, vcc_lo, v16, v44
	v_add_co_ci_u32_e64 v17, null, v17, v45, vcc_lo
	flat_load_ushort v16, v[16:17]
	s_waitcnt vmcnt(0) lgkmcnt(0)
	v_mul_f16_e32 v16, s15, v16
	v_cvt_f32_f16_e32 v22, v16
.LBB220_92:
	v_pk_add_f16 v16, v24, v18
	v_pk_add_f16 v19, v25, v19
	v_max_f16_e32 v17, v123, v123
	v_lshrrev_b32_e32 v23, 16, v123
	v_add_nc_u32_e32 v18, 0xa0, v112
	v_lshrrev_b32_e32 v46, 16, v16
	v_lshrrev_b32_e32 v47, 16, v19
	v_min_f16_e32 v48, v17, v16
	v_mad_i64_i32 v[16:17], null, v18, s6, 0
	v_min3_f16 v23, v23, v46, v47
	v_max_f32_e32 v46, v22, v22
	v_add_co_u32 v22, vcc_lo, v20, v44
	v_mov_b32_e32 v20, 0
	v_min3_f16 v19, v48, v19, v23
	v_lshlrev_b64 v[16:17], 1, v[16:17]
	v_add_co_ci_u32_e64 v23, null, v21, v45, vcc_lo
	v_cvt_f32_f16_e32 v19, v19
	v_add_co_u32 v16, vcc_lo, s12, v16
	v_add_co_ci_u32_e64 v17, null, s13, v17, vcc_lo
	v_min_f32_e32 v19, v46, v19
	s_and_b32 vcc_lo, exec_lo, s1
	v_cvt_f16_f32_e32 v21, v19
	v_mov_b32_e32 v19, 0
	flat_store_short v[22:23], v21
	s_cbranch_vccnz .LBB220_94
; %bb.93:
	v_add_co_u32 v21, vcc_lo, v16, v28
	v_add_co_ci_u32_e64 v22, null, v17, v29, vcc_lo
	flat_load_ushort v19, v[21:22]
	s_waitcnt vmcnt(0) lgkmcnt(0)
	v_mul_f16_e32 v19, s15, v19
	v_cvt_f32_f16_e32 v19, v19
.LBB220_94:
	v_pk_add_f16 v21, v30, v12
	v_pk_add_f16 v23, v31, v13
	v_max_f16_e32 v22, v95, v95
	v_lshrrev_b32_e32 v46, 16, v95
	v_lshrrev_b32_e32 v47, 16, v21
	;; [unrolled: 1-line block ×3, first 2 shown]
	v_min_f16_e32 v49, v22, v21
	v_mad_i64_i32 v[21:22], null, v18, s7, 0
	v_min3_f16 v46, v46, v47, v48
	v_min3_f16 v18, v49, v23, v46
	v_max_f32_e32 v23, v19, v19
	v_cvt_f32_f16_e32 v46, v18
	v_lshlrev_b64 v[18:19], 1, v[21:22]
	v_min_f32_e32 v21, v23, v46
	v_add_co_u32 v18, vcc_lo, s2, v18
	v_add_co_ci_u32_e64 v19, null, s3, v19, vcc_lo
	v_cvt_f16_f32_e32 v23, v21
	v_add_co_u32 v21, vcc_lo, v18, v28
	v_add_co_ci_u32_e64 v22, null, v19, v29, vcc_lo
	s_and_b32 vcc_lo, exec_lo, s1
	flat_store_short v[21:22], v23
	s_cbranch_vccnz .LBB220_96
; %bb.95:
	v_add_co_u32 v20, vcc_lo, v16, v32
	v_add_co_ci_u32_e64 v21, null, v17, v33, vcc_lo
	flat_load_ushort v20, v[20:21]
	s_waitcnt vmcnt(0) lgkmcnt(0)
	v_mul_f16_e32 v20, s15, v20
	v_cvt_f32_f16_e32 v20, v20
.LBB220_96:
	v_pk_add_f16 v21, v8, v12
	v_pk_add_f16 v22, v9, v13
	v_max_f16_e32 v23, v94, v94
	v_lshrrev_b32_e32 v46, 16, v94
	v_max_f32_e32 v20, v20, v20
	v_lshrrev_b32_e32 v47, 16, v21
	v_lshrrev_b32_e32 v48, 16, v22
	v_min_f16_e32 v21, v23, v21
	v_min3_f16 v23, v46, v47, v48
	v_min3_f16 v21, v21, v22, v23
	v_add_co_u32 v22, vcc_lo, v18, v32
	v_add_co_ci_u32_e64 v23, null, v19, v33, vcc_lo
	v_cvt_f32_f16_e32 v21, v21
	s_and_b32 vcc_lo, exec_lo, s1
	v_min_f32_e32 v20, v20, v21
	v_mov_b32_e32 v21, 0
	v_cvt_f16_f32_e32 v46, v20
	v_mov_b32_e32 v20, 0
	flat_store_short v[22:23], v46
	s_cbranch_vccnz .LBB220_98
; %bb.97:
	v_add_co_u32 v21, vcc_lo, v16, v34
	v_add_co_ci_u32_e64 v22, null, v17, v35, vcc_lo
	flat_load_ushort v21, v[21:22]
	s_waitcnt vmcnt(0) lgkmcnt(0)
	v_mul_f16_e32 v21, s15, v21
	v_cvt_f32_f16_e32 v21, v21
.LBB220_98:
	v_pk_add_f16 v22, v10, v12
	v_pk_add_f16 v23, v11, v13
	v_max_f16_e32 v46, v93, v93
	v_lshrrev_b32_e32 v47, 16, v93
	v_max_f32_e32 v21, v21, v21
	v_lshrrev_b32_e32 v48, 16, v22
	v_lshrrev_b32_e32 v49, 16, v23
	v_min_f16_e32 v22, v46, v22
	v_min3_f16 v46, v47, v48, v49
	v_min3_f16 v22, v22, v23, v46
	v_cvt_f32_f16_e32 v22, v22
	v_min_f32_e32 v21, v21, v22
	v_cvt_f16_f32_e32 v23, v21
	v_add_co_u32 v21, vcc_lo, v18, v34
	v_add_co_ci_u32_e64 v22, null, v19, v35, vcc_lo
	s_and_b32 vcc_lo, exec_lo, s1
	flat_store_short v[21:22], v23
	s_cbranch_vccnz .LBB220_100
; %bb.99:
	v_add_co_u32 v20, vcc_lo, v16, v36
	v_add_co_ci_u32_e64 v21, null, v17, v37, vcc_lo
	flat_load_ushort v20, v[20:21]
	s_waitcnt vmcnt(0) lgkmcnt(0)
	v_mul_f16_e32 v20, s15, v20
	v_cvt_f32_f16_e32 v20, v20
.LBB220_100:
	v_pk_add_f16 v21, v4, v12
	v_pk_add_f16 v22, v5, v13
	v_max_f16_e32 v23, v92, v92
	v_lshrrev_b32_e32 v46, 16, v92
	v_max_f32_e32 v20, v20, v20
	v_lshrrev_b32_e32 v47, 16, v21
	v_lshrrev_b32_e32 v48, 16, v22
	v_min_f16_e32 v21, v23, v21
	v_min3_f16 v23, v46, v47, v48
	v_min3_f16 v21, v21, v22, v23
	v_add_co_u32 v22, vcc_lo, v18, v36
	v_add_co_ci_u32_e64 v23, null, v19, v37, vcc_lo
	v_cvt_f32_f16_e32 v21, v21
	s_and_b32 vcc_lo, exec_lo, s1
	v_min_f32_e32 v20, v20, v21
	v_mov_b32_e32 v21, 0
	v_cvt_f16_f32_e32 v46, v20
	v_mov_b32_e32 v20, 0
	flat_store_short v[22:23], v46
	s_cbranch_vccnz .LBB220_102
; %bb.101:
	v_add_co_u32 v21, vcc_lo, v16, v42
	v_add_co_ci_u32_e64 v22, null, v17, v43, vcc_lo
	flat_load_ushort v21, v[21:22]
	s_waitcnt vmcnt(0) lgkmcnt(0)
	v_mul_f16_e32 v21, s15, v21
	v_cvt_f32_f16_e32 v21, v21
.LBB220_102:
	v_pk_add_f16 v22, v6, v12
	v_pk_add_f16 v23, v7, v13
	v_max_f16_e32 v46, v120, v120
	v_lshrrev_b32_e32 v47, 16, v120
	v_max_f32_e32 v21, v21, v21
	v_lshrrev_b32_e32 v48, 16, v22
	v_lshrrev_b32_e32 v49, 16, v23
	v_min_f16_e32 v22, v46, v22
	v_min3_f16 v46, v47, v48, v49
	v_min3_f16 v22, v22, v23, v46
	v_cvt_f32_f16_e32 v22, v22
	v_min_f32_e32 v21, v21, v22
	;; [unrolled: 54-line block ×3, first 2 shown]
	v_cvt_f16_f32_e32 v23, v21
	v_add_co_u32 v21, vcc_lo, v18, v38
	v_add_co_ci_u32_e64 v22, null, v19, v39, vcc_lo
	s_and_b32 vcc_lo, exec_lo, s1
	flat_store_short v[21:22], v23
	s_cbranch_vccnz .LBB220_108
; %bb.107:
	v_add_co_u32 v16, vcc_lo, v16, v44
	v_add_co_ci_u32_e64 v17, null, v17, v45, vcc_lo
	flat_load_ushort v16, v[16:17]
	s_waitcnt vmcnt(0) lgkmcnt(0)
	v_mul_f16_e32 v16, s15, v16
	v_cvt_f32_f16_e32 v20, v16
.LBB220_108:
	v_pk_add_f16 v12, v24, v12
	v_pk_add_f16 v17, v25, v13
	v_max_f16_e32 v13, v117, v117
	v_lshrrev_b32_e32 v21, 16, v117
	v_add_nc_u32_e32 v16, 0xc0, v112
	v_lshrrev_b32_e32 v22, 16, v12
	v_lshrrev_b32_e32 v23, 16, v17
	v_min_f16_e32 v46, v13, v12
	v_mad_i64_i32 v[12:13], null, v16, s6, 0
	v_min3_f16 v21, v21, v22, v23
	v_max_f32_e32 v22, v20, v20
	v_add_co_u32 v20, vcc_lo, v18, v44
	v_mov_b32_e32 v18, 0
	v_min3_f16 v17, v46, v17, v21
	v_lshlrev_b64 v[12:13], 1, v[12:13]
	v_add_co_ci_u32_e64 v21, null, v19, v45, vcc_lo
	v_cvt_f32_f16_e32 v17, v17
	v_add_co_u32 v12, vcc_lo, s12, v12
	v_add_co_ci_u32_e64 v13, null, s13, v13, vcc_lo
	v_min_f32_e32 v17, v22, v17
	s_and_b32 vcc_lo, exec_lo, s1
	v_cvt_f16_f32_e32 v19, v17
	v_mov_b32_e32 v17, 0
	flat_store_short v[20:21], v19
	s_cbranch_vccnz .LBB220_110
; %bb.109:
	v_add_co_u32 v19, vcc_lo, v12, v28
	v_add_co_ci_u32_e64 v20, null, v13, v29, vcc_lo
	flat_load_ushort v17, v[19:20]
	s_waitcnt vmcnt(0) lgkmcnt(0)
	v_mul_f16_e32 v17, s15, v17
	v_cvt_f32_f16_e32 v17, v17
.LBB220_110:
	v_pk_add_f16 v19, v30, v14
	v_pk_add_f16 v21, v31, v15
	v_max_f16_e32 v20, v88, v88
	v_lshrrev_b32_e32 v22, 16, v88
	v_lshrrev_b32_e32 v23, 16, v19
	;; [unrolled: 1-line block ×3, first 2 shown]
	v_min_f16_e32 v47, v20, v19
	v_mad_i64_i32 v[19:20], null, v16, s7, 0
	v_min3_f16 v22, v22, v23, v46
	v_min3_f16 v16, v47, v21, v22
	v_max_f32_e32 v21, v17, v17
	v_cvt_f32_f16_e32 v22, v16
	v_lshlrev_b64 v[16:17], 1, v[19:20]
	v_min_f32_e32 v19, v21, v22
	v_add_co_u32 v16, vcc_lo, s2, v16
	v_add_co_ci_u32_e64 v17, null, s3, v17, vcc_lo
	v_cvt_f16_f32_e32 v21, v19
	v_add_co_u32 v19, vcc_lo, v16, v28
	v_add_co_ci_u32_e64 v20, null, v17, v29, vcc_lo
	s_and_b32 vcc_lo, exec_lo, s1
	flat_store_short v[19:20], v21
	s_cbranch_vccnz .LBB220_112
; %bb.111:
	v_add_co_u32 v18, vcc_lo, v12, v32
	v_add_co_ci_u32_e64 v19, null, v13, v33, vcc_lo
	flat_load_ushort v18, v[18:19]
	s_waitcnt vmcnt(0) lgkmcnt(0)
	v_mul_f16_e32 v18, s15, v18
	v_cvt_f32_f16_e32 v18, v18
.LBB220_112:
	v_pk_add_f16 v19, v8, v14
	v_pk_add_f16 v20, v9, v15
	v_max_f16_e32 v21, v73, v73
	v_lshrrev_b32_e32 v22, 16, v73
	v_max_f32_e32 v18, v18, v18
	v_lshrrev_b32_e32 v23, 16, v19
	v_lshrrev_b32_e32 v46, 16, v20
	v_min_f16_e32 v19, v21, v19
	v_min3_f16 v21, v22, v23, v46
	v_min3_f16 v19, v19, v20, v21
	v_add_co_u32 v20, vcc_lo, v16, v32
	v_add_co_ci_u32_e64 v21, null, v17, v33, vcc_lo
	v_cvt_f32_f16_e32 v19, v19
	s_and_b32 vcc_lo, exec_lo, s1
	v_min_f32_e32 v18, v18, v19
	v_mov_b32_e32 v19, 0
	v_cvt_f16_f32_e32 v22, v18
	v_mov_b32_e32 v18, 0
	flat_store_short v[20:21], v22
	s_cbranch_vccnz .LBB220_114
; %bb.113:
	v_add_co_u32 v19, vcc_lo, v12, v34
	v_add_co_ci_u32_e64 v20, null, v13, v35, vcc_lo
	flat_load_ushort v19, v[19:20]
	s_waitcnt vmcnt(0) lgkmcnt(0)
	v_mul_f16_e32 v19, s15, v19
	v_cvt_f32_f16_e32 v19, v19
.LBB220_114:
	v_pk_add_f16 v20, v10, v14
	v_pk_add_f16 v21, v11, v15
	v_max_f16_e32 v22, v86, v86
	v_lshrrev_b32_e32 v23, 16, v86
	v_max_f32_e32 v19, v19, v19
	v_lshrrev_b32_e32 v46, 16, v20
	v_lshrrev_b32_e32 v47, 16, v21
	v_min_f16_e32 v20, v22, v20
	v_min3_f16 v22, v23, v46, v47
	v_min3_f16 v20, v20, v21, v22
	v_cvt_f32_f16_e32 v20, v20
	v_min_f32_e32 v19, v19, v20
	v_cvt_f16_f32_e32 v21, v19
	v_add_co_u32 v19, vcc_lo, v16, v34
	v_add_co_ci_u32_e64 v20, null, v17, v35, vcc_lo
	s_and_b32 vcc_lo, exec_lo, s1
	flat_store_short v[19:20], v21
	s_cbranch_vccnz .LBB220_116
; %bb.115:
	v_add_co_u32 v18, vcc_lo, v12, v36
	v_add_co_ci_u32_e64 v19, null, v13, v37, vcc_lo
	flat_load_ushort v18, v[18:19]
	s_waitcnt vmcnt(0) lgkmcnt(0)
	v_mul_f16_e32 v18, s15, v18
	v_cvt_f32_f16_e32 v18, v18
.LBB220_116:
	v_pk_add_f16 v19, v4, v14
	v_pk_add_f16 v20, v5, v15
	v_max_f16_e32 v21, v85, v85
	v_lshrrev_b32_e32 v22, 16, v85
	v_max_f32_e32 v18, v18, v18
	v_lshrrev_b32_e32 v23, 16, v19
	v_lshrrev_b32_e32 v46, 16, v20
	v_min_f16_e32 v19, v21, v19
	v_min3_f16 v21, v22, v23, v46
	v_min3_f16 v19, v19, v20, v21
	v_add_co_u32 v20, vcc_lo, v16, v36
	v_add_co_ci_u32_e64 v21, null, v17, v37, vcc_lo
	v_cvt_f32_f16_e32 v19, v19
	s_and_b32 vcc_lo, exec_lo, s1
	v_min_f32_e32 v18, v18, v19
	v_mov_b32_e32 v19, 0
	v_cvt_f16_f32_e32 v22, v18
	v_mov_b32_e32 v18, 0
	flat_store_short v[20:21], v22
	s_cbranch_vccnz .LBB220_118
; %bb.117:
	v_add_co_u32 v19, vcc_lo, v12, v42
	v_add_co_ci_u32_e64 v20, null, v13, v43, vcc_lo
	flat_load_ushort v19, v[19:20]
	s_waitcnt vmcnt(0) lgkmcnt(0)
	v_mul_f16_e32 v19, s15, v19
	v_cvt_f32_f16_e32 v19, v19
.LBB220_118:
	v_pk_add_f16 v20, v6, v14
	v_pk_add_f16 v21, v7, v15
	v_max_f16_e32 v22, v84, v84
	v_lshrrev_b32_e32 v23, 16, v84
	v_max_f32_e32 v19, v19, v19
	v_lshrrev_b32_e32 v46, 16, v20
	v_lshrrev_b32_e32 v47, 16, v21
	v_min_f16_e32 v20, v22, v20
	v_min3_f16 v22, v23, v46, v47
	v_min3_f16 v20, v20, v21, v22
	v_cvt_f32_f16_e32 v20, v20
	v_min_f32_e32 v19, v19, v20
	v_cvt_f16_f32_e32 v21, v19
	v_add_co_u32 v19, vcc_lo, v16, v42
	v_add_co_ci_u32_e64 v20, null, v17, v43, vcc_lo
	s_and_b32 vcc_lo, exec_lo, s1
	flat_store_short v[19:20], v21
	s_cbranch_vccnz .LBB220_120
; %bb.119:
	v_add_co_u32 v18, vcc_lo, v12, v40
	v_add_co_ci_u32_e64 v19, null, v13, v41, vcc_lo
	flat_load_ushort v18, v[18:19]
	s_waitcnt vmcnt(0) lgkmcnt(0)
	v_mul_f16_e32 v18, s15, v18
	v_cvt_f32_f16_e32 v18, v18
.LBB220_120:
	v_pk_add_f16 v19, v0, v14
	v_pk_add_f16 v20, v1, v15
	v_max_f16_e32 v21, v83, v83
	v_lshrrev_b32_e32 v22, 16, v83
	v_max_f32_e32 v18, v18, v18
	v_lshrrev_b32_e32 v23, 16, v19
	v_lshrrev_b32_e32 v46, 16, v20
	v_min_f16_e32 v19, v21, v19
	v_min3_f16 v21, v22, v23, v46
	v_min3_f16 v19, v19, v20, v21
	v_add_co_u32 v20, vcc_lo, v16, v40
	v_add_co_ci_u32_e64 v21, null, v17, v41, vcc_lo
	v_cvt_f32_f16_e32 v19, v19
	s_and_b32 vcc_lo, exec_lo, s1
	v_min_f32_e32 v18, v18, v19
	v_mov_b32_e32 v19, 0
	v_cvt_f16_f32_e32 v22, v18
	v_mov_b32_e32 v18, 0
	flat_store_short v[20:21], v22
	s_cbranch_vccnz .LBB220_122
; %bb.121:
	v_add_co_u32 v19, vcc_lo, v12, v38
	v_add_co_ci_u32_e64 v20, null, v13, v39, vcc_lo
	flat_load_ushort v19, v[19:20]
	s_waitcnt vmcnt(0) lgkmcnt(0)
	v_mul_f16_e32 v19, s15, v19
	v_cvt_f32_f16_e32 v19, v19
.LBB220_122:
	v_pk_add_f16 v20, v2, v14
	v_pk_add_f16 v21, v3, v15
	v_max_f16_e32 v22, v82, v82
	v_lshrrev_b32_e32 v23, 16, v82
	v_max_f32_e32 v19, v19, v19
	v_lshrrev_b32_e32 v46, 16, v20
	v_lshrrev_b32_e32 v47, 16, v21
	v_min_f16_e32 v20, v22, v20
	v_min3_f16 v22, v23, v46, v47
	v_min3_f16 v20, v20, v21, v22
	v_cvt_f32_f16_e32 v20, v20
	v_min_f32_e32 v19, v19, v20
	v_cvt_f16_f32_e32 v21, v19
	v_add_co_u32 v19, vcc_lo, v16, v38
	v_add_co_ci_u32_e64 v20, null, v17, v39, vcc_lo
	s_and_b32 vcc_lo, exec_lo, s1
	flat_store_short v[19:20], v21
	s_cbranch_vccnz .LBB220_124
; %bb.123:
	v_add_co_u32 v12, vcc_lo, v12, v44
	v_add_co_ci_u32_e64 v13, null, v13, v45, vcc_lo
	flat_load_ushort v12, v[12:13]
	s_waitcnt vmcnt(0) lgkmcnt(0)
	v_mul_f16_e32 v12, s15, v12
	v_cvt_f32_f16_e32 v18, v12
.LBB220_124:
	v_pk_add_f16 v12, v24, v14
	v_pk_add_f16 v15, v25, v15
	v_max_f16_e32 v13, v67, v67
	v_lshrrev_b32_e32 v19, 16, v67
	v_add_nc_u32_e32 v14, 0xe0, v112
	v_lshrrev_b32_e32 v20, 16, v12
	v_lshrrev_b32_e32 v21, 16, v15
	v_min_f16_e32 v22, v13, v12
	v_mad_i64_i32 v[12:13], null, v14, s6, 0
	v_min3_f16 v19, v19, v20, v21
	v_max_f32_e32 v20, v18, v18
	v_add_co_u32 v18, vcc_lo, v16, v44
	v_mov_b32_e32 v16, 0
	v_min3_f16 v15, v22, v15, v19
	v_lshlrev_b64 v[12:13], 1, v[12:13]
	v_add_co_ci_u32_e64 v19, null, v17, v45, vcc_lo
	v_cvt_f32_f16_e32 v15, v15
	v_add_co_u32 v12, vcc_lo, s12, v12
	v_add_co_ci_u32_e64 v13, null, s13, v13, vcc_lo
	v_min_f32_e32 v15, v20, v15
	s_and_b32 vcc_lo, exec_lo, s1
	v_cvt_f16_f32_e32 v17, v15
	v_mov_b32_e32 v15, 0
	flat_store_short v[18:19], v17
	s_cbranch_vccnz .LBB220_126
; %bb.125:
	v_add_co_u32 v17, vcc_lo, v12, v28
	v_add_co_ci_u32_e64 v18, null, v13, v29, vcc_lo
	flat_load_ushort v15, v[17:18]
	s_waitcnt vmcnt(0) lgkmcnt(0)
	v_mul_f16_e32 v15, s15, v15
	v_cvt_f32_f16_e32 v15, v15
.LBB220_126:
	v_pk_add_f16 v17, v30, v26
	v_pk_add_f16 v19, v31, v27
	v_max_f16_e32 v18, v80, v80
	v_lshrrev_b32_e32 v20, 16, v80
	v_lshrrev_b32_e32 v21, 16, v17
	;; [unrolled: 1-line block ×3, first 2 shown]
	v_min_f16_e32 v23, v18, v17
	v_mad_i64_i32 v[17:18], null, v14, s7, 0
	v_min3_f16 v20, v20, v21, v22
	v_min3_f16 v14, v23, v19, v20
	v_max_f32_e32 v19, v15, v15
	v_cvt_f32_f16_e32 v20, v14
	v_lshlrev_b64 v[14:15], 1, v[17:18]
	v_min_f32_e32 v17, v19, v20
	v_add_co_u32 v14, vcc_lo, s2, v14
	v_add_co_ci_u32_e64 v15, null, s3, v15, vcc_lo
	v_cvt_f16_f32_e32 v19, v17
	v_add_co_u32 v17, vcc_lo, v14, v28
	v_add_co_ci_u32_e64 v18, null, v15, v29, vcc_lo
	s_and_b32 vcc_lo, exec_lo, s1
	flat_store_short v[17:18], v19
	s_cbranch_vccnz .LBB220_128
; %bb.127:
	v_add_co_u32 v16, vcc_lo, v12, v32
	v_add_co_ci_u32_e64 v17, null, v13, v33, vcc_lo
	flat_load_ushort v16, v[16:17]
	s_waitcnt vmcnt(0) lgkmcnt(0)
	v_mul_f16_e32 v16, s15, v16
	v_cvt_f32_f16_e32 v16, v16
.LBB220_128:
	v_pk_add_f16 v8, v8, v26
	v_pk_add_f16 v9, v9, v27
	v_max_f16_e32 v17, v79, v79
	v_lshrrev_b32_e32 v18, 16, v79
	v_lshrrev_b32_e32 v19, 16, v8
	;; [unrolled: 1-line block ×3, first 2 shown]
	v_min_f16_e32 v8, v17, v8
	v_min3_f16 v17, v18, v19, v20
	v_min3_f16 v8, v8, v9, v17
	v_max_f32_e32 v9, v16, v16
	v_add_co_u32 v16, vcc_lo, v14, v32
	v_add_co_ci_u32_e64 v17, null, v15, v33, vcc_lo
	v_cvt_f32_f16_e32 v8, v8
	s_and_b32 vcc_lo, exec_lo, s1
	v_min_f32_e32 v8, v9, v8
	v_mov_b32_e32 v9, 0
	v_cvt_f16_f32_e32 v18, v8
	v_mov_b32_e32 v8, 0
	flat_store_short v[16:17], v18
	s_cbranch_vccnz .LBB220_130
; %bb.129:
	v_add_co_u32 v16, vcc_lo, v12, v34
	v_add_co_ci_u32_e64 v17, null, v13, v35, vcc_lo
	flat_load_ushort v9, v[16:17]
	s_waitcnt vmcnt(0) lgkmcnt(0)
	v_mul_f16_e32 v9, s15, v9
	v_cvt_f32_f16_e32 v9, v9
.LBB220_130:
	v_pk_add_f16 v10, v10, v26
	v_pk_add_f16 v11, v11, v27
	v_max_f16_e32 v16, v78, v78
	v_lshrrev_b32_e32 v17, 16, v78
	v_max_f32_e32 v9, v9, v9
	v_lshrrev_b32_e32 v18, 16, v10
	v_lshrrev_b32_e32 v19, 16, v11
	v_min_f16_e32 v10, v16, v10
	v_min3_f16 v16, v17, v18, v19
	v_min3_f16 v10, v10, v11, v16
	v_cvt_f32_f16_e32 v10, v10
	v_min_f32_e32 v9, v9, v10
	v_cvt_f16_f32_e32 v11, v9
	v_add_co_u32 v9, vcc_lo, v14, v34
	v_add_co_ci_u32_e64 v10, null, v15, v35, vcc_lo
	s_and_b32 vcc_lo, exec_lo, s1
	flat_store_short v[9:10], v11
	s_cbranch_vccnz .LBB220_132
; %bb.131:
	v_add_co_u32 v8, vcc_lo, v12, v36
	v_add_co_ci_u32_e64 v9, null, v13, v37, vcc_lo
	flat_load_ushort v8, v[8:9]
	s_waitcnt vmcnt(0) lgkmcnt(0)
	v_mul_f16_e32 v8, s15, v8
	v_cvt_f32_f16_e32 v8, v8
.LBB220_132:
	v_pk_add_f16 v4, v4, v26
	v_pk_add_f16 v5, v5, v27
	v_max_f16_e32 v9, v77, v77
	v_lshrrev_b32_e32 v10, 16, v77
	v_lshrrev_b32_e32 v11, 16, v4
	;; [unrolled: 1-line block ×3, first 2 shown]
	v_min_f16_e32 v4, v9, v4
	v_min3_f16 v9, v10, v11, v16
	v_min3_f16 v4, v4, v5, v9
	v_max_f32_e32 v5, v8, v8
	v_add_co_u32 v8, vcc_lo, v14, v36
	v_add_co_ci_u32_e64 v9, null, v15, v37, vcc_lo
	v_cvt_f32_f16_e32 v4, v4
	s_and_b32 vcc_lo, exec_lo, s1
	v_min_f32_e32 v4, v5, v4
	v_mov_b32_e32 v5, 0
	v_cvt_f16_f32_e32 v10, v4
	v_mov_b32_e32 v4, 0
	flat_store_short v[8:9], v10
	s_cbranch_vccnz .LBB220_134
; %bb.133:
	v_add_co_u32 v8, vcc_lo, v12, v42
	v_add_co_ci_u32_e64 v9, null, v13, v43, vcc_lo
	flat_load_ushort v5, v[8:9]
	s_waitcnt vmcnt(0) lgkmcnt(0)
	v_mul_f16_e32 v5, s15, v5
	v_cvt_f32_f16_e32 v5, v5
.LBB220_134:
	v_pk_add_f16 v6, v6, v26
	v_pk_add_f16 v7, v7, v27
	v_max_f16_e32 v8, v76, v76
	v_lshrrev_b32_e32 v9, 16, v76
	v_max_f32_e32 v5, v5, v5
	v_lshrrev_b32_e32 v10, 16, v6
	v_lshrrev_b32_e32 v11, 16, v7
	v_min_f16_e32 v6, v8, v6
	v_min3_f16 v8, v9, v10, v11
	v_min3_f16 v6, v6, v7, v8
	v_cvt_f32_f16_e32 v6, v6
	v_min_f32_e32 v5, v5, v6
	v_cvt_f16_f32_e32 v7, v5
	v_add_co_u32 v5, vcc_lo, v14, v42
	v_add_co_ci_u32_e64 v6, null, v15, v43, vcc_lo
	s_and_b32 vcc_lo, exec_lo, s1
	flat_store_short v[5:6], v7
	s_cbranch_vccnz .LBB220_136
; %bb.135:
	v_add_co_u32 v4, vcc_lo, v12, v40
	v_add_co_ci_u32_e64 v5, null, v13, v41, vcc_lo
	flat_load_ushort v4, v[4:5]
	s_waitcnt vmcnt(0) lgkmcnt(0)
	v_mul_f16_e32 v4, s15, v4
	v_cvt_f32_f16_e32 v4, v4
.LBB220_136:
	v_pk_add_f16 v0, v0, v26
	v_pk_add_f16 v1, v1, v27
	v_max_f16_e32 v5, v75, v75
	v_lshrrev_b32_e32 v6, 16, v75
	v_pk_add_f16 v3, v3, v27
	v_lshrrev_b32_e32 v7, 16, v0
	v_lshrrev_b32_e32 v8, 16, v1
	v_min_f16_e32 v0, v5, v0
	s_mov_b32 s1, -1
	v_min3_f16 v5, v6, v7, v8
	v_lshrrev_b32_e32 v6, 16, v74
	v_lshrrev_b32_e32 v8, 16, v3
	v_min3_f16 v0, v0, v1, v5
	v_pk_add_f16 v5, v2, v26
	v_max_f32_e32 v1, v4, v4
	v_max_f16_e32 v4, v74, v74
	v_cvt_f32_f16_e32 v0, v0
	v_lshrrev_b32_e32 v7, 16, v5
	v_min_f16_e32 v4, v4, v5
	v_min_f32_e32 v0, v1, v0
	v_min3_f16 v5, v6, v7, v8
	v_add_co_u32 v1, vcc_lo, v14, v40
	v_add_co_ci_u32_e64 v2, null, v15, v41, vcc_lo
	v_cvt_f16_f32_e32 v6, v0
	v_min3_f16 v0, v4, v3, v5
	s_mov_b32 vcc_lo, s0
	flat_store_short v[1:2], v6
	s_cbranch_vccz .LBB220_138
; %bb.137:
	v_cvt_f32_f16_e32 v1, v0
	s_mov_b32 s1, 0
	v_min_f32_e32 v1, 0, v1
	v_cvt_f16_f32_e32 v3, v1
	v_add_co_u32 v1, vcc_lo, v14, v38
	v_add_co_ci_u32_e64 v2, null, v15, v39, vcc_lo
	flat_store_short v[1:2], v3
.LBB220_138:
	v_mov_b32_e32 v1, 0
	s_andn2_b32 vcc_lo, exec_lo, s1
	s_cbranch_vccnz .LBB220_140
; %bb.139:
	v_add_co_u32 v1, vcc_lo, v12, v38
	v_add_co_ci_u32_e64 v2, null, v13, v39, vcc_lo
	flat_load_ushort v1, v[1:2]
	v_max_f16_e32 v2, v0, v0
	v_add_co_u32 v0, vcc_lo, v14, v38
	s_waitcnt vmcnt(0) lgkmcnt(0)
	v_mul_f16_e32 v3, s15, v1
	v_add_co_ci_u32_e64 v1, null, v15, v39, vcc_lo
	v_min_f16_e32 v4, v3, v2
	v_add_co_u32 v2, vcc_lo, v12, v44
	v_add_co_ci_u32_e64 v3, null, v13, v45, vcc_lo
	flat_store_short v[0:1], v4
	flat_load_ushort v0, v[2:3]
	s_waitcnt vmcnt(0) lgkmcnt(0)
	v_mul_f16_e32 v0, s15, v0
	v_cvt_f32_f16_e32 v1, v0
.LBB220_140:
	v_pk_add_f16 v0, v24, v26
	v_pk_add_f16 v2, v25, v27
	v_max_f16_e32 v3, v135, v135
	v_lshrrev_b32_e32 v4, 16, v135
	v_max_f32_e32 v1, v1, v1
	v_lshrrev_b32_e32 v5, 16, v0
	v_lshrrev_b32_e32 v6, 16, v2
	v_min_f16_e32 v0, v3, v0
	v_min3_f16 v3, v4, v5, v6
	v_min3_f16 v0, v0, v2, v3
	v_cvt_f32_f16_e32 v0, v0
	v_min_f32_e32 v0, v1, v0
	v_cvt_f16_f32_e32 v2, v0
	v_add_co_u32 v0, vcc_lo, v14, v44
	v_add_co_ci_u32_e64 v1, null, v15, v45, vcc_lo
	flat_store_short v[0:1], v2
	s_endpgm
	.section	.rodata,"a",@progbits
	.p2align	6, 0x0
	.amdhsa_kernel _ZN12_GLOBAL__N_120geam_min_plus_kernelIDF16_Dv2_DF16_S1_Li8ELi32ELi64ELi256ELi4ELi64ELi4ELi64ELi4ELc78ELc84ELb1ELb0ELb1EDF16_KPKDF16_KPDF16_EEviiiT16_PT17_ilS9_ilS7_S9_ilPT18_ili26rocblas_geam_ex_operation_
		.amdhsa_group_segment_fixed_size 5120
		.amdhsa_private_segment_fixed_size 180
		.amdhsa_kernarg_size 128
		.amdhsa_user_sgpr_count 6
		.amdhsa_user_sgpr_private_segment_buffer 1
		.amdhsa_user_sgpr_dispatch_ptr 0
		.amdhsa_user_sgpr_queue_ptr 0
		.amdhsa_user_sgpr_kernarg_segment_ptr 1
		.amdhsa_user_sgpr_dispatch_id 0
		.amdhsa_user_sgpr_flat_scratch_init 0
		.amdhsa_user_sgpr_private_segment_size 0
		.amdhsa_wavefront_size32 1
		.amdhsa_uses_dynamic_stack 0
		.amdhsa_system_sgpr_private_segment_wavefront_offset 1
		.amdhsa_system_sgpr_workgroup_id_x 1
		.amdhsa_system_sgpr_workgroup_id_y 0
		.amdhsa_system_sgpr_workgroup_id_z 1
		.amdhsa_system_sgpr_workgroup_info 0
		.amdhsa_system_vgpr_workitem_id 1
		.amdhsa_next_free_vgpr 256
		.amdhsa_next_free_sgpr 28
		.amdhsa_reserve_vcc 1
		.amdhsa_reserve_flat_scratch 1
		.amdhsa_float_round_mode_32 0
		.amdhsa_float_round_mode_16_64 0
		.amdhsa_float_denorm_mode_32 3
		.amdhsa_float_denorm_mode_16_64 3
		.amdhsa_dx10_clamp 1
		.amdhsa_ieee_mode 1
		.amdhsa_fp16_overflow 0
		.amdhsa_workgroup_processor_mode 1
		.amdhsa_memory_ordered 1
		.amdhsa_forward_progress 1
		.amdhsa_shared_vgpr_count 0
		.amdhsa_exception_fp_ieee_invalid_op 0
		.amdhsa_exception_fp_denorm_src 0
		.amdhsa_exception_fp_ieee_div_zero 0
		.amdhsa_exception_fp_ieee_overflow 0
		.amdhsa_exception_fp_ieee_underflow 0
		.amdhsa_exception_fp_ieee_inexact 0
		.amdhsa_exception_int_div_zero 0
	.end_amdhsa_kernel
	.section	.text._ZN12_GLOBAL__N_120geam_min_plus_kernelIDF16_Dv2_DF16_S1_Li8ELi32ELi64ELi256ELi4ELi64ELi4ELi64ELi4ELc78ELc84ELb1ELb0ELb1EDF16_KPKDF16_KPDF16_EEviiiT16_PT17_ilS9_ilS7_S9_ilPT18_ili26rocblas_geam_ex_operation_,"axG",@progbits,_ZN12_GLOBAL__N_120geam_min_plus_kernelIDF16_Dv2_DF16_S1_Li8ELi32ELi64ELi256ELi4ELi64ELi4ELi64ELi4ELc78ELc84ELb1ELb0ELb1EDF16_KPKDF16_KPDF16_EEviiiT16_PT17_ilS9_ilS7_S9_ilPT18_ili26rocblas_geam_ex_operation_,comdat
.Lfunc_end220:
	.size	_ZN12_GLOBAL__N_120geam_min_plus_kernelIDF16_Dv2_DF16_S1_Li8ELi32ELi64ELi256ELi4ELi64ELi4ELi64ELi4ELc78ELc84ELb1ELb0ELb1EDF16_KPKDF16_KPDF16_EEviiiT16_PT17_ilS9_ilS7_S9_ilPT18_ili26rocblas_geam_ex_operation_, .Lfunc_end220-_ZN12_GLOBAL__N_120geam_min_plus_kernelIDF16_Dv2_DF16_S1_Li8ELi32ELi64ELi256ELi4ELi64ELi4ELi64ELi4ELc78ELc84ELb1ELb0ELb1EDF16_KPKDF16_KPDF16_EEviiiT16_PT17_ilS9_ilS7_S9_ilPT18_ili26rocblas_geam_ex_operation_
                                        ; -- End function
	.set _ZN12_GLOBAL__N_120geam_min_plus_kernelIDF16_Dv2_DF16_S1_Li8ELi32ELi64ELi256ELi4ELi64ELi4ELi64ELi4ELc78ELc84ELb1ELb0ELb1EDF16_KPKDF16_KPDF16_EEviiiT16_PT17_ilS9_ilS7_S9_ilPT18_ili26rocblas_geam_ex_operation_.num_vgpr, 256
	.set _ZN12_GLOBAL__N_120geam_min_plus_kernelIDF16_Dv2_DF16_S1_Li8ELi32ELi64ELi256ELi4ELi64ELi4ELi64ELi4ELc78ELc84ELb1ELb0ELb1EDF16_KPKDF16_KPDF16_EEviiiT16_PT17_ilS9_ilS7_S9_ilPT18_ili26rocblas_geam_ex_operation_.num_agpr, 0
	.set _ZN12_GLOBAL__N_120geam_min_plus_kernelIDF16_Dv2_DF16_S1_Li8ELi32ELi64ELi256ELi4ELi64ELi4ELi64ELi4ELc78ELc84ELb1ELb0ELb1EDF16_KPKDF16_KPDF16_EEviiiT16_PT17_ilS9_ilS7_S9_ilPT18_ili26rocblas_geam_ex_operation_.numbered_sgpr, 28
	.set _ZN12_GLOBAL__N_120geam_min_plus_kernelIDF16_Dv2_DF16_S1_Li8ELi32ELi64ELi256ELi4ELi64ELi4ELi64ELi4ELc78ELc84ELb1ELb0ELb1EDF16_KPKDF16_KPDF16_EEviiiT16_PT17_ilS9_ilS7_S9_ilPT18_ili26rocblas_geam_ex_operation_.num_named_barrier, 0
	.set _ZN12_GLOBAL__N_120geam_min_plus_kernelIDF16_Dv2_DF16_S1_Li8ELi32ELi64ELi256ELi4ELi64ELi4ELi64ELi4ELc78ELc84ELb1ELb0ELb1EDF16_KPKDF16_KPDF16_EEviiiT16_PT17_ilS9_ilS7_S9_ilPT18_ili26rocblas_geam_ex_operation_.private_seg_size, 180
	.set _ZN12_GLOBAL__N_120geam_min_plus_kernelIDF16_Dv2_DF16_S1_Li8ELi32ELi64ELi256ELi4ELi64ELi4ELi64ELi4ELc78ELc84ELb1ELb0ELb1EDF16_KPKDF16_KPDF16_EEviiiT16_PT17_ilS9_ilS7_S9_ilPT18_ili26rocblas_geam_ex_operation_.uses_vcc, 1
	.set _ZN12_GLOBAL__N_120geam_min_plus_kernelIDF16_Dv2_DF16_S1_Li8ELi32ELi64ELi256ELi4ELi64ELi4ELi64ELi4ELc78ELc84ELb1ELb0ELb1EDF16_KPKDF16_KPDF16_EEviiiT16_PT17_ilS9_ilS7_S9_ilPT18_ili26rocblas_geam_ex_operation_.uses_flat_scratch, 1
	.set _ZN12_GLOBAL__N_120geam_min_plus_kernelIDF16_Dv2_DF16_S1_Li8ELi32ELi64ELi256ELi4ELi64ELi4ELi64ELi4ELc78ELc84ELb1ELb0ELb1EDF16_KPKDF16_KPDF16_EEviiiT16_PT17_ilS9_ilS7_S9_ilPT18_ili26rocblas_geam_ex_operation_.has_dyn_sized_stack, 0
	.set _ZN12_GLOBAL__N_120geam_min_plus_kernelIDF16_Dv2_DF16_S1_Li8ELi32ELi64ELi256ELi4ELi64ELi4ELi64ELi4ELc78ELc84ELb1ELb0ELb1EDF16_KPKDF16_KPDF16_EEviiiT16_PT17_ilS9_ilS7_S9_ilPT18_ili26rocblas_geam_ex_operation_.has_recursion, 0
	.set _ZN12_GLOBAL__N_120geam_min_plus_kernelIDF16_Dv2_DF16_S1_Li8ELi32ELi64ELi256ELi4ELi64ELi4ELi64ELi4ELc78ELc84ELb1ELb0ELb1EDF16_KPKDF16_KPDF16_EEviiiT16_PT17_ilS9_ilS7_S9_ilPT18_ili26rocblas_geam_ex_operation_.has_indirect_call, 0
	.section	.AMDGPU.csdata,"",@progbits
; Kernel info:
; codeLenInByte = 19544
; TotalNumSgprs: 30
; NumVgprs: 256
; ScratchSize: 180
; MemoryBound: 0
; FloatMode: 240
; IeeeMode: 1
; LDSByteSize: 5120 bytes/workgroup (compile time only)
; SGPRBlocks: 0
; VGPRBlocks: 31
; NumSGPRsForWavesPerEU: 30
; NumVGPRsForWavesPerEU: 256
; Occupancy: 4
; WaveLimiterHint : 1
; COMPUTE_PGM_RSRC2:SCRATCH_EN: 1
; COMPUTE_PGM_RSRC2:USER_SGPR: 6
; COMPUTE_PGM_RSRC2:TRAP_HANDLER: 0
; COMPUTE_PGM_RSRC2:TGID_X_EN: 1
; COMPUTE_PGM_RSRC2:TGID_Y_EN: 0
; COMPUTE_PGM_RSRC2:TGID_Z_EN: 1
; COMPUTE_PGM_RSRC2:TIDIG_COMP_CNT: 1
	.section	.text._ZN12_GLOBAL__N_120geam_min_plus_kernelIDF16_Dv2_DF16_S1_Li8ELi32ELi64ELi256ELi4ELi64ELi4ELi64ELi4ELc78ELc84ELb0ELb0ELb1EDF16_KPKDF16_KPDF16_EEviiiT16_PT17_ilS9_ilS7_S9_ilPT18_ili26rocblas_geam_ex_operation_,"axG",@progbits,_ZN12_GLOBAL__N_120geam_min_plus_kernelIDF16_Dv2_DF16_S1_Li8ELi32ELi64ELi256ELi4ELi64ELi4ELi64ELi4ELc78ELc84ELb0ELb0ELb1EDF16_KPKDF16_KPDF16_EEviiiT16_PT17_ilS9_ilS7_S9_ilPT18_ili26rocblas_geam_ex_operation_,comdat
	.globl	_ZN12_GLOBAL__N_120geam_min_plus_kernelIDF16_Dv2_DF16_S1_Li8ELi32ELi64ELi256ELi4ELi64ELi4ELi64ELi4ELc78ELc84ELb0ELb0ELb1EDF16_KPKDF16_KPDF16_EEviiiT16_PT17_ilS9_ilS7_S9_ilPT18_ili26rocblas_geam_ex_operation_ ; -- Begin function _ZN12_GLOBAL__N_120geam_min_plus_kernelIDF16_Dv2_DF16_S1_Li8ELi32ELi64ELi256ELi4ELi64ELi4ELi64ELi4ELc78ELc84ELb0ELb0ELb1EDF16_KPKDF16_KPDF16_EEviiiT16_PT17_ilS9_ilS7_S9_ilPT18_ili26rocblas_geam_ex_operation_
	.p2align	8
	.type	_ZN12_GLOBAL__N_120geam_min_plus_kernelIDF16_Dv2_DF16_S1_Li8ELi32ELi64ELi256ELi4ELi64ELi4ELi64ELi4ELc78ELc84ELb0ELb0ELb1EDF16_KPKDF16_KPDF16_EEviiiT16_PT17_ilS9_ilS7_S9_ilPT18_ili26rocblas_geam_ex_operation_,@function
_ZN12_GLOBAL__N_120geam_min_plus_kernelIDF16_Dv2_DF16_S1_Li8ELi32ELi64ELi256ELi4ELi64ELi4ELi64ELi4ELc78ELc84ELb0ELb0ELb1EDF16_KPKDF16_KPDF16_EEviiiT16_PT17_ilS9_ilS7_S9_ilPT18_ili26rocblas_geam_ex_operation_: ; @_ZN12_GLOBAL__N_120geam_min_plus_kernelIDF16_Dv2_DF16_S1_Li8ELi32ELi64ELi256ELi4ELi64ELi4ELi64ELi4ELc78ELc84ELb0ELb0ELb1EDF16_KPKDF16_KPDF16_EEviiiT16_PT17_ilS9_ilS7_S9_ilPT18_ili26rocblas_geam_ex_operation_
; %bb.0:
	s_clause 0x1
	s_load_dwordx2 s[14:15], s[4:5], 0x8
	s_load_dwordx4 s[8:11], s[4:5], 0x20
	s_mov_b32 s2, s7
	s_mov_b32 s3, 0
	s_waitcnt lgkmcnt(0)
	v_cmp_eq_f16_e64 s0, s15, 0
	s_and_b32 s1, exec_lo, s0
	s_mov_b32 vcc_lo, s1
	s_cbranch_vccnz .LBB221_3
; %bb.1:
	s_load_dwordx2 s[12:13], s[4:5], 0x10
	s_lshl_b64 s[16:17], s[2:3], 3
	s_waitcnt lgkmcnt(0)
	s_add_u32 s12, s12, s16
	s_addc_u32 s13, s13, s17
	s_lshl_b64 s[8:9], s[8:9], 1
	s_load_dwordx2 s[12:13], s[12:13], 0x0
	s_waitcnt lgkmcnt(0)
	s_add_u32 s16, s12, s8
	s_addc_u32 s17, s13, s9
	s_andn2_b32 vcc_lo, exec_lo, s0
	s_cbranch_vccnz .LBB221_4
.LBB221_2:
	s_mov_b32 s23, 0
	s_mov_b32 s22, s2
	;; [unrolled: 1-line block ×3, first 2 shown]
	s_mov_b64 s[12:13], 0
	s_andn2_b32 vcc_lo, exec_lo, s0
	s_mov_b64 s[18:19], 0
	s_cbranch_vccz .LBB221_5
	s_branch .LBB221_6
.LBB221_3:
	s_mov_b64 s[16:17], 0
	s_andn2_b32 vcc_lo, exec_lo, s0
	s_cbranch_vccz .LBB221_2
.LBB221_4:
	s_mov_b64 s[22:23], s[2:3]
	s_mov_b64 s[12:13], 0
	;; [unrolled: 1-line block ×3, first 2 shown]
.LBB221_5:
	s_lshl_b64 s[2:3], s[2:3], 3
	s_load_dwordx2 s[8:9], s[4:5], 0x38
	s_add_u32 s2, s10, s2
	s_addc_u32 s3, s11, s3
	s_load_dwordx2 s[2:3], s[2:3], 0x0
	s_waitcnt lgkmcnt(0)
	s_lshl_b64 s[8:9], s[8:9], 1
	s_add_u32 s18, s2, s8
	s_addc_u32 s19, s3, s9
.LBB221_6:
	s_clause 0x1
	s_load_dword s3, s[4:5], 0x40
	s_load_dwordx4 s[8:11], s[4:5], 0x58
	v_cmp_neq_f16_e64 s24, s15, 0
	s_waitcnt lgkmcnt(0)
	v_cmp_eq_f16_e64 s0, s3, 0
	s_and_b32 s0, exec_lo, s0
	s_mov_b32 vcc_lo, s0
	s_cbranch_vccnz .LBB221_8
; %bb.7:
	s_load_dwordx2 s[12:13], s[4:5], 0x48
	s_lshl_b64 s[20:21], s[22:23], 3
	s_waitcnt lgkmcnt(0)
	s_add_u32 s12, s12, s20
	s_addc_u32 s13, s13, s21
	s_lshl_b64 s[8:9], s[8:9], 1
	s_load_dwordx2 s[12:13], s[12:13], 0x0
	s_waitcnt lgkmcnt(0)
	s_add_u32 s12, s12, s8
	s_addc_u32 s13, s13, s9
.LBB221_8:
	s_clause 0x1
	s_load_dword s20, s[4:5], 0x18
	s_load_dword s2, s[4:5], 0x0
	s_lshl_b64 s[8:9], s[22:23], 3
	v_cndmask_b32_e64 v3, 0, 1, s24
	v_mov_b32_e32 v8, 0
	v_mov_b32_e32 v10, 0
	s_waitcnt lgkmcnt(0)
	s_ashr_i32 s21, s20, 31
	s_add_u32 s8, s10, s8
	s_addc_u32 s9, s11, s9
	s_add_i32 s2, s2, -1
	s_ashr_i32 s7, s2, 31
	s_lshr_b32 s7, s7, 26
	s_add_i32 s2, s2, s7
	s_ashr_i32 s2, s2, 6
	s_add_i32 s7, s2, 1
	s_not_b32 s2, s2
	v_cvt_f32_u32_e32 v2, s7
	v_rcp_iflag_f32_e32 v2, v2
	v_mul_f32_e32 v2, 0x4f7ffffe, v2
	v_cvt_u32_f32_e32 v2, v2
	v_readfirstlane_b32 s10, v2
	v_lshl_add_u32 v2, v1, 3, v0
	s_mul_i32 s2, s2, s10
	v_and_b32_e32 v6, 63, v2
	s_mul_hi_u32 s2, s10, s2
	v_lshrrev_b32_e32 v7, 6, v2
	s_add_i32 s10, s10, s2
	s_mul_hi_u32 s2, s6, s10
	s_mul_i32 s10, s2, s7
	s_add_i32 s11, s2, 1
	s_sub_i32 s10, s6, s10
	s_sub_i32 s22, s10, s7
	s_cmp_ge_u32 s10, s7
	s_cselect_b32 s2, s11, s2
	s_cselect_b32 s10, s22, s10
	s_add_i32 s11, s2, 1
	s_cmp_ge_u32 s10, s7
	s_cselect_b32 s11, s11, s2
	s_andn2_b32 vcc_lo, exec_lo, s24
	s_mul_i32 s7, s11, s7
	s_sub_i32 s2, s6, s7
	s_lshl_b32 s22, s2, 6
	v_cmp_ne_u32_e64 s2, 1, v3
	v_or_b32_e32 v4, s22, v6
	v_ashrrev_i32_e32 v5, 31, v4
	s_cbranch_vccnz .LBB221_10
; %bb.9:
	v_mad_i64_i32 v[2:3], null, s20, v7, 0
	v_lshlrev_b64 v[9:10], 1, v[4:5]
	v_lshlrev_b64 v[2:3], 1, v[2:3]
	v_add_co_u32 v2, vcc_lo, s16, v2
	v_add_co_ci_u32_e64 v3, null, s17, v3, vcc_lo
	v_add_co_u32 v2, vcc_lo, v2, v9
	v_add_co_ci_u32_e64 v3, null, v3, v10, vcc_lo
	flat_load_ushort v2, v[2:3]
	s_waitcnt vmcnt(0) lgkmcnt(0)
	v_mul_f16_e32 v10, s15, v2
.LBB221_10:
	s_load_dword s10, s[4:5], 0x30
	s_lshl_b32 s23, s11, 8
	s_waitcnt lgkmcnt(0)
	v_mad_i64_i32 v[2:3], null, v7, s10, 0
	v_lshlrev_b64 v[11:12], 1, v[2:3]
	v_or_b32_e32 v2, s23, v6
	v_ashrrev_i32_e32 v3, 31, v2
	v_add_co_u32 v11, vcc_lo, s18, v11
	v_add_co_ci_u32_e64 v12, null, s19, v12, vcc_lo
	s_and_b32 vcc_lo, exec_lo, s2
	s_cbranch_vccnz .LBB221_12
; %bb.11:
	v_lshlrev_b64 v[8:9], 1, v[2:3]
	v_add_co_u32 v8, vcc_lo, v11, v8
	v_add_co_ci_u32_e64 v9, null, v12, v9, vcc_lo
	s_clause 0x1
	flat_load_ushort v13, v[8:9]
	flat_load_ushort v8, v[8:9] offset:128
	s_waitcnt vmcnt(1) lgkmcnt(1)
	v_mul_f16_e32 v9, s15, v13
	s_waitcnt vmcnt(0) lgkmcnt(0)
	v_mul_f16_e32 v8, s15, v8
	v_pack_b32_f16 v9, v9, 0
	s_branch .LBB221_13
.LBB221_12:
	v_mov_b32_e32 v9, 0
.LBB221_13:
	v_mov_b32_e32 v13, 0
	v_perm_b32 v35, v8, v9, 0x5040100
	s_ashr_i32 s11, s10, 31
	s_mov_b32 vcc_lo, s1
	s_cbranch_vccz .LBB221_15
; %bb.14:
	v_and_b32_e32 v36, 0xffff0000, v13
	v_mov_b32_e32 v9, 0
	v_mov_b32_e32 v8, 0
	s_cbranch_execz .LBB221_16
	s_branch .LBB221_17
.LBB221_15:
	v_mov_b32_e32 v9, 0
	v_mov_b32_e32 v8, 0
.LBB221_16:
	v_lshlrev_b64 v[14:15], 1, v[2:3]
	v_add_co_u32 v11, vcc_lo, v11, v14
	v_add_co_ci_u32_e64 v12, null, v12, v15, vcc_lo
	s_clause 0x1
	flat_load_ushort v8, v[11:12] offset:256
	flat_load_ushort v11, v[11:12] offset:384
	s_waitcnt vmcnt(1) lgkmcnt(1)
	v_mul_f16_e32 v8, s15, v8
	v_bfi_b32 v36, 0xffff, v8, v13
	s_waitcnt vmcnt(0) lgkmcnt(0)
	v_mul_f16_e32 v8, s15, v11
.LBB221_17:
	v_add_nc_u32_e32 v11, 4, v7
	s_and_b32 vcc_lo, exec_lo, s2
	s_cbranch_vccnz .LBB221_19
; %bb.18:
	v_mad_i64_i32 v[12:13], null, s20, v11, 0
	v_lshlrev_b64 v[4:5], 1, v[4:5]
	v_lshlrev_b64 v[12:13], 1, v[12:13]
	v_add_co_u32 v9, vcc_lo, s16, v12
	v_add_co_ci_u32_e64 v12, null, s17, v13, vcc_lo
	v_add_co_u32 v4, vcc_lo, v9, v4
	v_add_co_ci_u32_e64 v5, null, v12, v5, vcc_lo
	flat_load_ushort v4, v[4:5]
	s_waitcnt vmcnt(0) lgkmcnt(0)
	v_mul_f16_e32 v9, s15, v4
.LBB221_19:
	v_mad_i64_i32 v[4:5], null, v11, s10, 0
	v_lshlrev_b64 v[11:12], 1, v[4:5]
	v_add_co_u32 v5, vcc_lo, s18, v11
	v_add_co_ci_u32_e64 v11, null, s19, v12, vcc_lo
	s_and_b32 vcc_lo, exec_lo, s2
	s_cbranch_vccnz .LBB221_22
; %bb.20:
	v_lshlrev_b64 v[12:13], 1, v[2:3]
	v_add_co_u32 v12, vcc_lo, v5, v12
	v_add_co_ci_u32_e64 v13, null, v11, v13, vcc_lo
	s_clause 0x1
	flat_load_ushort v4, v[12:13]
	flat_load_ushort v12, v[12:13] offset:128
	s_waitcnt vmcnt(1) lgkmcnt(1)
	v_mul_f16_e32 v13, s15, v4
	s_waitcnt vmcnt(0) lgkmcnt(0)
	v_mul_f16_e32 v4, s15, v12
	v_pack_b32_f16 v13, v13, 0
	v_mov_b32_e32 v12, 0
	v_perm_b32 v45, v4, v13, 0x5040100
	s_mov_b32 vcc_lo, s1
	s_cbranch_vccz .LBB221_23
.LBB221_21:
	v_and_b32_e32 v46, 0xffff0000, v12
	v_mov_b32_e32 v4, 0
	s_cbranch_execz .LBB221_24
	s_branch .LBB221_25
.LBB221_22:
	v_mov_b32_e32 v13, 0
	v_mov_b32_e32 v4, 0
	;; [unrolled: 1-line block ×3, first 2 shown]
	v_perm_b32 v45, v4, v13, 0x5040100
	s_mov_b32 vcc_lo, s1
	s_cbranch_vccnz .LBB221_21
.LBB221_23:
	v_mov_b32_e32 v4, 0
.LBB221_24:
	v_lshlrev_b64 v[2:3], 1, v[2:3]
	v_add_co_u32 v2, vcc_lo, v5, v2
	v_add_co_ci_u32_e64 v3, null, v11, v3, vcc_lo
	s_clause 0x1
	flat_load_ushort v4, v[2:3] offset:256
	flat_load_ushort v2, v[2:3] offset:384
	s_waitcnt vmcnt(1) lgkmcnt(1)
	v_mul_f16_e32 v3, s15, v4
	s_waitcnt vmcnt(0) lgkmcnt(0)
	v_mul_f16_e32 v4, s15, v2
	v_bfi_b32 v46, 0xffff, v3, v12
.LBB221_25:
	v_lshlrev_b32_e32 v2, 3, v6
	v_lshlrev_b32_e32 v85, 3, v0
	;; [unrolled: 1-line block ×3, first 2 shown]
	s_load_dwordx2 s[8:9], s[8:9], 0x0
	s_cmp_lt_i32 s14, 9
	v_lshl_add_u32 v93, v7, 1, v2
	v_add_nc_u32_e32 v2, 0x1000, v85
	ds_write_b16 v93, v10 offset:4096
	ds_write_b16 v93, v35
	ds_write_b16_d16_hi v93, v35 offset:512
	ds_write_b16 v93, v36 offset:1024
	ds_write_b16 v93, v8 offset:1536
	s_waitcnt lgkmcnt(0)
	s_barrier
	buffer_gl0_inv
	ds_read2_b64 v[10:13], v2 offset1:8
	ds_read2_b64 v[14:17], v86 offset1:32
	ds_read2_b64 v[18:21], v2 offset0:16 offset1:24
	ds_read2_b64 v[22:25], v2 offset0:32 offset1:40
	ds_read2_b64 v[26:29], v2 offset0:48 offset1:56
	ds_read2_b64 v[30:33], v86 offset0:64 offset1:96
	s_waitcnt lgkmcnt(4)
	v_pk_add_f16 v2, v10, v14
	v_pk_add_f16 v3, v12, v14
	s_waitcnt lgkmcnt(3)
	v_pk_add_f16 v5, v18, v14
	v_pk_add_f16 v34, v20, v14
	;; [unrolled: 3-line block ×4, first 2 shown]
	v_pk_add_f16 v41, v10, v16
	v_pk_add_f16 v42, v12, v16
	;; [unrolled: 1-line block ×24, first 2 shown]
	s_waitcnt lgkmcnt(0)
	v_pk_add_f16 v67, v10, v30
	v_pk_add_f16 v68, v12, v30
	;; [unrolled: 1-line block ×13, first 2 shown]
	ds_read2_b64 v[14:17], v86 offset0:128 offset1:160
	v_pk_add_f16 v80, v24, v32
	v_pk_add_f16 v81, v26, v32
	;; [unrolled: 1-line block ×19, first 2 shown]
	ds_read2_b64 v[30:33], v86 offset0:192 offset1:224
	v_pk_min_f16 v2, 0x7c00, v2 op_sel_hi:[0,1]
	v_pk_min_f16 v3, 0x7c00, v3 op_sel_hi:[0,1]
	;; [unrolled: 1-line block ×3, first 2 shown]
	s_waitcnt lgkmcnt(1)
	v_pk_add_f16 v123, v10, v14
	v_pk_add_f16 v126, v12, v14
	v_pk_min_f16 v125, v2, v51
	v_pk_min_f16 v124, v3, v52
	v_pk_min_f16 v119, v5, v53
	v_pk_min_f16 v2, 0x7c00, v37 op_sel_hi:[0,1]
	v_pk_min_f16 v3, 0x7c00, v38 op_sel_hi:[0,1]
	v_pk_min_f16 v5, 0x7c00, v39 op_sel_hi:[0,1]
	v_pk_add_f16 v127, v18, v14
	v_pk_add_f16 v128, v20, v14
	v_pk_min_f16 v111, v2, v55
	v_pk_min_f16 v110, v3, v56
	v_pk_min_f16 v109, v5, v57
	v_pk_min_f16 v2, 0x7c00, v42 op_sel_hi:[0,1]
	v_pk_min_f16 v3, 0x7c00, v43 op_sel_hi:[0,1]
	v_pk_min_f16 v5, 0x7c00, v44 op_sel_hi:[0,1]
	v_pk_add_f16 v129, v22, v14
	v_pk_add_f16 v130, v24, v14
	v_pk_min_f16 v106, v2, v60
	v_pk_min_f16 v105, v3, v61
	v_pk_min_f16 v104, v5, v62
	v_pk_min_f16 v2, 0x7c00, v49 op_sel_hi:[0,1]
	v_pk_min_f16 v3, 0x7c00, v50 op_sel_hi:[0,1]
	v_pk_min_f16 v5, 0x7c00, v67 op_sel_hi:[0,1]
	v_pk_add_f16 v131, v26, v14
	v_pk_add_f16 v14, v28, v14
	;; [unrolled: 1-line block ×26, first 2 shown]
	s_waitcnt lgkmcnt(0)
	v_pk_add_f16 v153, v10, v30
	v_pk_add_f16 v154, v12, v30
	;; [unrolled: 1-line block ×32, first 2 shown]
	v_pk_min_f16 v33, 0x7c00, v40 op_sel_hi:[0,1]
	v_pk_min_f16 v100, v2, v65
	v_pk_min_f16 v98, v3, v66
	;; [unrolled: 1-line block ×3, first 2 shown]
	v_pk_min_f16 v2, 0x7c00, v70 op_sel_hi:[0,1]
	v_pk_min_f16 v3, 0x7c00, v71 op_sel_hi:[0,1]
	;; [unrolled: 1-line block ×4, first 2 shown]
	v_pk_min_f16 v108, v33, v58
	v_pk_min_f16 v33, 0x7c00, v47 op_sel_hi:[0,1]
	v_pk_min_f16 v96, v2, v88
	v_pk_min_f16 v95, v3, v89
	v_pk_min_f16 v94, v5, v90
	v_pk_min_f16 v2, 0x7c00, v75 op_sel_hi:[0,1]
	v_pk_min_f16 v3, 0x7c00, v76 op_sel_hi:[0,1]
	v_pk_min_f16 v5, 0x7c00, v77 op_sel_hi:[0,1]
	v_pk_min_f16 v112, v34, v54
	v_pk_min_f16 v34, 0x7c00, v41 op_sel_hi:[0,1]
	v_pk_min_f16 v103, v33, v63
	v_pk_min_f16 v33, 0x7c00, v68 op_sel_hi:[0,1]
	v_pk_min_f16 v90, v2, v114
	v_pk_min_f16 v89, v3, v115
	v_pk_min_f16 v88, v5, v116
	v_pk_min_f16 v2, 0x7c00, v80 op_sel_hi:[0,1]
	v_pk_min_f16 v3, 0x7c00, v81 op_sel_hi:[0,1]
	v_pk_min_f16 v5, 0x7c00, v82 op_sel_hi:[0,1]
	v_pk_min_f16 v107, v34, v59
	v_pk_min_f16 v34, 0x7c00, v48 op_sel_hi:[0,1]
	;; [unrolled: 10-line block ×4, first 2 shown]
	v_pk_min_f16 v73, v2, v15
	v_pk_min_f16 v72, v3, v146
	;; [unrolled: 1-line block ×3, first 2 shown]
	v_pk_min_f16 v2, 0x7c00, v136 op_sel_hi:[0,1]
	v_pk_min_f16 v3, 0x7c00, v137 op_sel_hi:[0,1]
	;; [unrolled: 1-line block ×3, first 2 shown]
	v_pk_min_f16 v91, v34, v113
	v_pk_min_f16 v34, 0x7c00, v79 op_sel_hi:[0,1]
	v_pk_min_f16 v87, v33, v117
	v_pk_min_f16 v33, 0x7c00, v123 op_sel_hi:[0,1]
	v_pk_min_f16 v14, 0x7c00, v134 op_sel_hi:[0,1]
	v_pk_min_f16 v68, v2, v150
	v_pk_min_f16 v67, v3, v151
	;; [unrolled: 1-line block ×3, first 2 shown]
	v_pk_min_f16 v2, 0x7c00, v154 op_sel_hi:[0,1]
	v_pk_min_f16 v3, 0x7c00, v157 op_sel_hi:[0,1]
	;; [unrolled: 1-line block ×3, first 2 shown]
	v_pk_min_f16 v84, v34, v118
	v_pk_min_f16 v34, 0x7c00, v126 op_sel_hi:[0,1]
	v_pk_min_f16 v80, v33, v139
	v_pk_min_f16 v33, 0x7c00, v130 op_sel_hi:[0,1]
	;; [unrolled: 2-line block ×3, first 2 shown]
	v_pk_min_f16 v15, 0x7c00, v153 op_sel_hi:[0,1]
	v_pk_min_f16 v63, v2, v156
	v_pk_min_f16 v62, v3, v159
	;; [unrolled: 1-line block ×3, first 2 shown]
	v_pk_min_f16 v2, 0x7c00, v165 op_sel_hi:[0,1]
	v_pk_min_f16 v3, 0x7c00, v30 op_sel_hi:[0,1]
	;; [unrolled: 1-line block ×4, first 2 shown]
	v_pk_min_f16 v79, v34, v140
	v_pk_min_f16 v34, 0x7c00, v131 op_sel_hi:[0,1]
	v_pk_min_f16 v75, v33, v144
	v_pk_min_f16 v33, 0x7c00, v135 op_sel_hi:[0,1]
	v_pk_min_f16 v65, v14, v17
	v_pk_min_f16 v64, v15, v155
	v_pk_min_f16 v14, 0x7c00, v161 op_sel_hi:[0,1]
	v_pk_min_f16 v15, 0x7c00, v162 op_sel_hi:[0,1]
	;; [unrolled: 1-line block ×3, first 2 shown]
	v_pk_min_f16 v58, v2, v32
	v_pk_min_f16 v57, v3, v31
	;; [unrolled: 1-line block ×4, first 2 shown]
	v_pk_min_f16 v2, 0x7c00, v20 op_sel_hi:[0,1]
	v_pk_min_f16 v3, 0x7c00, v22 op_sel_hi:[0,1]
	;; [unrolled: 1-line block ×5, first 2 shown]
	v_pk_min_f16 v74, v34, v145
	v_pk_min_f16 v69, v33, v149
	v_pk_min_f16 v60, v14, v163
	v_pk_min_f16 v59, v15, v164
	v_pk_min_f16 v54, v12, v19
	v_pk_min_f16 v53, v2, v21
	v_pk_min_f16 v52, v3, v23
	v_pk_min_f16 v51, v5, v25
	v_pk_min_f16 v50, v10, v27
	v_pk_min_f16 v49, v11, v29
	ds_write_b16 v93, v9 offset:4608
	ds_write_b16 v93, v45 offset:2048
	ds_write_b16_d16_hi v93, v45 offset:2560
	ds_write_b16 v93, v46 offset:3072
	ds_write_b16 v93, v4 offset:3584
	s_waitcnt lgkmcnt(0)
	s_barrier
	buffer_gl0_inv
	s_cbranch_scc1 .LBB221_48
; %bb.26:
	v_add_nc_u32_e32 v11, 12, v7
	v_lshl_or_b32 v5, s6, 6, v6
	s_lshl_b32 s6, s7, 6
	v_perm_b32 v46, v4, v46, 0x5040100
	v_perm_b32 v36, v8, v36, 0x5040100
	v_mad_i64_i32 v[2:3], null, v11, s20, 0
	v_subrev_nc_u32_e32 v9, s6, v5
	v_or_b32_e32 v113, 0x1000, v93
	v_or_b32_e32 v114, 0x1000, v85
	v_add_nc_u32_e32 v115, 0x1200, v93
	v_or_b32_e32 v116, 0x800, v93
	v_ashrrev_i32_e32 v10, 31, v9
	v_lshlrev_b64 v[37:38], 1, v[2:3]
	v_add_nc_u32_e32 v2, s23, v6
	v_lshl_add_u32 v117, v0, 3, 0x1200
	v_lshl_or_b32 v118, v1, 3, 0x800
	v_lshlrev_b64 v[4:5], 1, v[9:10]
	v_add_nc_u32_e32 v10, 8, v7
	v_ashrrev_i32_e32 v3, 31, v2
	v_mad_i64_i32 v[6:7], null, v11, s10, 0
	s_add_i32 s14, s14, -8
	v_mad_i64_i32 v[8:9], null, v10, s20, 0
	v_mad_i64_i32 v[10:11], null, v10, s10, 0
	v_lshlrev_b64 v[2:3], 1, v[2:3]
	v_add_co_u32 v120, vcc_lo, s16, v4
	v_add_co_ci_u32_e64 v121, null, s17, v5, vcc_lo
	v_lshlrev_b64 v[39:40], 1, v[6:7]
	v_add_co_u32 v122, vcc_lo, s18, v2
	v_lshlrev_b64 v[41:42], 1, v[8:9]
	v_lshlrev_b64 v[43:44], 1, v[10:11]
	v_add_co_ci_u32_e64 v123, null, s19, v3, vcc_lo
	s_lshl_b64 s[6:7], s[20:21], 4
	s_lshl_b64 s[10:11], s[10:11], 4
	s_mov_b32 s16, 0
	s_and_b32 vcc_lo, exec_lo, s2
	s_cbranch_vccz .LBB221_29
	s_branch .LBB221_28
.LBB221_27:
	v_mov_b32_e32 v45, v47
	s_and_b32 vcc_lo, exec_lo, s2
	s_cbranch_vccz .LBB221_29
.LBB221_28:
	v_mov_b32_e32 v14, 0
	s_mov_b32 s17, -1
	s_mov_b32 vcc_lo, s1
                                        ; implicit-def: $vgpr2_vgpr3
	s_cbranch_vccnz .LBB221_30
	s_branch .LBB221_31
.LBB221_29:
	v_add_co_u32 v2, vcc_lo, v120, v41
	v_add_co_ci_u32_e64 v3, null, v121, v42, vcc_lo
	flat_load_ushort v2, v[2:3]
	s_waitcnt vmcnt(0) lgkmcnt(0)
	v_mul_f16_e32 v14, s15, v2
	s_mov_b32 s17, -1
	s_mov_b32 vcc_lo, s1
                                        ; implicit-def: $vgpr2_vgpr3
	s_cbranch_vccz .LBB221_31
.LBB221_30:
	v_and_b32_e32 v2, 0xffff0000, v35
	v_mov_b32_e32 v3, v36
	s_mov_b32 s17, 0
.LBB221_31:
	v_mov_b32_e32 v4, 0
	s_andn2_b32 vcc_lo, exec_lo, s17
	s_cbranch_vccnz .LBB221_39
; %bb.32:
	v_add_co_u32 v2, vcc_lo, v122, v43
	v_add_co_ci_u32_e64 v3, null, v123, v44, vcc_lo
	s_clause 0x1
	flat_load_ushort v4, v[2:3]
	flat_load_ushort v2, v[2:3] offset:128
	s_waitcnt vmcnt(1) lgkmcnt(1)
	v_mul_f16_e32 v3, s15, v4
	s_waitcnt vmcnt(0) lgkmcnt(0)
	v_mul_f16_e32 v4, s15, v2
	v_bfi_b32 v35, 0xffff, v3, v35
	v_mov_b32_e32 v2, v35
	v_mov_b32_e32 v3, v36
	v_perm_b32 v35, v4, v2, 0x5040100
	s_mov_b32 s17, -1
	s_mov_b32 vcc_lo, s1
	s_cbranch_vccnz .LBB221_40
.LBB221_33:
	v_mov_b32_e32 v126, 0
	v_mov_b32_e32 v129, 0
	s_andn2_b32 vcc_lo, exec_lo, s17
	s_cbranch_vccnz .LBB221_35
.LBB221_34:
	v_add_co_u32 v4, vcc_lo, v122, v43
	v_add_co_ci_u32_e64 v5, null, v123, v44, vcc_lo
	s_clause 0x1
	flat_load_ushort v2, v[4:5] offset:256
	flat_load_ushort v4, v[4:5] offset:384
	s_waitcnt vmcnt(1) lgkmcnt(1)
	v_mul_f16_e32 v2, s15, v2
	s_waitcnt vmcnt(0) lgkmcnt(0)
	v_mul_f16_e32 v129, s15, v4
	v_bfi_b32 v36, 0xffff, v2, v3
.LBB221_35:
	ds_read2_b64 v[2:5], v117 offset1:8
	ds_read2_b64 v[15:18], v117 offset0:16 offset1:24
	ds_read2_b64 v[19:22], v117 offset0:32 offset1:40
	;; [unrolled: 1-line block ×3, first 2 shown]
	ds_read2_b64 v[31:34], v118 offset1:32
	ds_read2_b64 v[10:13], v118 offset0:64 offset1:96
	ds_read2_b64 v[6:9], v118 offset0:128 offset1:160
	;; [unrolled: 1-line block ×3, first 2 shown]
	s_and_b32 vcc_lo, exec_lo, s2
	ds_write_b16 v113, v14
	ds_write_b16 v93, v35
	ds_write_b16_d16_hi v93, v35 offset:512
	ds_write_b16 v93, v36 offset:1024
	ds_write_b16 v93, v129 offset:1536
	s_waitcnt lgkmcnt(0)
	s_barrier
	buffer_gl0_inv
	s_cbranch_vccnz .LBB221_37
; %bb.36:
	v_add_co_u32 v47, vcc_lo, v120, v37
	v_add_co_ci_u32_e64 v48, null, v121, v38, vcc_lo
	flat_load_ushort v14, v[47:48]
	s_waitcnt vmcnt(0) lgkmcnt(0)
	v_mul_f16_e32 v126, s15, v14
.LBB221_37:
	s_mov_b32 s17, -1
	s_mov_b32 vcc_lo, s1
                                        ; implicit-def: $vgpr47_vgpr48
	s_cbranch_vccz .LBB221_41
; %bb.38:
	v_and_b32_e32 v47, 0xffff0000, v45
	v_mov_b32_e32 v48, v46
	v_mov_b32_e32 v14, 0
	s_cbranch_execnz .LBB221_43
	s_branch .LBB221_42
.LBB221_39:
	v_perm_b32 v35, v4, v2, 0x5040100
	s_mov_b32 s17, -1
	s_mov_b32 vcc_lo, s1
	s_cbranch_vccz .LBB221_33
.LBB221_40:
	v_and_b32_e32 v36, 0xffff0000, v3
	v_mov_b32_e32 v126, 0
	v_mov_b32_e32 v129, 0
	s_cbranch_execz .LBB221_34
	s_branch .LBB221_35
.LBB221_41:
	v_mov_b32_e32 v14, 0
	s_andn2_b32 vcc_lo, exec_lo, s17
	s_cbranch_vccnz .LBB221_43
.LBB221_42:
	v_add_co_u32 v47, vcc_lo, v122, v39
	v_add_co_ci_u32_e64 v48, null, v123, v40, vcc_lo
	s_clause 0x1
	flat_load_ushort v14, v[47:48]
	flat_load_ushort v47, v[47:48] offset:128
	s_waitcnt vmcnt(1) lgkmcnt(1)
	v_mul_f16_e32 v14, s15, v14
	v_bfi_b32 v45, 0xffff, v14, v45
	s_waitcnt vmcnt(0) lgkmcnt(0)
	v_mul_f16_e32 v14, s15, v47
	v_mov_b32_e32 v48, v46
	v_mov_b32_e32 v47, v45
.LBB221_43:
	v_perm_b32 v47, v14, v47, 0x5040100
	s_mov_b32 s17, -1
	s_mov_b32 vcc_lo, s1
                                        ; implicit-def: $vgpr127
	s_cbranch_vccz .LBB221_45
; %bb.44:
	v_and_b32_e32 v127, 0xffff0000, v48
	v_mov_b32_e32 v128, 0
	s_cbranch_execz .LBB221_46
	s_branch .LBB221_47
.LBB221_45:
	v_mov_b32_e32 v128, 0
	s_andn2_b32 vcc_lo, exec_lo, s17
	s_cbranch_vccnz .LBB221_47
.LBB221_46:
	v_add_co_u32 v45, vcc_lo, v122, v39
	v_add_co_ci_u32_e64 v46, null, v123, v40, vcc_lo
	s_clause 0x1
	flat_load_ushort v14, v[45:46] offset:256
	flat_load_ushort v45, v[45:46] offset:384
	s_waitcnt vmcnt(1) lgkmcnt(1)
	v_mul_f16_e32 v14, s15, v14
	s_waitcnt vmcnt(0) lgkmcnt(0)
	v_mul_f16_e32 v128, s15, v45
	v_bfi_b32 v127, 0xffff, v14, v48
.LBB221_47:
	v_pk_add_f16 v14, v2, v31
	v_pk_max_f16 v45, v125, v125
	v_pk_add_f16 v46, v4, v31
	v_pk_max_f16 v48, v124, v124
	;; [unrolled: 2-line block ×3, first 2 shown]
	v_pk_min_f16 v14, v45, v14
	v_pk_max_f16 v45, v119, v119
	v_pk_add_f16 v119, v17, v31
	v_pk_add_f16 v125, v19, v31
	v_pk_max_f16 v111, v111, v111
	v_pk_add_f16 v130, v21, v31
	v_pk_min_f16 v46, v48, v46
	v_pk_min_f16 v45, v45, v124
	;; [unrolled: 1-line block ×3, first 2 shown]
	v_pk_add_f16 v112, v23, v31
	v_pk_max_f16 v109, v109, v109
	v_pk_add_f16 v31, v25, v31
	v_pk_max_f16 v108, v108, v108
	;; [unrolled: 2-line block ×4, first 2 shown]
	v_pk_min_f16 v111, v111, v125
	v_pk_add_f16 v125, v15, v33
	v_pk_min_f16 v109, v109, v112
	v_pk_min_f16 v31, v108, v31
	;; [unrolled: 1-line block ×4, first 2 shown]
	v_pk_add_f16 v108, v17, v33
	v_pk_max_f16 v104, v104, v104
	v_pk_add_f16 v112, v19, v33
	v_pk_add_f16 v119, v21, v33
	;; [unrolled: 1-line block ×4, first 2 shown]
	v_pk_max_f16 v98, v98, v98
	v_pk_max_f16 v103, v103, v103
	;; [unrolled: 1-line block ×4, first 2 shown]
	v_pk_min_f16 v104, v104, v108
	v_pk_min_f16 v33, v98, v33
	v_pk_add_f16 v98, v2, v10
	v_pk_max_f16 v101, v101, v101
	v_pk_add_f16 v108, v4, v10
	v_pk_max_f16 v99, v99, v99
	v_pk_min_f16 v103, v103, v112
	v_pk_min_f16 v102, v102, v119
	;; [unrolled: 1-line block ×3, first 2 shown]
	v_pk_add_f16 v112, v15, v10
	v_pk_max_f16 v97, v97, v97
	v_pk_add_f16 v119, v17, v10
	v_pk_max_f16 v96, v96, v96
	v_pk_add_f16 v124, v19, v10
	v_pk_min_f16 v98, v101, v98
	v_pk_min_f16 v99, v99, v108
	v_pk_add_f16 v101, v21, v10
	v_pk_max_f16 v94, v94, v94
	v_pk_add_f16 v108, v23, v10
	v_pk_max_f16 v92, v92, v92
	;; [unrolled: 2-line block ×3, first 2 shown]
	v_pk_min_f16 v97, v97, v112
	v_pk_min_f16 v96, v96, v119
	v_pk_add_f16 v112, v2, v12
	v_pk_max_f16 v90, v90, v90
	v_pk_add_f16 v119, v4, v12
	v_pk_max_f16 v89, v89, v89
	v_pk_min_f16 v94, v94, v101
	v_pk_min_f16 v92, v92, v108
	;; [unrolled: 1-line block ×3, first 2 shown]
	v_pk_add_f16 v91, v15, v12
	v_pk_max_f16 v88, v88, v88
	v_pk_add_f16 v101, v17, v12
	v_pk_max_f16 v87, v87, v87
	;; [unrolled: 2-line block ×3, first 2 shown]
	v_pk_min_f16 v90, v90, v112
	v_pk_min_f16 v89, v89, v119
	v_pk_add_f16 v112, v21, v12
	v_pk_max_f16 v83, v83, v83
	v_pk_add_f16 v119, v23, v12
	v_pk_min_f16 v88, v88, v91
	v_pk_min_f16 v87, v87, v101
	;; [unrolled: 1-line block ×3, first 2 shown]
	v_pk_add_f16 v12, v25, v12
	v_pk_max_f16 v81, v81, v81
	v_pk_add_f16 v91, v2, v6
	v_pk_max_f16 v80, v80, v80
	;; [unrolled: 2-line block ×4, first 2 shown]
	v_pk_min_f16 v83, v83, v112
	v_pk_add_f16 v112, v17, v6
	v_pk_min_f16 v12, v81, v12
	v_pk_min_f16 v80, v80, v91
	;; [unrolled: 1-line block ×4, first 2 shown]
	v_pk_add_f16 v81, v19, v6
	v_pk_max_f16 v76, v76, v76
	v_pk_add_f16 v91, v21, v6
	v_pk_max_f16 v75, v75, v75
	v_pk_add_f16 v101, v23, v6
	v_pk_max_f16 v74, v74, v74
	v_pk_add_f16 v6, v25, v6
	v_pk_max_f16 v73, v73, v73
	v_pk_add_f16 v108, v2, v8
	v_pk_max_f16 v72, v72, v72
	v_pk_max_f16 v105, v105, v105
	v_pk_max_f16 v95, v95, v95
	;; [unrolled: 1-line block ×3, first 2 shown]
	v_pk_min_f16 v76, v76, v81
	v_pk_min_f16 v81, v75, v91
	v_pk_min_f16 v91, v74, v101
	v_pk_min_f16 v6, v73, v6
	v_pk_min_f16 v101, v72, v108
	v_pk_add_f16 v73, v15, v8
	v_pk_max_f16 v70, v70, v70
	v_pk_add_f16 v74, v17, v8
	v_pk_max_f16 v69, v69, v69
	;; [unrolled: 2-line block ×4, first 2 shown]
	v_pk_min_f16 v105, v105, v125
	v_pk_min_f16 v95, v95, v124
	;; [unrolled: 1-line block ×3, first 2 shown]
	v_pk_add_f16 v72, v4, v8
	v_pk_min_f16 v119, v70, v73
	v_pk_min_f16 v124, v69, v74
	;; [unrolled: 1-line block ×4, first 2 shown]
	v_pk_add_f16 v67, v23, v8
	v_pk_add_f16 v8, v25, v8
	v_pk_max_f16 v65, v65, v65
	v_pk_add_f16 v68, v2, v27
	v_pk_max_f16 v64, v64, v64
	;; [unrolled: 2-line block ×4, first 2 shown]
	v_pk_min_f16 v8, v65, v8
	v_pk_min_f16 v131, v64, v68
	;; [unrolled: 1-line block ×3, first 2 shown]
	v_pk_add_f16 v63, v19, v27
	v_pk_min_f16 v133, v62, v70
	v_pk_add_f16 v62, v17, v27
	v_pk_add_f16 v64, v21, v27
	;; [unrolled: 1-line block ×4, first 2 shown]
	v_pk_max_f16 v57, v57, v57
	v_pk_add_f16 v2, v2, v29
	v_pk_add_f16 v15, v15, v29
	v_pk_max_f16 v54, v54, v54
	v_pk_add_f16 v17, v17, v29
	v_pk_min_f16 v138, v57, v27
	v_pk_max_f16 v27, v56, v56
	v_pk_max_f16 v53, v53, v53
	v_pk_min_f16 v139, v54, v15
	v_pk_add_f16 v15, v21, v29
	v_pk_add_f16 v19, v19, v29
	v_pk_min_f16 v2, v27, v2
	v_pk_min_f16 v140, v53, v17
	v_pk_max_f16 v17, v51, v51
	v_pk_add_f16 v27, v3, v32
	v_pk_max_f16 v52, v52, v52
	v_pk_max_f16 v110, v110, v110
	;; [unrolled: 1-line block ×3, first 2 shown]
	v_pk_min_f16 v142, v17, v15
	v_pk_add_f16 v15, v5, v32
	v_pk_min_f16 v145, v14, v27
	v_pk_add_f16 v14, v16, v32
	;; [unrolled: 2-line block ×5, first 2 shown]
	v_pk_min_f16 v110, v110, v130
	v_pk_min_f16 v143, v21, v19
	;; [unrolled: 1-line block ×3, first 2 shown]
	v_pk_add_f16 v15, v26, v32
	v_pk_min_f16 v109, v109, v14
	v_pk_add_f16 v14, v3, v34
	v_pk_add_f16 v17, v20, v32
	;; [unrolled: 1-line block ×3, first 2 shown]
	v_pk_min_f16 v149, v31, v15
	v_pk_add_f16 v15, v18, v34
	v_pk_min_f16 v107, v107, v14
	v_pk_add_f16 v14, v20, v34
	v_pk_min_f16 v111, v111, v17
	v_pk_min_f16 v110, v110, v19
	v_pk_add_f16 v17, v5, v34
	v_pk_add_f16 v19, v16, v34
	v_pk_min_f16 v104, v104, v15
	v_pk_add_f16 v15, v22, v34
	v_pk_min_f16 v103, v103, v14
	;; [unrolled: 2-line block ×3, first 2 shown]
	v_pk_min_f16 v105, v105, v19
	v_pk_add_f16 v17, v24, v34
	v_pk_add_f16 v19, v26, v34
	v_pk_min_f16 v102, v102, v15
	v_pk_add_f16 v15, v5, v11
	v_pk_min_f16 v98, v98, v14
	v_pk_add_f16 v14, v16, v11
	v_pk_max_f16 v77, v77, v77
	v_pk_max_f16 v71, v71, v71
	v_pk_min_f16 v100, v100, v17
	v_pk_min_f16 v150, v33, v19
	v_pk_add_f16 v17, v18, v11
	v_pk_add_f16 v19, v20, v11
	v_pk_min_f16 v99, v99, v15
	v_pk_add_f16 v15, v22, v11
	v_pk_min_f16 v75, v97, v14
	v_pk_add_f16 v14, v24, v11
	v_pk_add_f16 v11, v26, v11
	v_pk_min_f16 v77, v77, v112
	v_pk_min_f16 v112, v71, v72
	v_pk_max_f16 v61, v61, v61
	v_pk_max_f16 v60, v60, v60
	v_pk_min_f16 v71, v10, v11
	v_pk_add_f16 v10, v18, v13
	v_pk_max_f16 v58, v58, v58
	v_pk_min_f16 v134, v61, v62
	v_pk_add_f16 v11, v20, v13
	v_pk_min_f16 v135, v60, v63
	v_pk_min_f16 v68, v87, v10
	v_pk_add_f16 v10, v26, v13
	v_pk_min_f16 v137, v58, v65
	v_pk_min_f16 v65, v84, v11
	v_pk_add_f16 v11, v3, v7
	v_pk_max_f16 v66, v66, v66
	v_pk_min_f16 v61, v12, v10
	v_pk_add_f16 v10, v5, v7
	v_pk_add_f16 v4, v4, v29
	v_pk_max_f16 v55, v55, v55
	v_pk_min_f16 v72, v94, v15
	v_pk_add_f16 v15, v3, v13
	v_pk_min_f16 v60, v79, v10
	v_pk_add_f16 v10, v22, v7
	v_pk_min_f16 v70, v92, v14
	v_pk_add_f16 v14, v16, v13
	v_pk_min_f16 v62, v80, v11
	v_pk_add_f16 v11, v20, v7
	v_pk_min_f16 v57, v81, v10
	v_pk_add_f16 v10, v5, v9
	v_pk_min_f16 v130, v66, v67
	v_pk_max_f16 v59, v59, v59
	v_pk_min_f16 v4, v55, v4
	v_pk_min_f16 v74, v96, v17
	v_pk_add_f16 v17, v5, v13
	v_pk_min_f16 v69, v90, v15
	v_pk_min_f16 v67, v88, v14
	v_pk_add_f16 v14, v22, v13
	v_pk_add_f16 v15, v24, v13
	;; [unrolled: 1-line block ×4, first 2 shown]
	v_pk_min_f16 v55, v76, v11
	v_pk_add_f16 v11, v24, v7
	v_pk_add_f16 v7, v26, v7
	v_pk_min_f16 v51, v112, v10
	v_pk_add_f16 v10, v20, v9
	v_pk_min_f16 v136, v59, v64
	v_pk_add_f16 v23, v25, v29
	v_pk_max_f16 v25, v49, v49
	v_pk_min_f16 v59, v78, v12
	v_pk_add_f16 v12, v3, v9
	v_pk_min_f16 v56, v91, v11
	v_pk_min_f16 v54, v6, v7
	v_pk_add_f16 v6, v16, v9
	v_pk_add_f16 v7, v18, v9
	;; [unrolled: 1-line block ×3, first 2 shown]
	v_pk_min_f16 v49, v125, v10
	v_pk_add_f16 v10, v16, v28
	v_pk_min_f16 v58, v77, v13
	v_pk_min_f16 v52, v101, v12
	;; [unrolled: 1-line block ×3, first 2 shown]
	v_pk_add_f16 v6, v24, v9
	v_pk_min_f16 v50, v124, v7
	v_pk_min_f16 v48, v108, v11
	v_pk_add_f16 v7, v26, v9
	v_pk_min_f16 v29, v133, v10
	ds_read2_b64 v[10:13], v114 offset1:8
	ds_read2_b64 v[76:79], v86 offset1:32
	v_pk_min_f16 v46, v130, v6
	v_pk_add_f16 v6, v3, v28
	v_pk_add_f16 v9, v5, v28
	v_pk_min_f16 v45, v8, v7
	v_pk_add_f16 v7, v18, v28
	v_pk_min_f16 v144, v25, v23
	v_pk_min_f16 v66, v89, v17
	;; [unrolled: 1-line block ×6, first 2 shown]
	v_pk_add_f16 v6, v20, v28
	v_pk_min_f16 v25, v134, v7
	v_pk_add_f16 v7, v22, v28
	v_pk_add_f16 v8, v24, v28
	;; [unrolled: 1-line block ×4, first 2 shown]
	ds_read2_b64 v[14:17], v114 offset0:16 offset1:24
	v_pk_add_f16 v3, v3, v30
	v_pk_add_f16 v5, v5, v30
	;; [unrolled: 1-line block ×7, first 2 shown]
	v_pk_min_f16 v73, v95, v19
	v_pk_min_f16 v27, v135, v6
	;; [unrolled: 1-line block ×5, first 2 shown]
	ds_read2_b64 v[6:9], v114 offset0:32 offset1:40
	v_pk_min_f16 v26, v140, v18
	v_pk_min_f16 v18, v144, v30
	s_waitcnt lgkmcnt(2)
	v_pk_add_f16 v30, v10, v76
	v_pk_max_f16 v101, v145, v145
	v_pk_min_f16 v33, v2, v3
	v_pk_min_f16 v32, v4, v5
	ds_read2_b64 v[2:5], v114 offset0:48 offset1:56
	v_pk_add_f16 v108, v11, v77
	v_pk_min_f16 v30, v101, v30
	s_waitcnt lgkmcnt(2)
	v_pk_add_f16 v87, v14, v76
	v_pk_add_f16 v84, v12, v76
	;; [unrolled: 1-line block ×3, first 2 shown]
	v_pk_max_f16 v119, v146, v146
	v_pk_min_f16 v125, v30, v108
	v_pk_max_f16 v30, v147, v147
	v_pk_min_f16 v24, v141, v20
	v_pk_min_f16 v20, v143, v80
	;; [unrolled: 1-line block ×3, first 2 shown]
	ds_read2_b64 v[80:83], v86 offset0:64 offset1:96
	v_pk_min_f16 v30, v30, v87
	s_waitcnt lgkmcnt(2)
	v_pk_add_f16 v89, v6, v76
	v_pk_add_f16 v88, v16, v76
	;; [unrolled: 1-line block ×4, first 2 shown]
	v_pk_min_f16 v119, v30, v112
	v_pk_max_f16 v30, v111, v111
	s_waitcnt lgkmcnt(1)
	v_pk_add_f16 v91, v2, v76
	v_pk_add_f16 v138, v3, v77
	v_pk_add_f16 v76, v4, v76
	v_pk_max_f16 v108, v148, v148
	v_pk_min_f16 v30, v30, v89
	v_pk_max_f16 v89, v109, v109
	v_pk_add_f16 v95, v14, v78
	v_pk_add_f16 v101, v13, v77
	v_pk_add_f16 v135, v17, v77
	v_pk_add_f16 v136, v7, v77
	v_pk_min_f16 v89, v89, v91
	v_pk_max_f16 v91, v149, v149
	v_pk_add_f16 v137, v9, v77
	v_pk_add_f16 v77, v5, v77
	v_pk_min_f16 v88, v108, v88
	v_pk_min_f16 v109, v89, v138
	v_pk_max_f16 v89, v107, v107
	v_pk_min_f16 v76, v91, v76
	v_perm_b32 v36, v129, v36, 0x5040100
	v_pk_add_f16 v94, v12, v78
	v_pk_add_f16 v96, v16, v78
	v_pk_min_f16 v89, v89, v92
	v_pk_max_f16 v92, v105, v105
	v_pk_add_f16 v141, v15, v79
	ds_read2_b64 v[129:132], v86 offset0:128 offset1:160
	v_pk_min_f16 v124, v84, v101
	v_pk_min_f16 v112, v88, v135
	v_pk_max_f16 v88, v110, v110
	v_pk_max_f16 v101, v106, v106
	v_pk_min_f16 v108, v76, v77
	v_pk_max_f16 v76, v104, v104
	v_pk_min_f16 v77, v92, v95
	v_pk_min_f16 v22, v142, v22
	v_pk_add_f16 v134, v2, v78
	v_pk_add_f16 v140, v13, v79
	;; [unrolled: 1-line block ×3, first 2 shown]
	v_pk_min_f16 v88, v88, v90
	v_pk_min_f16 v91, v101, v94
	;; [unrolled: 1-line block ×4, first 2 shown]
	v_pk_max_f16 v77, v100, v100
	v_pk_min_f16 v28, v139, v28
	v_pk_add_f16 v97, v6, v78
	v_pk_add_f16 v133, v8, v78
	;; [unrolled: 1-line block ×5, first 2 shown]
	s_waitcnt lgkmcnt(1)
	v_pk_add_f16 v90, v10, v82
	v_pk_min_f16 v111, v30, v136
	v_pk_add_f16 v30, v12, v82
	v_pk_add_f16 v153, v14, v82
	v_pk_min_f16 v110, v88, v137
	v_pk_add_f16 v88, v16, v82
	v_pk_add_f16 v137, v6, v82
	;; [unrolled: 1-line block ×5, first 2 shown]
	v_pk_min_f16 v106, v91, v140
	v_pk_max_f16 v82, v103, v103
	v_pk_max_f16 v91, v150, v150
	v_pk_min_f16 v104, v76, v142
	v_pk_min_f16 v76, v77, v134
	v_pk_add_f16 v143, v7, v79
	v_pk_add_f16 v144, v9, v79
	;; [unrolled: 1-line block ×6, first 2 shown]
	v_pk_min_f16 v107, v89, v139
	v_pk_max_f16 v89, v102, v102
	v_pk_min_f16 v82, v82, v97
	v_pk_min_f16 v77, v91, v78
	v_pk_max_f16 v78, v98, v98
	v_pk_min_f16 v100, v76, v145
	v_pk_max_f16 v76, v99, v99
	v_pk_max_f16 v75, v75, v75
	;; [unrolled: 1-line block ×3, first 2 shown]
	v_pk_add_f16 v84, v16, v80
	v_pk_add_f16 v148, v6, v80
	;; [unrolled: 1-line block ×5, first 2 shown]
	v_pk_min_f16 v89, v89, v133
	v_pk_min_f16 v103, v82, v143
	;; [unrolled: 1-line block ×3, first 2 shown]
	v_pk_add_f16 v77, v11, v81
	v_pk_min_f16 v78, v78, v146
	v_pk_add_f16 v82, v15, v81
	v_pk_add_f16 v146, v3, v83
	ds_read2_b64 v[133:136], v86 offset0:192 offset1:224
	v_pk_min_f16 v76, v76, v147
	s_waitcnt lgkmcnt(1)
	v_pk_add_f16 v147, v10, v129
	v_pk_min_f16 v75, v75, v87
	v_pk_max_f16 v73, v73, v73
	v_pk_max_f16 v71, v71, v71
	v_pk_min_f16 v63, v63, v149
	v_pk_max_f16 v61, v61, v61
	v_pk_max_f16 v62, v62, v62
	v_pk_min_f16 v102, v89, v144
	v_pk_add_f16 v79, v13, v81
	v_pk_add_f16 v89, v17, v81
	;; [unrolled: 1-line block ×7, first 2 shown]
	v_pk_min_f16 v101, v78, v77
	v_pk_add_f16 v78, v14, v129
	v_pk_max_f16 v74, v74, v74
	v_pk_min_f16 v97, v75, v82
	v_pk_max_f16 v72, v72, v72
	v_pk_min_f16 v73, v73, v148
	v_pk_add_f16 v148, v2, v129
	v_pk_min_f16 v71, v71, v80
	v_pk_min_f16 v82, v63, v146
	;; [unrolled: 1-line block ×3, first 2 shown]
	v_pk_max_f16 v59, v59, v59
	v_pk_min_f16 v62, v62, v147
	v_pk_add_f16 v63, v11, v130
	v_pk_max_f16 v56, v56, v56
	v_pk_min_f16 v74, v74, v84
	v_pk_add_f16 v155, v8, v129
	v_pk_min_f16 v72, v72, v151
	v_pk_add_f16 v151, v10, v131
	v_pk_min_f16 v95, v73, v91
	v_pk_min_f16 v91, v71, v81
	;; [unrolled: 1-line block ×4, first 2 shown]
	v_pk_add_f16 v61, v15, v130
	v_pk_min_f16 v80, v62, v63
	v_pk_max_f16 v57, v57, v57
	v_pk_add_f16 v62, v3, v130
	v_pk_min_f16 v56, v56, v148
	v_pk_max_f16 v52, v52, v52
	;; [unrolled: 3-line block ×3, first 2 shown]
	v_pk_add_f16 v73, v12, v131
	v_pk_min_f16 v94, v72, v92
	v_pk_add_f16 v72, v14, v131
	v_pk_add_f16 v156, v6, v131
	v_pk_max_f16 v66, v66, v66
	v_pk_max_f16 v67, v67, v67
	v_pk_min_f16 v78, v59, v61
	v_pk_max_f16 v55, v55, v55
	v_pk_add_f16 v61, v9, v130
	v_pk_min_f16 v57, v57, v155
	v_pk_min_f16 v74, v56, v62
	v_pk_max_f16 v51, v51, v51
	v_pk_add_f16 v56, v11, v132
	v_pk_max_f16 v53, v53, v53
	v_pk_min_f16 v52, v52, v151
	v_pk_max_f16 v49, v49, v49
	v_pk_add_f16 v142, v15, v83
	v_pk_min_f16 v99, v76, v79
	v_pk_add_f16 v76, v16, v129
	v_pk_min_f16 v70, v70, v152
	v_pk_add_f16 v152, v16, v131
	v_pk_max_f16 v69, v69, v69
	v_pk_min_f16 v30, v66, v30
	s_waitcnt lgkmcnt(0)
	v_pk_add_f16 v158, v12, v133
	v_pk_max_f16 v66, v68, v68
	v_pk_min_f16 v67, v67, v153
	v_pk_max_f16 v64, v64, v64
	v_pk_max_f16 v58, v58, v58
	v_pk_min_f16 v55, v55, v75
	v_pk_min_f16 v75, v57, v61
	v_pk_add_f16 v57, v13, v132
	v_pk_min_f16 v51, v51, v73
	v_pk_min_f16 v53, v53, v72
	v_pk_min_f16 v72, v52, v56
	v_pk_max_f16 v50, v50, v50
	v_pk_add_f16 v52, v7, v132
	v_pk_min_f16 v49, v49, v156
	v_pk_max_f16 v31, v31, v31
	v_pk_add_f16 v140, v11, v83
	v_pk_add_f16 v141, v13, v83
	v_pk_add_f16 v145, v9, v83
	v_pk_add_f16 v77, v12, v129
	v_pk_min_f16 v69, v69, v90
	v_pk_add_f16 v153, v14, v133
	v_pk_min_f16 v66, v66, v88
	v_pk_min_f16 v88, v67, v142
	v_pk_add_f16 v142, v8, v133
	v_pk_min_f16 v64, v64, v138
	v_pk_max_f16 v60, v60, v60
	v_pk_add_f16 v59, v17, v130
	v_pk_min_f16 v58, v58, v76
	v_pk_min_f16 v71, v51, v57
	v_pk_add_f16 v51, v17, v132
	v_pk_min_f16 v50, v50, v152
	v_pk_min_f16 v68, v49, v52
	v_pk_max_f16 v29, v29, v29
	v_pk_add_f16 v49, v13, v134
	v_pk_min_f16 v31, v31, v158
	v_pk_max_f16 v23, v23, v23
	v_pk_add_f16 v143, v17, v83
	v_pk_add_f16 v144, v7, v83
	v_pk_min_f16 v92, v70, v139
	v_pk_add_f16 v139, v8, v131
	v_pk_min_f16 v90, v69, v140
	v_pk_min_f16 v89, v30, v141
	v_pk_add_f16 v30, v16, v133
	v_pk_add_f16 v141, v6, v133
	v_pk_min_f16 v83, v64, v145
	v_pk_min_f16 v60, v60, v77
	v_pk_add_f16 v64, v13, v130
	v_pk_min_f16 v77, v58, v59
	v_pk_add_f16 v58, v15, v132
	v_pk_max_f16 v48, v48, v48
	v_pk_min_f16 v69, v50, v51
	v_pk_add_f16 v50, v15, v134
	v_pk_min_f16 v29, v29, v153
	v_pk_max_f16 v25, v25, v25
	v_pk_min_f16 v63, v31, v49
	v_pk_max_f16 v27, v27, v27
	v_pk_add_f16 v31, v9, v134
	v_pk_min_f16 v23, v23, v142
	v_pk_add_f16 v129, v4, v129
	v_pk_add_f16 v140, v10, v133
	;; [unrolled: 1-line block ×3, first 2 shown]
	v_pk_min_f16 v79, v60, v64
	v_pk_add_f16 v60, v7, v130
	v_pk_max_f16 v54, v54, v54
	v_pk_min_f16 v70, v53, v58
	v_pk_add_f16 v53, v9, v132
	v_pk_min_f16 v48, v48, v139
	v_pk_min_f16 v62, v29, v50
	v_pk_add_f16 v29, v17, v134
	v_pk_min_f16 v25, v25, v30
	v_pk_add_f16 v30, v7, v134
	v_pk_min_f16 v27, v27, v141
	v_pk_min_f16 v59, v23, v31
	v_pk_max_f16 v23, v33, v33
	v_pk_add_f16 v157, v2, v131
	v_pk_add_f16 v12, v12, v135
	v_pk_add_f16 v14, v14, v135
	v_pk_min_f16 v76, v55, v60
	v_pk_add_f16 v55, v5, v130
	v_pk_min_f16 v54, v54, v129
	v_pk_max_f16 v46, v46, v46
	v_pk_min_f16 v67, v48, v53
	v_pk_max_f16 v34, v34, v34
	v_pk_add_f16 v48, v11, v134
	v_pk_min_f16 v61, v25, v29
	v_pk_min_f16 v60, v27, v30
	v_pk_max_f16 v25, v32, v32
	v_pk_add_f16 v11, v11, v136
	v_pk_max_f16 v27, v28, v28
	v_pk_min_f16 v10, v23, v10
	v_pk_min_f16 v87, v66, v143
	v_pk_add_f16 v143, v2, v133
	v_pk_add_f16 v6, v6, v135
	v_pk_min_f16 v73, v54, v55
	v_pk_add_f16 v54, v3, v132
	v_pk_min_f16 v46, v46, v157
	v_pk_min_f16 v34, v34, v140
	v_pk_max_f16 v21, v21, v21
	v_pk_add_f16 v13, v13, v136
	v_pk_min_f16 v12, v25, v12
	v_pk_add_f16 v15, v15, v136
	v_pk_min_f16 v14, v27, v14
	v_pk_min_f16 v56, v10, v11
	v_pk_max_f16 v11, v24, v24
	v_pk_add_f16 v131, v4, v131
	v_pk_max_f16 v65, v65, v65
	v_pk_add_f16 v133, v4, v133
	v_pk_add_f16 v16, v16, v135
	;; [unrolled: 1-line block ×5, first 2 shown]
	v_pk_max_f16 v45, v45, v45
	v_pk_min_f16 v66, v46, v54
	v_pk_min_f16 v64, v34, v48
	v_pk_add_f16 v34, v3, v134
	v_pk_min_f16 v21, v21, v143
	v_pk_max_f16 v19, v19, v19
	v_pk_max_f16 v10, v26, v26
	v_pk_min_f16 v55, v12, v13
	v_pk_min_f16 v54, v14, v15
	v_pk_max_f16 v13, v22, v22
	v_pk_min_f16 v6, v11, v6
	v_pk_max_f16 v11, v20, v20
	v_pk_max_f16 v14, v18, v18
	v_pk_min_f16 v65, v65, v137
	v_pk_add_f16 v46, v5, v132
	v_pk_min_f16 v45, v45, v131
	v_pk_min_f16 v58, v21, v34
	v_pk_add_f16 v21, v5, v134
	v_pk_min_f16 v19, v19, v133
	v_pk_add_f16 v12, v17, v136
	;; [unrolled: 2-line block ×3, first 2 shown]
	v_pk_add_f16 v9, v9, v136
	v_pk_min_f16 v8, v13, v8
	v_pk_add_f16 v3, v3, v136
	v_pk_min_f16 v2, v11, v2
	;; [unrolled: 2-line block ×3, first 2 shown]
	v_add_co_u32 v120, vcc_lo, v120, s6
	v_add_co_ci_u32_e64 v121, null, s7, v121, vcc_lo
	v_add_co_u32 v122, vcc_lo, v122, s10
	v_pk_min_f16 v84, v65, v144
	v_pk_min_f16 v65, v45, v46
	;; [unrolled: 1-line block ×8, first 2 shown]
	v_perm_b32 v46, v128, v127, 0x5040100
	v_add_co_ci_u32_e64 v123, null, s11, v123, vcc_lo
	s_add_i32 s16, s16, 8
	ds_write_b16 v115, v126
	ds_write_b16 v116, v47
	ds_write_b16_d16_hi v116, v47 offset:512
	ds_write_b16 v116, v127 offset:1024
	ds_write_b16 v116, v128 offset:1536
	s_cmp_ge_i32 s16, s14
	s_waitcnt lgkmcnt(0)
	s_barrier
	buffer_gl0_inv
	s_cbranch_scc0 .LBB221_27
.LBB221_48:
	s_load_dword s2, s[4:5], 0x50
	v_add_nc_u32_e32 v48, s23, v1
	ds_read_b64 v[30:31], v85 offset:4608
	ds_read_b64 v[46:47], v86 offset:2048
	v_add_nc_u32_e32 v44, s22, v0
	v_cmp_neq_f16_e64 s7, s3, 0
	v_mov_b32_e32 v34, 0
	v_ashrrev_i32_e32 v45, 31, v44
	s_and_b32 vcc_lo, exec_lo, s7
	v_lshlrev_b64 v[28:29], 1, v[44:45]
	s_waitcnt lgkmcnt(0)
	v_mad_i64_i32 v[1:2], null, v48, s2, 0
	v_lshlrev_b64 v[0:1], 1, v[1:2]
	v_add_co_u32 v93, s1, s12, v0
	v_add_co_ci_u32_e64 v113, null, s13, v1, s1
	v_mov_b32_e32 v0, 0
	s_cbranch_vccz .LBB221_50
; %bb.49:
	v_add_co_u32 v0, vcc_lo, v93, v28
	v_add_co_ci_u32_e64 v1, null, v113, v29, vcc_lo
	flat_load_ushort v0, v[0:1]
	s_waitcnt vmcnt(0) lgkmcnt(0)
	v_mul_f16_e32 v0, s3, v0
	v_cvt_f32_f16_e32 v0, v0
.LBB221_50:
	s_clause 0x1
	s_load_dword s6, s[4:5], 0x68
	s_load_dwordx2 s[4:5], s[4:5], 0x70
	v_pk_add_f16 v2, v30, v46
	v_pk_add_f16 v13, v31, v47
	v_max_f16_e32 v3, v125, v125
	v_lshrrev_b32_e32 v4, 16, v125
	v_add_nc_u32_e32 v1, 0x1000, v85
	v_lshrrev_b32_e32 v5, 16, v2
	v_lshrrev_b32_e32 v6, 16, v13
	v_add_nc_u32_e32 v12, 0x800, v86
	v_min_f16_e32 v14, v3, v2
	ds_read_b64 v[24:25], v85 offset:5056
	ds_read_b64 v[26:27], v86 offset:3840
	v_min3_f16 v15, v4, v5, v6
	v_max_f32_e32 v37, v0, v0
	ds_read2_b64 v[8:11], v1 offset0:72 offset1:80
	ds_read2_b64 v[4:7], v1 offset0:88 offset1:96
	;; [unrolled: 1-line block ×3, first 2 shown]
	v_min3_f16 v33, v14, v13, v15
	ds_read2_b64 v[20:23], v12 offset0:32 offset1:64
	ds_read2_b64 v[16:19], v12 offset0:96 offset1:128
	;; [unrolled: 1-line block ×3, first 2 shown]
	s_waitcnt lgkmcnt(0)
	v_mad_i64_i32 v[35:36], null, v48, s6, 0
	v_add_nc_u32_e32 v32, 8, v44
	s_lshl_b64 s[4:5], s[4:5], 1
	v_cvt_f32_f16_e32 v39, v33
	s_add_u32 s4, s8, s4
	s_addc_u32 s5, s9, s5
	v_ashrrev_i32_e32 v33, 31, v32
	v_lshlrev_b64 v[35:36], 1, v[35:36]
	v_cndmask_b32_e64 v38, 0, 1, s7
	v_min_f32_e32 v37, v37, v39
	v_lshlrev_b64 v[32:33], 1, v[32:33]
	v_cmp_ne_u32_e64 s1, 1, v38
	v_add_co_u32 v85, vcc_lo, s4, v35
	v_add_co_ci_u32_e64 v86, null, s5, v36, vcc_lo
	v_cvt_f16_f32_e32 v37, v37
	v_add_co_u32 v35, vcc_lo, v85, v28
	v_add_co_ci_u32_e64 v36, null, v86, v29, vcc_lo
	s_andn2_b32 vcc_lo, exec_lo, s7
	flat_store_short v[35:36], v37
	s_cbranch_vccnz .LBB221_52
; %bb.51:
	v_add_co_u32 v34, vcc_lo, v93, v32
	v_add_co_ci_u32_e64 v35, null, v113, v33, vcc_lo
	flat_load_ushort v34, v[34:35]
	s_waitcnt vmcnt(0) lgkmcnt(0)
	v_mul_f16_e32 v34, s3, v34
	v_cvt_f32_f16_e32 v34, v34
.LBB221_52:
	v_pk_add_f16 v35, v8, v46
	v_pk_add_f16 v36, v9, v47
	v_max_f16_e32 v37, v124, v124
	v_lshrrev_b32_e32 v38, 16, v124
	v_max_f32_e32 v34, v34, v34
	v_lshrrev_b32_e32 v39, 16, v35
	v_lshrrev_b32_e32 v40, 16, v36
	v_min_f16_e32 v35, v37, v35
	v_min3_f16 v37, v38, v39, v40
	v_add_co_u32 v39, vcc_lo, v85, v32
	v_add_co_ci_u32_e64 v40, null, v86, v33, vcc_lo
	v_min3_f16 v36, v35, v36, v37
	v_add_nc_u32_e32 v35, 16, v44
	v_mov_b32_e32 v38, 0
	s_and_b32 vcc_lo, exec_lo, s1
	v_cvt_f32_f16_e32 v37, v36
	v_ashrrev_i32_e32 v36, 31, v35
	v_min_f32_e32 v34, v34, v37
	v_cvt_f16_f32_e32 v37, v34
	v_lshlrev_b64 v[34:35], 1, v[35:36]
	v_mov_b32_e32 v36, 0
	flat_store_short v[39:40], v37
	s_cbranch_vccnz .LBB221_54
; %bb.53:
	v_add_co_u32 v36, vcc_lo, v93, v34
	v_add_co_ci_u32_e64 v37, null, v113, v35, vcc_lo
	flat_load_ushort v36, v[36:37]
	s_waitcnt vmcnt(0) lgkmcnt(0)
	v_mul_f16_e32 v36, s3, v36
	v_cvt_f32_f16_e32 v36, v36
.LBB221_54:
	v_pk_add_f16 v37, v10, v46
	v_pk_add_f16 v39, v11, v47
	v_max_f16_e32 v40, v119, v119
	v_lshrrev_b32_e32 v41, 16, v119
	v_max_f32_e32 v36, v36, v36
	v_lshrrev_b32_e32 v42, 16, v37
	v_lshrrev_b32_e32 v43, 16, v39
	v_min_f16_e32 v37, v40, v37
	v_min3_f16 v40, v41, v42, v43
	v_add_co_u32 v41, vcc_lo, v85, v34
	v_add_co_ci_u32_e64 v42, null, v86, v35, vcc_lo
	v_min3_f16 v37, v37, v39, v40
	v_add_nc_u32_e32 v39, 24, v44
	s_and_b32 vcc_lo, exec_lo, s1
	v_cvt_f32_f16_e32 v37, v37
	v_ashrrev_i32_e32 v40, 31, v39
	v_min_f32_e32 v36, v36, v37
	v_cvt_f16_f32_e32 v43, v36
	v_lshlrev_b64 v[36:37], 1, v[39:40]
	flat_store_short v[41:42], v43
	s_cbranch_vccnz .LBB221_56
; %bb.55:
	v_add_co_u32 v38, vcc_lo, v93, v36
	v_add_co_ci_u32_e64 v39, null, v113, v37, vcc_lo
	flat_load_ushort v38, v[38:39]
	s_waitcnt vmcnt(0) lgkmcnt(0)
	v_mul_f16_e32 v38, s3, v38
	v_cvt_f32_f16_e32 v38, v38
.LBB221_56:
	v_pk_add_f16 v39, v4, v46
	v_pk_add_f16 v40, v5, v47
	v_max_f16_e32 v41, v112, v112
	v_lshrrev_b32_e32 v42, 16, v112
	v_max_f32_e32 v38, v38, v38
	v_lshrrev_b32_e32 v43, 16, v39
	v_lshrrev_b32_e32 v45, 16, v40
	v_min_f16_e32 v39, v41, v39
	v_add_co_u32 v114, vcc_lo, v85, v36
	v_add_co_ci_u32_e64 v115, null, v86, v37, vcc_lo
	v_min3_f16 v41, v42, v43, v45
	s_and_b32 vcc_lo, exec_lo, s1
	v_min3_f16 v40, v39, v40, v41
	v_add_nc_u32_e32 v39, 32, v44
	v_cvt_f32_f16_e32 v41, v40
	v_ashrrev_i32_e32 v40, 31, v39
	v_min_f32_e32 v41, v38, v41
	v_lshlrev_b64 v[42:43], 1, v[39:40]
	v_mov_b32_e32 v38, 0
	v_mov_b32_e32 v39, 0
	v_cvt_f16_f32_e32 v41, v41
	flat_store_short v[114:115], v41
	s_cbranch_vccnz .LBB221_58
; %bb.57:
	v_add_co_u32 v39, vcc_lo, v93, v42
	v_add_co_ci_u32_e64 v40, null, v113, v43, vcc_lo
	flat_load_ushort v39, v[39:40]
	s_waitcnt vmcnt(0) lgkmcnt(0)
	v_mul_f16_e32 v39, s3, v39
	v_cvt_f32_f16_e32 v39, v39
.LBB221_58:
	v_pk_add_f16 v40, v6, v46
	v_pk_add_f16 v41, v7, v47
	v_max_f16_e32 v45, v111, v111
	v_lshrrev_b32_e32 v111, 16, v111
	v_max_f32_e32 v39, v39, v39
	v_lshrrev_b32_e32 v112, 16, v40
	v_lshrrev_b32_e32 v114, 16, v41
	v_min_f16_e32 v40, v45, v40
	v_min3_f16 v45, v111, v112, v114
	v_add_co_u32 v111, vcc_lo, v85, v42
	v_add_co_ci_u32_e64 v112, null, v86, v43, vcc_lo
	v_min3_f16 v41, v40, v41, v45
	v_add_nc_u32_e32 v40, 40, v44
	s_and_b32 vcc_lo, exec_lo, s1
	v_cvt_f32_f16_e32 v45, v41
	v_ashrrev_i32_e32 v41, 31, v40
	v_min_f32_e32 v39, v39, v45
	v_lshlrev_b64 v[40:41], 1, v[40:41]
	v_cvt_f16_f32_e32 v39, v39
	flat_store_short v[111:112], v39
	s_cbranch_vccnz .LBB221_60
; %bb.59:
	v_add_co_u32 v38, vcc_lo, v93, v40
	v_add_co_ci_u32_e64 v39, null, v113, v41, vcc_lo
	flat_load_ushort v38, v[38:39]
	s_waitcnt vmcnt(0) lgkmcnt(0)
	v_mul_f16_e32 v38, s3, v38
	v_cvt_f32_f16_e32 v38, v38
.LBB221_60:
	v_pk_add_f16 v39, v0, v46
	v_pk_add_f16 v45, v1, v47
	v_max_f16_e32 v111, v110, v110
	v_lshrrev_b32_e32 v110, 16, v110
	v_max_f32_e32 v38, v38, v38
	v_lshrrev_b32_e32 v112, 16, v39
	v_lshrrev_b32_e32 v114, 16, v45
	v_min_f16_e32 v39, v111, v39
	v_add_nc_u32_e32 v111, 48, v44
	v_min3_f16 v110, v110, v112, v114
	v_add_co_u32 v114, vcc_lo, v85, v40
	v_ashrrev_i32_e32 v112, 31, v111
	v_add_co_ci_u32_e64 v115, null, v86, v41, vcc_lo
	v_min3_f16 v39, v39, v45, v110
	v_mov_b32_e32 v110, 0
	v_mov_b32_e32 v45, 0
	s_and_b32 vcc_lo, exec_lo, s1
	v_cvt_f32_f16_e32 v39, v39
	v_min_f32_e32 v38, v38, v39
	v_cvt_f16_f32_e32 v116, v38
	v_lshlrev_b64 v[38:39], 1, v[111:112]
	flat_store_short v[114:115], v116
	s_cbranch_vccnz .LBB221_62
; %bb.61:
	v_add_co_u32 v111, vcc_lo, v93, v38
	v_add_co_ci_u32_e64 v112, null, v113, v39, vcc_lo
	flat_load_ushort v45, v[111:112]
	s_waitcnt vmcnt(0) lgkmcnt(0)
	v_mul_f16_e32 v45, s3, v45
	v_cvt_f32_f16_e32 v45, v45
.LBB221_62:
	v_pk_add_f16 v111, v2, v46
	v_pk_add_f16 v112, v3, v47
	v_max_f16_e32 v114, v109, v109
	v_lshrrev_b32_e32 v109, 16, v109
	v_add_nc_u32_e32 v44, 56, v44
	v_lshrrev_b32_e32 v115, 16, v111
	v_lshrrev_b32_e32 v116, 16, v112
	v_min_f16_e32 v111, v114, v111
	v_min3_f16 v109, v109, v115, v116
	v_min3_f16 v109, v111, v112, v109
	v_max_f32_e32 v111, v45, v45
	v_ashrrev_i32_e32 v45, 31, v44
	v_cvt_f32_f16_e32 v109, v109
	v_lshlrev_b64 v[44:45], 1, v[44:45]
	v_min_f32_e32 v109, v111, v109
	v_add_co_u32 v111, vcc_lo, v85, v38
	v_add_co_ci_u32_e64 v112, null, v86, v39, vcc_lo
	v_cvt_f16_f32_e32 v109, v109
	s_and_b32 vcc_lo, exec_lo, s1
	flat_store_short v[111:112], v109
	s_cbranch_vccnz .LBB221_64
; %bb.63:
	v_add_co_u32 v109, vcc_lo, v93, v44
	v_add_co_ci_u32_e64 v110, null, v113, v45, vcc_lo
	flat_load_ushort v93, v[109:110]
	s_waitcnt vmcnt(0) lgkmcnt(0)
	v_mul_f16_e32 v93, s3, v93
	v_cvt_f32_f16_e32 v110, v93
.LBB221_64:
	v_pk_add_f16 v46, v24, v46
	v_pk_add_f16 v93, v25, v47
	v_max_f16_e32 v47, v108, v108
	v_lshrrev_b32_e32 v109, 16, v108
	v_add_nc_u32_e32 v108, 32, v48
	v_lshrrev_b32_e32 v111, 16, v46
	v_lshrrev_b32_e32 v112, 16, v93
	v_min_f16_e32 v113, v47, v46
	v_mad_i64_i32 v[46:47], null, v108, s2, 0
	v_min3_f16 v109, v109, v111, v112
	v_max_f32_e32 v111, v110, v110
	v_min3_f16 v93, v113, v93, v109
	v_lshlrev_b64 v[46:47], 1, v[46:47]
	v_add_co_u32 v109, vcc_lo, v85, v44
	v_add_co_ci_u32_e64 v110, null, v86, v45, vcc_lo
	v_cvt_f32_f16_e32 v93, v93
	v_add_co_u32 v46, vcc_lo, s12, v46
	v_add_co_ci_u32_e64 v47, null, s13, v47, vcc_lo
	v_min_f32_e32 v85, v111, v93
	v_mov_b32_e32 v93, 0
	s_and_b32 vcc_lo, exec_lo, s1
	v_cvt_f16_f32_e32 v86, v85
	v_mov_b32_e32 v85, 0
	flat_store_short v[109:110], v86
	s_cbranch_vccnz .LBB221_66
; %bb.65:
	v_add_co_u32 v85, vcc_lo, v46, v28
	v_add_co_ci_u32_e64 v86, null, v47, v29, vcc_lo
	flat_load_ushort v85, v[85:86]
	s_waitcnt vmcnt(0) lgkmcnt(0)
	v_mul_f16_e32 v85, s3, v85
	v_cvt_f32_f16_e32 v85, v85
.LBB221_66:
	v_pk_add_f16 v86, v30, v20
	v_pk_add_f16 v109, v31, v21
	v_max_f16_e32 v110, v107, v107
	v_lshrrev_b32_e32 v107, 16, v107
	v_lshrrev_b32_e32 v111, 16, v86
	;; [unrolled: 1-line block ×3, first 2 shown]
	v_min_f16_e32 v86, v110, v86
	v_min3_f16 v110, v107, v111, v112
	v_mad_i64_i32 v[107:108], null, v108, s6, 0
	v_min3_f16 v86, v86, v109, v110
	v_max_f32_e32 v109, v85, v85
	v_cvt_f32_f16_e32 v110, v86
	v_lshlrev_b64 v[85:86], 1, v[107:108]
	v_min_f32_e32 v107, v109, v110
	v_add_co_u32 v85, vcc_lo, s4, v85
	v_add_co_ci_u32_e64 v86, null, s5, v86, vcc_lo
	v_cvt_f16_f32_e32 v109, v107
	v_add_co_u32 v107, vcc_lo, v85, v28
	v_add_co_ci_u32_e64 v108, null, v86, v29, vcc_lo
	s_and_b32 vcc_lo, exec_lo, s1
	flat_store_short v[107:108], v109
	s_cbranch_vccnz .LBB221_68
; %bb.67:
	v_add_co_u32 v107, vcc_lo, v46, v32
	v_add_co_ci_u32_e64 v108, null, v47, v33, vcc_lo
	flat_load_ushort v93, v[107:108]
	s_waitcnt vmcnt(0) lgkmcnt(0)
	v_mul_f16_e32 v93, s3, v93
	v_cvt_f32_f16_e32 v93, v93
.LBB221_68:
	v_pk_add_f16 v107, v8, v20
	v_pk_add_f16 v108, v9, v21
	v_max_f16_e32 v109, v106, v106
	v_lshrrev_b32_e32 v106, 16, v106
	v_max_f32_e32 v93, v93, v93
	v_lshrrev_b32_e32 v110, 16, v107
	v_lshrrev_b32_e32 v111, 16, v108
	v_min_f16_e32 v107, v109, v107
	v_min3_f16 v106, v106, v110, v111
	v_min3_f16 v106, v107, v108, v106
	v_add_co_u32 v107, vcc_lo, v85, v32
	v_add_co_ci_u32_e64 v108, null, v86, v33, vcc_lo
	v_cvt_f32_f16_e32 v106, v106
	s_and_b32 vcc_lo, exec_lo, s1
	v_min_f32_e32 v93, v93, v106
	v_mov_b32_e32 v106, 0
	v_cvt_f16_f32_e32 v109, v93
	v_mov_b32_e32 v93, 0
	flat_store_short v[107:108], v109
	s_cbranch_vccnz .LBB221_70
; %bb.69:
	v_add_co_u32 v106, vcc_lo, v46, v34
	v_add_co_ci_u32_e64 v107, null, v47, v35, vcc_lo
	flat_load_ushort v106, v[106:107]
	s_waitcnt vmcnt(0) lgkmcnt(0)
	v_mul_f16_e32 v106, s3, v106
	v_cvt_f32_f16_e32 v106, v106
.LBB221_70:
	v_pk_add_f16 v107, v10, v20
	v_pk_add_f16 v108, v11, v21
	v_max_f16_e32 v109, v105, v105
	v_lshrrev_b32_e32 v105, 16, v105
	v_max_f32_e32 v106, v106, v106
	v_lshrrev_b32_e32 v110, 16, v107
	v_lshrrev_b32_e32 v111, 16, v108
	v_min_f16_e32 v107, v109, v107
	v_min3_f16 v105, v105, v110, v111
	v_min3_f16 v105, v107, v108, v105
	v_cvt_f32_f16_e32 v105, v105
	v_min_f32_e32 v105, v106, v105
	v_cvt_f16_f32_e32 v107, v105
	v_add_co_u32 v105, vcc_lo, v85, v34
	v_add_co_ci_u32_e64 v106, null, v86, v35, vcc_lo
	s_and_b32 vcc_lo, exec_lo, s1
	flat_store_short v[105:106], v107
	s_cbranch_vccnz .LBB221_72
; %bb.71:
	v_add_co_u32 v105, vcc_lo, v46, v36
	v_add_co_ci_u32_e64 v106, null, v47, v37, vcc_lo
	flat_load_ushort v93, v[105:106]
	s_waitcnt vmcnt(0) lgkmcnt(0)
	v_mul_f16_e32 v93, s3, v93
	v_cvt_f32_f16_e32 v93, v93
.LBB221_72:
	v_pk_add_f16 v105, v4, v20
	v_pk_add_f16 v106, v5, v21
	v_max_f16_e32 v107, v104, v104
	v_lshrrev_b32_e32 v104, 16, v104
	v_max_f32_e32 v93, v93, v93
	v_lshrrev_b32_e32 v108, 16, v105
	v_lshrrev_b32_e32 v109, 16, v106
	v_min_f16_e32 v105, v107, v105
	v_min3_f16 v104, v104, v108, v109
	v_min3_f16 v104, v105, v106, v104
	v_add_co_u32 v105, vcc_lo, v85, v36
	v_add_co_ci_u32_e64 v106, null, v86, v37, vcc_lo
	v_cvt_f32_f16_e32 v104, v104
	s_and_b32 vcc_lo, exec_lo, s1
	v_min_f32_e32 v93, v93, v104
	v_mov_b32_e32 v104, 0
	v_cvt_f16_f32_e32 v107, v93
	v_mov_b32_e32 v93, 0
	flat_store_short v[105:106], v107
	s_cbranch_vccnz .LBB221_74
; %bb.73:
	v_add_co_u32 v104, vcc_lo, v46, v42
	v_add_co_ci_u32_e64 v105, null, v47, v43, vcc_lo
	flat_load_ushort v104, v[104:105]
	s_waitcnt vmcnt(0) lgkmcnt(0)
	v_mul_f16_e32 v104, s3, v104
	v_cvt_f32_f16_e32 v104, v104
.LBB221_74:
	v_pk_add_f16 v105, v6, v20
	v_pk_add_f16 v106, v7, v21
	v_max_f16_e32 v107, v103, v103
	v_lshrrev_b32_e32 v103, 16, v103
	v_max_f32_e32 v104, v104, v104
	v_lshrrev_b32_e32 v108, 16, v105
	v_lshrrev_b32_e32 v109, 16, v106
	v_min_f16_e32 v105, v107, v105
	v_min3_f16 v103, v103, v108, v109
	v_min3_f16 v103, v105, v106, v103
	v_cvt_f32_f16_e32 v103, v103
	v_min_f32_e32 v103, v104, v103
	;; [unrolled: 54-line block ×3, first 2 shown]
	v_add_co_u32 v102, vcc_lo, v85, v38
	v_add_co_ci_u32_e64 v103, null, v86, v39, vcc_lo
	v_cvt_f16_f32_e32 v100, v100
	s_and_b32 vcc_lo, exec_lo, s1
	flat_store_short v[102:103], v100
	s_cbranch_vccnz .LBB221_80
; %bb.79:
	v_add_co_u32 v46, vcc_lo, v46, v44
	v_add_co_ci_u32_e64 v47, null, v47, v45, vcc_lo
	flat_load_ushort v46, v[46:47]
	s_waitcnt vmcnt(0) lgkmcnt(0)
	v_mul_f16_e32 v46, s3, v46
	v_cvt_f32_f16_e32 v93, v46
.LBB221_80:
	v_pk_add_f16 v20, v24, v20
	v_pk_add_f16 v47, v25, v21
	v_max_f16_e32 v21, v98, v98
	v_lshrrev_b32_e32 v98, 16, v98
	v_add_nc_u32_e32 v46, 64, v48
	v_lshrrev_b32_e32 v100, 16, v20
	v_lshrrev_b32_e32 v102, 16, v47
	v_min_f16_e32 v103, v21, v20
	v_max_f32_e32 v93, v93, v93
	v_mad_i64_i32 v[20:21], null, v46, s2, 0
	v_min3_f16 v98, v98, v100, v102
	v_add_co_u32 v102, vcc_lo, v85, v44
	v_mov_b32_e32 v85, 0
	v_min3_f16 v47, v103, v47, v98
	v_lshlrev_b64 v[20:21], 1, v[20:21]
	v_add_co_ci_u32_e64 v103, null, v86, v45, vcc_lo
	v_cvt_f32_f16_e32 v47, v47
	v_add_co_u32 v20, vcc_lo, s12, v20
	v_add_co_ci_u32_e64 v21, null, s13, v21, vcc_lo
	v_min_f32_e32 v47, v93, v47
	s_and_b32 vcc_lo, exec_lo, s1
	v_cvt_f16_f32_e32 v86, v47
	v_mov_b32_e32 v47, 0
	flat_store_short v[102:103], v86
	s_cbranch_vccnz .LBB221_82
; %bb.81:
	v_add_co_u32 v102, vcc_lo, v20, v28
	v_add_co_ci_u32_e64 v103, null, v21, v29, vcc_lo
	flat_load_ushort v47, v[102:103]
	s_waitcnt vmcnt(0) lgkmcnt(0)
	v_mul_f16_e32 v47, s3, v47
	v_cvt_f32_f16_e32 v47, v47
.LBB221_82:
	v_pk_add_f16 v86, v30, v22
	v_pk_add_f16 v93, v31, v23
	v_max_f16_e32 v98, v101, v101
	v_lshrrev_b32_e32 v100, 16, v101
	v_lshrrev_b32_e32 v101, 16, v86
	;; [unrolled: 1-line block ×3, first 2 shown]
	v_min_f16_e32 v86, v98, v86
	v_min3_f16 v98, v100, v101, v102
	v_mad_i64_i32 v[100:101], null, v46, s6, 0
	v_min3_f16 v46, v86, v93, v98
	v_max_f32_e32 v86, v47, v47
	v_cvt_f32_f16_e32 v93, v46
	v_lshlrev_b64 v[46:47], 1, v[100:101]
	v_min_f32_e32 v86, v86, v93
	v_add_co_u32 v46, vcc_lo, s4, v46
	v_add_co_ci_u32_e64 v47, null, s5, v47, vcc_lo
	v_cvt_f16_f32_e32 v86, v86
	v_add_co_u32 v100, vcc_lo, v46, v28
	v_add_co_ci_u32_e64 v101, null, v47, v29, vcc_lo
	s_and_b32 vcc_lo, exec_lo, s1
	flat_store_short v[100:101], v86
	s_cbranch_vccnz .LBB221_84
; %bb.83:
	v_add_co_u32 v85, vcc_lo, v20, v32
	v_add_co_ci_u32_e64 v86, null, v21, v33, vcc_lo
	flat_load_ushort v85, v[85:86]
	s_waitcnt vmcnt(0) lgkmcnt(0)
	v_mul_f16_e32 v85, s3, v85
	v_cvt_f32_f16_e32 v85, v85
.LBB221_84:
	v_pk_add_f16 v86, v8, v22
	v_pk_add_f16 v93, v9, v23
	v_max_f16_e32 v98, v99, v99
	v_lshrrev_b32_e32 v99, 16, v99
	v_max_f32_e32 v85, v85, v85
	v_lshrrev_b32_e32 v100, 16, v86
	v_lshrrev_b32_e32 v101, 16, v93
	v_min_f16_e32 v86, v98, v86
	v_min3_f16 v98, v99, v100, v101
	v_min3_f16 v86, v86, v93, v98
	v_add_co_u32 v98, vcc_lo, v46, v32
	v_add_co_ci_u32_e64 v99, null, v47, v33, vcc_lo
	v_cvt_f32_f16_e32 v86, v86
	s_and_b32 vcc_lo, exec_lo, s1
	v_min_f32_e32 v85, v85, v86
	v_mov_b32_e32 v86, 0
	v_cvt_f16_f32_e32 v93, v85
	v_mov_b32_e32 v85, 0
	flat_store_short v[98:99], v93
	s_cbranch_vccnz .LBB221_86
; %bb.85:
	v_add_co_u32 v98, vcc_lo, v20, v34
	v_add_co_ci_u32_e64 v99, null, v21, v35, vcc_lo
	flat_load_ushort v86, v[98:99]
	s_waitcnt vmcnt(0) lgkmcnt(0)
	v_mul_f16_e32 v86, s3, v86
	v_cvt_f32_f16_e32 v86, v86
.LBB221_86:
	v_pk_add_f16 v93, v10, v22
	v_pk_add_f16 v98, v11, v23
	v_max_f16_e32 v99, v97, v97
	v_lshrrev_b32_e32 v97, 16, v97
	v_max_f32_e32 v86, v86, v86
	v_lshrrev_b32_e32 v100, 16, v93
	v_lshrrev_b32_e32 v101, 16, v98
	v_min_f16_e32 v93, v99, v93
	v_min3_f16 v97, v97, v100, v101
	v_min3_f16 v93, v93, v98, v97
	v_add_co_u32 v97, vcc_lo, v46, v34
	v_add_co_ci_u32_e64 v98, null, v47, v35, vcc_lo
	v_cvt_f32_f16_e32 v93, v93
	s_and_b32 vcc_lo, exec_lo, s1
	v_min_f32_e32 v86, v86, v93
	v_cvt_f16_f32_e32 v86, v86
	flat_store_short v[97:98], v86
	s_cbranch_vccnz .LBB221_88
; %bb.87:
	v_add_co_u32 v85, vcc_lo, v20, v36
	v_add_co_ci_u32_e64 v86, null, v21, v37, vcc_lo
	flat_load_ushort v85, v[85:86]
	s_waitcnt vmcnt(0) lgkmcnt(0)
	v_mul_f16_e32 v85, s3, v85
	v_cvt_f32_f16_e32 v85, v85
.LBB221_88:
	v_pk_add_f16 v86, v4, v22
	v_pk_add_f16 v93, v5, v23
	v_max_f16_e32 v97, v96, v96
	v_lshrrev_b32_e32 v96, 16, v96
	v_max_f32_e32 v85, v85, v85
	v_lshrrev_b32_e32 v98, 16, v86
	v_lshrrev_b32_e32 v99, 16, v93
	v_min_f16_e32 v86, v97, v86
	v_min3_f16 v96, v96, v98, v99
	v_min3_f16 v86, v86, v93, v96
	v_add_co_u32 v96, vcc_lo, v46, v36
	v_add_co_ci_u32_e64 v97, null, v47, v37, vcc_lo
	v_cvt_f32_f16_e32 v86, v86
	s_and_b32 vcc_lo, exec_lo, s1
	v_min_f32_e32 v85, v85, v86
	v_mov_b32_e32 v86, 0
	v_cvt_f16_f32_e32 v93, v85
	v_mov_b32_e32 v85, 0
	flat_store_short v[96:97], v93
	s_cbranch_vccnz .LBB221_90
; %bb.89:
	v_add_co_u32 v96, vcc_lo, v20, v42
	v_add_co_ci_u32_e64 v97, null, v21, v43, vcc_lo
	flat_load_ushort v86, v[96:97]
	s_waitcnt vmcnt(0) lgkmcnt(0)
	v_mul_f16_e32 v86, s3, v86
	v_cvt_f32_f16_e32 v86, v86
.LBB221_90:
	v_pk_add_f16 v93, v6, v22
	v_pk_add_f16 v96, v7, v23
	v_max_f16_e32 v97, v95, v95
	v_lshrrev_b32_e32 v95, 16, v95
	v_max_f32_e32 v86, v86, v86
	v_lshrrev_b32_e32 v98, 16, v93
	v_lshrrev_b32_e32 v99, 16, v96
	v_min_f16_e32 v93, v97, v93
	v_min3_f16 v95, v95, v98, v99
	v_min3_f16 v93, v93, v96, v95
	v_add_co_u32 v95, vcc_lo, v46, v42
	v_add_co_ci_u32_e64 v96, null, v47, v43, vcc_lo
	v_cvt_f32_f16_e32 v93, v93
	s_and_b32 vcc_lo, exec_lo, s1
	v_min_f32_e32 v86, v86, v93
	v_cvt_f16_f32_e32 v86, v86
	flat_store_short v[95:96], v86
	s_cbranch_vccnz .LBB221_92
; %bb.91:
	v_add_co_u32 v85, vcc_lo, v20, v40
	v_add_co_ci_u32_e64 v86, null, v21, v41, vcc_lo
	flat_load_ushort v85, v[85:86]
	s_waitcnt vmcnt(0) lgkmcnt(0)
	v_mul_f16_e32 v85, s3, v85
	v_cvt_f32_f16_e32 v85, v85
.LBB221_92:
	v_pk_add_f16 v86, v0, v22
	v_pk_add_f16 v93, v1, v23
	v_max_f16_e32 v95, v94, v94
	v_lshrrev_b32_e32 v94, 16, v94
	v_max_f32_e32 v85, v85, v85
	v_lshrrev_b32_e32 v96, 16, v86
	v_lshrrev_b32_e32 v97, 16, v93
	v_min_f16_e32 v86, v95, v86
	v_min3_f16 v94, v94, v96, v97
	v_min3_f16 v86, v86, v93, v94
	v_add_co_u32 v93, vcc_lo, v46, v40
	v_add_co_ci_u32_e64 v94, null, v47, v41, vcc_lo
	v_cvt_f32_f16_e32 v86, v86
	s_and_b32 vcc_lo, exec_lo, s1
	v_min_f32_e32 v85, v85, v86
	v_mov_b32_e32 v86, 0
	v_cvt_f16_f32_e32 v95, v85
	v_mov_b32_e32 v85, 0
	flat_store_short v[93:94], v95
	s_cbranch_vccnz .LBB221_94
; %bb.93:
	v_add_co_u32 v93, vcc_lo, v20, v38
	v_add_co_ci_u32_e64 v94, null, v21, v39, vcc_lo
	flat_load_ushort v86, v[93:94]
	s_waitcnt vmcnt(0) lgkmcnt(0)
	v_mul_f16_e32 v86, s3, v86
	v_cvt_f32_f16_e32 v86, v86
.LBB221_94:
	v_pk_add_f16 v93, v2, v22
	v_pk_add_f16 v94, v3, v23
	v_max_f16_e32 v95, v92, v92
	v_lshrrev_b32_e32 v92, 16, v92
	v_max_f32_e32 v86, v86, v86
	v_lshrrev_b32_e32 v96, 16, v93
	v_lshrrev_b32_e32 v97, 16, v94
	v_min_f16_e32 v93, v95, v93
	v_min3_f16 v92, v92, v96, v97
	v_min3_f16 v92, v93, v94, v92
	v_cvt_f32_f16_e32 v92, v92
	v_min_f32_e32 v86, v86, v92
	v_add_co_u32 v92, vcc_lo, v46, v38
	v_add_co_ci_u32_e64 v93, null, v47, v39, vcc_lo
	v_cvt_f16_f32_e32 v86, v86
	s_and_b32 vcc_lo, exec_lo, s1
	flat_store_short v[92:93], v86
	s_cbranch_vccnz .LBB221_96
; %bb.95:
	v_add_co_u32 v20, vcc_lo, v20, v44
	v_add_co_ci_u32_e64 v21, null, v21, v45, vcc_lo
	flat_load_ushort v20, v[20:21]
	s_waitcnt vmcnt(0) lgkmcnt(0)
	v_mul_f16_e32 v20, s3, v20
	v_cvt_f32_f16_e32 v85, v20
.LBB221_96:
	v_pk_add_f16 v20, v24, v22
	v_pk_add_f16 v23, v25, v23
	v_max_f16_e32 v21, v91, v91
	v_lshrrev_b32_e32 v86, 16, v91
	v_add_nc_u32_e32 v22, 0x60, v48
	v_lshrrev_b32_e32 v91, 16, v20
	v_lshrrev_b32_e32 v92, 16, v23
	v_min_f16_e32 v93, v21, v20
	v_mad_i64_i32 v[20:21], null, v22, s2, 0
	v_min3_f16 v86, v86, v91, v92
	v_max_f32_e32 v91, v85, v85
	v_add_co_u32 v85, vcc_lo, v46, v44
	v_mov_b32_e32 v46, 0
	v_min3_f16 v23, v93, v23, v86
	v_lshlrev_b64 v[20:21], 1, v[20:21]
	v_add_co_ci_u32_e64 v86, null, v47, v45, vcc_lo
	v_cvt_f32_f16_e32 v23, v23
	v_add_co_u32 v20, vcc_lo, s12, v20
	v_add_co_ci_u32_e64 v21, null, s13, v21, vcc_lo
	v_min_f32_e32 v23, v91, v23
	s_and_b32 vcc_lo, exec_lo, s1
	v_cvt_f16_f32_e32 v47, v23
	v_mov_b32_e32 v23, 0
	flat_store_short v[85:86], v47
	s_cbranch_vccnz .LBB221_98
; %bb.97:
	v_add_co_u32 v85, vcc_lo, v20, v28
	v_add_co_ci_u32_e64 v86, null, v21, v29, vcc_lo
	flat_load_ushort v23, v[85:86]
	s_waitcnt vmcnt(0) lgkmcnt(0)
	v_mul_f16_e32 v23, s3, v23
	v_cvt_f32_f16_e32 v23, v23
.LBB221_98:
	v_pk_add_f16 v47, v30, v16
	v_pk_add_f16 v91, v31, v17
	v_max_f16_e32 v85, v90, v90
	v_lshrrev_b32_e32 v86, 16, v90
	v_lshrrev_b32_e32 v90, 16, v47
	;; [unrolled: 1-line block ×3, first 2 shown]
	v_min_f16_e32 v47, v85, v47
	v_min3_f16 v90, v86, v90, v92
	v_mad_i64_i32 v[85:86], null, v22, s6, 0
	v_min3_f16 v22, v47, v91, v90
	v_max_f32_e32 v47, v23, v23
	v_cvt_f32_f16_e32 v90, v22
	v_lshlrev_b64 v[22:23], 1, v[85:86]
	v_min_f32_e32 v47, v47, v90
	v_add_co_u32 v22, vcc_lo, s4, v22
	v_add_co_ci_u32_e64 v23, null, s5, v23, vcc_lo
	v_cvt_f16_f32_e32 v47, v47
	v_add_co_u32 v85, vcc_lo, v22, v28
	v_add_co_ci_u32_e64 v86, null, v23, v29, vcc_lo
	s_and_b32 vcc_lo, exec_lo, s1
	flat_store_short v[85:86], v47
	s_cbranch_vccnz .LBB221_100
; %bb.99:
	v_add_co_u32 v46, vcc_lo, v20, v32
	v_add_co_ci_u32_e64 v47, null, v21, v33, vcc_lo
	flat_load_ushort v46, v[46:47]
	s_waitcnt vmcnt(0) lgkmcnt(0)
	v_mul_f16_e32 v46, s3, v46
	v_cvt_f32_f16_e32 v46, v46
.LBB221_100:
	v_pk_add_f16 v47, v8, v16
	v_pk_add_f16 v85, v9, v17
	v_max_f16_e32 v86, v89, v89
	v_lshrrev_b32_e32 v89, 16, v89
	v_max_f32_e32 v46, v46, v46
	v_lshrrev_b32_e32 v90, 16, v47
	v_lshrrev_b32_e32 v91, 16, v85
	v_min_f16_e32 v47, v86, v47
	v_min3_f16 v86, v89, v90, v91
	v_min3_f16 v47, v47, v85, v86
	v_add_co_u32 v85, vcc_lo, v22, v32
	v_add_co_ci_u32_e64 v86, null, v23, v33, vcc_lo
	v_cvt_f32_f16_e32 v47, v47
	s_and_b32 vcc_lo, exec_lo, s1
	v_min_f32_e32 v46, v46, v47
	v_mov_b32_e32 v47, 0
	v_cvt_f16_f32_e32 v89, v46
	v_mov_b32_e32 v46, 0
	flat_store_short v[85:86], v89
	s_cbranch_vccnz .LBB221_102
; %bb.101:
	v_add_co_u32 v85, vcc_lo, v20, v34
	v_add_co_ci_u32_e64 v86, null, v21, v35, vcc_lo
	flat_load_ushort v47, v[85:86]
	s_waitcnt vmcnt(0) lgkmcnt(0)
	v_mul_f16_e32 v47, s3, v47
	v_cvt_f32_f16_e32 v47, v47
.LBB221_102:
	v_pk_add_f16 v85, v10, v16
	v_pk_add_f16 v86, v11, v17
	v_max_f16_e32 v89, v88, v88
	v_lshrrev_b32_e32 v88, 16, v88
	v_max_f32_e32 v47, v47, v47
	v_lshrrev_b32_e32 v90, 16, v85
	v_lshrrev_b32_e32 v91, 16, v86
	v_min_f16_e32 v85, v89, v85
	v_min3_f16 v88, v88, v90, v91
	v_min3_f16 v85, v85, v86, v88
	v_cvt_f32_f16_e32 v85, v85
	v_min_f32_e32 v47, v47, v85
	v_add_co_u32 v85, vcc_lo, v22, v34
	v_add_co_ci_u32_e64 v86, null, v23, v35, vcc_lo
	v_cvt_f16_f32_e32 v47, v47
	s_and_b32 vcc_lo, exec_lo, s1
	flat_store_short v[85:86], v47
	s_cbranch_vccnz .LBB221_104
; %bb.103:
	v_add_co_u32 v46, vcc_lo, v20, v36
	v_add_co_ci_u32_e64 v47, null, v21, v37, vcc_lo
	flat_load_ushort v46, v[46:47]
	s_waitcnt vmcnt(0) lgkmcnt(0)
	v_mul_f16_e32 v46, s3, v46
	v_cvt_f32_f16_e32 v46, v46
.LBB221_104:
	v_pk_add_f16 v47, v4, v16
	v_pk_add_f16 v85, v5, v17
	v_max_f16_e32 v86, v87, v87
	v_lshrrev_b32_e32 v87, 16, v87
	v_max_f32_e32 v46, v46, v46
	v_lshrrev_b32_e32 v88, 16, v47
	v_lshrrev_b32_e32 v89, 16, v85
	v_min_f16_e32 v47, v86, v47
	v_min3_f16 v86, v87, v88, v89
	v_min3_f16 v47, v47, v85, v86
	v_add_co_u32 v85, vcc_lo, v22, v36
	v_add_co_ci_u32_e64 v86, null, v23, v37, vcc_lo
	v_cvt_f32_f16_e32 v47, v47
	s_and_b32 vcc_lo, exec_lo, s1
	v_min_f32_e32 v46, v46, v47
	v_mov_b32_e32 v47, 0
	v_cvt_f16_f32_e32 v87, v46
	v_mov_b32_e32 v46, 0
	flat_store_short v[85:86], v87
	s_cbranch_vccnz .LBB221_106
; %bb.105:
	v_add_co_u32 v85, vcc_lo, v20, v42
	v_add_co_ci_u32_e64 v86, null, v21, v43, vcc_lo
	flat_load_ushort v47, v[85:86]
	s_waitcnt vmcnt(0) lgkmcnt(0)
	v_mul_f16_e32 v47, s3, v47
	v_cvt_f32_f16_e32 v47, v47
.LBB221_106:
	v_pk_add_f16 v85, v6, v16
	v_pk_add_f16 v86, v7, v17
	v_max_f16_e32 v87, v84, v84
	v_lshrrev_b32_e32 v84, 16, v84
	v_max_f32_e32 v47, v47, v47
	v_lshrrev_b32_e32 v88, 16, v85
	v_lshrrev_b32_e32 v89, 16, v86
	v_min_f16_e32 v85, v87, v85
	v_min3_f16 v84, v84, v88, v89
	v_min3_f16 v84, v85, v86, v84
	v_cvt_f32_f16_e32 v84, v84
	v_min_f32_e32 v47, v47, v84
	v_add_co_u32 v84, vcc_lo, v22, v42
	v_add_co_ci_u32_e64 v85, null, v23, v43, vcc_lo
	v_cvt_f16_f32_e32 v47, v47
	;; [unrolled: 54-line block ×3, first 2 shown]
	s_and_b32 vcc_lo, exec_lo, s1
	flat_store_short v[82:83], v47
	s_cbranch_vccnz .LBB221_112
; %bb.111:
	v_add_co_u32 v20, vcc_lo, v20, v44
	v_add_co_ci_u32_e64 v21, null, v21, v45, vcc_lo
	flat_load_ushort v20, v[20:21]
	s_waitcnt vmcnt(0) lgkmcnt(0)
	v_mul_f16_e32 v20, s3, v20
	v_cvt_f32_f16_e32 v46, v20
.LBB221_112:
	v_pk_add_f16 v16, v24, v16
	v_pk_add_f16 v21, v25, v17
	v_max_f16_e32 v17, v81, v81
	v_lshrrev_b32_e32 v47, 16, v81
	v_add_nc_u32_e32 v20, 0x80, v48
	v_lshrrev_b32_e32 v81, 16, v16
	v_lshrrev_b32_e32 v82, 16, v21
	v_min_f16_e32 v83, v17, v16
	v_mad_i64_i32 v[16:17], null, v20, s2, 0
	v_min3_f16 v47, v47, v81, v82
	v_max_f32_e32 v81, v46, v46
	v_add_co_u32 v46, vcc_lo, v22, v44
	v_mov_b32_e32 v22, 0
	v_min3_f16 v21, v83, v21, v47
	v_lshlrev_b64 v[16:17], 1, v[16:17]
	v_add_co_ci_u32_e64 v47, null, v23, v45, vcc_lo
	v_cvt_f32_f16_e32 v21, v21
	v_add_co_u32 v16, vcc_lo, s12, v16
	v_add_co_ci_u32_e64 v17, null, s13, v17, vcc_lo
	v_min_f32_e32 v21, v81, v21
	s_and_b32 vcc_lo, exec_lo, s1
	v_cvt_f16_f32_e32 v23, v21
	v_mov_b32_e32 v21, 0
	flat_store_short v[46:47], v23
	s_cbranch_vccnz .LBB221_114
; %bb.113:
	v_add_co_u32 v46, vcc_lo, v16, v28
	v_add_co_ci_u32_e64 v47, null, v17, v29, vcc_lo
	flat_load_ushort v21, v[46:47]
	s_waitcnt vmcnt(0) lgkmcnt(0)
	v_mul_f16_e32 v21, s3, v21
	v_cvt_f32_f16_e32 v21, v21
.LBB221_114:
	v_pk_add_f16 v23, v30, v18
	v_pk_add_f16 v81, v31, v19
	v_max_f16_e32 v46, v80, v80
	v_lshrrev_b32_e32 v47, 16, v80
	v_lshrrev_b32_e32 v80, 16, v23
	v_lshrrev_b32_e32 v82, 16, v81
	v_min_f16_e32 v23, v46, v23
	v_min3_f16 v80, v47, v80, v82
	v_mad_i64_i32 v[46:47], null, v20, s6, 0
	v_min3_f16 v20, v23, v81, v80
	v_max_f32_e32 v23, v21, v21
	v_cvt_f32_f16_e32 v80, v20
	v_lshlrev_b64 v[20:21], 1, v[46:47]
	v_min_f32_e32 v23, v23, v80
	v_add_co_u32 v20, vcc_lo, s4, v20
	v_add_co_ci_u32_e64 v21, null, s5, v21, vcc_lo
	v_cvt_f16_f32_e32 v23, v23
	v_add_co_u32 v46, vcc_lo, v20, v28
	v_add_co_ci_u32_e64 v47, null, v21, v29, vcc_lo
	s_and_b32 vcc_lo, exec_lo, s1
	flat_store_short v[46:47], v23
	s_cbranch_vccnz .LBB221_116
; %bb.115:
	v_add_co_u32 v22, vcc_lo, v16, v32
	v_add_co_ci_u32_e64 v23, null, v17, v33, vcc_lo
	flat_load_ushort v22, v[22:23]
	s_waitcnt vmcnt(0) lgkmcnt(0)
	v_mul_f16_e32 v22, s3, v22
	v_cvt_f32_f16_e32 v22, v22
.LBB221_116:
	v_pk_add_f16 v23, v8, v18
	v_pk_add_f16 v46, v9, v19
	v_max_f16_e32 v47, v79, v79
	v_lshrrev_b32_e32 v79, 16, v79
	v_max_f32_e32 v22, v22, v22
	v_lshrrev_b32_e32 v80, 16, v23
	v_lshrrev_b32_e32 v81, 16, v46
	v_min_f16_e32 v23, v47, v23
	v_min3_f16 v47, v79, v80, v81
	v_min3_f16 v23, v23, v46, v47
	v_add_co_u32 v46, vcc_lo, v20, v32
	v_add_co_ci_u32_e64 v47, null, v21, v33, vcc_lo
	v_cvt_f32_f16_e32 v23, v23
	s_and_b32 vcc_lo, exec_lo, s1
	v_min_f32_e32 v22, v22, v23
	v_mov_b32_e32 v23, 0
	v_cvt_f16_f32_e32 v79, v22
	v_mov_b32_e32 v22, 0
	flat_store_short v[46:47], v79
	s_cbranch_vccnz .LBB221_118
; %bb.117:
	v_add_co_u32 v46, vcc_lo, v16, v34
	v_add_co_ci_u32_e64 v47, null, v17, v35, vcc_lo
	flat_load_ushort v23, v[46:47]
	s_waitcnt vmcnt(0) lgkmcnt(0)
	v_mul_f16_e32 v23, s3, v23
	v_cvt_f32_f16_e32 v23, v23
.LBB221_118:
	v_pk_add_f16 v46, v10, v18
	v_pk_add_f16 v47, v11, v19
	v_max_f16_e32 v79, v78, v78
	v_lshrrev_b32_e32 v78, 16, v78
	v_max_f32_e32 v23, v23, v23
	v_lshrrev_b32_e32 v80, 16, v46
	v_lshrrev_b32_e32 v81, 16, v47
	v_min_f16_e32 v46, v79, v46
	v_min3_f16 v78, v78, v80, v81
	v_min3_f16 v46, v46, v47, v78
	v_cvt_f32_f16_e32 v46, v46
	v_min_f32_e32 v23, v23, v46
	v_add_co_u32 v46, vcc_lo, v20, v34
	v_add_co_ci_u32_e64 v47, null, v21, v35, vcc_lo
	v_cvt_f16_f32_e32 v23, v23
	s_and_b32 vcc_lo, exec_lo, s1
	flat_store_short v[46:47], v23
	s_cbranch_vccnz .LBB221_120
; %bb.119:
	v_add_co_u32 v22, vcc_lo, v16, v36
	v_add_co_ci_u32_e64 v23, null, v17, v37, vcc_lo
	flat_load_ushort v22, v[22:23]
	s_waitcnt vmcnt(0) lgkmcnt(0)
	v_mul_f16_e32 v22, s3, v22
	v_cvt_f32_f16_e32 v22, v22
.LBB221_120:
	v_pk_add_f16 v23, v4, v18
	v_pk_add_f16 v46, v5, v19
	v_max_f16_e32 v47, v77, v77
	v_lshrrev_b32_e32 v77, 16, v77
	v_max_f32_e32 v22, v22, v22
	v_lshrrev_b32_e32 v78, 16, v23
	v_lshrrev_b32_e32 v79, 16, v46
	v_min_f16_e32 v23, v47, v23
	v_min3_f16 v47, v77, v78, v79
	v_min3_f16 v23, v23, v46, v47
	v_add_co_u32 v46, vcc_lo, v20, v36
	v_add_co_ci_u32_e64 v47, null, v21, v37, vcc_lo
	v_cvt_f32_f16_e32 v23, v23
	s_and_b32 vcc_lo, exec_lo, s1
	v_min_f32_e32 v22, v22, v23
	v_mov_b32_e32 v23, 0
	v_cvt_f16_f32_e32 v77, v22
	v_mov_b32_e32 v22, 0
	flat_store_short v[46:47], v77
	s_cbranch_vccnz .LBB221_122
; %bb.121:
	v_add_co_u32 v46, vcc_lo, v16, v42
	v_add_co_ci_u32_e64 v47, null, v17, v43, vcc_lo
	flat_load_ushort v23, v[46:47]
	s_waitcnt vmcnt(0) lgkmcnt(0)
	v_mul_f16_e32 v23, s3, v23
	v_cvt_f32_f16_e32 v23, v23
.LBB221_122:
	v_pk_add_f16 v46, v6, v18
	v_pk_add_f16 v47, v7, v19
	v_max_f16_e32 v77, v76, v76
	v_lshrrev_b32_e32 v76, 16, v76
	v_max_f32_e32 v23, v23, v23
	v_lshrrev_b32_e32 v78, 16, v46
	v_lshrrev_b32_e32 v79, 16, v47
	v_min_f16_e32 v46, v77, v46
	v_min3_f16 v76, v76, v78, v79
	v_min3_f16 v46, v46, v47, v76
	v_cvt_f32_f16_e32 v46, v46
	v_min_f32_e32 v23, v23, v46
	v_add_co_u32 v46, vcc_lo, v20, v42
	v_add_co_ci_u32_e64 v47, null, v21, v43, vcc_lo
	v_cvt_f16_f32_e32 v23, v23
	;; [unrolled: 54-line block ×3, first 2 shown]
	s_and_b32 vcc_lo, exec_lo, s1
	flat_store_short v[46:47], v23
	s_cbranch_vccnz .LBB221_128
; %bb.127:
	v_add_co_u32 v16, vcc_lo, v16, v44
	v_add_co_ci_u32_e64 v17, null, v17, v45, vcc_lo
	flat_load_ushort v16, v[16:17]
	s_waitcnt vmcnt(0) lgkmcnt(0)
	v_mul_f16_e32 v16, s3, v16
	v_cvt_f32_f16_e32 v22, v16
.LBB221_128:
	v_pk_add_f16 v16, v24, v18
	v_pk_add_f16 v19, v25, v19
	v_max_f16_e32 v17, v73, v73
	v_lshrrev_b32_e32 v23, 16, v73
	v_add_nc_u32_e32 v18, 0xa0, v48
	v_lshrrev_b32_e32 v46, 16, v16
	v_lshrrev_b32_e32 v47, 16, v19
	v_min_f16_e32 v73, v17, v16
	v_mad_i64_i32 v[16:17], null, v18, s2, 0
	v_min3_f16 v23, v23, v46, v47
	v_max_f32_e32 v46, v22, v22
	v_add_co_u32 v22, vcc_lo, v20, v44
	v_mov_b32_e32 v20, 0
	v_min3_f16 v19, v73, v19, v23
	v_lshlrev_b64 v[16:17], 1, v[16:17]
	v_add_co_ci_u32_e64 v23, null, v21, v45, vcc_lo
	v_cvt_f32_f16_e32 v19, v19
	v_add_co_u32 v16, vcc_lo, s12, v16
	v_add_co_ci_u32_e64 v17, null, s13, v17, vcc_lo
	v_min_f32_e32 v19, v46, v19
	s_and_b32 vcc_lo, exec_lo, s1
	v_cvt_f16_f32_e32 v21, v19
	v_mov_b32_e32 v19, 0
	flat_store_short v[22:23], v21
	s_cbranch_vccnz .LBB221_130
; %bb.129:
	v_add_co_u32 v21, vcc_lo, v16, v28
	v_add_co_ci_u32_e64 v22, null, v17, v29, vcc_lo
	flat_load_ushort v19, v[21:22]
	s_waitcnt vmcnt(0) lgkmcnt(0)
	v_mul_f16_e32 v19, s3, v19
	v_cvt_f32_f16_e32 v19, v19
.LBB221_130:
	v_pk_add_f16 v21, v30, v12
	v_pk_add_f16 v23, v31, v13
	v_max_f16_e32 v22, v72, v72
	v_lshrrev_b32_e32 v46, 16, v72
	v_lshrrev_b32_e32 v47, 16, v21
	;; [unrolled: 1-line block ×3, first 2 shown]
	v_min_f16_e32 v73, v22, v21
	v_mad_i64_i32 v[21:22], null, v18, s6, 0
	v_min3_f16 v46, v46, v47, v72
	v_min3_f16 v18, v73, v23, v46
	v_max_f32_e32 v23, v19, v19
	v_cvt_f32_f16_e32 v46, v18
	v_lshlrev_b64 v[18:19], 1, v[21:22]
	v_min_f32_e32 v21, v23, v46
	v_add_co_u32 v18, vcc_lo, s4, v18
	v_add_co_ci_u32_e64 v19, null, s5, v19, vcc_lo
	v_cvt_f16_f32_e32 v23, v21
	v_add_co_u32 v21, vcc_lo, v18, v28
	v_add_co_ci_u32_e64 v22, null, v19, v29, vcc_lo
	s_and_b32 vcc_lo, exec_lo, s1
	flat_store_short v[21:22], v23
	s_cbranch_vccnz .LBB221_132
; %bb.131:
	v_add_co_u32 v20, vcc_lo, v16, v32
	v_add_co_ci_u32_e64 v21, null, v17, v33, vcc_lo
	flat_load_ushort v20, v[20:21]
	s_waitcnt vmcnt(0) lgkmcnt(0)
	v_mul_f16_e32 v20, s3, v20
	v_cvt_f32_f16_e32 v20, v20
.LBB221_132:
	v_pk_add_f16 v21, v8, v12
	v_pk_add_f16 v22, v9, v13
	v_max_f16_e32 v23, v71, v71
	v_lshrrev_b32_e32 v46, 16, v71
	v_max_f32_e32 v20, v20, v20
	v_lshrrev_b32_e32 v47, 16, v21
	v_lshrrev_b32_e32 v71, 16, v22
	v_min_f16_e32 v21, v23, v21
	v_min3_f16 v23, v46, v47, v71
	v_min3_f16 v21, v21, v22, v23
	v_add_co_u32 v22, vcc_lo, v18, v32
	v_add_co_ci_u32_e64 v23, null, v19, v33, vcc_lo
	v_cvt_f32_f16_e32 v21, v21
	s_and_b32 vcc_lo, exec_lo, s1
	v_min_f32_e32 v20, v20, v21
	v_mov_b32_e32 v21, 0
	v_cvt_f16_f32_e32 v46, v20
	v_mov_b32_e32 v20, 0
	flat_store_short v[22:23], v46
	s_cbranch_vccnz .LBB221_134
; %bb.133:
	v_add_co_u32 v21, vcc_lo, v16, v34
	v_add_co_ci_u32_e64 v22, null, v17, v35, vcc_lo
	flat_load_ushort v21, v[21:22]
	s_waitcnt vmcnt(0) lgkmcnt(0)
	v_mul_f16_e32 v21, s3, v21
	v_cvt_f32_f16_e32 v21, v21
.LBB221_134:
	v_pk_add_f16 v22, v10, v12
	v_pk_add_f16 v23, v11, v13
	v_max_f16_e32 v46, v70, v70
	v_lshrrev_b32_e32 v47, 16, v70
	v_max_f32_e32 v21, v21, v21
	v_lshrrev_b32_e32 v70, 16, v22
	v_lshrrev_b32_e32 v71, 16, v23
	v_min_f16_e32 v22, v46, v22
	v_min3_f16 v46, v47, v70, v71
	v_min3_f16 v22, v22, v23, v46
	v_cvt_f32_f16_e32 v22, v22
	v_min_f32_e32 v21, v21, v22
	v_cvt_f16_f32_e32 v23, v21
	v_add_co_u32 v21, vcc_lo, v18, v34
	v_add_co_ci_u32_e64 v22, null, v19, v35, vcc_lo
	s_and_b32 vcc_lo, exec_lo, s1
	flat_store_short v[21:22], v23
	s_cbranch_vccnz .LBB221_136
; %bb.135:
	v_add_co_u32 v20, vcc_lo, v16, v36
	v_add_co_ci_u32_e64 v21, null, v17, v37, vcc_lo
	flat_load_ushort v20, v[20:21]
	s_waitcnt vmcnt(0) lgkmcnt(0)
	v_mul_f16_e32 v20, s3, v20
	v_cvt_f32_f16_e32 v20, v20
.LBB221_136:
	v_pk_add_f16 v21, v4, v12
	v_pk_add_f16 v22, v5, v13
	v_max_f16_e32 v23, v69, v69
	v_lshrrev_b32_e32 v46, 16, v69
	v_max_f32_e32 v20, v20, v20
	v_lshrrev_b32_e32 v47, 16, v21
	v_lshrrev_b32_e32 v69, 16, v22
	v_min_f16_e32 v21, v23, v21
	v_min3_f16 v23, v46, v47, v69
	v_min3_f16 v21, v21, v22, v23
	v_add_co_u32 v22, vcc_lo, v18, v36
	v_add_co_ci_u32_e64 v23, null, v19, v37, vcc_lo
	v_cvt_f32_f16_e32 v21, v21
	s_and_b32 vcc_lo, exec_lo, s1
	v_min_f32_e32 v20, v20, v21
	v_mov_b32_e32 v21, 0
	v_cvt_f16_f32_e32 v46, v20
	v_mov_b32_e32 v20, 0
	flat_store_short v[22:23], v46
	s_cbranch_vccnz .LBB221_138
; %bb.137:
	v_add_co_u32 v21, vcc_lo, v16, v42
	v_add_co_ci_u32_e64 v22, null, v17, v43, vcc_lo
	flat_load_ushort v21, v[21:22]
	s_waitcnt vmcnt(0) lgkmcnt(0)
	v_mul_f16_e32 v21, s3, v21
	v_cvt_f32_f16_e32 v21, v21
.LBB221_138:
	v_pk_add_f16 v22, v6, v12
	v_pk_add_f16 v23, v7, v13
	v_max_f16_e32 v46, v68, v68
	v_lshrrev_b32_e32 v47, 16, v68
	v_max_f32_e32 v21, v21, v21
	v_lshrrev_b32_e32 v68, 16, v22
	v_lshrrev_b32_e32 v69, 16, v23
	v_min_f16_e32 v22, v46, v22
	v_min3_f16 v46, v47, v68, v69
	v_min3_f16 v22, v22, v23, v46
	v_cvt_f32_f16_e32 v22, v22
	v_min_f32_e32 v21, v21, v22
	;; [unrolled: 54-line block ×3, first 2 shown]
	v_cvt_f16_f32_e32 v23, v21
	v_add_co_u32 v21, vcc_lo, v18, v38
	v_add_co_ci_u32_e64 v22, null, v19, v39, vcc_lo
	s_and_b32 vcc_lo, exec_lo, s1
	flat_store_short v[21:22], v23
	s_cbranch_vccnz .LBB221_144
; %bb.143:
	v_add_co_u32 v16, vcc_lo, v16, v44
	v_add_co_ci_u32_e64 v17, null, v17, v45, vcc_lo
	flat_load_ushort v16, v[16:17]
	s_waitcnt vmcnt(0) lgkmcnt(0)
	v_mul_f16_e32 v16, s3, v16
	v_cvt_f32_f16_e32 v20, v16
.LBB221_144:
	v_pk_add_f16 v12, v24, v12
	v_pk_add_f16 v17, v25, v13
	v_max_f16_e32 v13, v65, v65
	v_lshrrev_b32_e32 v21, 16, v65
	v_add_nc_u32_e32 v16, 0xc0, v48
	v_lshrrev_b32_e32 v22, 16, v12
	v_lshrrev_b32_e32 v23, 16, v17
	v_min_f16_e32 v46, v13, v12
	v_mad_i64_i32 v[12:13], null, v16, s2, 0
	v_min3_f16 v21, v21, v22, v23
	v_max_f32_e32 v22, v20, v20
	v_add_co_u32 v20, vcc_lo, v18, v44
	v_mov_b32_e32 v18, 0
	v_min3_f16 v17, v46, v17, v21
	v_lshlrev_b64 v[12:13], 1, v[12:13]
	v_add_co_ci_u32_e64 v21, null, v19, v45, vcc_lo
	v_cvt_f32_f16_e32 v17, v17
	v_add_co_u32 v12, vcc_lo, s12, v12
	v_add_co_ci_u32_e64 v13, null, s13, v13, vcc_lo
	v_min_f32_e32 v17, v22, v17
	s_and_b32 vcc_lo, exec_lo, s1
	v_cvt_f16_f32_e32 v19, v17
	v_mov_b32_e32 v17, 0
	flat_store_short v[20:21], v19
	s_cbranch_vccnz .LBB221_146
; %bb.145:
	v_add_co_u32 v19, vcc_lo, v12, v28
	v_add_co_ci_u32_e64 v20, null, v13, v29, vcc_lo
	flat_load_ushort v17, v[19:20]
	s_waitcnt vmcnt(0) lgkmcnt(0)
	v_mul_f16_e32 v17, s3, v17
	v_cvt_f32_f16_e32 v17, v17
.LBB221_146:
	v_pk_add_f16 v19, v30, v14
	v_pk_add_f16 v21, v31, v15
	v_max_f16_e32 v20, v64, v64
	v_lshrrev_b32_e32 v22, 16, v64
	v_lshrrev_b32_e32 v23, 16, v19
	;; [unrolled: 1-line block ×3, first 2 shown]
	v_min_f16_e32 v47, v20, v19
	v_mad_i64_i32 v[19:20], null, v16, s6, 0
	v_min3_f16 v22, v22, v23, v46
	v_min3_f16 v16, v47, v21, v22
	v_max_f32_e32 v21, v17, v17
	v_cvt_f32_f16_e32 v22, v16
	v_lshlrev_b64 v[16:17], 1, v[19:20]
	v_min_f32_e32 v19, v21, v22
	v_add_co_u32 v16, vcc_lo, s4, v16
	v_add_co_ci_u32_e64 v17, null, s5, v17, vcc_lo
	v_cvt_f16_f32_e32 v21, v19
	v_add_co_u32 v19, vcc_lo, v16, v28
	v_add_co_ci_u32_e64 v20, null, v17, v29, vcc_lo
	s_and_b32 vcc_lo, exec_lo, s1
	flat_store_short v[19:20], v21
	s_cbranch_vccnz .LBB221_148
; %bb.147:
	v_add_co_u32 v18, vcc_lo, v12, v32
	v_add_co_ci_u32_e64 v19, null, v13, v33, vcc_lo
	flat_load_ushort v18, v[18:19]
	s_waitcnt vmcnt(0) lgkmcnt(0)
	v_mul_f16_e32 v18, s3, v18
	v_cvt_f32_f16_e32 v18, v18
.LBB221_148:
	v_pk_add_f16 v19, v8, v14
	v_pk_add_f16 v20, v9, v15
	v_max_f16_e32 v21, v63, v63
	v_lshrrev_b32_e32 v22, 16, v63
	v_max_f32_e32 v18, v18, v18
	v_lshrrev_b32_e32 v23, 16, v19
	v_lshrrev_b32_e32 v46, 16, v20
	v_min_f16_e32 v19, v21, v19
	v_min3_f16 v21, v22, v23, v46
	v_min3_f16 v19, v19, v20, v21
	v_add_co_u32 v20, vcc_lo, v16, v32
	v_add_co_ci_u32_e64 v21, null, v17, v33, vcc_lo
	v_cvt_f32_f16_e32 v19, v19
	s_and_b32 vcc_lo, exec_lo, s1
	v_min_f32_e32 v18, v18, v19
	v_mov_b32_e32 v19, 0
	v_cvt_f16_f32_e32 v22, v18
	v_mov_b32_e32 v18, 0
	flat_store_short v[20:21], v22
	s_cbranch_vccnz .LBB221_150
; %bb.149:
	v_add_co_u32 v19, vcc_lo, v12, v34
	v_add_co_ci_u32_e64 v20, null, v13, v35, vcc_lo
	flat_load_ushort v19, v[19:20]
	s_waitcnt vmcnt(0) lgkmcnt(0)
	v_mul_f16_e32 v19, s3, v19
	v_cvt_f32_f16_e32 v19, v19
.LBB221_150:
	v_pk_add_f16 v20, v10, v14
	v_pk_add_f16 v21, v11, v15
	v_max_f16_e32 v22, v62, v62
	v_lshrrev_b32_e32 v23, 16, v62
	v_max_f32_e32 v19, v19, v19
	v_lshrrev_b32_e32 v46, 16, v20
	v_lshrrev_b32_e32 v47, 16, v21
	v_min_f16_e32 v20, v22, v20
	v_min3_f16 v22, v23, v46, v47
	v_min3_f16 v20, v20, v21, v22
	v_cvt_f32_f16_e32 v20, v20
	v_min_f32_e32 v19, v19, v20
	v_cvt_f16_f32_e32 v21, v19
	v_add_co_u32 v19, vcc_lo, v16, v34
	v_add_co_ci_u32_e64 v20, null, v17, v35, vcc_lo
	s_and_b32 vcc_lo, exec_lo, s1
	flat_store_short v[19:20], v21
	s_cbranch_vccnz .LBB221_152
; %bb.151:
	v_add_co_u32 v18, vcc_lo, v12, v36
	v_add_co_ci_u32_e64 v19, null, v13, v37, vcc_lo
	flat_load_ushort v18, v[18:19]
	s_waitcnt vmcnt(0) lgkmcnt(0)
	v_mul_f16_e32 v18, s3, v18
	v_cvt_f32_f16_e32 v18, v18
.LBB221_152:
	v_pk_add_f16 v19, v4, v14
	v_pk_add_f16 v20, v5, v15
	v_max_f16_e32 v21, v61, v61
	v_lshrrev_b32_e32 v22, 16, v61
	v_max_f32_e32 v18, v18, v18
	v_lshrrev_b32_e32 v23, 16, v19
	v_lshrrev_b32_e32 v46, 16, v20
	v_min_f16_e32 v19, v21, v19
	v_min3_f16 v21, v22, v23, v46
	v_min3_f16 v19, v19, v20, v21
	v_add_co_u32 v20, vcc_lo, v16, v36
	v_add_co_ci_u32_e64 v21, null, v17, v37, vcc_lo
	v_cvt_f32_f16_e32 v19, v19
	s_and_b32 vcc_lo, exec_lo, s1
	v_min_f32_e32 v18, v18, v19
	v_mov_b32_e32 v19, 0
	v_cvt_f16_f32_e32 v22, v18
	v_mov_b32_e32 v18, 0
	flat_store_short v[20:21], v22
	s_cbranch_vccnz .LBB221_154
; %bb.153:
	v_add_co_u32 v19, vcc_lo, v12, v42
	v_add_co_ci_u32_e64 v20, null, v13, v43, vcc_lo
	flat_load_ushort v19, v[19:20]
	s_waitcnt vmcnt(0) lgkmcnt(0)
	v_mul_f16_e32 v19, s3, v19
	v_cvt_f32_f16_e32 v19, v19
.LBB221_154:
	v_pk_add_f16 v20, v6, v14
	v_pk_add_f16 v21, v7, v15
	v_max_f16_e32 v22, v60, v60
	v_lshrrev_b32_e32 v23, 16, v60
	v_max_f32_e32 v19, v19, v19
	v_lshrrev_b32_e32 v46, 16, v20
	v_lshrrev_b32_e32 v47, 16, v21
	v_min_f16_e32 v20, v22, v20
	v_min3_f16 v22, v23, v46, v47
	v_min3_f16 v20, v20, v21, v22
	v_cvt_f32_f16_e32 v20, v20
	v_min_f32_e32 v19, v19, v20
	v_cvt_f16_f32_e32 v21, v19
	v_add_co_u32 v19, vcc_lo, v16, v42
	v_add_co_ci_u32_e64 v20, null, v17, v43, vcc_lo
	s_and_b32 vcc_lo, exec_lo, s1
	flat_store_short v[19:20], v21
	s_cbranch_vccnz .LBB221_156
; %bb.155:
	v_add_co_u32 v18, vcc_lo, v12, v40
	v_add_co_ci_u32_e64 v19, null, v13, v41, vcc_lo
	flat_load_ushort v18, v[18:19]
	s_waitcnt vmcnt(0) lgkmcnt(0)
	v_mul_f16_e32 v18, s3, v18
	v_cvt_f32_f16_e32 v18, v18
.LBB221_156:
	v_pk_add_f16 v19, v0, v14
	v_pk_add_f16 v20, v1, v15
	v_max_f16_e32 v21, v59, v59
	v_lshrrev_b32_e32 v22, 16, v59
	v_max_f32_e32 v18, v18, v18
	v_lshrrev_b32_e32 v23, 16, v19
	v_lshrrev_b32_e32 v46, 16, v20
	v_min_f16_e32 v19, v21, v19
	v_min3_f16 v21, v22, v23, v46
	v_min3_f16 v19, v19, v20, v21
	v_add_co_u32 v20, vcc_lo, v16, v40
	v_add_co_ci_u32_e64 v21, null, v17, v41, vcc_lo
	v_cvt_f32_f16_e32 v19, v19
	s_and_b32 vcc_lo, exec_lo, s1
	v_min_f32_e32 v18, v18, v19
	v_mov_b32_e32 v19, 0
	v_cvt_f16_f32_e32 v22, v18
	v_mov_b32_e32 v18, 0
	flat_store_short v[20:21], v22
	s_cbranch_vccnz .LBB221_158
; %bb.157:
	v_add_co_u32 v19, vcc_lo, v12, v38
	v_add_co_ci_u32_e64 v20, null, v13, v39, vcc_lo
	flat_load_ushort v19, v[19:20]
	s_waitcnt vmcnt(0) lgkmcnt(0)
	v_mul_f16_e32 v19, s3, v19
	v_cvt_f32_f16_e32 v19, v19
.LBB221_158:
	v_pk_add_f16 v20, v2, v14
	v_pk_add_f16 v21, v3, v15
	v_max_f16_e32 v22, v58, v58
	v_lshrrev_b32_e32 v23, 16, v58
	v_max_f32_e32 v19, v19, v19
	v_lshrrev_b32_e32 v46, 16, v20
	v_lshrrev_b32_e32 v47, 16, v21
	v_min_f16_e32 v20, v22, v20
	v_min3_f16 v22, v23, v46, v47
	v_min3_f16 v20, v20, v21, v22
	v_cvt_f32_f16_e32 v20, v20
	v_min_f32_e32 v19, v19, v20
	v_cvt_f16_f32_e32 v21, v19
	v_add_co_u32 v19, vcc_lo, v16, v38
	v_add_co_ci_u32_e64 v20, null, v17, v39, vcc_lo
	s_and_b32 vcc_lo, exec_lo, s1
	flat_store_short v[19:20], v21
	s_cbranch_vccnz .LBB221_160
; %bb.159:
	v_add_co_u32 v12, vcc_lo, v12, v44
	v_add_co_ci_u32_e64 v13, null, v13, v45, vcc_lo
	flat_load_ushort v12, v[12:13]
	s_waitcnt vmcnt(0) lgkmcnt(0)
	v_mul_f16_e32 v12, s3, v12
	v_cvt_f32_f16_e32 v18, v12
.LBB221_160:
	v_pk_add_f16 v12, v24, v14
	v_pk_add_f16 v15, v25, v15
	v_max_f16_e32 v13, v57, v57
	v_lshrrev_b32_e32 v19, 16, v57
	v_add_nc_u32_e32 v14, 0xe0, v48
	v_lshrrev_b32_e32 v20, 16, v12
	v_lshrrev_b32_e32 v21, 16, v15
	v_min_f16_e32 v22, v13, v12
	v_mad_i64_i32 v[12:13], null, v14, s2, 0
	v_min3_f16 v19, v19, v20, v21
	v_max_f32_e32 v20, v18, v18
	v_add_co_u32 v18, vcc_lo, v16, v44
	v_mov_b32_e32 v16, 0
	v_min3_f16 v15, v22, v15, v19
	v_lshlrev_b64 v[12:13], 1, v[12:13]
	v_add_co_ci_u32_e64 v19, null, v17, v45, vcc_lo
	v_cvt_f32_f16_e32 v15, v15
	v_add_co_u32 v12, vcc_lo, s12, v12
	v_add_co_ci_u32_e64 v13, null, s13, v13, vcc_lo
	v_min_f32_e32 v15, v20, v15
	s_and_b32 vcc_lo, exec_lo, s1
	v_cvt_f16_f32_e32 v17, v15
	v_mov_b32_e32 v15, 0
	flat_store_short v[18:19], v17
	s_cbranch_vccnz .LBB221_162
; %bb.161:
	v_add_co_u32 v17, vcc_lo, v12, v28
	v_add_co_ci_u32_e64 v18, null, v13, v29, vcc_lo
	flat_load_ushort v15, v[17:18]
	s_waitcnt vmcnt(0) lgkmcnt(0)
	v_mul_f16_e32 v15, s3, v15
	v_cvt_f32_f16_e32 v15, v15
.LBB221_162:
	v_pk_add_f16 v17, v30, v26
	v_pk_add_f16 v19, v31, v27
	v_max_f16_e32 v18, v56, v56
	v_lshrrev_b32_e32 v20, 16, v56
	v_lshrrev_b32_e32 v21, 16, v17
	;; [unrolled: 1-line block ×3, first 2 shown]
	v_min_f16_e32 v23, v18, v17
	v_mad_i64_i32 v[17:18], null, v14, s6, 0
	v_min3_f16 v20, v20, v21, v22
	v_min3_f16 v14, v23, v19, v20
	v_max_f32_e32 v19, v15, v15
	v_cvt_f32_f16_e32 v20, v14
	v_lshlrev_b64 v[14:15], 1, v[17:18]
	v_min_f32_e32 v17, v19, v20
	v_add_co_u32 v14, vcc_lo, s4, v14
	v_add_co_ci_u32_e64 v15, null, s5, v15, vcc_lo
	v_cvt_f16_f32_e32 v19, v17
	v_add_co_u32 v17, vcc_lo, v14, v28
	v_add_co_ci_u32_e64 v18, null, v15, v29, vcc_lo
	s_and_b32 vcc_lo, exec_lo, s1
	flat_store_short v[17:18], v19
	s_cbranch_vccnz .LBB221_164
; %bb.163:
	v_add_co_u32 v16, vcc_lo, v12, v32
	v_add_co_ci_u32_e64 v17, null, v13, v33, vcc_lo
	flat_load_ushort v16, v[16:17]
	s_waitcnt vmcnt(0) lgkmcnt(0)
	v_mul_f16_e32 v16, s3, v16
	v_cvt_f32_f16_e32 v16, v16
.LBB221_164:
	v_pk_add_f16 v8, v8, v26
	v_pk_add_f16 v9, v9, v27
	v_max_f16_e32 v17, v55, v55
	v_lshrrev_b32_e32 v18, 16, v55
	v_lshrrev_b32_e32 v19, 16, v8
	;; [unrolled: 1-line block ×3, first 2 shown]
	v_min_f16_e32 v8, v17, v8
	v_min3_f16 v17, v18, v19, v20
	v_min3_f16 v8, v8, v9, v17
	v_max_f32_e32 v9, v16, v16
	v_add_co_u32 v16, vcc_lo, v14, v32
	v_add_co_ci_u32_e64 v17, null, v15, v33, vcc_lo
	v_cvt_f32_f16_e32 v8, v8
	s_and_b32 vcc_lo, exec_lo, s1
	v_min_f32_e32 v8, v9, v8
	v_mov_b32_e32 v9, 0
	v_cvt_f16_f32_e32 v18, v8
	v_mov_b32_e32 v8, 0
	flat_store_short v[16:17], v18
	s_cbranch_vccnz .LBB221_166
; %bb.165:
	v_add_co_u32 v16, vcc_lo, v12, v34
	v_add_co_ci_u32_e64 v17, null, v13, v35, vcc_lo
	flat_load_ushort v9, v[16:17]
	s_waitcnt vmcnt(0) lgkmcnt(0)
	v_mul_f16_e32 v9, s3, v9
	v_cvt_f32_f16_e32 v9, v9
.LBB221_166:
	v_pk_add_f16 v10, v10, v26
	v_pk_add_f16 v11, v11, v27
	v_max_f16_e32 v16, v54, v54
	v_lshrrev_b32_e32 v17, 16, v54
	v_max_f32_e32 v9, v9, v9
	v_lshrrev_b32_e32 v18, 16, v10
	v_lshrrev_b32_e32 v19, 16, v11
	v_min_f16_e32 v10, v16, v10
	v_min3_f16 v16, v17, v18, v19
	v_min3_f16 v10, v10, v11, v16
	v_cvt_f32_f16_e32 v10, v10
	v_min_f32_e32 v9, v9, v10
	v_cvt_f16_f32_e32 v11, v9
	v_add_co_u32 v9, vcc_lo, v14, v34
	v_add_co_ci_u32_e64 v10, null, v15, v35, vcc_lo
	s_and_b32 vcc_lo, exec_lo, s1
	flat_store_short v[9:10], v11
	s_cbranch_vccnz .LBB221_168
; %bb.167:
	v_add_co_u32 v8, vcc_lo, v12, v36
	v_add_co_ci_u32_e64 v9, null, v13, v37, vcc_lo
	flat_load_ushort v8, v[8:9]
	s_waitcnt vmcnt(0) lgkmcnt(0)
	v_mul_f16_e32 v8, s3, v8
	v_cvt_f32_f16_e32 v8, v8
.LBB221_168:
	v_pk_add_f16 v4, v4, v26
	v_pk_add_f16 v5, v5, v27
	v_max_f16_e32 v9, v53, v53
	v_lshrrev_b32_e32 v10, 16, v53
	v_lshrrev_b32_e32 v11, 16, v4
	;; [unrolled: 1-line block ×3, first 2 shown]
	v_min_f16_e32 v4, v9, v4
	v_min3_f16 v9, v10, v11, v16
	v_min3_f16 v4, v4, v5, v9
	v_max_f32_e32 v5, v8, v8
	v_add_co_u32 v8, vcc_lo, v14, v36
	v_add_co_ci_u32_e64 v9, null, v15, v37, vcc_lo
	v_cvt_f32_f16_e32 v4, v4
	s_and_b32 vcc_lo, exec_lo, s1
	v_min_f32_e32 v4, v5, v4
	v_mov_b32_e32 v5, 0
	v_cvt_f16_f32_e32 v10, v4
	v_mov_b32_e32 v4, 0
	flat_store_short v[8:9], v10
	s_cbranch_vccnz .LBB221_170
; %bb.169:
	v_add_co_u32 v8, vcc_lo, v12, v42
	v_add_co_ci_u32_e64 v9, null, v13, v43, vcc_lo
	flat_load_ushort v5, v[8:9]
	s_waitcnt vmcnt(0) lgkmcnt(0)
	v_mul_f16_e32 v5, s3, v5
	v_cvt_f32_f16_e32 v5, v5
.LBB221_170:
	v_pk_add_f16 v6, v6, v26
	v_pk_add_f16 v7, v7, v27
	v_max_f16_e32 v8, v52, v52
	v_lshrrev_b32_e32 v9, 16, v52
	v_max_f32_e32 v5, v5, v5
	v_lshrrev_b32_e32 v10, 16, v6
	v_lshrrev_b32_e32 v11, 16, v7
	v_min_f16_e32 v6, v8, v6
	v_min3_f16 v8, v9, v10, v11
	v_min3_f16 v6, v6, v7, v8
	v_cvt_f32_f16_e32 v6, v6
	v_min_f32_e32 v5, v5, v6
	v_cvt_f16_f32_e32 v7, v5
	v_add_co_u32 v5, vcc_lo, v14, v42
	v_add_co_ci_u32_e64 v6, null, v15, v43, vcc_lo
	s_and_b32 vcc_lo, exec_lo, s1
	flat_store_short v[5:6], v7
	s_cbranch_vccnz .LBB221_172
; %bb.171:
	v_add_co_u32 v4, vcc_lo, v12, v40
	v_add_co_ci_u32_e64 v5, null, v13, v41, vcc_lo
	flat_load_ushort v4, v[4:5]
	s_waitcnt vmcnt(0) lgkmcnt(0)
	v_mul_f16_e32 v4, s3, v4
	v_cvt_f32_f16_e32 v4, v4
.LBB221_172:
	v_pk_add_f16 v0, v0, v26
	v_pk_add_f16 v1, v1, v27
	v_max_f16_e32 v5, v51, v51
	v_lshrrev_b32_e32 v6, 16, v51
	v_pk_add_f16 v3, v3, v27
	v_lshrrev_b32_e32 v7, 16, v0
	v_lshrrev_b32_e32 v8, 16, v1
	v_min_f16_e32 v0, v5, v0
	s_mov_b32 s1, -1
	v_min3_f16 v5, v6, v7, v8
	v_lshrrev_b32_e32 v6, 16, v50
	v_lshrrev_b32_e32 v8, 16, v3
	v_min3_f16 v0, v0, v1, v5
	v_pk_add_f16 v5, v2, v26
	v_max_f32_e32 v1, v4, v4
	v_max_f16_e32 v4, v50, v50
	v_cvt_f32_f16_e32 v0, v0
	v_lshrrev_b32_e32 v7, 16, v5
	v_min_f16_e32 v4, v4, v5
	v_min_f32_e32 v0, v1, v0
	v_min3_f16 v5, v6, v7, v8
	v_add_co_u32 v1, vcc_lo, v14, v40
	v_add_co_ci_u32_e64 v2, null, v15, v41, vcc_lo
	v_cvt_f16_f32_e32 v6, v0
	v_min3_f16 v0, v4, v3, v5
	s_mov_b32 vcc_lo, s0
	flat_store_short v[1:2], v6
	s_cbranch_vccz .LBB221_174
; %bb.173:
	v_cvt_f32_f16_e32 v1, v0
	s_mov_b32 s1, 0
	v_min_f32_e32 v1, 0, v1
	v_cvt_f16_f32_e32 v3, v1
	v_add_co_u32 v1, vcc_lo, v14, v38
	v_add_co_ci_u32_e64 v2, null, v15, v39, vcc_lo
	flat_store_short v[1:2], v3
.LBB221_174:
	v_mov_b32_e32 v1, 0
	s_andn2_b32 vcc_lo, exec_lo, s1
	s_cbranch_vccnz .LBB221_176
; %bb.175:
	v_add_co_u32 v1, vcc_lo, v12, v38
	v_add_co_ci_u32_e64 v2, null, v13, v39, vcc_lo
	flat_load_ushort v1, v[1:2]
	v_max_f16_e32 v2, v0, v0
	v_add_co_u32 v0, vcc_lo, v14, v38
	s_waitcnt vmcnt(0) lgkmcnt(0)
	v_mul_f16_e32 v3, s3, v1
	v_add_co_ci_u32_e64 v1, null, v15, v39, vcc_lo
	v_min_f16_e32 v4, v3, v2
	v_add_co_u32 v2, vcc_lo, v12, v44
	v_add_co_ci_u32_e64 v3, null, v13, v45, vcc_lo
	flat_store_short v[0:1], v4
	flat_load_ushort v0, v[2:3]
	s_waitcnt vmcnt(0) lgkmcnt(0)
	v_mul_f16_e32 v0, s3, v0
	v_cvt_f32_f16_e32 v1, v0
.LBB221_176:
	v_pk_add_f16 v0, v24, v26
	v_pk_add_f16 v2, v25, v27
	v_max_f16_e32 v3, v49, v49
	v_lshrrev_b32_e32 v4, 16, v49
	v_max_f32_e32 v1, v1, v1
	v_lshrrev_b32_e32 v5, 16, v0
	v_lshrrev_b32_e32 v6, 16, v2
	v_min_f16_e32 v0, v3, v0
	v_min3_f16 v3, v4, v5, v6
	v_min3_f16 v0, v0, v2, v3
	v_cvt_f32_f16_e32 v0, v0
	v_min_f32_e32 v0, v1, v0
	v_cvt_f16_f32_e32 v2, v0
	v_add_co_u32 v0, vcc_lo, v14, v44
	v_add_co_ci_u32_e64 v1, null, v15, v45, vcc_lo
	flat_store_short v[0:1], v2
	s_endpgm
	.section	.rodata,"a",@progbits
	.p2align	6, 0x0
	.amdhsa_kernel _ZN12_GLOBAL__N_120geam_min_plus_kernelIDF16_Dv2_DF16_S1_Li8ELi32ELi64ELi256ELi4ELi64ELi4ELi64ELi4ELc78ELc84ELb0ELb0ELb1EDF16_KPKDF16_KPDF16_EEviiiT16_PT17_ilS9_ilS7_S9_ilPT18_ili26rocblas_geam_ex_operation_
		.amdhsa_group_segment_fixed_size 5120
		.amdhsa_private_segment_fixed_size 0
		.amdhsa_kernarg_size 128
		.amdhsa_user_sgpr_count 6
		.amdhsa_user_sgpr_private_segment_buffer 1
		.amdhsa_user_sgpr_dispatch_ptr 0
		.amdhsa_user_sgpr_queue_ptr 0
		.amdhsa_user_sgpr_kernarg_segment_ptr 1
		.amdhsa_user_sgpr_dispatch_id 0
		.amdhsa_user_sgpr_flat_scratch_init 0
		.amdhsa_user_sgpr_private_segment_size 0
		.amdhsa_wavefront_size32 1
		.amdhsa_uses_dynamic_stack 0
		.amdhsa_system_sgpr_private_segment_wavefront_offset 0
		.amdhsa_system_sgpr_workgroup_id_x 1
		.amdhsa_system_sgpr_workgroup_id_y 0
		.amdhsa_system_sgpr_workgroup_id_z 1
		.amdhsa_system_sgpr_workgroup_info 0
		.amdhsa_system_vgpr_workitem_id 1
		.amdhsa_next_free_vgpr 166
		.amdhsa_next_free_sgpr 25
		.amdhsa_reserve_vcc 1
		.amdhsa_reserve_flat_scratch 1
		.amdhsa_float_round_mode_32 0
		.amdhsa_float_round_mode_16_64 0
		.amdhsa_float_denorm_mode_32 3
		.amdhsa_float_denorm_mode_16_64 3
		.amdhsa_dx10_clamp 1
		.amdhsa_ieee_mode 1
		.amdhsa_fp16_overflow 0
		.amdhsa_workgroup_processor_mode 1
		.amdhsa_memory_ordered 1
		.amdhsa_forward_progress 1
		.amdhsa_shared_vgpr_count 0
		.amdhsa_exception_fp_ieee_invalid_op 0
		.amdhsa_exception_fp_denorm_src 0
		.amdhsa_exception_fp_ieee_div_zero 0
		.amdhsa_exception_fp_ieee_overflow 0
		.amdhsa_exception_fp_ieee_underflow 0
		.amdhsa_exception_fp_ieee_inexact 0
		.amdhsa_exception_int_div_zero 0
	.end_amdhsa_kernel
	.section	.text._ZN12_GLOBAL__N_120geam_min_plus_kernelIDF16_Dv2_DF16_S1_Li8ELi32ELi64ELi256ELi4ELi64ELi4ELi64ELi4ELc78ELc84ELb0ELb0ELb1EDF16_KPKDF16_KPDF16_EEviiiT16_PT17_ilS9_ilS7_S9_ilPT18_ili26rocblas_geam_ex_operation_,"axG",@progbits,_ZN12_GLOBAL__N_120geam_min_plus_kernelIDF16_Dv2_DF16_S1_Li8ELi32ELi64ELi256ELi4ELi64ELi4ELi64ELi4ELc78ELc84ELb0ELb0ELb1EDF16_KPKDF16_KPDF16_EEviiiT16_PT17_ilS9_ilS7_S9_ilPT18_ili26rocblas_geam_ex_operation_,comdat
.Lfunc_end221:
	.size	_ZN12_GLOBAL__N_120geam_min_plus_kernelIDF16_Dv2_DF16_S1_Li8ELi32ELi64ELi256ELi4ELi64ELi4ELi64ELi4ELc78ELc84ELb0ELb0ELb1EDF16_KPKDF16_KPDF16_EEviiiT16_PT17_ilS9_ilS7_S9_ilPT18_ili26rocblas_geam_ex_operation_, .Lfunc_end221-_ZN12_GLOBAL__N_120geam_min_plus_kernelIDF16_Dv2_DF16_S1_Li8ELi32ELi64ELi256ELi4ELi64ELi4ELi64ELi4ELc78ELc84ELb0ELb0ELb1EDF16_KPKDF16_KPDF16_EEviiiT16_PT17_ilS9_ilS7_S9_ilPT18_ili26rocblas_geam_ex_operation_
                                        ; -- End function
	.set _ZN12_GLOBAL__N_120geam_min_plus_kernelIDF16_Dv2_DF16_S1_Li8ELi32ELi64ELi256ELi4ELi64ELi4ELi64ELi4ELc78ELc84ELb0ELb0ELb1EDF16_KPKDF16_KPDF16_EEviiiT16_PT17_ilS9_ilS7_S9_ilPT18_ili26rocblas_geam_ex_operation_.num_vgpr, 166
	.set _ZN12_GLOBAL__N_120geam_min_plus_kernelIDF16_Dv2_DF16_S1_Li8ELi32ELi64ELi256ELi4ELi64ELi4ELi64ELi4ELc78ELc84ELb0ELb0ELb1EDF16_KPKDF16_KPDF16_EEviiiT16_PT17_ilS9_ilS7_S9_ilPT18_ili26rocblas_geam_ex_operation_.num_agpr, 0
	.set _ZN12_GLOBAL__N_120geam_min_plus_kernelIDF16_Dv2_DF16_S1_Li8ELi32ELi64ELi256ELi4ELi64ELi4ELi64ELi4ELc78ELc84ELb0ELb0ELb1EDF16_KPKDF16_KPDF16_EEviiiT16_PT17_ilS9_ilS7_S9_ilPT18_ili26rocblas_geam_ex_operation_.numbered_sgpr, 25
	.set _ZN12_GLOBAL__N_120geam_min_plus_kernelIDF16_Dv2_DF16_S1_Li8ELi32ELi64ELi256ELi4ELi64ELi4ELi64ELi4ELc78ELc84ELb0ELb0ELb1EDF16_KPKDF16_KPDF16_EEviiiT16_PT17_ilS9_ilS7_S9_ilPT18_ili26rocblas_geam_ex_operation_.num_named_barrier, 0
	.set _ZN12_GLOBAL__N_120geam_min_plus_kernelIDF16_Dv2_DF16_S1_Li8ELi32ELi64ELi256ELi4ELi64ELi4ELi64ELi4ELc78ELc84ELb0ELb0ELb1EDF16_KPKDF16_KPDF16_EEviiiT16_PT17_ilS9_ilS7_S9_ilPT18_ili26rocblas_geam_ex_operation_.private_seg_size, 0
	.set _ZN12_GLOBAL__N_120geam_min_plus_kernelIDF16_Dv2_DF16_S1_Li8ELi32ELi64ELi256ELi4ELi64ELi4ELi64ELi4ELc78ELc84ELb0ELb0ELb1EDF16_KPKDF16_KPDF16_EEviiiT16_PT17_ilS9_ilS7_S9_ilPT18_ili26rocblas_geam_ex_operation_.uses_vcc, 1
	.set _ZN12_GLOBAL__N_120geam_min_plus_kernelIDF16_Dv2_DF16_S1_Li8ELi32ELi64ELi256ELi4ELi64ELi4ELi64ELi4ELc78ELc84ELb0ELb0ELb1EDF16_KPKDF16_KPDF16_EEviiiT16_PT17_ilS9_ilS7_S9_ilPT18_ili26rocblas_geam_ex_operation_.uses_flat_scratch, 1
	.set _ZN12_GLOBAL__N_120geam_min_plus_kernelIDF16_Dv2_DF16_S1_Li8ELi32ELi64ELi256ELi4ELi64ELi4ELi64ELi4ELc78ELc84ELb0ELb0ELb1EDF16_KPKDF16_KPDF16_EEviiiT16_PT17_ilS9_ilS7_S9_ilPT18_ili26rocblas_geam_ex_operation_.has_dyn_sized_stack, 0
	.set _ZN12_GLOBAL__N_120geam_min_plus_kernelIDF16_Dv2_DF16_S1_Li8ELi32ELi64ELi256ELi4ELi64ELi4ELi64ELi4ELc78ELc84ELb0ELb0ELb1EDF16_KPKDF16_KPDF16_EEviiiT16_PT17_ilS9_ilS7_S9_ilPT18_ili26rocblas_geam_ex_operation_.has_recursion, 0
	.set _ZN12_GLOBAL__N_120geam_min_plus_kernelIDF16_Dv2_DF16_S1_Li8ELi32ELi64ELi256ELi4ELi64ELi4ELi64ELi4ELc78ELc84ELb0ELb0ELb1EDF16_KPKDF16_KPDF16_EEviiiT16_PT17_ilS9_ilS7_S9_ilPT18_ili26rocblas_geam_ex_operation_.has_indirect_call, 0
	.section	.AMDGPU.csdata,"",@progbits
; Kernel info:
; codeLenInByte = 19936
; TotalNumSgprs: 27
; NumVgprs: 166
; ScratchSize: 0
; MemoryBound: 0
; FloatMode: 240
; IeeeMode: 1
; LDSByteSize: 5120 bytes/workgroup (compile time only)
; SGPRBlocks: 0
; VGPRBlocks: 20
; NumSGPRsForWavesPerEU: 27
; NumVGPRsForWavesPerEU: 166
; Occupancy: 5
; WaveLimiterHint : 1
; COMPUTE_PGM_RSRC2:SCRATCH_EN: 0
; COMPUTE_PGM_RSRC2:USER_SGPR: 6
; COMPUTE_PGM_RSRC2:TRAP_HANDLER: 0
; COMPUTE_PGM_RSRC2:TGID_X_EN: 1
; COMPUTE_PGM_RSRC2:TGID_Y_EN: 0
; COMPUTE_PGM_RSRC2:TGID_Z_EN: 1
; COMPUTE_PGM_RSRC2:TIDIG_COMP_CNT: 1
	.section	.text._ZN12_GLOBAL__N_120geam_min_plus_kernelIDF16_Dv2_DF16_S1_Li8ELi32ELi64ELi256ELi4ELi64ELi4ELi64ELi4ELc78ELc84ELb0ELb1ELb1EPKDF16_KS3_KPDF16_EEviiiT16_PT17_ilS9_ilS7_S9_ilPT18_ili26rocblas_geam_ex_operation_,"axG",@progbits,_ZN12_GLOBAL__N_120geam_min_plus_kernelIDF16_Dv2_DF16_S1_Li8ELi32ELi64ELi256ELi4ELi64ELi4ELi64ELi4ELc78ELc84ELb0ELb1ELb1EPKDF16_KS3_KPDF16_EEviiiT16_PT17_ilS9_ilS7_S9_ilPT18_ili26rocblas_geam_ex_operation_,comdat
	.globl	_ZN12_GLOBAL__N_120geam_min_plus_kernelIDF16_Dv2_DF16_S1_Li8ELi32ELi64ELi256ELi4ELi64ELi4ELi64ELi4ELc78ELc84ELb0ELb1ELb1EPKDF16_KS3_KPDF16_EEviiiT16_PT17_ilS9_ilS7_S9_ilPT18_ili26rocblas_geam_ex_operation_ ; -- Begin function _ZN12_GLOBAL__N_120geam_min_plus_kernelIDF16_Dv2_DF16_S1_Li8ELi32ELi64ELi256ELi4ELi64ELi4ELi64ELi4ELc78ELc84ELb0ELb1ELb1EPKDF16_KS3_KPDF16_EEviiiT16_PT17_ilS9_ilS7_S9_ilPT18_ili26rocblas_geam_ex_operation_
	.p2align	8
	.type	_ZN12_GLOBAL__N_120geam_min_plus_kernelIDF16_Dv2_DF16_S1_Li8ELi32ELi64ELi256ELi4ELi64ELi4ELi64ELi4ELc78ELc84ELb0ELb1ELb1EPKDF16_KS3_KPDF16_EEviiiT16_PT17_ilS9_ilS7_S9_ilPT18_ili26rocblas_geam_ex_operation_,@function
_ZN12_GLOBAL__N_120geam_min_plus_kernelIDF16_Dv2_DF16_S1_Li8ELi32ELi64ELi256ELi4ELi64ELi4ELi64ELi4ELc78ELc84ELb0ELb1ELb1EPKDF16_KS3_KPDF16_EEviiiT16_PT17_ilS9_ilS7_S9_ilPT18_ili26rocblas_geam_ex_operation_: ; @_ZN12_GLOBAL__N_120geam_min_plus_kernelIDF16_Dv2_DF16_S1_Li8ELi32ELi64ELi256ELi4ELi64ELi4ELi64ELi4ELc78ELc84ELb0ELb1ELb1EPKDF16_KS3_KPDF16_EEviiiT16_PT17_ilS9_ilS7_S9_ilPT18_ili26rocblas_geam_ex_operation_
; %bb.0:
	s_clause 0x1
	s_load_dwordx4 s[0:3], s[4:5], 0x10
	s_load_dwordx4 s[8:11], s[4:5], 0x40
	s_mov_b32 s24, s7
	s_mov_b32 s25, 0
	v_mov_b32_e32 v2, 0
	s_lshl_b64 s[18:19], s[24:25], 1
	s_clause 0x1
	s_load_dwordx4 s[12:15], s[4:5], 0x28
	s_load_dwordx2 s[16:17], s[4:5], 0x50
	s_mov_b64 s[20:21], 0
	s_waitcnt lgkmcnt(0)
	s_add_u32 s0, s0, s18
	s_addc_u32 s1, s1, s19
	global_load_ushort v91, v2, s[0:1]
	s_add_u32 s0, s10, s18
	s_addc_u32 s1, s11, s19
	s_mov_b64 s[18:19], 0
	global_load_ushort v50, v2, s[0:1]
	s_waitcnt vmcnt(1)
	v_cmp_eq_f16_e32 vcc_lo, 0, v91
	v_cmp_neq_f16_e64 s0, 0, v91
	s_cbranch_vccnz .LBB222_2
; %bb.1:
	s_lshl_b64 s[10:11], s[24:25], 3
	s_add_u32 s2, s2, s10
	s_addc_u32 s3, s3, s11
	s_lshl_b64 s[10:11], s[12:13], 1
	s_load_dwordx2 s[2:3], s[2:3], 0x0
	s_waitcnt lgkmcnt(0)
	s_add_u32 s20, s2, s10
	s_addc_u32 s21, s3, s11
.LBB222_2:
	s_andn2_b32 vcc_lo, exec_lo, s0
	s_cbranch_vccnz .LBB222_4
; %bb.3:
	s_lshl_b64 s[0:1], s[24:25], 3
	s_add_u32 s0, s14, s0
	s_addc_u32 s1, s15, s1
	s_lshl_b64 s[2:3], s[8:9], 1
	s_load_dwordx2 s[0:1], s[0:1], 0x0
	s_waitcnt lgkmcnt(0)
	s_add_u32 s18, s0, s2
	s_addc_u32 s19, s1, s3
.LBB222_4:
	s_load_dwordx4 s[8:11], s[4:5], 0x60
	s_waitcnt vmcnt(0)
	v_cmp_eq_f16_e32 vcc_lo, 0, v50
	v_cmp_neq_f16_e64 s1, 0, v50
	s_cbranch_vccnz .LBB222_6
; %bb.5:
	s_lshl_b64 s[2:3], s[24:25], 3
	s_add_u32 s2, s16, s2
	s_addc_u32 s3, s17, s3
	s_waitcnt lgkmcnt(0)
	s_lshl_b64 s[8:9], s[8:9], 1
	s_load_dwordx2 s[2:3], s[2:3], 0x0
	s_waitcnt lgkmcnt(0)
	s_add_u32 s16, s2, s8
	s_addc_u32 s17, s3, s9
	s_branch .LBB222_7
.LBB222_6:
	s_mov_b64 s[16:17], 0
.LBB222_7:
	s_clause 0x1
	s_load_dword s22, s[4:5], 0x20
	s_load_dwordx4 s[12:15], s[4:5], 0x0
	s_lshl_b64 s[2:3], s[24:25], 3
	v_lshl_add_u32 v3, v1, 3, v0
                                        ; implicit-def: $vgpr18
	v_and_b32_e32 v17, 63, v3
	v_lshrrev_b32_e32 v95, 6, v3
	s_waitcnt lgkmcnt(0)
	s_ashr_i32 s23, s22, 31
	s_add_u32 s10, s10, s2
	s_addc_u32 s11, s11, s3
	s_add_i32 s0, s12, -1
	s_ashr_i32 s2, s0, 31
	s_lshr_b32 s2, s2, 26
	s_add_i32 s0, s0, s2
	s_ashr_i32 s0, s0, 6
	s_add_i32 s2, s0, 1
	s_not_b32 s0, s0
	v_cvt_f32_u32_e32 v2, s2
	v_rcp_iflag_f32_e32 v2, v2
	v_mul_f32_e32 v2, 0x4f7ffffe, v2
	v_cvt_u32_f32_e32 v2, v2
	v_readfirstlane_b32 s3, v2
	s_mul_i32 s0, s0, s3
	s_mul_hi_u32 s0, s3, s0
	s_add_i32 s3, s3, s0
	s_mul_hi_u32 s0, s6, s3
	s_mul_i32 s3, s0, s2
	s_add_i32 s7, s0, 1
	s_sub_i32 s3, s6, s3
	s_sub_i32 s8, s3, s2
	s_cmp_ge_u32 s3, s2
	s_cselect_b32 s0, s7, s0
	s_cselect_b32 s3, s8, s3
	s_add_i32 s7, s0, 1
	s_cmp_ge_u32 s3, s2
	v_cmp_le_i32_e64 s8, s14, v95
	s_cselect_b32 s3, s7, s0
                                        ; implicit-def: $sgpr7
	s_mul_i32 s0, s3, s2
	s_sub_i32 s0, s6, s0
	s_lshl_b32 s15, s0, 6
	v_cmp_eq_f16_e64 s0, 0, v91
	v_or_b32_e32 v2, s15, v17
	v_cmp_le_i32_e32 vcc_lo, s12, v2
	v_ashrrev_i32_e32 v3, 31, v2
	s_or_b32 s6, vcc_lo, s8
	s_nor_b32 s2, s0, s6
	s_and_saveexec_b32 s9, s2
	s_xor_b32 s9, exec_lo, s9
	s_cbranch_execz .LBB222_9
; %bb.8:
	s_add_i32 s7, s14, -1
	v_lshlrev_b64 v[6:7], 1, v[2:3]
	v_min_u32_e32 v4, s7, v95
	v_mad_i64_i32 v[4:5], null, s22, v4, 0
	v_lshlrev_b64 v[4:5], 1, v[4:5]
	v_add_co_u32 v4, s2, s20, v4
	v_add_co_ci_u32_e64 v5, null, s21, v5, s2
	v_add_co_u32 v4, s2, v4, v6
	v_add_co_ci_u32_e64 v5, null, v5, v7, s2
	flat_load_ushort v4, v[4:5]
	s_waitcnt vmcnt(0) lgkmcnt(0)
	v_mul_f16_e32 v18, v91, v4
.LBB222_9:
	s_or_saveexec_b32 s2, s9
	v_mov_b32_e32 v4, s7
	s_xor_b32 exec_lo, exec_lo, s2
; %bb.10:
	s_add_i32 s7, s14, -1
	v_cndmask_b32_e64 v18, 0, 0x7c00, s6
	v_mov_b32_e32 v4, s7
; %bb.11:
	s_or_b32 exec_lo, exec_lo, s2
	s_load_dword s25, s[4:5], 0x38
	v_min_i32_e32 v4, v95, v4
	s_lshl_b32 s24, s3, 8
	s_waitcnt lgkmcnt(0)
	v_mad_i64_i32 v[5:6], null, v4, s25, 0
	v_or_b32_e32 v4, s24, v17
	v_cmp_le_i32_e64 s2, s13, v4
	v_lshlrev_b64 v[5:6], 1, v[5:6]
	s_or_b32 s6, s2, s8
	v_cndmask_b32_e64 v19, 0, 0x7c00, s6
	v_add_co_u32 v12, s3, s18, v5
	v_add_co_ci_u32_e64 v13, null, s19, v6, s3
	v_ashrrev_i32_e32 v5, 31, v4
	s_nor_b32 s3, s0, s6
	s_and_saveexec_b32 s6, s3
	s_cbranch_execz .LBB222_13
; %bb.12:
	v_lshlrev_b64 v[6:7], 1, v[4:5]
	v_add_co_u32 v6, s3, v12, v6
	v_add_co_ci_u32_e64 v7, null, v13, v7, s3
	flat_load_ushort v6, v[6:7]
	s_waitcnt vmcnt(0) lgkmcnt(0)
	v_mul_f16_e32 v19, v91, v6
.LBB222_13:
	s_or_b32 exec_lo, exec_lo, s6
	v_or_b32_e32 v6, 64, v4
	s_add_i32 s9, s13, -1
	v_cmp_le_i32_e64 s3, s13, v6
	v_min_i32_e32 v6, s9, v6
	s_or_b32 s6, s3, s8
	v_ashrrev_i32_e32 v7, 31, v6
	v_cndmask_b32_e64 v20, 0, 0x7c00, s6
	s_nor_b32 s6, s6, s0
	s_and_saveexec_b32 s7, s6
	s_cbranch_execz .LBB222_15
; %bb.14:
	v_lshlrev_b64 v[8:9], 1, v[6:7]
	v_add_co_u32 v8, s6, v12, v8
	v_add_co_ci_u32_e64 v9, null, v13, v9, s6
	flat_load_ushort v8, v[8:9]
	s_waitcnt vmcnt(0) lgkmcnt(0)
	v_mul_f16_e32 v20, v91, v8
.LBB222_15:
	s_or_b32 exec_lo, exec_lo, s7
	v_or_b32_e32 v8, 0x80, v4
	v_cmp_le_i32_e64 s6, s13, v8
	v_min_i32_e32 v8, s9, v8
	s_or_b32 s7, s6, s8
	v_ashrrev_i32_e32 v9, 31, v8
	v_cndmask_b32_e64 v21, 0, 0x7c00, s7
	s_nor_b32 s7, s7, s0
	s_and_saveexec_b32 s26, s7
	s_cbranch_execz .LBB222_17
; %bb.16:
	v_lshlrev_b64 v[10:11], 1, v[8:9]
	v_add_co_u32 v10, s7, v12, v10
	v_add_co_ci_u32_e64 v11, null, v13, v11, s7
	flat_load_ushort v10, v[10:11]
	s_waitcnt vmcnt(0) lgkmcnt(0)
	v_mul_f16_e32 v21, v91, v10
.LBB222_17:
	s_or_b32 exec_lo, exec_lo, s26
	v_or_b32_e32 v10, 0xc0, v4
	v_cmp_le_i32_e64 s7, s13, v10
	v_min_i32_e32 v10, s9, v10
	s_or_b32 s8, s7, s8
	v_ashrrev_i32_e32 v11, 31, v10
	v_cndmask_b32_e64 v22, 0, 0x7c00, s8
	s_nor_b32 s8, s8, s0
	s_and_saveexec_b32 s9, s8
	s_cbranch_execz .LBB222_19
; %bb.18:
	v_lshlrev_b64 v[14:15], 1, v[10:11]
	v_add_co_u32 v12, s8, v12, v14
	v_add_co_ci_u32_e64 v13, null, v13, v15, s8
	flat_load_ushort v12, v[12:13]
	s_waitcnt vmcnt(0) lgkmcnt(0)
	v_mul_f16_e32 v22, v91, v12
.LBB222_19:
	s_or_b32 exec_lo, exec_lo, s9
	v_add_nc_u32_e32 v13, 4, v95
                                        ; implicit-def: $vgpr12
                                        ; implicit-def: $sgpr27
	v_cmp_le_i32_e64 s8, s14, v13
	s_or_b32 s26, vcc_lo, s8
	s_nor_b32 s9, s0, s26
	s_and_saveexec_b32 s28, s9
	s_xor_b32 s28, exec_lo, s28
	s_cbranch_execz .LBB222_21
; %bb.20:
	s_add_i32 s27, s14, -1
	v_lshlrev_b64 v[23:24], 1, v[2:3]
	v_min_u32_e32 v16, s27, v13
	v_mad_u64_u32 v[14:15], null, s22, v16, 0
	v_mov_b32_e32 v12, v15
	v_mad_u64_u32 v[15:16], null, s23, v16, v[12:13]
	v_lshlrev_b64 v[14:15], 1, v[14:15]
	v_add_co_u32 v12, s9, s20, v14
	v_add_co_ci_u32_e64 v15, null, s21, v15, s9
	v_add_co_u32 v14, s9, v12, v23
	v_add_co_ci_u32_e64 v15, null, v15, v24, s9
	flat_load_ushort v12, v[14:15]
	s_waitcnt vmcnt(0) lgkmcnt(0)
	v_mul_f16_e32 v12, v91, v12
.LBB222_21:
	s_or_saveexec_b32 s9, s28
	v_mov_b32_e32 v14, s27
	s_xor_b32 exec_lo, exec_lo, s9
; %bb.22:
	s_add_i32 s27, s14, -1
	v_cndmask_b32_e64 v12, 0, 0x7c00, s26
	v_mov_b32_e32 v14, s27
; %bb.23:
	s_or_b32 exec_lo, exec_lo, s9
	v_min_i32_e32 v13, v13, v14
	v_mad_i64_i32 v[13:14], null, v13, s25, 0
	v_lshlrev_b64 v[13:14], 1, v[13:14]
	v_add_co_u32 v23, s9, s18, v13
	v_add_co_ci_u32_e64 v24, null, s19, v14, s9
	s_or_b32 s9, s2, s8
	v_cndmask_b32_e64 v13, 0, 0x7c00, s9
	s_nor_b32 s9, s0, s9
	s_and_saveexec_b32 s26, s9
	s_cbranch_execz .LBB222_25
; %bb.24:
	v_lshlrev_b64 v[13:14], 1, v[4:5]
	v_add_co_u32 v13, s9, v23, v13
	v_add_co_ci_u32_e64 v14, null, v24, v14, s9
	flat_load_ushort v13, v[13:14]
	s_waitcnt vmcnt(0) lgkmcnt(0)
	v_mul_f16_e32 v13, v91, v13
.LBB222_25:
	s_or_b32 exec_lo, exec_lo, s26
	s_or_b32 s9, s3, s8
	v_cndmask_b32_e64 v14, 0, 0x7c00, s9
	s_nor_b32 s9, s9, s0
	s_and_saveexec_b32 s26, s9
	s_cbranch_execz .LBB222_27
; %bb.26:
	v_lshlrev_b64 v[14:15], 1, v[6:7]
	v_add_co_u32 v14, s9, v23, v14
	v_add_co_ci_u32_e64 v15, null, v24, v15, s9
	flat_load_ushort v14, v[14:15]
	s_waitcnt vmcnt(0) lgkmcnt(0)
	v_mul_f16_e32 v14, v91, v14
.LBB222_27:
	s_or_b32 exec_lo, exec_lo, s26
	;; [unrolled: 14-line block ×4, first 2 shown]
	v_lshlrev_b32_e32 v17, 3, v17
	v_lshlrev_b32_e32 v100, 3, v0
	;; [unrolled: 1-line block ×3, first 2 shown]
	s_load_dwordx2 s[10:11], s[10:11], 0x0
	s_cmp_lt_i32 s14, 9
	v_lshl_add_u32 v105, v95, 1, v17
	v_add_nc_u32_e32 v33, 0x1000, v100
	ds_write_b16 v105, v18 offset:4096
	ds_write_b16 v105, v19
	ds_write_b16 v105, v20 offset:512
	ds_write_b16 v105, v21 offset:1024
	;; [unrolled: 1-line block ×3, first 2 shown]
	s_waitcnt lgkmcnt(0)
	s_barrier
	buffer_gl0_inv
	ds_read2_b64 v[17:20], v33 offset1:8
	ds_read2_b64 v[21:24], v99 offset1:32
	ds_read2_b64 v[25:28], v33 offset0:16 offset1:24
	ds_read2_b64 v[29:32], v33 offset0:32 offset1:40
	;; [unrolled: 1-line block ×4, first 2 shown]
	s_waitcnt lgkmcnt(4)
	v_pk_add_f16 v41, v17, v21
	v_pk_add_f16 v42, v19, v21
	s_waitcnt lgkmcnt(3)
	v_pk_add_f16 v43, v25, v21
	v_pk_add_f16 v44, v27, v21
	;; [unrolled: 3-line block ×4, first 2 shown]
	v_pk_add_f16 v49, v17, v23
	v_pk_add_f16 v51, v19, v23
	;; [unrolled: 1-line block ×24, first 2 shown]
	s_waitcnt lgkmcnt(0)
	v_pk_add_f16 v74, v17, v37
	v_pk_add_f16 v75, v19, v37
	v_pk_add_f16 v76, v25, v37
	v_pk_add_f16 v77, v27, v37
	v_pk_add_f16 v78, v29, v37
	v_pk_add_f16 v79, v31, v37
	v_pk_add_f16 v80, v33, v37
	v_pk_add_f16 v81, v35, v37
	v_pk_add_f16 v82, v17, v39
	v_pk_add_f16 v83, v19, v39
	v_pk_add_f16 v84, v25, v39
	v_pk_add_f16 v85, v27, v39
	v_pk_add_f16 v86, v29, v39
	ds_read2_b64 v[21:24], v99 offset0:128 offset1:160
	v_pk_add_f16 v117, v31, v39
	v_pk_add_f16 v118, v33, v39
	;; [unrolled: 1-line block ×19, first 2 shown]
	ds_read2_b64 v[37:40], v99 offset0:192 offset1:224
	s_waitcnt lgkmcnt(1)
	v_pk_add_f16 v133, v17, v21
	v_pk_add_f16 v134, v19, v21
	;; [unrolled: 1-line block ×32, first 2 shown]
	s_waitcnt lgkmcnt(0)
	v_pk_add_f16 v161, v17, v37
	v_pk_add_f16 v162, v19, v37
	;; [unrolled: 1-line block ×31, first 2 shown]
	v_pk_min_f16 v41, 0x7c00, v41 op_sel_hi:[0,1]
	v_pk_add_f16 v36, v36, v40
	v_pk_min_f16 v40, 0x7c00, v45 op_sel_hi:[0,1]
	v_pk_min_f16 v42, 0x7c00, v42 op_sel_hi:[0,1]
	;; [unrolled: 1-line block ×3, first 2 shown]
	v_pk_min_f16 v127, v41, v58
	v_pk_min_f16 v41, 0x7c00, v46 op_sel_hi:[0,1]
	v_pk_min_f16 v115, v40, v62
	v_pk_min_f16 v40, 0x7c00, v51 op_sel_hi:[0,1]
	v_pk_min_f16 v44, 0x7c00, v44 op_sel_hi:[0,1]
	v_pk_min_f16 v126, v42, v59
	v_pk_min_f16 v122, v43, v60
	v_pk_min_f16 v42, 0x7c00, v47 op_sel_hi:[0,1]
	v_pk_min_f16 v43, 0x7c00, v48 op_sel_hi:[0,1]
	v_pk_min_f16 v114, v41, v63
	v_pk_min_f16 v41, 0x7c00, v52 op_sel_hi:[0,1]
	v_pk_min_f16 v110, v40, v67
	v_pk_min_f16 v40, 0x7c00, v56 op_sel_hi:[0,1]
	v_pk_min_f16 v116, v44, v61
	v_pk_min_f16 v44, 0x7c00, v49 op_sel_hi:[0,1]
	v_pk_min_f16 v113, v42, v64
	v_pk_min_f16 v112, v43, v65
	v_pk_min_f16 v42, 0x7c00, v53 op_sel_hi:[0,1]
	v_pk_min_f16 v43, 0x7c00, v54 op_sel_hi:[0,1]
	v_pk_min_f16 v109, v41, v68
	v_pk_min_f16 v41, 0x7c00, v57 op_sel_hi:[0,1]
	v_pk_min_f16 v104, v40, v72
	v_pk_min_f16 v40, 0x7c00, v77 op_sel_hi:[0,1]
	v_pk_min_f16 v111, v44, v66
	;; [unrolled: 10-line block ×3, first 2 shown]
	v_pk_min_f16 v44, 0x7c00, v76 op_sel_hi:[0,1]
	v_pk_min_f16 v102, v42, v87
	v_pk_min_f16 v101, v43, v88
	v_pk_min_f16 v42, 0x7c00, v79 op_sel_hi:[0,1]
	v_pk_min_f16 v43, 0x7c00, v80 op_sel_hi:[0,1]
	v_pk_min_f16 v96, v41, v92
	v_pk_min_f16 v41, 0x7c00, v83 op_sel_hi:[0,1]
	v_pk_min_f16 v90, v40, v123
	v_pk_min_f16 v40, 0x7c00, v117 op_sel_hi:[0,1]
	v_pk_min_f16 v21, 0x7c00, v21 op_sel_hi:[0,1]
	v_pk_min_f16 v98, v44, v89
	v_pk_min_f16 v44, 0x7c00, v81 op_sel_hi:[0,1]
	v_pk_min_f16 v94, v42, v93
	v_pk_min_f16 v93, v43, v120
	v_pk_min_f16 v42, 0x7c00, v84 op_sel_hi:[0,1]
	v_pk_min_f16 v43, 0x7c00, v85 op_sel_hi:[0,1]
	v_pk_min_f16 v89, v41, v124
	v_pk_min_f16 v41, 0x7c00, v118 op_sel_hi:[0,1]
	v_pk_min_f16 v85, v40, v130
	;; [unrolled: 2-line block ×5, first 2 shown]
	v_pk_min_f16 v87, v43, v128
	v_pk_min_f16 v42, 0x7c00, v119 op_sel_hi:[0,1]
	v_pk_min_f16 v43, 0x7c00, v133 op_sel_hi:[0,1]
	v_pk_min_f16 v84, v41, v131
	v_pk_min_f16 v41, 0x7c00, v136 op_sel_hi:[0,1]
	v_pk_min_f16 v80, v40, v149
	v_pk_min_f16 v40, 0x7c00, v140 op_sel_hi:[0,1]
	v_pk_min_f16 v22, 0x7c00, v145 op_sel_hi:[0,1]
	;; [unrolled: 1-line block ×3, first 2 shown]
	v_pk_min_f16 v70, v21, v158
	v_pk_min_f16 v21, 0x7c00, v162 op_sel_hi:[0,1]
	v_pk_min_f16 v86, v44, v129
	v_pk_min_f16 v44, 0x7c00, v134 op_sel_hi:[0,1]
	v_pk_min_f16 v83, v42, v132
	v_pk_min_f16 v82, v43, v147
	v_pk_min_f16 v42, 0x7c00, v137 op_sel_hi:[0,1]
	v_pk_min_f16 v43, 0x7c00, v138 op_sel_hi:[0,1]
	v_pk_min_f16 v79, v41, v150
	v_pk_min_f16 v41, 0x7c00, v141 op_sel_hi:[0,1]
	v_pk_min_f16 v74, v40, v154
	;; [unrolled: 2-line block ×3, first 2 shown]
	v_pk_min_f16 v67, v23, v24
	v_pk_min_f16 v22, 0x7c00, v165 op_sel_hi:[0,1]
	v_pk_min_f16 v23, 0x7c00, v166 op_sel_hi:[0,1]
	v_pk_min_f16 v65, v21, v164
	v_pk_min_f16 v21, 0x7c00, v173 op_sel_hi:[0,1]
	v_pk_min_f16 v17, 0x7c00, v17 op_sel_hi:[0,1]
	v_pk_min_f16 v19, 0x7c00, v19 op_sel_hi:[0,1]
	v_pk_min_f16 v81, v44, v148
	v_pk_min_f16 v44, 0x7c00, v139 op_sel_hi:[0,1]
	v_pk_min_f16 v78, v42, v151
	v_pk_min_f16 v77, v43, v152
	v_pk_min_f16 v42, 0x7c00, v142 op_sel_hi:[0,1]
	v_pk_min_f16 v43, 0x7c00, v143 op_sel_hi:[0,1]
	v_pk_min_f16 v73, v41, v155
	v_pk_min_f16 v41, 0x7c00, v161 op_sel_hi:[0,1]
	v_pk_min_f16 v68, v40, v160
	v_pk_min_f16 v24, 0x7c00, v169 op_sel_hi:[0,1]
	v_pk_min_f16 v40, 0x7c00, v170 op_sel_hi:[0,1]
	v_pk_min_f16 v64, v22, v167
	v_pk_min_f16 v63, v23, v168
	v_pk_min_f16 v22, 0x7c00, v37 op_sel_hi:[0,1]
	v_pk_min_f16 v23, 0x7c00, v25 op_sel_hi:[0,1]
	v_pk_min_f16 v60, v21, v39
	v_pk_min_f16 v58, v17, v18
	;; [unrolled: 1-line block ×3, first 2 shown]
	v_pk_min_f16 v17, 0x7c00, v27 op_sel_hi:[0,1]
	v_pk_min_f16 v18, 0x7c00, v29 op_sel_hi:[0,1]
	;; [unrolled: 1-line block ×5, first 2 shown]
	v_pk_min_f16 v76, v44, v153
	v_pk_min_f16 v72, v42, v156
	;; [unrolled: 1-line block ×13, first 2 shown]
	ds_write_b16 v105, v12 offset:4608
	ds_write_b16 v105, v13 offset:2048
	;; [unrolled: 1-line block ×5, first 2 shown]
	s_waitcnt lgkmcnt(0)
	s_barrier
	buffer_gl0_inv
	s_cbranch_scc1 .LBB222_58
; %bb.32:
	v_add_nc_u32_e32 v12, v99, v0
	v_lshlrev_b64 v[38:39], 1, v[4:5]
	v_lshlrev_b64 v[2:3], 1, v[2:3]
	;; [unrolled: 1-line block ×4, first 2 shown]
	v_lshrrev_b32_e32 v12, 6, v12
	v_lshlrev_b64 v[48:49], 1, v[10:11]
	v_or_b32_e32 v117, 0x1000, v105
	v_add_co_u32 v123, s8, s20, v2
	v_add_nc_u32_e32 v13, 12, v12
	v_add_nc_u32_e32 v12, 8, v12
	v_or_b32_e32 v118, 0x1000, v100
	v_add_nc_u32_e32 v119, 0x1200, v105
	v_or_b32_e32 v120, 0x800, v105
	v_mad_i64_i32 v[4:5], null, v13, s22, 0
	v_mad_i64_i32 v[12:13], null, v12, s22, 0
	v_lshl_add_u32 v121, v0, 3, 0x1200
	v_add_co_ci_u32_e64 v124, null, s21, v3, s8
	v_or_b32_e32 v125, 0x800, v99
	v_lshlrev_b64 v[44:45], 1, v[4:5]
	s_add_i32 s26, s14, -8
	v_lshlrev_b64 v[46:47], 1, v[12:13]
	s_add_i32 s27, s14, -1
	s_lshl_b64 s[20:21], s[22:23], 4
	s_mov_b32 s22, 0
	s_branch .LBB222_34
.LBB222_33:                             ;   in Loop: Header=BB222_34 Depth=1
	s_or_b32 exec_lo, exec_lo, s9
	v_pk_add_f16 v6, v17, v34
	v_pk_max_f16 v7, v127, v127
	v_pk_add_f16 v8, v19, v34
	v_pk_max_f16 v21, v126, v126
	;; [unrolled: 2-line block ×3, first 2 shown]
	v_pk_min_f16 v6, v7, v6
	v_pk_max_f16 v7, v122, v122
	v_pk_add_f16 v122, v4, v34
	v_pk_add_f16 v127, v9, v34
	v_pk_max_f16 v115, v115, v115
	v_pk_add_f16 v133, v11, v34
	v_pk_min_f16 v8, v21, v8
	v_pk_min_f16 v7, v7, v126
	;; [unrolled: 1-line block ×3, first 2 shown]
	v_pk_add_f16 v116, v13, v34
	v_pk_max_f16 v113, v113, v113
	v_pk_add_f16 v34, v15, v34
	v_pk_max_f16 v112, v112, v112
	;; [unrolled: 2-line block ×4, first 2 shown]
	v_pk_min_f16 v115, v115, v127
	v_pk_add_f16 v127, v2, v36
	v_pk_min_f16 v113, v113, v116
	v_pk_min_f16 v34, v112, v34
	;; [unrolled: 1-line block ×4, first 2 shown]
	v_pk_add_f16 v112, v4, v36
	v_pk_max_f16 v108, v108, v108
	v_pk_add_f16 v116, v9, v36
	v_pk_add_f16 v122, v11, v36
	;; [unrolled: 1-line block ×4, first 2 shown]
	v_pk_max_f16 v103, v103, v103
	v_pk_max_f16 v107, v107, v107
	;; [unrolled: 1-line block ×4, first 2 shown]
	v_pk_min_f16 v108, v108, v112
	v_pk_min_f16 v36, v103, v36
	v_pk_add_f16 v103, v17, v30
	v_pk_max_f16 v102, v102, v102
	v_pk_add_f16 v112, v19, v30
	v_pk_max_f16 v101, v101, v101
	v_pk_min_f16 v107, v107, v116
	v_pk_min_f16 v106, v106, v122
	;; [unrolled: 1-line block ×3, first 2 shown]
	v_pk_add_f16 v116, v2, v30
	v_pk_max_f16 v98, v98, v98
	v_pk_add_f16 v122, v4, v30
	v_pk_max_f16 v97, v97, v97
	v_pk_add_f16 v126, v9, v30
	v_pk_min_f16 v102, v102, v103
	v_pk_min_f16 v101, v101, v112
	v_pk_add_f16 v103, v11, v30
	v_pk_max_f16 v94, v94, v94
	v_pk_add_f16 v112, v13, v30
	v_pk_add_f16 v30, v15, v30
	v_pk_max_f16 v92, v92, v92
	v_pk_min_f16 v98, v98, v116
	v_pk_min_f16 v97, v97, v122
	v_pk_max_f16 v93, v93, v93
	v_pk_add_f16 v116, v17, v32
	v_pk_max_f16 v90, v90, v90
	v_pk_add_f16 v122, v19, v32
	v_pk_max_f16 v89, v89, v89
	v_pk_min_f16 v94, v94, v103
	v_pk_min_f16 v30, v92, v30
	v_pk_add_f16 v92, v2, v32
	v_pk_max_f16 v88, v88, v88
	v_pk_add_f16 v103, v4, v32
	v_pk_max_f16 v87, v87, v87
	v_pk_min_f16 v93, v93, v112
	v_pk_min_f16 v90, v90, v116
	v_pk_min_f16 v89, v89, v122
	v_pk_add_f16 v112, v9, v32
	v_pk_max_f16 v86, v86, v86
	v_pk_add_f16 v116, v11, v32
	v_pk_max_f16 v85, v85, v85
	v_pk_add_f16 v122, v13, v32
	v_pk_min_f16 v88, v88, v92
	v_pk_min_f16 v87, v87, v103
	v_pk_add_f16 v32, v15, v32
	v_pk_max_f16 v83, v83, v83
	v_pk_add_f16 v92, v17, v26
	v_pk_max_f16 v82, v82, v82
	;; [unrolled: 2-line block ×3, first 2 shown]
	v_pk_min_f16 v86, v86, v112
	v_pk_min_f16 v85, v85, v116
	v_pk_add_f16 v112, v2, v26
	v_pk_max_f16 v80, v80, v80
	v_pk_add_f16 v116, v4, v26
	v_pk_min_f16 v32, v83, v32
	v_pk_min_f16 v82, v82, v92
	;; [unrolled: 1-line block ×3, first 2 shown]
	v_pk_add_f16 v83, v9, v26
	v_pk_add_f16 v92, v11, v26
	;; [unrolled: 1-line block ×4, first 2 shown]
	v_pk_max_f16 v75, v75, v75
	v_pk_min_f16 v80, v80, v112
	v_pk_max_f16 v78, v78, v78
	v_pk_max_f16 v77, v77, v77
	;; [unrolled: 1-line block ×3, first 2 shown]
	v_pk_add_f16 v112, v17, v28
	v_pk_max_f16 v74, v74, v74
	v_pk_min_f16 v26, v75, v26
	v_pk_add_f16 v75, v19, v28
	v_pk_max_f16 v73, v73, v73
	v_pk_min_f16 v78, v78, v83
	v_pk_min_f16 v77, v77, v92
	;; [unrolled: 1-line block ×4, first 2 shown]
	v_pk_add_f16 v83, v2, v28
	v_pk_add_f16 v92, v4, v28
	;; [unrolled: 1-line block ×3, first 2 shown]
	v_pk_max_f16 v70, v70, v70
	v_pk_add_f16 v112, v11, v28
	v_pk_min_f16 v73, v73, v75
	v_pk_add_f16 v75, v13, v28
	v_pk_add_f16 v28, v15, v28
	v_pk_max_f16 v67, v67, v67
	v_pk_max_f16 v79, v79, v79
	;; [unrolled: 1-line block ×4, first 2 shown]
	v_pk_min_f16 v70, v70, v103
	v_pk_max_f16 v68, v68, v68
	v_pk_add_f16 v103, v2, v22
	v_pk_min_f16 v28, v67, v28
	v_pk_add_f16 v67, v4, v22
	v_pk_add_f16 v2, v2, v24
	v_pk_max_f16 v56, v56, v56
	v_pk_add_f16 v4, v4, v24
	v_pk_max_f16 v55, v55, v55
	v_pk_max_f16 v96, v96, v96
	;; [unrolled: 1-line block ×3, first 2 shown]
	v_pk_min_f16 v79, v79, v116
	v_pk_max_f16 v72, v72, v72
	v_pk_min_f16 v71, v71, v92
	v_pk_min_f16 v69, v69, v112
	v_pk_add_f16 v92, v19, v22
	v_pk_max_f16 v65, v65, v65
	v_pk_max_f16 v64, v64, v64
	v_pk_min_f16 v68, v68, v75
	v_pk_add_f16 v75, v9, v22
	v_pk_add_f16 v19, v19, v24
	v_pk_max_f16 v57, v57, v57
	v_pk_add_f16 v9, v9, v24
	v_pk_max_f16 v54, v54, v54
	v_pk_min_f16 v112, v56, v2
	v_pk_min_f16 v116, v55, v4
	v_pk_add_f16 v2, v11, v24
	v_pk_max_f16 v4, v53, v53
	v_pk_max_f16 v114, v114, v114
	;; [unrolled: 1-line block ×3, first 2 shown]
	v_pk_min_f16 v96, v96, v126
	v_pk_min_f16 v84, v84, v122
	;; [unrolled: 1-line block ×3, first 2 shown]
	v_pk_add_f16 v83, v17, v22
	v_pk_min_f16 v65, v65, v92
	v_pk_min_f16 v64, v64, v103
	v_pk_add_f16 v92, v13, v22
	v_pk_add_f16 v17, v17, v24
	v_pk_min_f16 v103, v57, v19
	v_pk_min_f16 v122, v54, v9
	v_pk_add_f16 v9, v13, v24
	v_pk_add_f16 v13, v15, v24
	;; [unrolled: 1-line block ×4, first 2 shown]
	v_pk_min_f16 v126, v4, v2
	v_pk_add_f16 v2, v3, v35
	v_pk_min_f16 v114, v114, v133
	v_pk_min_f16 v109, v109, v127
	;; [unrolled: 1-line block ×4, first 2 shown]
	v_pk_add_f16 v4, v5, v35
	v_pk_add_f16 v6, v10, v35
	;; [unrolled: 1-line block ×3, first 2 shown]
	v_pk_min_f16 v138, v7, v2
	v_pk_add_f16 v7, v3, v37
	v_pk_min_f16 v139, v21, v4
	v_pk_min_f16 v115, v115, v6
	v_pk_min_f16 v114, v114, v8
	v_pk_add_f16 v2, v16, v35
	v_pk_add_f16 v4, v18, v37
	v_pk_add_f16 v6, v20, v37
	v_pk_add_f16 v8, v5, v37
	v_pk_min_f16 v109, v109, v7
	v_pk_add_f16 v7, v16, v37
	v_pk_min_f16 v140, v34, v2
	v_pk_min_f16 v111, v111, v4
	v_pk_min_f16 v110, v110, v6
	v_pk_min_f16 v108, v108, v8
	v_pk_add_f16 v2, v10, v37
	v_pk_add_f16 v4, v12, v37
	v_pk_add_f16 v6, v14, v37
	v_pk_add_f16 v8, v18, v31
	v_pk_min_f16 v141, v36, v7
	v_pk_add_f16 v7, v10, v31
	v_pk_min_f16 v107, v107, v2
	;; [unrolled: 10-line block ×3, first 2 shown]
	v_pk_min_f16 v98, v98, v4
	v_pk_min_f16 v97, v97, v6
	;; [unrolled: 1-line block ×3, first 2 shown]
	v_pk_add_f16 v2, v14, v31
	v_pk_add_f16 v4, v16, v31
	v_pk_add_f16 v6, v18, v33
	v_pk_add_f16 v8, v3, v33
	v_pk_min_f16 v89, v89, v7
	v_pk_add_f16 v7, v14, v33
	v_pk_max_f16 v63, v63, v63
	v_pk_min_f16 v93, v93, v2
	v_pk_min_f16 v142, v30, v4
	v_pk_min_f16 v90, v90, v6
	v_pk_min_f16 v88, v88, v8
	v_pk_add_f16 v2, v5, v33
	v_pk_add_f16 v4, v10, v33
	;; [unrolled: 1-line block ×4, first 2 shown]
	v_pk_min_f16 v84, v84, v7
	v_pk_add_f16 v7, v5, v27
	v_pk_max_f16 v66, v66, v66
	v_pk_max_f16 v60, v60, v60
	v_pk_min_f16 v67, v63, v67
	v_pk_min_f16 v87, v87, v2
	;; [unrolled: 1-line block ×5, first 2 shown]
	v_pk_add_f16 v2, v18, v27
	v_pk_add_f16 v4, v20, v27
	;; [unrolled: 1-line block ×4, first 2 shown]
	v_pk_min_f16 v63, v79, v7
	v_pk_add_f16 v7, v18, v29
	v_pk_min_f16 v66, v66, v83
	v_pk_max_f16 v62, v62, v62
	v_pk_add_f16 v83, v11, v22
	v_pk_max_f16 v61, v61, v61
	v_pk_add_f16 v22, v15, v22
	v_pk_max_f16 v59, v59, v59
	v_pk_min_f16 v92, v60, v92
	v_pk_min_f16 v82, v82, v2
	v_pk_min_f16 v81, v81, v4
	v_pk_min_f16 v80, v80, v6
	v_pk_min_f16 v60, v78, v8
	v_pk_add_f16 v2, v12, v27
	v_pk_add_f16 v4, v14, v27
	;; [unrolled: 1-line block ×4, first 2 shown]
	v_pk_min_f16 v57, v74, v7
	v_pk_add_f16 v7, v12, v29
	v_pk_min_f16 v75, v62, v75
	v_pk_min_f16 v83, v61, v83
	;; [unrolled: 1-line block ×3, first 2 shown]
	v_pk_max_f16 v58, v58, v58
	v_pk_max_f16 v11, v52, v52
	v_pk_min_f16 v62, v77, v2
	v_pk_min_f16 v61, v76, v4
	;; [unrolled: 1-line block ×4, first 2 shown]
	v_pk_add_f16 v2, v3, v29
	v_pk_add_f16 v4, v5, v29
	;; [unrolled: 1-line block ×4, first 2 shown]
	v_pk_min_f16 v53, v69, v7
	v_pk_add_f16 v7, v3, v23
	v_pk_min_f16 v17, v58, v17
	v_pk_max_f16 v15, v51, v51
	v_pk_min_f16 v11, v11, v9
	v_pk_add_f16 v9, v14, v35
	v_pk_min_f16 v58, v72, v2
	v_pk_min_f16 v55, v71, v4
	;; [unrolled: 1-line block ×4, first 2 shown]
	v_pk_add_f16 v2, v16, v29
	v_pk_add_f16 v4, v18, v23
	;; [unrolled: 1-line block ×4, first 2 shown]
	v_pk_min_f16 v35, v64, v7
	v_pk_add_f16 v7, v16, v23
	v_pk_min_f16 v52, v28, v2
	v_pk_min_f16 v37, v66, v4
	;; [unrolled: 1-line block ×4, first 2 shown]
	v_pk_add_f16 v2, v10, v23
	v_pk_add_f16 v4, v12, v23
	;; [unrolled: 1-line block ×4, first 2 shown]
	v_pk_min_f16 v26, v22, v7
	ds_read2_b64 v[21:24], v118 offset1:8
	ds_read2_b64 v[64:67], v99 offset1:32
	v_pk_min_f16 v13, v15, v13
	v_pk_min_f16 v32, v75, v2
	;; [unrolled: 1-line block ×3, first 2 shown]
	v_pk_add_f16 v2, v20, v25
	ds_read2_b64 v[17:20], v118 offset0:16 offset1:24
	v_pk_min_f16 v113, v113, v9
	v_pk_min_f16 v28, v92, v6
	v_pk_add_f16 v27, v3, v25
	ds_read2_b64 v[6:9], v118 offset0:32 offset1:40
	v_pk_add_f16 v14, v14, v25
	v_pk_add_f16 v72, v16, v25
	;; [unrolled: 1-line block ×3, first 2 shown]
	v_pk_min_f16 v33, v112, v27
	v_pk_max_f16 v112, v127, v127
	v_pk_min_f16 v16, v11, v14
	v_pk_min_f16 v14, v13, v72
	;; [unrolled: 1-line block ×4, first 2 shown]
	v_pk_add_f16 v29, v5, v25
	s_waitcnt lgkmcnt(2)
	v_pk_add_f16 v72, v21, v64
	ds_read2_b64 v[2:5], v118 offset0:48 offset1:56
	v_pk_add_f16 v10, v10, v25
	v_pk_min_f16 v25, v126, v12
	v_pk_add_f16 v73, v23, v64
	s_waitcnt lgkmcnt(2)
	v_pk_add_f16 v74, v17, v64
	v_pk_max_f16 v126, v137, v137
	v_pk_min_f16 v72, v112, v72
	v_pk_max_f16 v112, v138, v138
	v_pk_min_f16 v27, v122, v10
	v_pk_add_f16 v122, v24, v65
	v_pk_add_f16 v157, v18, v65
	v_pk_min_f16 v73, v126, v73
	v_pk_min_f16 v74, v112, v74
	s_waitcnt lgkmcnt(1)
	v_pk_add_f16 v76, v6, v64
	v_pk_add_f16 v77, v8, v64
	;; [unrolled: 1-line block ×3, first 2 shown]
	v_pk_min_f16 v126, v73, v122
	v_pk_min_f16 v122, v74, v157
	v_pk_max_f16 v74, v115, v115
	v_pk_max_f16 v112, v114, v114
	s_waitcnt lgkmcnt(0)
	v_pk_add_f16 v78, v2, v64
	v_pk_add_f16 v160, v9, v65
	;; [unrolled: 1-line block ×3, first 2 shown]
	v_pk_min_f16 v74, v74, v76
	v_pk_min_f16 v77, v112, v77
	v_pk_add_f16 v64, v4, v64
	v_pk_add_f16 v79, v21, v66
	;; [unrolled: 1-line block ×3, first 2 shown]
	v_pk_min_f16 v115, v74, v159
	v_pk_max_f16 v74, v113, v113
	v_pk_min_f16 v114, v77, v160
	v_pk_max_f16 v77, v140, v140
	v_pk_add_f16 v103, v19, v66
	v_pk_add_f16 v162, v22, v67
	v_pk_min_f16 v74, v74, v78
	v_pk_max_f16 v78, v111, v111
	v_pk_min_f16 v64, v77, v64
	v_pk_max_f16 v77, v108, v108
	ds_read2_b64 v[68:71], v99 offset0:64 offset1:96
	v_pk_min_f16 v113, v74, v161
	v_pk_min_f16 v74, v78, v79
	v_pk_add_f16 v92, v17, v66
	v_pk_add_f16 v165, v20, v67
	v_pk_min_f16 v77, v77, v103
	v_pk_add_f16 v145, v8, v66
	v_pk_min_f16 v111, v74, v162
	v_pk_max_f16 v74, v109, v109
	v_pk_add_f16 v164, v18, v67
	v_pk_min_f16 v108, v77, v165
	v_pk_max_f16 v77, v106, v106
	ds_read2_b64 v[133:136], v99 offset0:128 offset1:160
	ds_read2_b64 v[10:13], v99 offset0:192 offset1:224
	v_pk_min_f16 v74, v74, v92
	v_pk_add_f16 v144, v6, v66
	v_pk_add_f16 v167, v9, v67
	v_pk_min_f16 v77, v77, v145
	v_pk_min_f16 v29, v116, v29
	;; [unrolled: 1-line block ×3, first 2 shown]
	v_pk_max_f16 v74, v107, v107
	v_pk_add_f16 v83, v23, v66
	v_pk_add_f16 v146, v2, v66
	;; [unrolled: 1-line block ×7, first 2 shown]
	v_pk_min_f16 v74, v74, v144
	v_pk_max_f16 v78, v104, v104
	v_pk_min_f16 v106, v77, v167
	v_pk_max_f16 v77, v141, v141
	s_waitcnt lgkmcnt(2)
	v_pk_add_f16 v149, v17, v68
	v_pk_add_f16 v163, v24, v67
	;; [unrolled: 1-line block ×4, first 2 shown]
	v_pk_max_f16 v73, v139, v139
	v_pk_min_f16 v112, v64, v65
	v_pk_max_f16 v64, v110, v110
	v_pk_min_f16 v107, v74, v166
	v_pk_min_f16 v74, v78, v146
	;; [unrolled: 1-line block ×3, first 2 shown]
	v_pk_max_f16 v78, v98, v98
	v_pk_add_f16 v148, v23, v68
	v_pk_add_f16 v150, v19, v68
	v_pk_min_f16 v73, v73, v75
	v_pk_min_f16 v64, v64, v83
	v_pk_max_f16 v77, v101, v101
	v_pk_min_f16 v78, v78, v149
	v_pk_min_f16 v103, v66, v67
	v_pk_add_f16 v66, v18, v69
	v_pk_max_f16 v67, v97, v97
	v_pk_add_f16 v147, v21, v68
	v_pk_add_f16 v151, v6, v68
	;; [unrolled: 1-line block ×13, first 2 shown]
	v_pk_min_f16 v127, v72, v116
	s_waitcnt lgkmcnt(1)
	v_pk_add_f16 v72, v21, v133
	v_pk_add_f16 v138, v23, v133
	;; [unrolled: 1-line block ×6, first 2 shown]
	v_pk_min_f16 v116, v73, v158
	v_pk_add_f16 v73, v2, v133
	v_pk_add_f16 v133, v4, v133
	;; [unrolled: 1-line block ×10, first 2 shown]
	s_waitcnt lgkmcnt(0)
	v_pk_add_f16 v162, v21, v10
	v_pk_add_f16 v173, v23, v10
	v_pk_min_f16 v110, v64, v163
	v_pk_add_f16 v64, v17, v10
	v_pk_add_f16 v163, v19, v10
	;; [unrolled: 1-line block ×12, first 2 shown]
	v_pk_min_f16 v77, v77, v148
	v_pk_add_f16 v83, v24, v69
	v_pk_add_f16 v2, v2, v12
	;; [unrolled: 1-line block ×3, first 2 shown]
	v_pk_min_f16 v98, v78, v66
	v_pk_add_f16 v12, v20, v69
	v_pk_max_f16 v66, v96, v96
	v_pk_min_f16 v67, v67, v150
	v_pk_min_f16 v101, v77, v83
	v_pk_add_f16 v77, v7, v69
	v_pk_min_f16 v104, v74, v168
	v_pk_min_f16 v66, v66, v151
	;; [unrolled: 1-line block ×3, first 2 shown]
	v_pk_max_f16 v12, v142, v142
	v_pk_max_f16 v74, v102, v102
	v_pk_add_f16 v79, v22, v69
	v_pk_min_f16 v96, v66, v77
	v_pk_add_f16 v66, v5, v69
	v_pk_min_f16 v12, v12, v68
	v_pk_min_f16 v74, v74, v147
	v_pk_max_f16 v78, v93, v93
	v_pk_max_f16 v67, v90, v90
	v_pk_add_f16 v83, v3, v69
	v_pk_min_f16 v92, v12, v66
	v_pk_max_f16 v12, v87, v87
	v_pk_add_f16 v66, v20, v71
	v_pk_min_f16 v102, v74, v79
	v_pk_add_f16 v79, v9, v69
	v_pk_min_f16 v78, v78, v153
	v_pk_min_f16 v12, v12, v169
	v_pk_add_f16 v69, v22, v71
	v_pk_min_f16 v67, v67, v154
	v_pk_max_f16 v74, v94, v94
	v_pk_min_f16 v93, v78, v83
	v_pk_min_f16 v87, v12, v66
	v_pk_max_f16 v12, v143, v143
	v_pk_add_f16 v66, v5, v71
	v_pk_max_f16 v68, v89, v89
	v_pk_min_f16 v90, v67, v69
	v_pk_max_f16 v67, v86, v86
	v_pk_min_f16 v12, v12, v70
	v_pk_min_f16 v74, v74, v152
	v_pk_add_f16 v77, v24, v71
	v_pk_min_f16 v68, v68, v155
	v_pk_add_f16 v69, v7, v71
	v_pk_min_f16 v83, v12, v66
	v_pk_max_f16 v12, v63, v63
	v_pk_min_f16 v67, v67, v170
	v_pk_add_f16 v63, v20, v134
	v_pk_min_f16 v94, v74, v79
	v_pk_min_f16 v89, v68, v77
	;; [unrolled: 1-line block ×3, first 2 shown]
	v_pk_max_f16 v68, v85, v85
	v_pk_min_f16 v86, v67, v69
	v_pk_max_f16 v67, v82, v82
	v_pk_max_f16 v74, v88, v88
	v_pk_min_f16 v79, v12, v63
	v_pk_max_f16 v12, v59, v59
	v_pk_add_f16 v77, v9, v71
	v_pk_min_f16 v68, v68, v137
	v_pk_add_f16 v69, v22, v134
	v_pk_min_f16 v67, v67, v72
	v_pk_max_f16 v60, v60, v60
	v_pk_max_f16 v62, v62, v62
	v_pk_add_f16 v59, v5, v134
	v_pk_min_f16 v12, v12, v133
	v_pk_add_f16 v78, v18, v71
	v_pk_min_f16 v74, v74, v156
	v_pk_min_f16 v85, v68, v77
	v_pk_max_f16 v68, v81, v81
	v_pk_max_f16 v70, v80, v80
	v_pk_min_f16 v82, v67, v69
	v_pk_min_f16 v60, v60, v75
	v_pk_add_f16 v67, v9, v134
	v_pk_min_f16 v62, v62, v76
	v_pk_max_f16 v58, v58, v58
	v_pk_min_f16 v75, v12, v59
	v_pk_max_f16 v12, v55, v55
	v_pk_min_f16 v88, v74, v78
	v_pk_add_f16 v78, v3, v71
	v_pk_add_f16 v71, v24, v134
	v_pk_min_f16 v68, v68, v138
	v_pk_add_f16 v72, v18, v134
	v_pk_min_f16 v70, v70, v139
	v_pk_max_f16 v61, v61, v61
	v_pk_min_f16 v77, v62, v67
	v_pk_add_f16 v62, v18, v136
	v_pk_min_f16 v58, v58, v159
	v_pk_add_f16 v55, v20, v136
	v_pk_min_f16 v12, v12, v160
	v_pk_max_f16 v51, v51, v51
	v_pk_max_f16 v74, v84, v84
	v_pk_min_f16 v81, v68, v71
	v_pk_min_f16 v80, v70, v72
	v_pk_add_f16 v68, v3, v134
	v_pk_min_f16 v61, v61, v73
	v_pk_min_f16 v72, v58, v62
	v_pk_add_f16 v58, v3, v136
	v_pk_min_f16 v51, v51, v65
	v_pk_min_f16 v71, v12, v55
	v_pk_max_f16 v12, v52, v52
	v_pk_min_f16 v74, v74, v171
	v_pk_add_f16 v66, v7, v134
	v_pk_min_f16 v76, v61, v68
	v_pk_max_f16 v57, v57, v57
	v_pk_max_f16 v56, v56, v56
	v_pk_min_f16 v68, v51, v58
	v_pk_add_f16 v51, v5, v136
	v_pk_min_f16 v12, v12, v135
	v_pk_min_f16 v84, v74, v78
	;; [unrolled: 1-line block ×3, first 2 shown]
	v_pk_add_f16 v60, v22, v136
	v_pk_min_f16 v57, v57, v158
	v_pk_add_f16 v61, v24, v136
	v_pk_min_f16 v56, v56, v140
	v_pk_max_f16 v54, v54, v54
	v_pk_max_f16 v53, v53, v53
	v_pk_min_f16 v67, v12, v51
	v_pk_max_f16 v12, v31, v31
	v_pk_min_f16 v74, v57, v60
	v_pk_min_f16 v73, v56, v61
	v_pk_add_f16 v56, v7, v136
	v_pk_min_f16 v54, v54, v161
	v_pk_add_f16 v57, v9, v136
	v_pk_min_f16 v53, v53, v172
	v_pk_max_f16 v37, v37, v37
	v_pk_max_f16 v36, v36, v36
	;; [unrolled: 1-line block ×3, first 2 shown]
	v_pk_add_f16 v31, v20, v11
	v_pk_min_f16 v12, v12, v163
	v_pk_min_f16 v70, v54, v56
	;; [unrolled: 1-line block ×3, first 2 shown]
	v_pk_add_f16 v52, v22, v11
	v_pk_min_f16 v37, v37, v162
	v_pk_add_f16 v53, v24, v11
	v_pk_min_f16 v36, v36, v173
	v_pk_add_f16 v54, v18, v11
	v_pk_min_f16 v35, v35, v64
	v_pk_min_f16 v63, v12, v31
	v_pk_max_f16 v12, v26, v26
	v_pk_min_f16 v66, v37, v52
	v_pk_min_f16 v65, v36, v53
	;; [unrolled: 1-line block ×3, first 2 shown]
	v_pk_add_f16 v35, v7, v11
	v_pk_add_f16 v36, v9, v11
	;; [unrolled: 1-line block ×4, first 2 shown]
	v_pk_max_f16 v15, v15, v15
	v_pk_min_f16 v10, v12, v10
	v_pk_max_f16 v12, v34, v34
	v_pk_add_f16 v22, v22, v13
	v_pk_max_f16 v32, v32, v32
	v_pk_min_f16 v15, v15, v21
	v_pk_min_f16 v59, v10, v11
	v_pk_max_f16 v11, v27, v27
	v_pk_max_f16 v30, v30, v30
	v_pk_max_f16 v28, v28, v28
	v_pk_max_f16 v26, v33, v33
	v_pk_add_f16 v21, v24, v13
	v_pk_min_f16 v12, v12, v23
	v_pk_min_f16 v58, v15, v22
	v_pk_max_f16 v10, v29, v29
	v_pk_max_f16 v15, v25, v25
	v_pk_min_f16 v6, v11, v6
	v_pk_max_f16 v11, v16, v16
	v_pk_max_f16 v14, v14, v14
	v_pk_min_f16 v32, v32, v164
	v_pk_min_f16 v30, v30, v165
	;; [unrolled: 1-line block ×3, first 2 shown]
	v_pk_add_f16 v18, v18, v13
	v_pk_min_f16 v17, v26, v17
	v_pk_min_f16 v57, v12, v21
	v_pk_add_f16 v12, v20, v13
	v_pk_min_f16 v10, v10, v19
	v_pk_add_f16 v7, v7, v13
	v_pk_add_f16 v9, v9, v13
	v_pk_min_f16 v8, v15, v8
	v_pk_add_f16 v3, v3, v13
	v_pk_min_f16 v2, v11, v2
	;; [unrolled: 2-line block ×3, first 2 shown]
	v_add_co_u32 v123, s8, v123, s20
	v_pk_min_f16 v62, v32, v35
	v_pk_min_f16 v61, v30, v36
	;; [unrolled: 1-line block ×9, first 2 shown]
	v_add_co_ci_u32_e64 v124, null, s21, v124, s8
	s_add_i32 s22, s22, 8
	ds_write_b16 v119, v128
	ds_write_b16 v120, v129
	ds_write_b16 v120, v130 offset:512
	ds_write_b16 v120, v131 offset:1024
	;; [unrolled: 1-line block ×3, first 2 shown]
	s_cmp_ge_i32 s22, s26
	s_waitcnt lgkmcnt(0)
	s_barrier
	buffer_gl0_inv
	s_cbranch_scc1 .LBB222_58
.LBB222_34:                             ; =>This Inner Loop Header: Depth=1
	v_add_nc_u32_e32 v6, s22, v95
                                        ; implicit-def: $vgpr7
	v_add_nc_u32_e32 v2, 8, v6
	v_cmp_le_i32_e64 s8, s14, v2
	s_or_b32 s23, vcc_lo, s8
	s_nor_b32 s9, s0, s23
	s_and_saveexec_b32 s28, s9
	s_xor_b32 s28, exec_lo, s28
	s_cbranch_execz .LBB222_36
; %bb.35:                               ;   in Loop: Header=BB222_34 Depth=1
	v_add_co_u32 v3, s9, v123, v46
	v_add_co_ci_u32_e64 v4, null, v124, v47, s9
	flat_load_ushort v3, v[3:4]
	s_waitcnt vmcnt(0) lgkmcnt(0)
	v_mul_f16_e32 v7, v91, v3
.LBB222_36:                             ;   in Loop: Header=BB222_34 Depth=1
	s_andn2_saveexec_b32 s9, s28
; %bb.37:                               ;   in Loop: Header=BB222_34 Depth=1
	v_cndmask_b32_e64 v7, 0, 0x7c00, s23
; %bb.38:                               ;   in Loop: Header=BB222_34 Depth=1
	s_or_b32 exec_lo, exec_lo, s9
	v_min_i32_e32 v2, s27, v2
	v_mad_i64_i32 v[2:3], null, v2, s25, 0
	v_lshlrev_b64 v[2:3], 1, v[2:3]
	v_add_co_u32 v2, s9, s18, v2
	v_add_co_ci_u32_e64 v3, null, s19, v3, s9
	s_or_b32 s9, s2, s8
	v_cndmask_b32_e64 v8, 0, 0x7c00, s9
	s_nor_b32 s9, s0, s9
	s_and_saveexec_b32 s23, s9
	s_cbranch_execz .LBB222_40
; %bb.39:                               ;   in Loop: Header=BB222_34 Depth=1
	v_add_co_u32 v4, s9, v2, v38
	v_add_co_ci_u32_e64 v5, null, v3, v39, s9
	flat_load_ushort v4, v[4:5]
	s_waitcnt vmcnt(0) lgkmcnt(0)
	v_mul_f16_e32 v8, v91, v4
.LBB222_40:                             ;   in Loop: Header=BB222_34 Depth=1
	s_or_b32 exec_lo, exec_lo, s23
	s_or_b32 s9, s3, s8
	v_cndmask_b32_e64 v21, 0, 0x7c00, s9
	s_nor_b32 s9, s9, s0
	s_and_saveexec_b32 s23, s9
	s_cbranch_execz .LBB222_42
; %bb.41:                               ;   in Loop: Header=BB222_34 Depth=1
	v_add_co_u32 v4, s9, v2, v40
	v_add_co_ci_u32_e64 v5, null, v3, v41, s9
	flat_load_ushort v4, v[4:5]
	s_waitcnt vmcnt(0) lgkmcnt(0)
	v_mul_f16_e32 v21, v91, v4
.LBB222_42:                             ;   in Loop: Header=BB222_34 Depth=1
	s_or_b32 exec_lo, exec_lo, s23
	;; [unrolled: 13-line block ×4, first 2 shown]
	ds_read2_b64 v[17:20], v121 offset1:8
	ds_read2_b64 v[2:5], v121 offset0:16 offset1:24
	ds_read2_b64 v[9:12], v121 offset0:32 offset1:40
	;; [unrolled: 1-line block ×3, first 2 shown]
	ds_read2_b64 v[34:37], v125 offset1:32
	ds_read2_b64 v[30:33], v125 offset0:64 offset1:96
	ds_read2_b64 v[26:29], v125 offset0:128 offset1:160
	;; [unrolled: 1-line block ×3, first 2 shown]
	v_add_nc_u32_e32 v6, 12, v6
	ds_write_b16 v117, v7
	ds_write_b16 v105, v8
	ds_write_b16 v105, v21 offset:512
	ds_write_b16 v105, v128 offset:1024
	;; [unrolled: 1-line block ×3, first 2 shown]
	s_waitcnt lgkmcnt(0)
	s_barrier
	v_cmp_le_i32_e64 s8, s14, v6
	buffer_gl0_inv
                                        ; implicit-def: $vgpr128
	s_or_b32 s23, vcc_lo, s8
	s_nor_b32 s9, s0, s23
	s_and_saveexec_b32 s28, s9
	s_xor_b32 s28, exec_lo, s28
	s_cbranch_execz .LBB222_48
; %bb.47:                               ;   in Loop: Header=BB222_34 Depth=1
	v_add_co_u32 v7, s9, v123, v44
	v_add_co_ci_u32_e64 v8, null, v124, v45, s9
	flat_load_ushort v7, v[7:8]
	s_waitcnt vmcnt(0) lgkmcnt(0)
	v_mul_f16_e32 v128, v91, v7
.LBB222_48:                             ;   in Loop: Header=BB222_34 Depth=1
	s_andn2_saveexec_b32 s9, s28
; %bb.49:                               ;   in Loop: Header=BB222_34 Depth=1
	v_cndmask_b32_e64 v128, 0, 0x7c00, s23
; %bb.50:                               ;   in Loop: Header=BB222_34 Depth=1
	s_or_b32 exec_lo, exec_lo, s9
	v_min_i32_e32 v6, s27, v6
	v_mad_i64_i32 v[6:7], null, v6, s25, 0
	v_lshlrev_b64 v[6:7], 1, v[6:7]
	v_add_co_u32 v6, s9, s18, v6
	v_add_co_ci_u32_e64 v7, null, s19, v7, s9
	s_or_b32 s9, s2, s8
	v_cndmask_b32_e64 v129, 0, 0x7c00, s9
	s_nor_b32 s9, s0, s9
	s_and_saveexec_b32 s23, s9
	s_cbranch_execz .LBB222_52
; %bb.51:                               ;   in Loop: Header=BB222_34 Depth=1
	v_add_co_u32 v129, s9, v6, v38
	v_add_co_ci_u32_e64 v130, null, v7, v39, s9
	flat_load_ushort v8, v[129:130]
	s_waitcnt vmcnt(0) lgkmcnt(0)
	v_mul_f16_e32 v129, v91, v8
.LBB222_52:                             ;   in Loop: Header=BB222_34 Depth=1
	s_or_b32 exec_lo, exec_lo, s23
	s_or_b32 s9, s3, s8
	v_cndmask_b32_e64 v130, 0, 0x7c00, s9
	s_nor_b32 s9, s9, s0
	s_and_saveexec_b32 s23, s9
	s_cbranch_execz .LBB222_54
; %bb.53:                               ;   in Loop: Header=BB222_34 Depth=1
	v_add_co_u32 v130, s9, v6, v40
	v_add_co_ci_u32_e64 v131, null, v7, v41, s9
	flat_load_ushort v8, v[130:131]
	s_waitcnt vmcnt(0) lgkmcnt(0)
	v_mul_f16_e32 v130, v91, v8
.LBB222_54:                             ;   in Loop: Header=BB222_34 Depth=1
	s_or_b32 exec_lo, exec_lo, s23
	;; [unrolled: 13-line block ×3, first 2 shown]
	s_or_b32 s8, s7, s8
	v_cndmask_b32_e64 v132, 0, 0x7c00, s8
	s_nor_b32 s8, s8, s0
	s_and_saveexec_b32 s9, s8
	s_cbranch_execz .LBB222_33
; %bb.57:                               ;   in Loop: Header=BB222_34 Depth=1
	v_add_co_u32 v6, s8, v6, v48
	v_add_co_ci_u32_e64 v7, null, v7, v49, s8
	flat_load_ushort v6, v[6:7]
	s_waitcnt vmcnt(0) lgkmcnt(0)
	v_mul_f16_e32 v132, v91, v6
	s_branch .LBB222_33
.LBB222_58:
	s_clause 0x2
	s_load_dword s14, s[4:5], 0x58
	s_load_dword s9, s[4:5], 0x70
	s_load_dwordx2 s[2:3], s[4:5], 0x78
	v_add_nc_u32_e32 v2, 0x1000, v100
	v_add_nc_u32_e32 v49, s24, v1
	;; [unrolled: 1-line block ×4, first 2 shown]
	ds_read2_b64 v[16:19], v2 offset0:64 offset1:72
	ds_read2_b64 v[12:15], v2 offset0:80 offset1:88
	;; [unrolled: 1-line block ×4, first 2 shown]
	ds_read2_b64 v[28:31], v4 offset1:32
	ds_read2_b64 v[24:27], v4 offset0:64 offset1:96
	ds_read2_b64 v[20:23], v4 offset0:128 offset1:160
	;; [unrolled: 1-line block ×3, first 2 shown]
	v_cmp_gt_i32_e64 s0, s12, v32
	v_cmp_gt_i32_e64 s8, s13, v49
	v_ashrrev_i32_e32 v33, 31, v32
	v_cndmask_b32_e64 v48, 0, 1, s1
	s_waitcnt lgkmcnt(0)
	v_mad_i64_i32 v[34:35], null, v49, s14, 0
	v_mad_i64_i32 v[36:37], null, v49, s9, 0
	s_lshl_b64 s[2:3], s[2:3], 1
	s_add_u32 s10, s10, s2
	s_addc_u32 s11, s11, s3
	v_lshlrev_b64 v[34:35], 1, v[34:35]
	s_and_b32 s3, s0, s8
	v_lshlrev_b64 v[36:37], 1, v[36:37]
	v_add_co_u32 v99, vcc_lo, s16, v34
	v_add_co_ci_u32_e64 v100, null, s17, v35, vcc_lo
	v_add_co_u32 v91, vcc_lo, s10, v36
	v_add_co_ci_u32_e64 v95, null, s11, v37, vcc_lo
	s_and_saveexec_b32 s2, s3
	s_cbranch_execz .LBB222_63
; %bb.59:
	s_andn2_b32 vcc_lo, exec_lo, s1
	s_cbranch_vccnz .LBB222_61
; %bb.60:
	v_lshlrev_b64 v[34:35], 1, v[32:33]
	v_add_co_u32 v34, vcc_lo, v99, v34
	v_add_co_ci_u32_e64 v35, null, v100, v35, vcc_lo
	flat_load_ushort v34, v[34:35]
	s_waitcnt vmcnt(0) lgkmcnt(0)
	v_mul_f16_e32 v34, v50, v34
	v_cvt_f32_f16_e32 v34, v34
	s_branch .LBB222_62
.LBB222_61:
	v_mov_b32_e32 v34, 0
.LBB222_62:
	v_pk_add_f16 v35, v16, v28
	v_pk_add_f16 v36, v17, v29
	v_max_f16_e32 v37, v127, v127
	v_lshrrev_b32_e32 v38, 16, v127
	v_max_f32_e32 v34, v34, v34
	v_lshrrev_b32_e32 v39, 16, v35
	v_lshrrev_b32_e32 v40, 16, v36
	v_min_f16_e32 v35, v37, v35
	v_min3_f16 v37, v38, v39, v40
	v_min3_f16 v35, v35, v36, v37
	v_cvt_f32_f16_e32 v35, v35
	v_min_f32_e32 v36, v34, v35
	v_lshlrev_b64 v[34:35], 1, v[32:33]
	v_cvt_f16_f32_e32 v36, v36
	v_add_co_u32 v34, vcc_lo, v91, v34
	v_add_co_ci_u32_e64 v35, null, v95, v35, vcc_lo
	flat_store_short v[34:35], v36
.LBB222_63:
	s_or_b32 exec_lo, exec_lo, s2
	v_add_nc_u32_e32 v34, 8, v32
	v_cmp_gt_i32_e64 s1, s12, v34
	v_ashrrev_i32_e32 v35, 31, v34
	s_and_b32 s3, s1, s8
	s_and_saveexec_b32 s2, s3
	s_cbranch_execz .LBB222_68
; %bb.64:
	v_cmp_ne_u32_e32 vcc_lo, 1, v48
	s_cbranch_vccnz .LBB222_66
; %bb.65:
	v_lshlrev_b64 v[36:37], 1, v[34:35]
	v_add_co_u32 v36, vcc_lo, v99, v36
	v_add_co_ci_u32_e64 v37, null, v100, v37, vcc_lo
	flat_load_ushort v36, v[36:37]
	s_waitcnt vmcnt(0) lgkmcnt(0)
	v_mul_f16_e32 v36, v50, v36
	v_cvt_f32_f16_e32 v36, v36
	s_branch .LBB222_67
.LBB222_66:
	v_mov_b32_e32 v36, 0
.LBB222_67:
	v_pk_add_f16 v37, v18, v28
	v_pk_add_f16 v38, v19, v29
	v_max_f16_e32 v39, v126, v126
	v_lshrrev_b32_e32 v40, 16, v126
	v_max_f32_e32 v36, v36, v36
	v_lshrrev_b32_e32 v41, 16, v37
	v_lshrrev_b32_e32 v42, 16, v38
	v_min_f16_e32 v37, v39, v37
	v_min3_f16 v39, v40, v41, v42
	v_min3_f16 v37, v37, v38, v39
	v_cvt_f32_f16_e32 v37, v37
	v_min_f32_e32 v38, v36, v37
	v_lshlrev_b64 v[36:37], 1, v[34:35]
	v_cvt_f16_f32_e32 v38, v38
	v_add_co_u32 v36, vcc_lo, v91, v36
	v_add_co_ci_u32_e64 v37, null, v95, v37, vcc_lo
	flat_store_short v[36:37], v38
.LBB222_68:
	s_or_b32 exec_lo, exec_lo, s2
	v_add_nc_u32_e32 v36, 16, v32
	v_cmp_gt_i32_e64 s2, s12, v36
	v_ashrrev_i32_e32 v37, 31, v36
	s_and_b32 s4, s2, s8
	s_and_saveexec_b32 s3, s4
	s_cbranch_execz .LBB222_73
; %bb.69:
	v_cmp_ne_u32_e32 vcc_lo, 1, v48
	s_cbranch_vccnz .LBB222_71
; %bb.70:
	v_lshlrev_b64 v[38:39], 1, v[36:37]
	v_add_co_u32 v38, vcc_lo, v99, v38
	v_add_co_ci_u32_e64 v39, null, v100, v39, vcc_lo
	flat_load_ushort v38, v[38:39]
	s_waitcnt vmcnt(0) lgkmcnt(0)
	v_mul_f16_e32 v38, v50, v38
	v_cvt_f32_f16_e32 v38, v38
	s_branch .LBB222_72
.LBB222_71:
	v_mov_b32_e32 v38, 0
.LBB222_72:
	v_pk_add_f16 v39, v12, v28
	v_pk_add_f16 v40, v13, v29
	v_max_f16_e32 v41, v122, v122
	v_lshrrev_b32_e32 v42, 16, v122
	v_max_f32_e32 v38, v38, v38
	v_lshrrev_b32_e32 v43, 16, v39
	v_lshrrev_b32_e32 v44, 16, v40
	v_min_f16_e32 v39, v41, v39
	v_min3_f16 v41, v42, v43, v44
	v_min3_f16 v39, v39, v40, v41
	v_cvt_f32_f16_e32 v39, v39
	v_min_f32_e32 v40, v38, v39
	v_lshlrev_b64 v[38:39], 1, v[36:37]
	v_cvt_f16_f32_e32 v40, v40
	v_add_co_u32 v38, vcc_lo, v91, v38
	v_add_co_ci_u32_e64 v39, null, v95, v39, vcc_lo
	flat_store_short v[38:39], v40
.LBB222_73:
	;; [unrolled: 40-line block ×6, first 2 shown]
	s_or_b32 exec_lo, exec_lo, s7
	v_add_nc_u32_e32 v46, 56, v32
	v_cmp_gt_i32_e64 s7, s12, v46
	v_ashrrev_i32_e32 v47, 31, v46
	s_and_b32 s12, s7, s8
	s_and_saveexec_b32 s8, s12
	s_cbranch_execz .LBB222_98
; %bb.94:
	v_cmp_ne_u32_e32 vcc_lo, 1, v48
	s_cbranch_vccnz .LBB222_96
; %bb.95:
	v_lshlrev_b64 v[113:114], 1, v[46:47]
	v_add_co_u32 v99, vcc_lo, v99, v113
	v_add_co_ci_u32_e64 v100, null, v100, v114, vcc_lo
	flat_load_ushort v99, v[99:100]
	s_waitcnt vmcnt(0) lgkmcnt(0)
	v_mul_f16_e32 v99, v50, v99
	v_cvt_f32_f16_e32 v99, v99
	s_branch .LBB222_97
.LBB222_96:
	v_mov_b32_e32 v99, 0
.LBB222_97:
	v_pk_add_f16 v28, v2, v28
	v_pk_add_f16 v29, v3, v29
	v_max_f16_e32 v100, v112, v112
	v_lshrrev_b32_e32 v105, 16, v112
	v_lshrrev_b32_e32 v112, 16, v28
	;; [unrolled: 1-line block ×3, first 2 shown]
	v_min_f16_e32 v28, v100, v28
	v_min3_f16 v100, v105, v112, v113
	v_min3_f16 v28, v28, v29, v100
	v_max_f32_e32 v29, v99, v99
	v_cvt_f32_f16_e32 v28, v28
	v_min_f32_e32 v99, v29, v28
	v_lshlrev_b64 v[28:29], 1, v[46:47]
	v_cvt_f16_f32_e32 v99, v99
	v_add_co_u32 v28, vcc_lo, v91, v28
	v_add_co_ci_u32_e64 v29, null, v95, v29, vcc_lo
	flat_store_short v[28:29], v99
.LBB222_98:
	s_or_b32 exec_lo, exec_lo, s8
	v_add_nc_u32_e32 v91, 32, v49
	v_mad_i64_i32 v[28:29], null, v91, s14, 0
	v_mad_i64_i32 v[99:100], null, v91, s9, 0
	v_cmp_gt_i32_e64 s8, s13, v91
	v_lshlrev_b64 v[28:29], 1, v[28:29]
	s_and_b32 s15, s0, s8
	v_lshlrev_b64 v[99:100], 1, v[99:100]
	v_add_co_u32 v91, vcc_lo, s16, v28
	v_add_co_ci_u32_e64 v95, null, s17, v29, vcc_lo
	v_add_co_u32 v28, vcc_lo, s10, v99
	v_add_co_ci_u32_e64 v29, null, s11, v100, vcc_lo
	s_and_saveexec_b32 s12, s15
	s_cbranch_execnz .LBB222_106
; %bb.99:
	s_or_b32 exec_lo, exec_lo, s12
	s_and_b32 s15, s1, s8
	s_and_saveexec_b32 s12, s15
	s_cbranch_execnz .LBB222_110
.LBB222_100:
	s_or_b32 exec_lo, exec_lo, s12
	s_and_b32 s15, s2, s8
	s_and_saveexec_b32 s12, s15
	s_cbranch_execnz .LBB222_114
.LBB222_101:
	s_or_b32 exec_lo, exec_lo, s12
	s_and_b32 s15, s3, s8
	s_and_saveexec_b32 s12, s15
	s_cbranch_execnz .LBB222_118
.LBB222_102:
	s_or_b32 exec_lo, exec_lo, s12
	s_and_b32 s15, s4, s8
	s_and_saveexec_b32 s12, s15
	s_cbranch_execnz .LBB222_122
.LBB222_103:
	s_or_b32 exec_lo, exec_lo, s12
	s_and_b32 s15, s5, s8
	s_and_saveexec_b32 s12, s15
	s_cbranch_execnz .LBB222_126
.LBB222_104:
	s_or_b32 exec_lo, exec_lo, s12
	s_and_b32 s15, s6, s8
	s_and_saveexec_b32 s12, s15
	s_cbranch_execnz .LBB222_130
.LBB222_105:
	s_or_b32 exec_lo, exec_lo, s12
	s_and_b32 s12, s7, s8
	s_and_saveexec_b32 s8, s12
	s_cbranch_execnz .LBB222_134
	s_branch .LBB222_138
.LBB222_106:
	v_cmp_ne_u32_e32 vcc_lo, 1, v48
	s_cbranch_vccnz .LBB222_108
; %bb.107:
	v_lshlrev_b64 v[99:100], 1, v[32:33]
	v_add_co_u32 v99, vcc_lo, v91, v99
	v_add_co_ci_u32_e64 v100, null, v95, v100, vcc_lo
	flat_load_ushort v99, v[99:100]
	s_waitcnt vmcnt(0) lgkmcnt(0)
	v_mul_f16_e32 v99, v50, v99
	v_cvt_f32_f16_e32 v99, v99
	s_branch .LBB222_109
.LBB222_108:
	v_mov_b32_e32 v99, 0
.LBB222_109:
	v_pk_add_f16 v100, v16, v30
	v_pk_add_f16 v105, v17, v31
	v_max_f16_e32 v112, v111, v111
	v_lshrrev_b32_e32 v111, 16, v111
	v_max_f32_e32 v99, v99, v99
	v_lshrrev_b32_e32 v113, 16, v100
	v_lshrrev_b32_e32 v114, 16, v105
	v_min_f16_e32 v100, v112, v100
	v_min3_f16 v111, v111, v113, v114
	v_min3_f16 v100, v100, v105, v111
	v_cvt_f32_f16_e32 v100, v100
	v_min_f32_e32 v105, v99, v100
	v_lshlrev_b64 v[99:100], 1, v[32:33]
	v_cvt_f16_f32_e32 v105, v105
	v_add_co_u32 v99, vcc_lo, v28, v99
	v_add_co_ci_u32_e64 v100, null, v29, v100, vcc_lo
	flat_store_short v[99:100], v105
	s_or_b32 exec_lo, exec_lo, s12
	s_and_b32 s15, s1, s8
	s_and_saveexec_b32 s12, s15
	s_cbranch_execz .LBB222_100
.LBB222_110:
	v_cmp_ne_u32_e32 vcc_lo, 1, v48
	s_cbranch_vccnz .LBB222_112
; %bb.111:
	v_lshlrev_b64 v[99:100], 1, v[34:35]
	v_add_co_u32 v99, vcc_lo, v91, v99
	v_add_co_ci_u32_e64 v100, null, v95, v100, vcc_lo
	flat_load_ushort v99, v[99:100]
	s_waitcnt vmcnt(0) lgkmcnt(0)
	v_mul_f16_e32 v99, v50, v99
	v_cvt_f32_f16_e32 v99, v99
	s_branch .LBB222_113
.LBB222_112:
	v_mov_b32_e32 v99, 0
.LBB222_113:
	v_pk_add_f16 v100, v18, v30
	v_pk_add_f16 v105, v19, v31
	v_max_f16_e32 v111, v110, v110
	v_lshrrev_b32_e32 v110, 16, v110
	v_max_f32_e32 v99, v99, v99
	v_lshrrev_b32_e32 v112, 16, v100
	v_lshrrev_b32_e32 v113, 16, v105
	v_min_f16_e32 v100, v111, v100
	v_min3_f16 v110, v110, v112, v113
	v_min3_f16 v100, v100, v105, v110
	v_cvt_f32_f16_e32 v100, v100
	v_min_f32_e32 v105, v99, v100
	v_lshlrev_b64 v[99:100], 1, v[34:35]
	v_cvt_f16_f32_e32 v105, v105
	v_add_co_u32 v99, vcc_lo, v28, v99
	v_add_co_ci_u32_e64 v100, null, v29, v100, vcc_lo
	flat_store_short v[99:100], v105
	s_or_b32 exec_lo, exec_lo, s12
	s_and_b32 s15, s2, s8
	s_and_saveexec_b32 s12, s15
	s_cbranch_execz .LBB222_101
.LBB222_114:
	v_cmp_ne_u32_e32 vcc_lo, 1, v48
	s_cbranch_vccnz .LBB222_116
; %bb.115:
	v_lshlrev_b64 v[99:100], 1, v[36:37]
	v_add_co_u32 v99, vcc_lo, v91, v99
	v_add_co_ci_u32_e64 v100, null, v95, v100, vcc_lo
	flat_load_ushort v99, v[99:100]
	s_waitcnt vmcnt(0) lgkmcnt(0)
	v_mul_f16_e32 v99, v50, v99
	v_cvt_f32_f16_e32 v99, v99
	s_branch .LBB222_117
.LBB222_116:
	v_mov_b32_e32 v99, 0
.LBB222_117:
	v_pk_add_f16 v100, v12, v30
	v_pk_add_f16 v105, v13, v31
	v_max_f16_e32 v110, v109, v109
	v_lshrrev_b32_e32 v109, 16, v109
	v_max_f32_e32 v99, v99, v99
	v_lshrrev_b32_e32 v111, 16, v100
	v_lshrrev_b32_e32 v112, 16, v105
	v_min_f16_e32 v100, v110, v100
	v_min3_f16 v109, v109, v111, v112
	v_min3_f16 v100, v100, v105, v109
	v_cvt_f32_f16_e32 v100, v100
	v_min_f32_e32 v105, v99, v100
	v_lshlrev_b64 v[99:100], 1, v[36:37]
	v_cvt_f16_f32_e32 v105, v105
	v_add_co_u32 v99, vcc_lo, v28, v99
	v_add_co_ci_u32_e64 v100, null, v29, v100, vcc_lo
	flat_store_short v[99:100], v105
	s_or_b32 exec_lo, exec_lo, s12
	s_and_b32 s15, s3, s8
	s_and_saveexec_b32 s12, s15
	s_cbranch_execz .LBB222_102
.LBB222_118:
	v_cmp_ne_u32_e32 vcc_lo, 1, v48
	s_cbranch_vccnz .LBB222_120
; %bb.119:
	v_lshlrev_b64 v[99:100], 1, v[38:39]
	v_add_co_u32 v99, vcc_lo, v91, v99
	v_add_co_ci_u32_e64 v100, null, v95, v100, vcc_lo
	flat_load_ushort v99, v[99:100]
	s_waitcnt vmcnt(0) lgkmcnt(0)
	v_mul_f16_e32 v99, v50, v99
	v_cvt_f32_f16_e32 v99, v99
	s_branch .LBB222_121
.LBB222_120:
	v_mov_b32_e32 v99, 0
.LBB222_121:
	v_pk_add_f16 v100, v14, v30
	v_pk_add_f16 v105, v15, v31
	v_max_f16_e32 v109, v108, v108
	v_lshrrev_b32_e32 v108, 16, v108
	v_max_f32_e32 v99, v99, v99
	v_lshrrev_b32_e32 v110, 16, v100
	v_lshrrev_b32_e32 v111, 16, v105
	v_min_f16_e32 v100, v109, v100
	v_min3_f16 v108, v108, v110, v111
	v_min3_f16 v100, v100, v105, v108
	v_cvt_f32_f16_e32 v100, v100
	v_min_f32_e32 v105, v99, v100
	v_lshlrev_b64 v[99:100], 1, v[38:39]
	v_cvt_f16_f32_e32 v105, v105
	v_add_co_u32 v99, vcc_lo, v28, v99
	v_add_co_ci_u32_e64 v100, null, v29, v100, vcc_lo
	flat_store_short v[99:100], v105
	s_or_b32 exec_lo, exec_lo, s12
	s_and_b32 s15, s4, s8
	s_and_saveexec_b32 s12, s15
	s_cbranch_execz .LBB222_103
.LBB222_122:
	v_cmp_ne_u32_e32 vcc_lo, 1, v48
	s_cbranch_vccnz .LBB222_124
; %bb.123:
	v_lshlrev_b64 v[99:100], 1, v[40:41]
	v_add_co_u32 v99, vcc_lo, v91, v99
	v_add_co_ci_u32_e64 v100, null, v95, v100, vcc_lo
	flat_load_ushort v99, v[99:100]
	s_waitcnt vmcnt(0) lgkmcnt(0)
	v_mul_f16_e32 v99, v50, v99
	v_cvt_f32_f16_e32 v99, v99
	s_branch .LBB222_125
.LBB222_124:
	v_mov_b32_e32 v99, 0
.LBB222_125:
	v_pk_add_f16 v100, v8, v30
	v_pk_add_f16 v105, v9, v31
	v_max_f16_e32 v108, v107, v107
	v_lshrrev_b32_e32 v107, 16, v107
	v_max_f32_e32 v99, v99, v99
	v_lshrrev_b32_e32 v109, 16, v100
	v_lshrrev_b32_e32 v110, 16, v105
	v_min_f16_e32 v100, v108, v100
	v_min3_f16 v107, v107, v109, v110
	v_min3_f16 v100, v100, v105, v107
	v_cvt_f32_f16_e32 v100, v100
	v_min_f32_e32 v105, v99, v100
	v_lshlrev_b64 v[99:100], 1, v[40:41]
	v_cvt_f16_f32_e32 v105, v105
	v_add_co_u32 v99, vcc_lo, v28, v99
	v_add_co_ci_u32_e64 v100, null, v29, v100, vcc_lo
	flat_store_short v[99:100], v105
	s_or_b32 exec_lo, exec_lo, s12
	s_and_b32 s15, s5, s8
	s_and_saveexec_b32 s12, s15
	s_cbranch_execz .LBB222_104
.LBB222_126:
	v_cmp_ne_u32_e32 vcc_lo, 1, v48
	s_cbranch_vccnz .LBB222_128
; %bb.127:
	v_lshlrev_b64 v[99:100], 1, v[42:43]
	v_add_co_u32 v99, vcc_lo, v91, v99
	v_add_co_ci_u32_e64 v100, null, v95, v100, vcc_lo
	flat_load_ushort v99, v[99:100]
	s_waitcnt vmcnt(0) lgkmcnt(0)
	v_mul_f16_e32 v99, v50, v99
	v_cvt_f32_f16_e32 v99, v99
	s_branch .LBB222_129
.LBB222_128:
	v_mov_b32_e32 v99, 0
.LBB222_129:
	v_pk_add_f16 v100, v10, v30
	v_pk_add_f16 v105, v11, v31
	v_max_f16_e32 v107, v106, v106
	v_lshrrev_b32_e32 v106, 16, v106
	v_max_f32_e32 v99, v99, v99
	v_lshrrev_b32_e32 v108, 16, v100
	v_lshrrev_b32_e32 v109, 16, v105
	v_min_f16_e32 v100, v107, v100
	v_min3_f16 v106, v106, v108, v109
	v_min3_f16 v100, v100, v105, v106
	v_cvt_f32_f16_e32 v100, v100
	v_min_f32_e32 v105, v99, v100
	v_lshlrev_b64 v[99:100], 1, v[42:43]
	v_cvt_f16_f32_e32 v105, v105
	v_add_co_u32 v99, vcc_lo, v28, v99
	v_add_co_ci_u32_e64 v100, null, v29, v100, vcc_lo
	flat_store_short v[99:100], v105
	s_or_b32 exec_lo, exec_lo, s12
	s_and_b32 s15, s6, s8
	s_and_saveexec_b32 s12, s15
	s_cbranch_execz .LBB222_105
.LBB222_130:
	v_cmp_ne_u32_e32 vcc_lo, 1, v48
	s_cbranch_vccnz .LBB222_132
; %bb.131:
	v_lshlrev_b64 v[99:100], 1, v[44:45]
	v_add_co_u32 v99, vcc_lo, v91, v99
	v_add_co_ci_u32_e64 v100, null, v95, v100, vcc_lo
	flat_load_ushort v99, v[99:100]
	s_waitcnt vmcnt(0) lgkmcnt(0)
	v_mul_f16_e32 v99, v50, v99
	v_cvt_f32_f16_e32 v99, v99
	s_branch .LBB222_133
.LBB222_132:
	v_mov_b32_e32 v99, 0
.LBB222_133:
	v_pk_add_f16 v100, v0, v30
	v_pk_add_f16 v105, v1, v31
	v_max_f16_e32 v106, v104, v104
	v_lshrrev_b32_e32 v104, 16, v104
	v_max_f32_e32 v99, v99, v99
	v_lshrrev_b32_e32 v107, 16, v100
	v_lshrrev_b32_e32 v108, 16, v105
	v_min_f16_e32 v100, v106, v100
	v_min3_f16 v104, v104, v107, v108
	v_min3_f16 v100, v100, v105, v104
	v_cvt_f32_f16_e32 v100, v100
	v_min_f32_e32 v104, v99, v100
	v_lshlrev_b64 v[99:100], 1, v[44:45]
	v_cvt_f16_f32_e32 v104, v104
	v_add_co_u32 v99, vcc_lo, v28, v99
	v_add_co_ci_u32_e64 v100, null, v29, v100, vcc_lo
	flat_store_short v[99:100], v104
	s_or_b32 exec_lo, exec_lo, s12
	s_and_b32 s12, s7, s8
	s_and_saveexec_b32 s8, s12
	s_cbranch_execz .LBB222_138
.LBB222_134:
	v_cmp_ne_u32_e32 vcc_lo, 1, v48
	s_cbranch_vccnz .LBB222_136
; %bb.135:
	v_lshlrev_b64 v[99:100], 1, v[46:47]
	v_add_co_u32 v99, vcc_lo, v91, v99
	v_add_co_ci_u32_e64 v100, null, v95, v100, vcc_lo
	flat_load_ushort v91, v[99:100]
	s_waitcnt vmcnt(0) lgkmcnt(0)
	v_mul_f16_e32 v91, v50, v91
	v_cvt_f32_f16_e32 v91, v91
	s_branch .LBB222_137
.LBB222_136:
	v_mov_b32_e32 v91, 0
.LBB222_137:
	v_pk_add_f16 v30, v2, v30
	v_pk_add_f16 v31, v3, v31
	v_max_f16_e32 v95, v103, v103
	v_lshrrev_b32_e32 v99, 16, v103
	v_lshrrev_b32_e32 v100, 16, v30
	;; [unrolled: 1-line block ×3, first 2 shown]
	v_min_f16_e32 v30, v95, v30
	v_min3_f16 v95, v99, v100, v103
	v_min3_f16 v30, v30, v31, v95
	v_max_f32_e32 v31, v91, v91
	v_cvt_f32_f16_e32 v30, v30
	v_min_f32_e32 v91, v31, v30
	v_lshlrev_b64 v[30:31], 1, v[46:47]
	v_cvt_f16_f32_e32 v91, v91
	v_add_co_u32 v28, vcc_lo, v28, v30
	v_add_co_ci_u32_e64 v29, null, v29, v31, vcc_lo
	flat_store_short v[28:29], v91
.LBB222_138:
	s_or_b32 exec_lo, exec_lo, s8
	v_add_nc_u32_e32 v91, 64, v49
	v_mad_i64_i32 v[28:29], null, v91, s14, 0
	v_mad_i64_i32 v[30:31], null, v91, s9, 0
	v_cmp_gt_i32_e64 s8, s13, v91
	v_lshlrev_b64 v[28:29], 1, v[28:29]
	s_and_b32 s15, s0, s8
	v_lshlrev_b64 v[99:100], 1, v[30:31]
	v_add_co_u32 v30, vcc_lo, s16, v28
	v_add_co_ci_u32_e64 v31, null, s17, v29, vcc_lo
	v_add_co_u32 v28, vcc_lo, s10, v99
	v_add_co_ci_u32_e64 v29, null, s11, v100, vcc_lo
	s_and_saveexec_b32 s12, s15
	s_cbranch_execnz .LBB222_146
; %bb.139:
	s_or_b32 exec_lo, exec_lo, s12
	s_and_b32 s15, s1, s8
	s_and_saveexec_b32 s12, s15
	s_cbranch_execnz .LBB222_150
.LBB222_140:
	s_or_b32 exec_lo, exec_lo, s12
	s_and_b32 s15, s2, s8
	s_and_saveexec_b32 s12, s15
	s_cbranch_execnz .LBB222_154
.LBB222_141:
	s_or_b32 exec_lo, exec_lo, s12
	s_and_b32 s15, s3, s8
	s_and_saveexec_b32 s12, s15
	s_cbranch_execnz .LBB222_158
.LBB222_142:
	s_or_b32 exec_lo, exec_lo, s12
	s_and_b32 s15, s4, s8
	s_and_saveexec_b32 s12, s15
	s_cbranch_execnz .LBB222_162
.LBB222_143:
	s_or_b32 exec_lo, exec_lo, s12
	s_and_b32 s15, s5, s8
	s_and_saveexec_b32 s12, s15
	s_cbranch_execnz .LBB222_166
.LBB222_144:
	s_or_b32 exec_lo, exec_lo, s12
	s_and_b32 s15, s6, s8
	s_and_saveexec_b32 s12, s15
	s_cbranch_execnz .LBB222_170
.LBB222_145:
	s_or_b32 exec_lo, exec_lo, s12
	s_and_b32 s12, s7, s8
	s_and_saveexec_b32 s8, s12
	s_cbranch_execnz .LBB222_174
	s_branch .LBB222_178
.LBB222_146:
	v_cmp_ne_u32_e32 vcc_lo, 1, v48
	s_cbranch_vccnz .LBB222_148
; %bb.147:
	v_lshlrev_b64 v[99:100], 1, v[32:33]
	v_add_co_u32 v99, vcc_lo, v30, v99
	v_add_co_ci_u32_e64 v100, null, v31, v100, vcc_lo
	flat_load_ushort v91, v[99:100]
	s_waitcnt vmcnt(0) lgkmcnt(0)
	v_mul_f16_e32 v91, v50, v91
	v_cvt_f32_f16_e32 v91, v91
	s_branch .LBB222_149
.LBB222_148:
	v_mov_b32_e32 v91, 0
.LBB222_149:
	v_pk_add_f16 v95, v16, v24
	v_pk_add_f16 v99, v17, v25
	v_max_f16_e32 v100, v102, v102
	v_lshrrev_b32_e32 v102, 16, v102
	v_max_f32_e32 v91, v91, v91
	v_lshrrev_b32_e32 v103, 16, v95
	v_lshrrev_b32_e32 v104, 16, v99
	v_min_f16_e32 v95, v100, v95
	v_min3_f16 v100, v102, v103, v104
	v_min3_f16 v95, v95, v99, v100
	v_lshlrev_b64 v[99:100], 1, v[32:33]
	v_cvt_f32_f16_e32 v95, v95
	v_add_co_u32 v99, vcc_lo, v28, v99
	v_add_co_ci_u32_e64 v100, null, v29, v100, vcc_lo
	v_min_f32_e32 v91, v91, v95
	v_cvt_f16_f32_e32 v91, v91
	flat_store_short v[99:100], v91
	s_or_b32 exec_lo, exec_lo, s12
	s_and_b32 s15, s1, s8
	s_and_saveexec_b32 s12, s15
	s_cbranch_execz .LBB222_140
.LBB222_150:
	v_cmp_ne_u32_e32 vcc_lo, 1, v48
	s_cbranch_vccnz .LBB222_152
; %bb.151:
	v_lshlrev_b64 v[99:100], 1, v[34:35]
	v_add_co_u32 v99, vcc_lo, v30, v99
	v_add_co_ci_u32_e64 v100, null, v31, v100, vcc_lo
	flat_load_ushort v91, v[99:100]
	s_waitcnt vmcnt(0) lgkmcnt(0)
	v_mul_f16_e32 v91, v50, v91
	v_cvt_f32_f16_e32 v91, v91
	s_branch .LBB222_153
.LBB222_152:
	v_mov_b32_e32 v91, 0
.LBB222_153:
	v_pk_add_f16 v95, v18, v24
	v_pk_add_f16 v99, v19, v25
	v_max_f16_e32 v100, v101, v101
	v_lshrrev_b32_e32 v101, 16, v101
	v_max_f32_e32 v91, v91, v91
	v_lshrrev_b32_e32 v102, 16, v95
	v_lshrrev_b32_e32 v103, 16, v99
	v_min_f16_e32 v95, v100, v95
	v_min3_f16 v100, v101, v102, v103
	v_min3_f16 v95, v95, v99, v100
	v_lshlrev_b64 v[99:100], 1, v[34:35]
	v_cvt_f32_f16_e32 v95, v95
	v_add_co_u32 v99, vcc_lo, v28, v99
	v_add_co_ci_u32_e64 v100, null, v29, v100, vcc_lo
	v_min_f32_e32 v91, v91, v95
	v_cvt_f16_f32_e32 v91, v91
	flat_store_short v[99:100], v91
	s_or_b32 exec_lo, exec_lo, s12
	s_and_b32 s15, s2, s8
	s_and_saveexec_b32 s12, s15
	s_cbranch_execz .LBB222_141
.LBB222_154:
	v_cmp_ne_u32_e32 vcc_lo, 1, v48
	s_cbranch_vccnz .LBB222_156
; %bb.155:
	v_lshlrev_b64 v[99:100], 1, v[36:37]
	v_add_co_u32 v99, vcc_lo, v30, v99
	v_add_co_ci_u32_e64 v100, null, v31, v100, vcc_lo
	flat_load_ushort v91, v[99:100]
	s_waitcnt vmcnt(0) lgkmcnt(0)
	v_mul_f16_e32 v91, v50, v91
	v_cvt_f32_f16_e32 v91, v91
	s_branch .LBB222_157
.LBB222_156:
	v_mov_b32_e32 v91, 0
.LBB222_157:
	v_pk_add_f16 v95, v12, v24
	v_pk_add_f16 v99, v13, v25
	v_max_f16_e32 v100, v98, v98
	v_lshrrev_b32_e32 v98, 16, v98
	v_max_f32_e32 v91, v91, v91
	v_lshrrev_b32_e32 v101, 16, v95
	v_lshrrev_b32_e32 v102, 16, v99
	v_min_f16_e32 v95, v100, v95
	v_min3_f16 v98, v98, v101, v102
	v_min3_f16 v95, v95, v99, v98
	v_lshlrev_b64 v[98:99], 1, v[36:37]
	v_cvt_f32_f16_e32 v95, v95
	v_add_co_u32 v98, vcc_lo, v28, v98
	v_add_co_ci_u32_e64 v99, null, v29, v99, vcc_lo
	v_min_f32_e32 v91, v91, v95
	v_cvt_f16_f32_e32 v91, v91
	flat_store_short v[98:99], v91
	s_or_b32 exec_lo, exec_lo, s12
	s_and_b32 s15, s3, s8
	s_and_saveexec_b32 s12, s15
	s_cbranch_execz .LBB222_142
.LBB222_158:
	v_cmp_ne_u32_e32 vcc_lo, 1, v48
	s_cbranch_vccnz .LBB222_160
; %bb.159:
	v_lshlrev_b64 v[98:99], 1, v[38:39]
	v_add_co_u32 v98, vcc_lo, v30, v98
	v_add_co_ci_u32_e64 v99, null, v31, v99, vcc_lo
	flat_load_ushort v91, v[98:99]
	s_waitcnt vmcnt(0) lgkmcnt(0)
	v_mul_f16_e32 v91, v50, v91
	v_cvt_f32_f16_e32 v91, v91
	s_branch .LBB222_161
.LBB222_160:
	v_mov_b32_e32 v91, 0
.LBB222_161:
	v_pk_add_f16 v95, v14, v24
	v_pk_add_f16 v98, v15, v25
	v_max_f16_e32 v99, v97, v97
	v_lshrrev_b32_e32 v97, 16, v97
	v_max_f32_e32 v91, v91, v91
	v_lshrrev_b32_e32 v100, 16, v95
	v_lshrrev_b32_e32 v101, 16, v98
	v_min_f16_e32 v95, v99, v95
	v_min3_f16 v97, v97, v100, v101
	v_min3_f16 v95, v95, v98, v97
	v_lshlrev_b64 v[97:98], 1, v[38:39]
	v_cvt_f32_f16_e32 v95, v95
	v_add_co_u32 v97, vcc_lo, v28, v97
	v_add_co_ci_u32_e64 v98, null, v29, v98, vcc_lo
	v_min_f32_e32 v91, v91, v95
	v_cvt_f16_f32_e32 v91, v91
	flat_store_short v[97:98], v91
	s_or_b32 exec_lo, exec_lo, s12
	s_and_b32 s15, s4, s8
	s_and_saveexec_b32 s12, s15
	s_cbranch_execz .LBB222_143
.LBB222_162:
	v_cmp_ne_u32_e32 vcc_lo, 1, v48
	s_cbranch_vccnz .LBB222_164
; %bb.163:
	v_lshlrev_b64 v[97:98], 1, v[40:41]
	v_add_co_u32 v97, vcc_lo, v30, v97
	v_add_co_ci_u32_e64 v98, null, v31, v98, vcc_lo
	flat_load_ushort v91, v[97:98]
	s_waitcnt vmcnt(0) lgkmcnt(0)
	v_mul_f16_e32 v91, v50, v91
	v_cvt_f32_f16_e32 v91, v91
	s_branch .LBB222_165
.LBB222_164:
	v_mov_b32_e32 v91, 0
.LBB222_165:
	v_pk_add_f16 v95, v8, v24
	v_pk_add_f16 v97, v9, v25
	v_max_f16_e32 v98, v96, v96
	v_lshrrev_b32_e32 v96, 16, v96
	v_max_f32_e32 v91, v91, v91
	v_lshrrev_b32_e32 v99, 16, v95
	v_lshrrev_b32_e32 v100, 16, v97
	v_min_f16_e32 v95, v98, v95
	v_min3_f16 v96, v96, v99, v100
	v_min3_f16 v95, v95, v97, v96
	v_cvt_f32_f16_e32 v95, v95
	v_min_f32_e32 v91, v91, v95
	v_lshlrev_b64 v[95:96], 1, v[40:41]
	v_cvt_f16_f32_e32 v91, v91
	v_add_co_u32 v95, vcc_lo, v28, v95
	v_add_co_ci_u32_e64 v96, null, v29, v96, vcc_lo
	flat_store_short v[95:96], v91
	s_or_b32 exec_lo, exec_lo, s12
	s_and_b32 s15, s5, s8
	s_and_saveexec_b32 s12, s15
	s_cbranch_execz .LBB222_144
.LBB222_166:
	v_cmp_ne_u32_e32 vcc_lo, 1, v48
	s_cbranch_vccnz .LBB222_168
; %bb.167:
	v_lshlrev_b64 v[95:96], 1, v[42:43]
	v_add_co_u32 v95, vcc_lo, v30, v95
	v_add_co_ci_u32_e64 v96, null, v31, v96, vcc_lo
	flat_load_ushort v91, v[95:96]
	s_waitcnt vmcnt(0) lgkmcnt(0)
	v_mul_f16_e32 v91, v50, v91
	v_cvt_f32_f16_e32 v91, v91
	s_branch .LBB222_169
.LBB222_168:
	v_mov_b32_e32 v91, 0
.LBB222_169:
	v_pk_add_f16 v95, v10, v24
	v_pk_add_f16 v96, v11, v25
	v_max_f16_e32 v97, v94, v94
	v_lshrrev_b32_e32 v94, 16, v94
	v_max_f32_e32 v91, v91, v91
	v_lshrrev_b32_e32 v98, 16, v95
	v_lshrrev_b32_e32 v99, 16, v96
	v_min_f16_e32 v95, v97, v95
	v_min3_f16 v94, v94, v98, v99
	v_min3_f16 v94, v95, v96, v94
	v_cvt_f32_f16_e32 v94, v94
	v_min_f32_e32 v91, v91, v94
	v_lshlrev_b64 v[94:95], 1, v[42:43]
	v_cvt_f16_f32_e32 v91, v91
	v_add_co_u32 v94, vcc_lo, v28, v94
	v_add_co_ci_u32_e64 v95, null, v29, v95, vcc_lo
	flat_store_short v[94:95], v91
	s_or_b32 exec_lo, exec_lo, s12
	s_and_b32 s15, s6, s8
	s_and_saveexec_b32 s12, s15
	s_cbranch_execz .LBB222_145
.LBB222_170:
	v_cmp_ne_u32_e32 vcc_lo, 1, v48
	s_cbranch_vccnz .LBB222_172
; %bb.171:
	v_lshlrev_b64 v[94:95], 1, v[44:45]
	v_add_co_u32 v94, vcc_lo, v30, v94
	v_add_co_ci_u32_e64 v95, null, v31, v95, vcc_lo
	flat_load_ushort v91, v[94:95]
	s_waitcnt vmcnt(0) lgkmcnt(0)
	v_mul_f16_e32 v91, v50, v91
	v_cvt_f32_f16_e32 v91, v91
	s_branch .LBB222_173
.LBB222_172:
	v_mov_b32_e32 v91, 0
.LBB222_173:
	v_pk_add_f16 v94, v0, v24
	v_pk_add_f16 v95, v1, v25
	v_max_f16_e32 v96, v93, v93
	v_lshrrev_b32_e32 v93, 16, v93
	v_max_f32_e32 v91, v91, v91
	v_lshrrev_b32_e32 v97, 16, v94
	v_lshrrev_b32_e32 v98, 16, v95
	v_min_f16_e32 v94, v96, v94
	v_min3_f16 v93, v93, v97, v98
	v_min3_f16 v93, v94, v95, v93
	v_cvt_f32_f16_e32 v93, v93
	v_min_f32_e32 v91, v91, v93
	v_lshlrev_b64 v[93:94], 1, v[44:45]
	v_cvt_f16_f32_e32 v91, v91
	v_add_co_u32 v93, vcc_lo, v28, v93
	v_add_co_ci_u32_e64 v94, null, v29, v94, vcc_lo
	flat_store_short v[93:94], v91
	s_or_b32 exec_lo, exec_lo, s12
	s_and_b32 s12, s7, s8
	s_and_saveexec_b32 s8, s12
	s_cbranch_execz .LBB222_178
.LBB222_174:
	v_cmp_ne_u32_e32 vcc_lo, 1, v48
	s_cbranch_vccnz .LBB222_176
; %bb.175:
	v_lshlrev_b64 v[93:94], 1, v[46:47]
	v_add_co_u32 v30, vcc_lo, v30, v93
	v_add_co_ci_u32_e64 v31, null, v31, v94, vcc_lo
	flat_load_ushort v30, v[30:31]
	s_waitcnt vmcnt(0) lgkmcnt(0)
	v_mul_f16_e32 v30, v50, v30
	v_cvt_f32_f16_e32 v30, v30
	s_branch .LBB222_177
.LBB222_176:
	v_mov_b32_e32 v30, 0
.LBB222_177:
	v_pk_add_f16 v24, v2, v24
	v_pk_add_f16 v25, v3, v25
	v_max_f16_e32 v31, v92, v92
	v_lshrrev_b32_e32 v91, 16, v92
	v_lshrrev_b32_e32 v92, 16, v24
	;; [unrolled: 1-line block ×3, first 2 shown]
	v_min_f16_e32 v24, v31, v24
	v_min3_f16 v31, v91, v92, v93
	v_min3_f16 v24, v24, v25, v31
	v_max_f32_e32 v25, v30, v30
	v_cvt_f32_f16_e32 v24, v24
	v_min_f32_e32 v30, v25, v24
	v_lshlrev_b64 v[24:25], 1, v[46:47]
	v_cvt_f16_f32_e32 v30, v30
	v_add_co_u32 v24, vcc_lo, v28, v24
	v_add_co_ci_u32_e64 v25, null, v29, v25, vcc_lo
	flat_store_short v[24:25], v30
.LBB222_178:
	s_or_b32 exec_lo, exec_lo, s8
	v_add_nc_u32_e32 v30, 0x60, v49
	v_mad_i64_i32 v[24:25], null, v30, s14, 0
	v_mad_i64_i32 v[28:29], null, v30, s9, 0
	v_cmp_gt_i32_e64 s8, s13, v30
	v_lshlrev_b64 v[24:25], 1, v[24:25]
	s_and_b32 s15, s0, s8
	v_lshlrev_b64 v[30:31], 1, v[28:29]
	v_add_co_u32 v28, vcc_lo, s16, v24
	v_add_co_ci_u32_e64 v29, null, s17, v25, vcc_lo
	v_add_co_u32 v24, vcc_lo, s10, v30
	v_add_co_ci_u32_e64 v25, null, s11, v31, vcc_lo
	s_and_saveexec_b32 s12, s15
	s_cbranch_execnz .LBB222_186
; %bb.179:
	s_or_b32 exec_lo, exec_lo, s12
	s_and_b32 s15, s1, s8
	s_and_saveexec_b32 s12, s15
	s_cbranch_execnz .LBB222_190
.LBB222_180:
	s_or_b32 exec_lo, exec_lo, s12
	s_and_b32 s15, s2, s8
	s_and_saveexec_b32 s12, s15
	s_cbranch_execnz .LBB222_194
.LBB222_181:
	s_or_b32 exec_lo, exec_lo, s12
	s_and_b32 s15, s3, s8
	s_and_saveexec_b32 s12, s15
	s_cbranch_execnz .LBB222_198
.LBB222_182:
	s_or_b32 exec_lo, exec_lo, s12
	s_and_b32 s15, s4, s8
	s_and_saveexec_b32 s12, s15
	s_cbranch_execnz .LBB222_202
.LBB222_183:
	s_or_b32 exec_lo, exec_lo, s12
	s_and_b32 s15, s5, s8
	s_and_saveexec_b32 s12, s15
	s_cbranch_execnz .LBB222_206
.LBB222_184:
	s_or_b32 exec_lo, exec_lo, s12
	s_and_b32 s15, s6, s8
	s_and_saveexec_b32 s12, s15
	s_cbranch_execnz .LBB222_210
.LBB222_185:
	s_or_b32 exec_lo, exec_lo, s12
	s_and_b32 s12, s7, s8
	s_and_saveexec_b32 s8, s12
	s_cbranch_execnz .LBB222_214
	s_branch .LBB222_218
.LBB222_186:
	v_cmp_ne_u32_e32 vcc_lo, 1, v48
	s_cbranch_vccnz .LBB222_188
; %bb.187:
	v_lshlrev_b64 v[30:31], 1, v[32:33]
	v_add_co_u32 v30, vcc_lo, v28, v30
	v_add_co_ci_u32_e64 v31, null, v29, v31, vcc_lo
	flat_load_ushort v30, v[30:31]
	s_waitcnt vmcnt(0) lgkmcnt(0)
	v_mul_f16_e32 v30, v50, v30
	v_cvt_f32_f16_e32 v30, v30
	s_branch .LBB222_189
.LBB222_188:
	v_mov_b32_e32 v30, 0
.LBB222_189:
	v_pk_add_f16 v31, v16, v26
	v_pk_add_f16 v91, v17, v27
	v_max_f16_e32 v92, v90, v90
	v_lshrrev_b32_e32 v90, 16, v90
	v_max_f32_e32 v30, v30, v30
	v_lshrrev_b32_e32 v93, 16, v31
	v_lshrrev_b32_e32 v94, 16, v91
	v_min_f16_e32 v31, v92, v31
	v_min3_f16 v90, v90, v93, v94
	v_min3_f16 v31, v31, v91, v90
	v_cvt_f32_f16_e32 v31, v31
	v_min_f32_e32 v90, v30, v31
	v_lshlrev_b64 v[30:31], 1, v[32:33]
	v_cvt_f16_f32_e32 v90, v90
	v_add_co_u32 v30, vcc_lo, v24, v30
	v_add_co_ci_u32_e64 v31, null, v25, v31, vcc_lo
	flat_store_short v[30:31], v90
	s_or_b32 exec_lo, exec_lo, s12
	s_and_b32 s15, s1, s8
	s_and_saveexec_b32 s12, s15
	s_cbranch_execz .LBB222_180
.LBB222_190:
	v_cmp_ne_u32_e32 vcc_lo, 1, v48
	s_cbranch_vccnz .LBB222_192
; %bb.191:
	v_lshlrev_b64 v[30:31], 1, v[34:35]
	v_add_co_u32 v30, vcc_lo, v28, v30
	v_add_co_ci_u32_e64 v31, null, v29, v31, vcc_lo
	flat_load_ushort v30, v[30:31]
	s_waitcnt vmcnt(0) lgkmcnt(0)
	v_mul_f16_e32 v30, v50, v30
	v_cvt_f32_f16_e32 v30, v30
	s_branch .LBB222_193
.LBB222_192:
	v_mov_b32_e32 v30, 0
.LBB222_193:
	v_pk_add_f16 v31, v18, v26
	v_pk_add_f16 v90, v19, v27
	v_max_f16_e32 v91, v89, v89
	v_lshrrev_b32_e32 v89, 16, v89
	v_max_f32_e32 v30, v30, v30
	v_lshrrev_b32_e32 v92, 16, v31
	v_lshrrev_b32_e32 v93, 16, v90
	v_min_f16_e32 v31, v91, v31
	v_min3_f16 v89, v89, v92, v93
	v_min3_f16 v31, v31, v90, v89
	v_cvt_f32_f16_e32 v31, v31
	v_min_f32_e32 v89, v30, v31
	v_lshlrev_b64 v[30:31], 1, v[34:35]
	v_cvt_f16_f32_e32 v89, v89
	v_add_co_u32 v30, vcc_lo, v24, v30
	v_add_co_ci_u32_e64 v31, null, v25, v31, vcc_lo
	flat_store_short v[30:31], v89
	s_or_b32 exec_lo, exec_lo, s12
	s_and_b32 s15, s2, s8
	s_and_saveexec_b32 s12, s15
	s_cbranch_execz .LBB222_181
.LBB222_194:
	v_cmp_ne_u32_e32 vcc_lo, 1, v48
	s_cbranch_vccnz .LBB222_196
; %bb.195:
	v_lshlrev_b64 v[30:31], 1, v[36:37]
	v_add_co_u32 v30, vcc_lo, v28, v30
	v_add_co_ci_u32_e64 v31, null, v29, v31, vcc_lo
	flat_load_ushort v30, v[30:31]
	s_waitcnt vmcnt(0) lgkmcnt(0)
	v_mul_f16_e32 v30, v50, v30
	v_cvt_f32_f16_e32 v30, v30
	s_branch .LBB222_197
.LBB222_196:
	v_mov_b32_e32 v30, 0
.LBB222_197:
	v_pk_add_f16 v31, v12, v26
	v_pk_add_f16 v89, v13, v27
	v_max_f16_e32 v90, v88, v88
	v_lshrrev_b32_e32 v88, 16, v88
	v_max_f32_e32 v30, v30, v30
	v_lshrrev_b32_e32 v91, 16, v31
	v_lshrrev_b32_e32 v92, 16, v89
	v_min_f16_e32 v31, v90, v31
	v_min3_f16 v88, v88, v91, v92
	v_min3_f16 v31, v31, v89, v88
	v_cvt_f32_f16_e32 v31, v31
	v_min_f32_e32 v88, v30, v31
	v_lshlrev_b64 v[30:31], 1, v[36:37]
	v_cvt_f16_f32_e32 v88, v88
	v_add_co_u32 v30, vcc_lo, v24, v30
	v_add_co_ci_u32_e64 v31, null, v25, v31, vcc_lo
	flat_store_short v[30:31], v88
	s_or_b32 exec_lo, exec_lo, s12
	s_and_b32 s15, s3, s8
	s_and_saveexec_b32 s12, s15
	s_cbranch_execz .LBB222_182
.LBB222_198:
	v_cmp_ne_u32_e32 vcc_lo, 1, v48
	s_cbranch_vccnz .LBB222_200
; %bb.199:
	v_lshlrev_b64 v[30:31], 1, v[38:39]
	v_add_co_u32 v30, vcc_lo, v28, v30
	v_add_co_ci_u32_e64 v31, null, v29, v31, vcc_lo
	flat_load_ushort v30, v[30:31]
	s_waitcnt vmcnt(0) lgkmcnt(0)
	v_mul_f16_e32 v30, v50, v30
	v_cvt_f32_f16_e32 v30, v30
	s_branch .LBB222_201
.LBB222_200:
	v_mov_b32_e32 v30, 0
.LBB222_201:
	v_pk_add_f16 v31, v14, v26
	v_pk_add_f16 v88, v15, v27
	v_max_f16_e32 v89, v87, v87
	v_lshrrev_b32_e32 v87, 16, v87
	v_max_f32_e32 v30, v30, v30
	v_lshrrev_b32_e32 v90, 16, v31
	v_lshrrev_b32_e32 v91, 16, v88
	v_min_f16_e32 v31, v89, v31
	v_min3_f16 v87, v87, v90, v91
	v_min3_f16 v31, v31, v88, v87
	v_cvt_f32_f16_e32 v31, v31
	v_min_f32_e32 v87, v30, v31
	v_lshlrev_b64 v[30:31], 1, v[38:39]
	v_cvt_f16_f32_e32 v87, v87
	v_add_co_u32 v30, vcc_lo, v24, v30
	v_add_co_ci_u32_e64 v31, null, v25, v31, vcc_lo
	flat_store_short v[30:31], v87
	s_or_b32 exec_lo, exec_lo, s12
	s_and_b32 s15, s4, s8
	s_and_saveexec_b32 s12, s15
	s_cbranch_execz .LBB222_183
.LBB222_202:
	v_cmp_ne_u32_e32 vcc_lo, 1, v48
	s_cbranch_vccnz .LBB222_204
; %bb.203:
	v_lshlrev_b64 v[30:31], 1, v[40:41]
	v_add_co_u32 v30, vcc_lo, v28, v30
	v_add_co_ci_u32_e64 v31, null, v29, v31, vcc_lo
	flat_load_ushort v30, v[30:31]
	s_waitcnt vmcnt(0) lgkmcnt(0)
	v_mul_f16_e32 v30, v50, v30
	v_cvt_f32_f16_e32 v30, v30
	s_branch .LBB222_205
.LBB222_204:
	v_mov_b32_e32 v30, 0
.LBB222_205:
	v_pk_add_f16 v31, v8, v26
	v_pk_add_f16 v87, v9, v27
	v_max_f16_e32 v88, v86, v86
	v_lshrrev_b32_e32 v86, 16, v86
	v_max_f32_e32 v30, v30, v30
	v_lshrrev_b32_e32 v89, 16, v31
	v_lshrrev_b32_e32 v90, 16, v87
	v_min_f16_e32 v31, v88, v31
	v_min3_f16 v86, v86, v89, v90
	v_min3_f16 v31, v31, v87, v86
	v_cvt_f32_f16_e32 v31, v31
	v_min_f32_e32 v86, v30, v31
	v_lshlrev_b64 v[30:31], 1, v[40:41]
	v_cvt_f16_f32_e32 v86, v86
	v_add_co_u32 v30, vcc_lo, v24, v30
	v_add_co_ci_u32_e64 v31, null, v25, v31, vcc_lo
	flat_store_short v[30:31], v86
	s_or_b32 exec_lo, exec_lo, s12
	s_and_b32 s15, s5, s8
	s_and_saveexec_b32 s12, s15
	s_cbranch_execz .LBB222_184
.LBB222_206:
	v_cmp_ne_u32_e32 vcc_lo, 1, v48
	s_cbranch_vccnz .LBB222_208
; %bb.207:
	v_lshlrev_b64 v[30:31], 1, v[42:43]
	v_add_co_u32 v30, vcc_lo, v28, v30
	v_add_co_ci_u32_e64 v31, null, v29, v31, vcc_lo
	flat_load_ushort v30, v[30:31]
	s_waitcnt vmcnt(0) lgkmcnt(0)
	v_mul_f16_e32 v30, v50, v30
	v_cvt_f32_f16_e32 v30, v30
	s_branch .LBB222_209
.LBB222_208:
	v_mov_b32_e32 v30, 0
.LBB222_209:
	v_pk_add_f16 v31, v10, v26
	v_pk_add_f16 v86, v11, v27
	v_max_f16_e32 v87, v85, v85
	v_lshrrev_b32_e32 v85, 16, v85
	v_max_f32_e32 v30, v30, v30
	v_lshrrev_b32_e32 v88, 16, v31
	v_lshrrev_b32_e32 v89, 16, v86
	v_min_f16_e32 v31, v87, v31
	v_min3_f16 v85, v85, v88, v89
	v_min3_f16 v31, v31, v86, v85
	v_cvt_f32_f16_e32 v31, v31
	v_min_f32_e32 v85, v30, v31
	v_lshlrev_b64 v[30:31], 1, v[42:43]
	v_cvt_f16_f32_e32 v85, v85
	v_add_co_u32 v30, vcc_lo, v24, v30
	v_add_co_ci_u32_e64 v31, null, v25, v31, vcc_lo
	flat_store_short v[30:31], v85
	s_or_b32 exec_lo, exec_lo, s12
	s_and_b32 s15, s6, s8
	s_and_saveexec_b32 s12, s15
	s_cbranch_execz .LBB222_185
.LBB222_210:
	v_cmp_ne_u32_e32 vcc_lo, 1, v48
	s_cbranch_vccnz .LBB222_212
; %bb.211:
	v_lshlrev_b64 v[30:31], 1, v[44:45]
	v_add_co_u32 v30, vcc_lo, v28, v30
	v_add_co_ci_u32_e64 v31, null, v29, v31, vcc_lo
	flat_load_ushort v30, v[30:31]
	s_waitcnt vmcnt(0) lgkmcnt(0)
	v_mul_f16_e32 v30, v50, v30
	v_cvt_f32_f16_e32 v30, v30
	s_branch .LBB222_213
.LBB222_212:
	v_mov_b32_e32 v30, 0
.LBB222_213:
	v_pk_add_f16 v31, v0, v26
	v_pk_add_f16 v85, v1, v27
	v_max_f16_e32 v86, v84, v84
	v_lshrrev_b32_e32 v84, 16, v84
	v_max_f32_e32 v30, v30, v30
	v_lshrrev_b32_e32 v87, 16, v31
	v_lshrrev_b32_e32 v88, 16, v85
	v_min_f16_e32 v31, v86, v31
	v_min3_f16 v84, v84, v87, v88
	v_min3_f16 v31, v31, v85, v84
	v_cvt_f32_f16_e32 v31, v31
	v_min_f32_e32 v84, v30, v31
	v_lshlrev_b64 v[30:31], 1, v[44:45]
	v_cvt_f16_f32_e32 v84, v84
	v_add_co_u32 v30, vcc_lo, v24, v30
	v_add_co_ci_u32_e64 v31, null, v25, v31, vcc_lo
	flat_store_short v[30:31], v84
	s_or_b32 exec_lo, exec_lo, s12
	s_and_b32 s12, s7, s8
	s_and_saveexec_b32 s8, s12
	s_cbranch_execz .LBB222_218
.LBB222_214:
	v_cmp_ne_u32_e32 vcc_lo, 1, v48
	s_cbranch_vccnz .LBB222_216
; %bb.215:
	v_lshlrev_b64 v[30:31], 1, v[46:47]
	v_add_co_u32 v28, vcc_lo, v28, v30
	v_add_co_ci_u32_e64 v29, null, v29, v31, vcc_lo
	flat_load_ushort v28, v[28:29]
	s_waitcnt vmcnt(0) lgkmcnt(0)
	v_mul_f16_e32 v28, v50, v28
	v_cvt_f32_f16_e32 v28, v28
	s_branch .LBB222_217
.LBB222_216:
	v_mov_b32_e32 v28, 0
.LBB222_217:
	v_pk_add_f16 v26, v2, v26
	v_pk_add_f16 v27, v3, v27
	v_max_f16_e32 v29, v83, v83
	v_lshrrev_b32_e32 v30, 16, v83
	v_lshrrev_b32_e32 v31, 16, v26
	;; [unrolled: 1-line block ×3, first 2 shown]
	v_min_f16_e32 v26, v29, v26
	v_min3_f16 v29, v30, v31, v83
	v_min3_f16 v26, v26, v27, v29
	v_max_f32_e32 v27, v28, v28
	v_cvt_f32_f16_e32 v26, v26
	v_min_f32_e32 v28, v27, v26
	v_lshlrev_b64 v[26:27], 1, v[46:47]
	v_cvt_f16_f32_e32 v28, v28
	v_add_co_u32 v24, vcc_lo, v24, v26
	v_add_co_ci_u32_e64 v25, null, v25, v27, vcc_lo
	flat_store_short v[24:25], v28
.LBB222_218:
	s_or_b32 exec_lo, exec_lo, s8
	v_add_nc_u32_e32 v28, 0x80, v49
	v_mad_i64_i32 v[24:25], null, v28, s14, 0
	v_mad_i64_i32 v[26:27], null, v28, s9, 0
	v_cmp_gt_i32_e64 s8, s13, v28
	v_lshlrev_b64 v[24:25], 1, v[24:25]
	s_and_b32 s15, s0, s8
	v_lshlrev_b64 v[28:29], 1, v[26:27]
	v_add_co_u32 v26, vcc_lo, s16, v24
	v_add_co_ci_u32_e64 v27, null, s17, v25, vcc_lo
	v_add_co_u32 v24, vcc_lo, s10, v28
	v_add_co_ci_u32_e64 v25, null, s11, v29, vcc_lo
	s_and_saveexec_b32 s12, s15
	s_cbranch_execnz .LBB222_226
; %bb.219:
	s_or_b32 exec_lo, exec_lo, s12
	s_and_b32 s15, s1, s8
	s_and_saveexec_b32 s12, s15
	s_cbranch_execnz .LBB222_230
.LBB222_220:
	s_or_b32 exec_lo, exec_lo, s12
	s_and_b32 s15, s2, s8
	s_and_saveexec_b32 s12, s15
	s_cbranch_execnz .LBB222_234
.LBB222_221:
	s_or_b32 exec_lo, exec_lo, s12
	s_and_b32 s15, s3, s8
	s_and_saveexec_b32 s12, s15
	s_cbranch_execnz .LBB222_238
.LBB222_222:
	s_or_b32 exec_lo, exec_lo, s12
	s_and_b32 s15, s4, s8
	s_and_saveexec_b32 s12, s15
	s_cbranch_execnz .LBB222_242
.LBB222_223:
	s_or_b32 exec_lo, exec_lo, s12
	s_and_b32 s15, s5, s8
	s_and_saveexec_b32 s12, s15
	s_cbranch_execnz .LBB222_246
.LBB222_224:
	s_or_b32 exec_lo, exec_lo, s12
	s_and_b32 s15, s6, s8
	s_and_saveexec_b32 s12, s15
	s_cbranch_execnz .LBB222_250
.LBB222_225:
	s_or_b32 exec_lo, exec_lo, s12
	s_and_b32 s12, s7, s8
	s_and_saveexec_b32 s8, s12
	s_cbranch_execnz .LBB222_254
	s_branch .LBB222_258
.LBB222_226:
	v_cmp_ne_u32_e32 vcc_lo, 1, v48
	s_cbranch_vccnz .LBB222_228
; %bb.227:
	v_lshlrev_b64 v[28:29], 1, v[32:33]
	v_add_co_u32 v28, vcc_lo, v26, v28
	v_add_co_ci_u32_e64 v29, null, v27, v29, vcc_lo
	flat_load_ushort v28, v[28:29]
	s_waitcnt vmcnt(0) lgkmcnt(0)
	v_mul_f16_e32 v28, v50, v28
	v_cvt_f32_f16_e32 v28, v28
	s_branch .LBB222_229
.LBB222_228:
	v_mov_b32_e32 v28, 0
.LBB222_229:
	v_pk_add_f16 v29, v16, v20
	v_pk_add_f16 v30, v17, v21
	v_max_f16_e32 v31, v82, v82
	v_lshrrev_b32_e32 v82, 16, v82
	v_max_f32_e32 v28, v28, v28
	v_lshrrev_b32_e32 v83, 16, v29
	v_lshrrev_b32_e32 v84, 16, v30
	v_min_f16_e32 v29, v31, v29
	v_min3_f16 v31, v82, v83, v84
	v_min3_f16 v29, v29, v30, v31
	v_cvt_f32_f16_e32 v29, v29
	v_min_f32_e32 v30, v28, v29
	v_lshlrev_b64 v[28:29], 1, v[32:33]
	v_cvt_f16_f32_e32 v30, v30
	v_add_co_u32 v28, vcc_lo, v24, v28
	v_add_co_ci_u32_e64 v29, null, v25, v29, vcc_lo
	flat_store_short v[28:29], v30
	s_or_b32 exec_lo, exec_lo, s12
	s_and_b32 s15, s1, s8
	s_and_saveexec_b32 s12, s15
	s_cbranch_execz .LBB222_220
.LBB222_230:
	v_cmp_ne_u32_e32 vcc_lo, 1, v48
	s_cbranch_vccnz .LBB222_232
; %bb.231:
	v_lshlrev_b64 v[28:29], 1, v[34:35]
	v_add_co_u32 v28, vcc_lo, v26, v28
	v_add_co_ci_u32_e64 v29, null, v27, v29, vcc_lo
	flat_load_ushort v28, v[28:29]
	s_waitcnt vmcnt(0) lgkmcnt(0)
	v_mul_f16_e32 v28, v50, v28
	v_cvt_f32_f16_e32 v28, v28
	s_branch .LBB222_233
.LBB222_232:
	v_mov_b32_e32 v28, 0
.LBB222_233:
	v_pk_add_f16 v29, v18, v20
	v_pk_add_f16 v30, v19, v21
	v_max_f16_e32 v31, v81, v81
	v_lshrrev_b32_e32 v81, 16, v81
	v_max_f32_e32 v28, v28, v28
	v_lshrrev_b32_e32 v82, 16, v29
	v_lshrrev_b32_e32 v83, 16, v30
	v_min_f16_e32 v29, v31, v29
	v_min3_f16 v31, v81, v82, v83
	v_min3_f16 v29, v29, v30, v31
	v_cvt_f32_f16_e32 v29, v29
	v_min_f32_e32 v30, v28, v29
	v_lshlrev_b64 v[28:29], 1, v[34:35]
	v_cvt_f16_f32_e32 v30, v30
	v_add_co_u32 v28, vcc_lo, v24, v28
	v_add_co_ci_u32_e64 v29, null, v25, v29, vcc_lo
	flat_store_short v[28:29], v30
	s_or_b32 exec_lo, exec_lo, s12
	s_and_b32 s15, s2, s8
	s_and_saveexec_b32 s12, s15
	s_cbranch_execz .LBB222_221
.LBB222_234:
	v_cmp_ne_u32_e32 vcc_lo, 1, v48
	s_cbranch_vccnz .LBB222_236
; %bb.235:
	v_lshlrev_b64 v[28:29], 1, v[36:37]
	v_add_co_u32 v28, vcc_lo, v26, v28
	v_add_co_ci_u32_e64 v29, null, v27, v29, vcc_lo
	flat_load_ushort v28, v[28:29]
	s_waitcnt vmcnt(0) lgkmcnt(0)
	v_mul_f16_e32 v28, v50, v28
	v_cvt_f32_f16_e32 v28, v28
	s_branch .LBB222_237
.LBB222_236:
	v_mov_b32_e32 v28, 0
.LBB222_237:
	v_pk_add_f16 v29, v12, v20
	v_pk_add_f16 v30, v13, v21
	v_max_f16_e32 v31, v80, v80
	v_lshrrev_b32_e32 v80, 16, v80
	v_max_f32_e32 v28, v28, v28
	v_lshrrev_b32_e32 v81, 16, v29
	v_lshrrev_b32_e32 v82, 16, v30
	v_min_f16_e32 v29, v31, v29
	v_min3_f16 v31, v80, v81, v82
	v_min3_f16 v29, v29, v30, v31
	v_cvt_f32_f16_e32 v29, v29
	v_min_f32_e32 v30, v28, v29
	v_lshlrev_b64 v[28:29], 1, v[36:37]
	v_cvt_f16_f32_e32 v30, v30
	v_add_co_u32 v28, vcc_lo, v24, v28
	v_add_co_ci_u32_e64 v29, null, v25, v29, vcc_lo
	flat_store_short v[28:29], v30
	s_or_b32 exec_lo, exec_lo, s12
	s_and_b32 s15, s3, s8
	s_and_saveexec_b32 s12, s15
	s_cbranch_execz .LBB222_222
.LBB222_238:
	v_cmp_ne_u32_e32 vcc_lo, 1, v48
	s_cbranch_vccnz .LBB222_240
; %bb.239:
	v_lshlrev_b64 v[28:29], 1, v[38:39]
	v_add_co_u32 v28, vcc_lo, v26, v28
	v_add_co_ci_u32_e64 v29, null, v27, v29, vcc_lo
	flat_load_ushort v28, v[28:29]
	s_waitcnt vmcnt(0) lgkmcnt(0)
	v_mul_f16_e32 v28, v50, v28
	v_cvt_f32_f16_e32 v28, v28
	s_branch .LBB222_241
.LBB222_240:
	v_mov_b32_e32 v28, 0
.LBB222_241:
	v_pk_add_f16 v29, v14, v20
	v_pk_add_f16 v30, v15, v21
	v_max_f16_e32 v31, v79, v79
	v_lshrrev_b32_e32 v79, 16, v79
	v_max_f32_e32 v28, v28, v28
	v_lshrrev_b32_e32 v80, 16, v29
	v_lshrrev_b32_e32 v81, 16, v30
	v_min_f16_e32 v29, v31, v29
	v_min3_f16 v31, v79, v80, v81
	v_min3_f16 v29, v29, v30, v31
	v_cvt_f32_f16_e32 v29, v29
	v_min_f32_e32 v30, v28, v29
	v_lshlrev_b64 v[28:29], 1, v[38:39]
	v_cvt_f16_f32_e32 v30, v30
	v_add_co_u32 v28, vcc_lo, v24, v28
	v_add_co_ci_u32_e64 v29, null, v25, v29, vcc_lo
	flat_store_short v[28:29], v30
	s_or_b32 exec_lo, exec_lo, s12
	s_and_b32 s15, s4, s8
	s_and_saveexec_b32 s12, s15
	s_cbranch_execz .LBB222_223
.LBB222_242:
	v_cmp_ne_u32_e32 vcc_lo, 1, v48
	s_cbranch_vccnz .LBB222_244
; %bb.243:
	v_lshlrev_b64 v[28:29], 1, v[40:41]
	v_add_co_u32 v28, vcc_lo, v26, v28
	v_add_co_ci_u32_e64 v29, null, v27, v29, vcc_lo
	flat_load_ushort v28, v[28:29]
	s_waitcnt vmcnt(0) lgkmcnt(0)
	v_mul_f16_e32 v28, v50, v28
	v_cvt_f32_f16_e32 v28, v28
	s_branch .LBB222_245
.LBB222_244:
	v_mov_b32_e32 v28, 0
.LBB222_245:
	v_pk_add_f16 v29, v8, v20
	v_pk_add_f16 v30, v9, v21
	v_max_f16_e32 v31, v78, v78
	v_lshrrev_b32_e32 v78, 16, v78
	v_max_f32_e32 v28, v28, v28
	v_lshrrev_b32_e32 v79, 16, v29
	v_lshrrev_b32_e32 v80, 16, v30
	v_min_f16_e32 v29, v31, v29
	v_min3_f16 v31, v78, v79, v80
	v_min3_f16 v29, v29, v30, v31
	v_cvt_f32_f16_e32 v29, v29
	v_min_f32_e32 v30, v28, v29
	v_lshlrev_b64 v[28:29], 1, v[40:41]
	v_cvt_f16_f32_e32 v30, v30
	v_add_co_u32 v28, vcc_lo, v24, v28
	v_add_co_ci_u32_e64 v29, null, v25, v29, vcc_lo
	flat_store_short v[28:29], v30
	s_or_b32 exec_lo, exec_lo, s12
	s_and_b32 s15, s5, s8
	s_and_saveexec_b32 s12, s15
	s_cbranch_execz .LBB222_224
.LBB222_246:
	v_cmp_ne_u32_e32 vcc_lo, 1, v48
	s_cbranch_vccnz .LBB222_248
; %bb.247:
	v_lshlrev_b64 v[28:29], 1, v[42:43]
	v_add_co_u32 v28, vcc_lo, v26, v28
	v_add_co_ci_u32_e64 v29, null, v27, v29, vcc_lo
	flat_load_ushort v28, v[28:29]
	s_waitcnt vmcnt(0) lgkmcnt(0)
	v_mul_f16_e32 v28, v50, v28
	v_cvt_f32_f16_e32 v28, v28
	s_branch .LBB222_249
.LBB222_248:
	v_mov_b32_e32 v28, 0
.LBB222_249:
	v_pk_add_f16 v29, v10, v20
	v_pk_add_f16 v30, v11, v21
	v_max_f16_e32 v31, v77, v77
	v_lshrrev_b32_e32 v77, 16, v77
	v_max_f32_e32 v28, v28, v28
	v_lshrrev_b32_e32 v78, 16, v29
	v_lshrrev_b32_e32 v79, 16, v30
	v_min_f16_e32 v29, v31, v29
	v_min3_f16 v31, v77, v78, v79
	v_min3_f16 v29, v29, v30, v31
	v_cvt_f32_f16_e32 v29, v29
	v_min_f32_e32 v30, v28, v29
	v_lshlrev_b64 v[28:29], 1, v[42:43]
	v_cvt_f16_f32_e32 v30, v30
	v_add_co_u32 v28, vcc_lo, v24, v28
	v_add_co_ci_u32_e64 v29, null, v25, v29, vcc_lo
	flat_store_short v[28:29], v30
	s_or_b32 exec_lo, exec_lo, s12
	s_and_b32 s15, s6, s8
	s_and_saveexec_b32 s12, s15
	s_cbranch_execz .LBB222_225
.LBB222_250:
	v_cmp_ne_u32_e32 vcc_lo, 1, v48
	s_cbranch_vccnz .LBB222_252
; %bb.251:
	v_lshlrev_b64 v[28:29], 1, v[44:45]
	v_add_co_u32 v28, vcc_lo, v26, v28
	v_add_co_ci_u32_e64 v29, null, v27, v29, vcc_lo
	flat_load_ushort v28, v[28:29]
	s_waitcnt vmcnt(0) lgkmcnt(0)
	v_mul_f16_e32 v28, v50, v28
	v_cvt_f32_f16_e32 v28, v28
	s_branch .LBB222_253
.LBB222_252:
	v_mov_b32_e32 v28, 0
.LBB222_253:
	v_pk_add_f16 v29, v0, v20
	v_pk_add_f16 v30, v1, v21
	v_max_f16_e32 v31, v76, v76
	v_lshrrev_b32_e32 v76, 16, v76
	v_max_f32_e32 v28, v28, v28
	v_lshrrev_b32_e32 v77, 16, v29
	v_lshrrev_b32_e32 v78, 16, v30
	v_min_f16_e32 v29, v31, v29
	v_min3_f16 v31, v76, v77, v78
	v_min3_f16 v29, v29, v30, v31
	v_cvt_f32_f16_e32 v29, v29
	v_min_f32_e32 v30, v28, v29
	v_lshlrev_b64 v[28:29], 1, v[44:45]
	v_cvt_f16_f32_e32 v30, v30
	v_add_co_u32 v28, vcc_lo, v24, v28
	v_add_co_ci_u32_e64 v29, null, v25, v29, vcc_lo
	flat_store_short v[28:29], v30
	s_or_b32 exec_lo, exec_lo, s12
	s_and_b32 s12, s7, s8
	s_and_saveexec_b32 s8, s12
	s_cbranch_execz .LBB222_258
.LBB222_254:
	v_cmp_ne_u32_e32 vcc_lo, 1, v48
	s_cbranch_vccnz .LBB222_256
; %bb.255:
	v_lshlrev_b64 v[28:29], 1, v[46:47]
	v_add_co_u32 v26, vcc_lo, v26, v28
	v_add_co_ci_u32_e64 v27, null, v27, v29, vcc_lo
	flat_load_ushort v26, v[26:27]
	s_waitcnt vmcnt(0) lgkmcnt(0)
	v_mul_f16_e32 v26, v50, v26
	v_cvt_f32_f16_e32 v26, v26
	s_branch .LBB222_257
.LBB222_256:
	v_mov_b32_e32 v26, 0
.LBB222_257:
	v_pk_add_f16 v20, v2, v20
	v_pk_add_f16 v21, v3, v21
	v_max_f16_e32 v27, v75, v75
	v_lshrrev_b32_e32 v28, 16, v75
	v_lshrrev_b32_e32 v29, 16, v20
	;; [unrolled: 1-line block ×3, first 2 shown]
	v_min_f16_e32 v20, v27, v20
	v_min3_f16 v27, v28, v29, v30
	v_min3_f16 v20, v20, v21, v27
	v_max_f32_e32 v21, v26, v26
	v_cvt_f32_f16_e32 v20, v20
	v_min_f32_e32 v26, v21, v20
	v_lshlrev_b64 v[20:21], 1, v[46:47]
	v_cvt_f16_f32_e32 v26, v26
	v_add_co_u32 v20, vcc_lo, v24, v20
	v_add_co_ci_u32_e64 v21, null, v25, v21, vcc_lo
	flat_store_short v[20:21], v26
.LBB222_258:
	s_or_b32 exec_lo, exec_lo, s8
	v_add_nc_u32_e32 v26, 0xa0, v49
	v_mad_i64_i32 v[20:21], null, v26, s14, 0
	v_mad_i64_i32 v[24:25], null, v26, s9, 0
	v_cmp_gt_i32_e64 s8, s13, v26
	v_lshlrev_b64 v[20:21], 1, v[20:21]
	s_and_b32 s15, s0, s8
	v_lshlrev_b64 v[26:27], 1, v[24:25]
	v_add_co_u32 v24, vcc_lo, s16, v20
	v_add_co_ci_u32_e64 v25, null, s17, v21, vcc_lo
	v_add_co_u32 v20, vcc_lo, s10, v26
	v_add_co_ci_u32_e64 v21, null, s11, v27, vcc_lo
	s_and_saveexec_b32 s12, s15
	s_cbranch_execnz .LBB222_266
; %bb.259:
	s_or_b32 exec_lo, exec_lo, s12
	s_and_b32 s15, s1, s8
	s_and_saveexec_b32 s12, s15
	s_cbranch_execnz .LBB222_270
.LBB222_260:
	s_or_b32 exec_lo, exec_lo, s12
	s_and_b32 s15, s2, s8
	s_and_saveexec_b32 s12, s15
	s_cbranch_execnz .LBB222_274
.LBB222_261:
	s_or_b32 exec_lo, exec_lo, s12
	s_and_b32 s15, s3, s8
	s_and_saveexec_b32 s12, s15
	s_cbranch_execnz .LBB222_278
.LBB222_262:
	s_or_b32 exec_lo, exec_lo, s12
	s_and_b32 s15, s4, s8
	s_and_saveexec_b32 s12, s15
	s_cbranch_execnz .LBB222_282
.LBB222_263:
	s_or_b32 exec_lo, exec_lo, s12
	s_and_b32 s15, s5, s8
	s_and_saveexec_b32 s12, s15
	s_cbranch_execnz .LBB222_286
.LBB222_264:
	s_or_b32 exec_lo, exec_lo, s12
	s_and_b32 s15, s6, s8
	s_and_saveexec_b32 s12, s15
	s_cbranch_execnz .LBB222_290
.LBB222_265:
	s_or_b32 exec_lo, exec_lo, s12
	s_and_b32 s12, s7, s8
	s_and_saveexec_b32 s8, s12
	s_cbranch_execnz .LBB222_294
	s_branch .LBB222_298
.LBB222_266:
	v_cmp_ne_u32_e32 vcc_lo, 1, v48
	s_cbranch_vccnz .LBB222_268
; %bb.267:
	v_lshlrev_b64 v[26:27], 1, v[32:33]
	v_add_co_u32 v26, vcc_lo, v24, v26
	v_add_co_ci_u32_e64 v27, null, v25, v27, vcc_lo
	flat_load_ushort v26, v[26:27]
	s_waitcnt vmcnt(0) lgkmcnt(0)
	v_mul_f16_e32 v26, v50, v26
	v_cvt_f32_f16_e32 v26, v26
	s_branch .LBB222_269
.LBB222_268:
	v_mov_b32_e32 v26, 0
.LBB222_269:
	v_pk_add_f16 v27, v16, v22
	v_pk_add_f16 v28, v17, v23
	v_max_f16_e32 v29, v74, v74
	v_lshrrev_b32_e32 v30, 16, v74
	v_max_f32_e32 v26, v26, v26
	v_lshrrev_b32_e32 v31, 16, v27
	v_lshrrev_b32_e32 v74, 16, v28
	v_min_f16_e32 v27, v29, v27
	v_min3_f16 v29, v30, v31, v74
	v_min3_f16 v27, v27, v28, v29
	v_cvt_f32_f16_e32 v27, v27
	v_min_f32_e32 v28, v26, v27
	v_lshlrev_b64 v[26:27], 1, v[32:33]
	v_cvt_f16_f32_e32 v28, v28
	v_add_co_u32 v26, vcc_lo, v20, v26
	v_add_co_ci_u32_e64 v27, null, v21, v27, vcc_lo
	flat_store_short v[26:27], v28
	s_or_b32 exec_lo, exec_lo, s12
	s_and_b32 s15, s1, s8
	s_and_saveexec_b32 s12, s15
	s_cbranch_execz .LBB222_260
.LBB222_270:
	v_cmp_ne_u32_e32 vcc_lo, 1, v48
	s_cbranch_vccnz .LBB222_272
; %bb.271:
	v_lshlrev_b64 v[26:27], 1, v[34:35]
	v_add_co_u32 v26, vcc_lo, v24, v26
	v_add_co_ci_u32_e64 v27, null, v25, v27, vcc_lo
	flat_load_ushort v26, v[26:27]
	s_waitcnt vmcnt(0) lgkmcnt(0)
	v_mul_f16_e32 v26, v50, v26
	v_cvt_f32_f16_e32 v26, v26
	s_branch .LBB222_273
.LBB222_272:
	v_mov_b32_e32 v26, 0
.LBB222_273:
	v_pk_add_f16 v27, v18, v22
	v_pk_add_f16 v28, v19, v23
	v_max_f16_e32 v29, v73, v73
	v_lshrrev_b32_e32 v30, 16, v73
	v_max_f32_e32 v26, v26, v26
	v_lshrrev_b32_e32 v31, 16, v27
	v_lshrrev_b32_e32 v73, 16, v28
	v_min_f16_e32 v27, v29, v27
	v_min3_f16 v29, v30, v31, v73
	v_min3_f16 v27, v27, v28, v29
	v_cvt_f32_f16_e32 v27, v27
	v_min_f32_e32 v28, v26, v27
	v_lshlrev_b64 v[26:27], 1, v[34:35]
	v_cvt_f16_f32_e32 v28, v28
	v_add_co_u32 v26, vcc_lo, v20, v26
	v_add_co_ci_u32_e64 v27, null, v21, v27, vcc_lo
	flat_store_short v[26:27], v28
	s_or_b32 exec_lo, exec_lo, s12
	s_and_b32 s15, s2, s8
	s_and_saveexec_b32 s12, s15
	s_cbranch_execz .LBB222_261
.LBB222_274:
	v_cmp_ne_u32_e32 vcc_lo, 1, v48
	s_cbranch_vccnz .LBB222_276
; %bb.275:
	v_lshlrev_b64 v[26:27], 1, v[36:37]
	v_add_co_u32 v26, vcc_lo, v24, v26
	v_add_co_ci_u32_e64 v27, null, v25, v27, vcc_lo
	flat_load_ushort v26, v[26:27]
	s_waitcnt vmcnt(0) lgkmcnt(0)
	v_mul_f16_e32 v26, v50, v26
	v_cvt_f32_f16_e32 v26, v26
	s_branch .LBB222_277
.LBB222_276:
	v_mov_b32_e32 v26, 0
.LBB222_277:
	v_pk_add_f16 v27, v12, v22
	v_pk_add_f16 v28, v13, v23
	v_max_f16_e32 v29, v72, v72
	v_lshrrev_b32_e32 v30, 16, v72
	v_max_f32_e32 v26, v26, v26
	v_lshrrev_b32_e32 v31, 16, v27
	v_lshrrev_b32_e32 v72, 16, v28
	v_min_f16_e32 v27, v29, v27
	v_min3_f16 v29, v30, v31, v72
	v_min3_f16 v27, v27, v28, v29
	v_cvt_f32_f16_e32 v27, v27
	v_min_f32_e32 v28, v26, v27
	v_lshlrev_b64 v[26:27], 1, v[36:37]
	v_cvt_f16_f32_e32 v28, v28
	v_add_co_u32 v26, vcc_lo, v20, v26
	v_add_co_ci_u32_e64 v27, null, v21, v27, vcc_lo
	flat_store_short v[26:27], v28
	s_or_b32 exec_lo, exec_lo, s12
	s_and_b32 s15, s3, s8
	s_and_saveexec_b32 s12, s15
	s_cbranch_execz .LBB222_262
.LBB222_278:
	v_cmp_ne_u32_e32 vcc_lo, 1, v48
	s_cbranch_vccnz .LBB222_280
; %bb.279:
	v_lshlrev_b64 v[26:27], 1, v[38:39]
	v_add_co_u32 v26, vcc_lo, v24, v26
	v_add_co_ci_u32_e64 v27, null, v25, v27, vcc_lo
	flat_load_ushort v26, v[26:27]
	s_waitcnt vmcnt(0) lgkmcnt(0)
	v_mul_f16_e32 v26, v50, v26
	v_cvt_f32_f16_e32 v26, v26
	s_branch .LBB222_281
.LBB222_280:
	v_mov_b32_e32 v26, 0
.LBB222_281:
	v_pk_add_f16 v27, v14, v22
	v_pk_add_f16 v28, v15, v23
	v_max_f16_e32 v29, v71, v71
	v_lshrrev_b32_e32 v30, 16, v71
	v_max_f32_e32 v26, v26, v26
	v_lshrrev_b32_e32 v31, 16, v27
	v_lshrrev_b32_e32 v71, 16, v28
	v_min_f16_e32 v27, v29, v27
	v_min3_f16 v29, v30, v31, v71
	v_min3_f16 v27, v27, v28, v29
	v_cvt_f32_f16_e32 v27, v27
	v_min_f32_e32 v28, v26, v27
	v_lshlrev_b64 v[26:27], 1, v[38:39]
	v_cvt_f16_f32_e32 v28, v28
	v_add_co_u32 v26, vcc_lo, v20, v26
	v_add_co_ci_u32_e64 v27, null, v21, v27, vcc_lo
	flat_store_short v[26:27], v28
	s_or_b32 exec_lo, exec_lo, s12
	s_and_b32 s15, s4, s8
	s_and_saveexec_b32 s12, s15
	s_cbranch_execz .LBB222_263
.LBB222_282:
	v_cmp_ne_u32_e32 vcc_lo, 1, v48
	s_cbranch_vccnz .LBB222_284
; %bb.283:
	v_lshlrev_b64 v[26:27], 1, v[40:41]
	v_add_co_u32 v26, vcc_lo, v24, v26
	v_add_co_ci_u32_e64 v27, null, v25, v27, vcc_lo
	flat_load_ushort v26, v[26:27]
	s_waitcnt vmcnt(0) lgkmcnt(0)
	v_mul_f16_e32 v26, v50, v26
	v_cvt_f32_f16_e32 v26, v26
	s_branch .LBB222_285
.LBB222_284:
	v_mov_b32_e32 v26, 0
.LBB222_285:
	v_pk_add_f16 v27, v8, v22
	v_pk_add_f16 v28, v9, v23
	v_max_f16_e32 v29, v70, v70
	v_lshrrev_b32_e32 v30, 16, v70
	v_max_f32_e32 v26, v26, v26
	v_lshrrev_b32_e32 v31, 16, v27
	v_lshrrev_b32_e32 v70, 16, v28
	v_min_f16_e32 v27, v29, v27
	v_min3_f16 v29, v30, v31, v70
	v_min3_f16 v27, v27, v28, v29
	v_cvt_f32_f16_e32 v27, v27
	v_min_f32_e32 v28, v26, v27
	v_lshlrev_b64 v[26:27], 1, v[40:41]
	v_cvt_f16_f32_e32 v28, v28
	v_add_co_u32 v26, vcc_lo, v20, v26
	v_add_co_ci_u32_e64 v27, null, v21, v27, vcc_lo
	flat_store_short v[26:27], v28
	s_or_b32 exec_lo, exec_lo, s12
	s_and_b32 s15, s5, s8
	s_and_saveexec_b32 s12, s15
	s_cbranch_execz .LBB222_264
.LBB222_286:
	v_cmp_ne_u32_e32 vcc_lo, 1, v48
	s_cbranch_vccnz .LBB222_288
; %bb.287:
	v_lshlrev_b64 v[26:27], 1, v[42:43]
	v_add_co_u32 v26, vcc_lo, v24, v26
	v_add_co_ci_u32_e64 v27, null, v25, v27, vcc_lo
	flat_load_ushort v26, v[26:27]
	s_waitcnt vmcnt(0) lgkmcnt(0)
	v_mul_f16_e32 v26, v50, v26
	v_cvt_f32_f16_e32 v26, v26
	s_branch .LBB222_289
.LBB222_288:
	v_mov_b32_e32 v26, 0
.LBB222_289:
	v_pk_add_f16 v27, v10, v22
	v_pk_add_f16 v28, v11, v23
	v_max_f16_e32 v29, v69, v69
	v_lshrrev_b32_e32 v30, 16, v69
	v_max_f32_e32 v26, v26, v26
	v_lshrrev_b32_e32 v31, 16, v27
	v_lshrrev_b32_e32 v69, 16, v28
	v_min_f16_e32 v27, v29, v27
	v_min3_f16 v29, v30, v31, v69
	v_min3_f16 v27, v27, v28, v29
	v_cvt_f32_f16_e32 v27, v27
	v_min_f32_e32 v28, v26, v27
	v_lshlrev_b64 v[26:27], 1, v[42:43]
	v_cvt_f16_f32_e32 v28, v28
	v_add_co_u32 v26, vcc_lo, v20, v26
	v_add_co_ci_u32_e64 v27, null, v21, v27, vcc_lo
	flat_store_short v[26:27], v28
	s_or_b32 exec_lo, exec_lo, s12
	s_and_b32 s15, s6, s8
	s_and_saveexec_b32 s12, s15
	s_cbranch_execz .LBB222_265
.LBB222_290:
	v_cmp_ne_u32_e32 vcc_lo, 1, v48
	s_cbranch_vccnz .LBB222_292
; %bb.291:
	v_lshlrev_b64 v[26:27], 1, v[44:45]
	v_add_co_u32 v26, vcc_lo, v24, v26
	v_add_co_ci_u32_e64 v27, null, v25, v27, vcc_lo
	flat_load_ushort v26, v[26:27]
	s_waitcnt vmcnt(0) lgkmcnt(0)
	v_mul_f16_e32 v26, v50, v26
	v_cvt_f32_f16_e32 v26, v26
	s_branch .LBB222_293
.LBB222_292:
	v_mov_b32_e32 v26, 0
.LBB222_293:
	v_pk_add_f16 v27, v0, v22
	v_pk_add_f16 v28, v1, v23
	v_max_f16_e32 v29, v68, v68
	v_lshrrev_b32_e32 v30, 16, v68
	v_max_f32_e32 v26, v26, v26
	v_lshrrev_b32_e32 v31, 16, v27
	v_lshrrev_b32_e32 v68, 16, v28
	v_min_f16_e32 v27, v29, v27
	v_min3_f16 v29, v30, v31, v68
	v_min3_f16 v27, v27, v28, v29
	v_cvt_f32_f16_e32 v27, v27
	v_min_f32_e32 v28, v26, v27
	v_lshlrev_b64 v[26:27], 1, v[44:45]
	v_cvt_f16_f32_e32 v28, v28
	v_add_co_u32 v26, vcc_lo, v20, v26
	v_add_co_ci_u32_e64 v27, null, v21, v27, vcc_lo
	flat_store_short v[26:27], v28
	s_or_b32 exec_lo, exec_lo, s12
	s_and_b32 s12, s7, s8
	s_and_saveexec_b32 s8, s12
	s_cbranch_execz .LBB222_298
.LBB222_294:
	v_cmp_ne_u32_e32 vcc_lo, 1, v48
	s_cbranch_vccnz .LBB222_296
; %bb.295:
	v_lshlrev_b64 v[26:27], 1, v[46:47]
	v_add_co_u32 v24, vcc_lo, v24, v26
	v_add_co_ci_u32_e64 v25, null, v25, v27, vcc_lo
	flat_load_ushort v24, v[24:25]
	s_waitcnt vmcnt(0) lgkmcnt(0)
	v_mul_f16_e32 v24, v50, v24
	v_cvt_f32_f16_e32 v24, v24
	s_branch .LBB222_297
.LBB222_296:
	v_mov_b32_e32 v24, 0
.LBB222_297:
	v_pk_add_f16 v22, v2, v22
	v_pk_add_f16 v23, v3, v23
	v_max_f16_e32 v25, v67, v67
	v_lshrrev_b32_e32 v26, 16, v67
	v_lshrrev_b32_e32 v27, 16, v22
	;; [unrolled: 1-line block ×3, first 2 shown]
	v_min_f16_e32 v22, v25, v22
	v_min3_f16 v25, v26, v27, v28
	v_min3_f16 v22, v22, v23, v25
	v_max_f32_e32 v23, v24, v24
	v_cvt_f32_f16_e32 v22, v22
	v_min_f32_e32 v24, v23, v22
	v_lshlrev_b64 v[22:23], 1, v[46:47]
	v_cvt_f16_f32_e32 v24, v24
	v_add_co_u32 v20, vcc_lo, v20, v22
	v_add_co_ci_u32_e64 v21, null, v21, v23, vcc_lo
	flat_store_short v[20:21], v24
.LBB222_298:
	s_or_b32 exec_lo, exec_lo, s8
	v_add_nc_u32_e32 v24, 0xc0, v49
	v_mad_i64_i32 v[20:21], null, v24, s14, 0
	v_mad_i64_i32 v[22:23], null, v24, s9, 0
	v_cmp_gt_i32_e64 s8, s13, v24
	v_lshlrev_b64 v[20:21], 1, v[20:21]
	s_and_b32 s15, s0, s8
	v_lshlrev_b64 v[24:25], 1, v[22:23]
	v_add_co_u32 v22, vcc_lo, s16, v20
	v_add_co_ci_u32_e64 v23, null, s17, v21, vcc_lo
	v_add_co_u32 v20, vcc_lo, s10, v24
	v_add_co_ci_u32_e64 v21, null, s11, v25, vcc_lo
	s_and_saveexec_b32 s12, s15
	s_cbranch_execnz .LBB222_306
; %bb.299:
	s_or_b32 exec_lo, exec_lo, s12
	s_and_b32 s15, s1, s8
	s_and_saveexec_b32 s12, s15
	s_cbranch_execnz .LBB222_310
.LBB222_300:
	s_or_b32 exec_lo, exec_lo, s12
	s_and_b32 s15, s2, s8
	s_and_saveexec_b32 s12, s15
	s_cbranch_execnz .LBB222_314
.LBB222_301:
	s_or_b32 exec_lo, exec_lo, s12
	s_and_b32 s15, s3, s8
	s_and_saveexec_b32 s12, s15
	s_cbranch_execnz .LBB222_318
.LBB222_302:
	s_or_b32 exec_lo, exec_lo, s12
	s_and_b32 s15, s4, s8
	s_and_saveexec_b32 s12, s15
	s_cbranch_execnz .LBB222_322
.LBB222_303:
	s_or_b32 exec_lo, exec_lo, s12
	s_and_b32 s15, s5, s8
	s_and_saveexec_b32 s12, s15
	s_cbranch_execnz .LBB222_326
.LBB222_304:
	s_or_b32 exec_lo, exec_lo, s12
	s_and_b32 s15, s6, s8
	s_and_saveexec_b32 s12, s15
	s_cbranch_execnz .LBB222_330
.LBB222_305:
	s_or_b32 exec_lo, exec_lo, s12
	s_and_b32 s12, s7, s8
	s_and_saveexec_b32 s8, s12
	s_cbranch_execnz .LBB222_334
	s_branch .LBB222_338
.LBB222_306:
	v_cmp_ne_u32_e32 vcc_lo, 1, v48
	s_cbranch_vccnz .LBB222_308
; %bb.307:
	v_lshlrev_b64 v[24:25], 1, v[32:33]
	v_add_co_u32 v24, vcc_lo, v22, v24
	v_add_co_ci_u32_e64 v25, null, v23, v25, vcc_lo
	flat_load_ushort v24, v[24:25]
	s_waitcnt vmcnt(0) lgkmcnt(0)
	v_mul_f16_e32 v24, v50, v24
	v_cvt_f32_f16_e32 v24, v24
	s_branch .LBB222_309
.LBB222_308:
	v_mov_b32_e32 v24, 0
.LBB222_309:
	v_pk_add_f16 v25, v16, v4
	v_pk_add_f16 v26, v17, v5
	v_max_f16_e32 v27, v66, v66
	v_lshrrev_b32_e32 v28, 16, v66
	v_max_f32_e32 v24, v24, v24
	v_lshrrev_b32_e32 v29, 16, v25
	v_lshrrev_b32_e32 v30, 16, v26
	v_min_f16_e32 v25, v27, v25
	v_min3_f16 v27, v28, v29, v30
	v_min3_f16 v25, v25, v26, v27
	v_cvt_f32_f16_e32 v25, v25
	v_min_f32_e32 v26, v24, v25
	v_lshlrev_b64 v[24:25], 1, v[32:33]
	v_cvt_f16_f32_e32 v26, v26
	v_add_co_u32 v24, vcc_lo, v20, v24
	v_add_co_ci_u32_e64 v25, null, v21, v25, vcc_lo
	flat_store_short v[24:25], v26
	s_or_b32 exec_lo, exec_lo, s12
	s_and_b32 s15, s1, s8
	s_and_saveexec_b32 s12, s15
	s_cbranch_execz .LBB222_300
.LBB222_310:
	v_cmp_ne_u32_e32 vcc_lo, 1, v48
	s_cbranch_vccnz .LBB222_312
; %bb.311:
	v_lshlrev_b64 v[24:25], 1, v[34:35]
	v_add_co_u32 v24, vcc_lo, v22, v24
	v_add_co_ci_u32_e64 v25, null, v23, v25, vcc_lo
	flat_load_ushort v24, v[24:25]
	s_waitcnt vmcnt(0) lgkmcnt(0)
	v_mul_f16_e32 v24, v50, v24
	v_cvt_f32_f16_e32 v24, v24
	s_branch .LBB222_313
.LBB222_312:
	v_mov_b32_e32 v24, 0
.LBB222_313:
	v_pk_add_f16 v25, v18, v4
	v_pk_add_f16 v26, v19, v5
	v_max_f16_e32 v27, v65, v65
	v_lshrrev_b32_e32 v28, 16, v65
	v_max_f32_e32 v24, v24, v24
	v_lshrrev_b32_e32 v29, 16, v25
	v_lshrrev_b32_e32 v30, 16, v26
	v_min_f16_e32 v25, v27, v25
	v_min3_f16 v27, v28, v29, v30
	v_min3_f16 v25, v25, v26, v27
	v_cvt_f32_f16_e32 v25, v25
	v_min_f32_e32 v26, v24, v25
	v_lshlrev_b64 v[24:25], 1, v[34:35]
	v_cvt_f16_f32_e32 v26, v26
	v_add_co_u32 v24, vcc_lo, v20, v24
	v_add_co_ci_u32_e64 v25, null, v21, v25, vcc_lo
	flat_store_short v[24:25], v26
	s_or_b32 exec_lo, exec_lo, s12
	s_and_b32 s15, s2, s8
	s_and_saveexec_b32 s12, s15
	s_cbranch_execz .LBB222_301
.LBB222_314:
	v_cmp_ne_u32_e32 vcc_lo, 1, v48
	s_cbranch_vccnz .LBB222_316
; %bb.315:
	v_lshlrev_b64 v[24:25], 1, v[36:37]
	v_add_co_u32 v24, vcc_lo, v22, v24
	v_add_co_ci_u32_e64 v25, null, v23, v25, vcc_lo
	flat_load_ushort v24, v[24:25]
	s_waitcnt vmcnt(0) lgkmcnt(0)
	v_mul_f16_e32 v24, v50, v24
	v_cvt_f32_f16_e32 v24, v24
	s_branch .LBB222_317
.LBB222_316:
	v_mov_b32_e32 v24, 0
.LBB222_317:
	v_pk_add_f16 v25, v12, v4
	v_pk_add_f16 v26, v13, v5
	v_max_f16_e32 v27, v64, v64
	v_lshrrev_b32_e32 v28, 16, v64
	v_max_f32_e32 v24, v24, v24
	v_lshrrev_b32_e32 v29, 16, v25
	v_lshrrev_b32_e32 v30, 16, v26
	v_min_f16_e32 v25, v27, v25
	v_min3_f16 v27, v28, v29, v30
	v_min3_f16 v25, v25, v26, v27
	v_cvt_f32_f16_e32 v25, v25
	v_min_f32_e32 v26, v24, v25
	v_lshlrev_b64 v[24:25], 1, v[36:37]
	v_cvt_f16_f32_e32 v26, v26
	v_add_co_u32 v24, vcc_lo, v20, v24
	v_add_co_ci_u32_e64 v25, null, v21, v25, vcc_lo
	flat_store_short v[24:25], v26
	s_or_b32 exec_lo, exec_lo, s12
	s_and_b32 s15, s3, s8
	s_and_saveexec_b32 s12, s15
	s_cbranch_execz .LBB222_302
.LBB222_318:
	v_cmp_ne_u32_e32 vcc_lo, 1, v48
	s_cbranch_vccnz .LBB222_320
; %bb.319:
	v_lshlrev_b64 v[24:25], 1, v[38:39]
	v_add_co_u32 v24, vcc_lo, v22, v24
	v_add_co_ci_u32_e64 v25, null, v23, v25, vcc_lo
	flat_load_ushort v24, v[24:25]
	s_waitcnt vmcnt(0) lgkmcnt(0)
	v_mul_f16_e32 v24, v50, v24
	v_cvt_f32_f16_e32 v24, v24
	s_branch .LBB222_321
.LBB222_320:
	v_mov_b32_e32 v24, 0
.LBB222_321:
	v_pk_add_f16 v25, v14, v4
	v_pk_add_f16 v26, v15, v5
	v_max_f16_e32 v27, v63, v63
	v_lshrrev_b32_e32 v28, 16, v63
	v_max_f32_e32 v24, v24, v24
	v_lshrrev_b32_e32 v29, 16, v25
	v_lshrrev_b32_e32 v30, 16, v26
	v_min_f16_e32 v25, v27, v25
	v_min3_f16 v27, v28, v29, v30
	v_min3_f16 v25, v25, v26, v27
	v_cvt_f32_f16_e32 v25, v25
	v_min_f32_e32 v26, v24, v25
	v_lshlrev_b64 v[24:25], 1, v[38:39]
	v_cvt_f16_f32_e32 v26, v26
	v_add_co_u32 v24, vcc_lo, v20, v24
	v_add_co_ci_u32_e64 v25, null, v21, v25, vcc_lo
	flat_store_short v[24:25], v26
	s_or_b32 exec_lo, exec_lo, s12
	s_and_b32 s15, s4, s8
	s_and_saveexec_b32 s12, s15
	s_cbranch_execz .LBB222_303
.LBB222_322:
	v_cmp_ne_u32_e32 vcc_lo, 1, v48
	s_cbranch_vccnz .LBB222_324
; %bb.323:
	v_lshlrev_b64 v[24:25], 1, v[40:41]
	v_add_co_u32 v24, vcc_lo, v22, v24
	v_add_co_ci_u32_e64 v25, null, v23, v25, vcc_lo
	flat_load_ushort v24, v[24:25]
	s_waitcnt vmcnt(0) lgkmcnt(0)
	v_mul_f16_e32 v24, v50, v24
	v_cvt_f32_f16_e32 v24, v24
	s_branch .LBB222_325
.LBB222_324:
	v_mov_b32_e32 v24, 0
.LBB222_325:
	v_pk_add_f16 v25, v8, v4
	v_pk_add_f16 v26, v9, v5
	v_max_f16_e32 v27, v62, v62
	v_lshrrev_b32_e32 v28, 16, v62
	v_max_f32_e32 v24, v24, v24
	v_lshrrev_b32_e32 v29, 16, v25
	v_lshrrev_b32_e32 v30, 16, v26
	v_min_f16_e32 v25, v27, v25
	v_min3_f16 v27, v28, v29, v30
	v_min3_f16 v25, v25, v26, v27
	v_cvt_f32_f16_e32 v25, v25
	v_min_f32_e32 v26, v24, v25
	v_lshlrev_b64 v[24:25], 1, v[40:41]
	v_cvt_f16_f32_e32 v26, v26
	v_add_co_u32 v24, vcc_lo, v20, v24
	v_add_co_ci_u32_e64 v25, null, v21, v25, vcc_lo
	flat_store_short v[24:25], v26
	s_or_b32 exec_lo, exec_lo, s12
	s_and_b32 s15, s5, s8
	s_and_saveexec_b32 s12, s15
	s_cbranch_execz .LBB222_304
.LBB222_326:
	v_cmp_ne_u32_e32 vcc_lo, 1, v48
	s_cbranch_vccnz .LBB222_328
; %bb.327:
	v_lshlrev_b64 v[24:25], 1, v[42:43]
	v_add_co_u32 v24, vcc_lo, v22, v24
	v_add_co_ci_u32_e64 v25, null, v23, v25, vcc_lo
	flat_load_ushort v24, v[24:25]
	s_waitcnt vmcnt(0) lgkmcnt(0)
	v_mul_f16_e32 v24, v50, v24
	v_cvt_f32_f16_e32 v24, v24
	s_branch .LBB222_329
.LBB222_328:
	v_mov_b32_e32 v24, 0
.LBB222_329:
	v_pk_add_f16 v25, v10, v4
	v_pk_add_f16 v26, v11, v5
	v_max_f16_e32 v27, v61, v61
	v_lshrrev_b32_e32 v28, 16, v61
	v_max_f32_e32 v24, v24, v24
	v_lshrrev_b32_e32 v29, 16, v25
	v_lshrrev_b32_e32 v30, 16, v26
	v_min_f16_e32 v25, v27, v25
	v_min3_f16 v27, v28, v29, v30
	v_min3_f16 v25, v25, v26, v27
	v_cvt_f32_f16_e32 v25, v25
	v_min_f32_e32 v26, v24, v25
	v_lshlrev_b64 v[24:25], 1, v[42:43]
	v_cvt_f16_f32_e32 v26, v26
	v_add_co_u32 v24, vcc_lo, v20, v24
	v_add_co_ci_u32_e64 v25, null, v21, v25, vcc_lo
	flat_store_short v[24:25], v26
	s_or_b32 exec_lo, exec_lo, s12
	s_and_b32 s15, s6, s8
	s_and_saveexec_b32 s12, s15
	s_cbranch_execz .LBB222_305
.LBB222_330:
	v_cmp_ne_u32_e32 vcc_lo, 1, v48
	s_cbranch_vccnz .LBB222_332
; %bb.331:
	v_lshlrev_b64 v[24:25], 1, v[44:45]
	v_add_co_u32 v24, vcc_lo, v22, v24
	v_add_co_ci_u32_e64 v25, null, v23, v25, vcc_lo
	flat_load_ushort v24, v[24:25]
	s_waitcnt vmcnt(0) lgkmcnt(0)
	v_mul_f16_e32 v24, v50, v24
	v_cvt_f32_f16_e32 v24, v24
	s_branch .LBB222_333
.LBB222_332:
	v_mov_b32_e32 v24, 0
.LBB222_333:
	v_pk_add_f16 v25, v0, v4
	v_pk_add_f16 v26, v1, v5
	v_max_f16_e32 v27, v60, v60
	v_lshrrev_b32_e32 v28, 16, v60
	v_max_f32_e32 v24, v24, v24
	v_lshrrev_b32_e32 v29, 16, v25
	v_lshrrev_b32_e32 v30, 16, v26
	v_min_f16_e32 v25, v27, v25
	v_min3_f16 v27, v28, v29, v30
	v_min3_f16 v25, v25, v26, v27
	v_cvt_f32_f16_e32 v25, v25
	v_min_f32_e32 v26, v24, v25
	v_lshlrev_b64 v[24:25], 1, v[44:45]
	v_cvt_f16_f32_e32 v26, v26
	v_add_co_u32 v24, vcc_lo, v20, v24
	v_add_co_ci_u32_e64 v25, null, v21, v25, vcc_lo
	flat_store_short v[24:25], v26
	s_or_b32 exec_lo, exec_lo, s12
	s_and_b32 s12, s7, s8
	s_and_saveexec_b32 s8, s12
	s_cbranch_execz .LBB222_338
.LBB222_334:
	v_cmp_ne_u32_e32 vcc_lo, 1, v48
	s_cbranch_vccnz .LBB222_336
; %bb.335:
	v_lshlrev_b64 v[24:25], 1, v[46:47]
	v_add_co_u32 v22, vcc_lo, v22, v24
	v_add_co_ci_u32_e64 v23, null, v23, v25, vcc_lo
	flat_load_ushort v22, v[22:23]
	s_waitcnt vmcnt(0) lgkmcnt(0)
	v_mul_f16_e32 v22, v50, v22
	v_cvt_f32_f16_e32 v22, v22
	s_branch .LBB222_337
.LBB222_336:
	v_mov_b32_e32 v22, 0
.LBB222_337:
	v_pk_add_f16 v4, v2, v4
	v_pk_add_f16 v5, v3, v5
	v_max_f16_e32 v23, v59, v59
	v_lshrrev_b32_e32 v24, 16, v59
	v_lshrrev_b32_e32 v25, 16, v4
	;; [unrolled: 1-line block ×3, first 2 shown]
	v_min_f16_e32 v4, v23, v4
	v_min3_f16 v23, v24, v25, v26
	v_min3_f16 v4, v4, v5, v23
	v_max_f32_e32 v5, v22, v22
	v_cvt_f32_f16_e32 v4, v4
	v_min_f32_e32 v22, v5, v4
	v_lshlrev_b64 v[4:5], 1, v[46:47]
	v_cvt_f16_f32_e32 v22, v22
	v_add_co_u32 v4, vcc_lo, v20, v4
	v_add_co_ci_u32_e64 v5, null, v21, v5, vcc_lo
	flat_store_short v[4:5], v22
.LBB222_338:
	s_or_b32 exec_lo, exec_lo, s8
	v_add_nc_u32_e32 v22, 0xe0, v49
	v_mad_i64_i32 v[4:5], null, v22, s14, 0
	v_mad_i64_i32 v[20:21], null, v22, s9, 0
	v_cmp_gt_i32_e64 s8, s13, v22
	v_lshlrev_b64 v[4:5], 1, v[4:5]
	s_and_b32 s9, s0, s8
	v_lshlrev_b64 v[20:21], 1, v[20:21]
	v_add_co_u32 v22, vcc_lo, s16, v4
	v_add_co_ci_u32_e64 v23, null, s17, v5, vcc_lo
	v_add_co_u32 v20, vcc_lo, s10, v20
	v_add_co_ci_u32_e64 v21, null, s11, v21, vcc_lo
	s_and_saveexec_b32 s0, s9
	s_cbranch_execnz .LBB222_347
; %bb.339:
	s_or_b32 exec_lo, exec_lo, s0
	s_and_b32 s1, s1, s8
	s_and_saveexec_b32 s0, s1
	s_cbranch_execnz .LBB222_351
.LBB222_340:
	s_or_b32 exec_lo, exec_lo, s0
	s_and_b32 s1, s2, s8
	s_and_saveexec_b32 s0, s1
	s_cbranch_execnz .LBB222_355
.LBB222_341:
	s_or_b32 exec_lo, exec_lo, s0
	s_and_b32 s1, s3, s8
	s_and_saveexec_b32 s0, s1
	s_cbranch_execnz .LBB222_359
.LBB222_342:
	s_or_b32 exec_lo, exec_lo, s0
	s_and_b32 s1, s4, s8
	s_and_saveexec_b32 s0, s1
	s_cbranch_execnz .LBB222_363
.LBB222_343:
	s_or_b32 exec_lo, exec_lo, s0
	s_and_b32 s1, s5, s8
	s_and_saveexec_b32 s0, s1
	s_cbranch_execnz .LBB222_367
.LBB222_344:
	s_or_b32 exec_lo, exec_lo, s0
	s_and_b32 s1, s6, s8
	s_and_saveexec_b32 s0, s1
	s_cbranch_execnz .LBB222_371
.LBB222_345:
	s_or_b32 exec_lo, exec_lo, s0
	s_and_b32 s0, s7, s8
	s_and_saveexec_b32 s1, s0
	s_cbranch_execnz .LBB222_375
.LBB222_346:
	s_endpgm
.LBB222_347:
	v_cmp_ne_u32_e32 vcc_lo, 1, v48
	v_lshlrev_b64 v[4:5], 1, v[32:33]
	s_cbranch_vccnz .LBB222_349
; %bb.348:
	v_add_co_u32 v24, vcc_lo, v22, v4
	v_add_co_ci_u32_e64 v25, null, v23, v5, vcc_lo
	flat_load_ushort v24, v[24:25]
	s_waitcnt vmcnt(0) lgkmcnt(0)
	v_mul_f16_e32 v24, v50, v24
	v_cvt_f32_f16_e32 v24, v24
	s_branch .LBB222_350
.LBB222_349:
	v_mov_b32_e32 v24, 0
.LBB222_350:
	v_pk_add_f16 v16, v16, v6
	v_pk_add_f16 v17, v17, v7
	v_max_f16_e32 v25, v58, v58
	v_lshrrev_b32_e32 v26, 16, v58
	v_add_co_u32 v4, vcc_lo, v20, v4
	v_lshrrev_b32_e32 v27, 16, v16
	v_lshrrev_b32_e32 v28, 16, v17
	v_min_f16_e32 v16, v25, v16
	v_add_co_ci_u32_e64 v5, null, v21, v5, vcc_lo
	v_min3_f16 v25, v26, v27, v28
	v_min3_f16 v16, v16, v17, v25
	v_max_f32_e32 v17, v24, v24
	v_cvt_f32_f16_e32 v16, v16
	v_min_f32_e32 v16, v17, v16
	v_cvt_f16_f32_e32 v16, v16
	flat_store_short v[4:5], v16
	s_or_b32 exec_lo, exec_lo, s0
	s_and_b32 s1, s1, s8
	s_and_saveexec_b32 s0, s1
	s_cbranch_execz .LBB222_340
.LBB222_351:
	v_cmp_ne_u32_e32 vcc_lo, 1, v48
	v_lshlrev_b64 v[4:5], 1, v[34:35]
	s_cbranch_vccnz .LBB222_353
; %bb.352:
	v_add_co_u32 v16, vcc_lo, v22, v4
	v_add_co_ci_u32_e64 v17, null, v23, v5, vcc_lo
	flat_load_ushort v16, v[16:17]
	s_waitcnt vmcnt(0) lgkmcnt(0)
	v_mul_f16_e32 v16, v50, v16
	v_cvt_f32_f16_e32 v16, v16
	s_branch .LBB222_354
.LBB222_353:
	v_mov_b32_e32 v16, 0
.LBB222_354:
	v_pk_add_f16 v17, v18, v6
	v_pk_add_f16 v18, v19, v7
	v_max_f16_e32 v19, v57, v57
	v_lshrrev_b32_e32 v24, 16, v57
	v_max_f32_e32 v16, v16, v16
	v_lshrrev_b32_e32 v25, 16, v17
	v_lshrrev_b32_e32 v26, 16, v18
	v_min_f16_e32 v17, v19, v17
	v_add_co_u32 v4, vcc_lo, v20, v4
	v_add_co_ci_u32_e64 v5, null, v21, v5, vcc_lo
	v_min3_f16 v19, v24, v25, v26
	v_min3_f16 v17, v17, v18, v19
	v_cvt_f32_f16_e32 v17, v17
	v_min_f32_e32 v16, v16, v17
	v_cvt_f16_f32_e32 v16, v16
	flat_store_short v[4:5], v16
	s_or_b32 exec_lo, exec_lo, s0
	s_and_b32 s1, s2, s8
	s_and_saveexec_b32 s0, s1
	s_cbranch_execz .LBB222_341
.LBB222_355:
	v_cmp_ne_u32_e32 vcc_lo, 1, v48
	v_lshlrev_b64 v[4:5], 1, v[36:37]
	s_cbranch_vccnz .LBB222_357
; %bb.356:
	v_add_co_u32 v16, vcc_lo, v22, v4
	v_add_co_ci_u32_e64 v17, null, v23, v5, vcc_lo
	flat_load_ushort v16, v[16:17]
	s_waitcnt vmcnt(0) lgkmcnt(0)
	v_mul_f16_e32 v16, v50, v16
	v_cvt_f32_f16_e32 v16, v16
	s_branch .LBB222_358
.LBB222_357:
	v_mov_b32_e32 v16, 0
.LBB222_358:
	v_pk_add_f16 v12, v12, v6
	v_pk_add_f16 v13, v13, v7
	v_max_f16_e32 v17, v56, v56
	v_lshrrev_b32_e32 v18, 16, v56
	v_add_co_u32 v4, vcc_lo, v20, v4
	v_lshrrev_b32_e32 v19, 16, v12
	v_lshrrev_b32_e32 v24, 16, v13
	v_min_f16_e32 v12, v17, v12
	v_add_co_ci_u32_e64 v5, null, v21, v5, vcc_lo
	v_min3_f16 v17, v18, v19, v24
	v_min3_f16 v12, v12, v13, v17
	v_max_f32_e32 v13, v16, v16
	v_cvt_f32_f16_e32 v12, v12
	v_min_f32_e32 v12, v13, v12
	v_cvt_f16_f32_e32 v12, v12
	flat_store_short v[4:5], v12
	s_or_b32 exec_lo, exec_lo, s0
	s_and_b32 s1, s3, s8
	s_and_saveexec_b32 s0, s1
	s_cbranch_execz .LBB222_342
.LBB222_359:
	v_cmp_ne_u32_e32 vcc_lo, 1, v48
	v_lshlrev_b64 v[4:5], 1, v[38:39]
	s_cbranch_vccnz .LBB222_361
; %bb.360:
	v_add_co_u32 v12, vcc_lo, v22, v4
	v_add_co_ci_u32_e64 v13, null, v23, v5, vcc_lo
	flat_load_ushort v12, v[12:13]
	s_waitcnt vmcnt(0) lgkmcnt(0)
	v_mul_f16_e32 v12, v50, v12
	v_cvt_f32_f16_e32 v12, v12
	s_branch .LBB222_362
.LBB222_361:
	v_mov_b32_e32 v12, 0
.LBB222_362:
	v_pk_add_f16 v13, v14, v6
	v_pk_add_f16 v14, v15, v7
	v_max_f16_e32 v15, v55, v55
	v_lshrrev_b32_e32 v16, 16, v55
	v_max_f32_e32 v12, v12, v12
	v_lshrrev_b32_e32 v17, 16, v13
	v_lshrrev_b32_e32 v18, 16, v14
	v_min_f16_e32 v13, v15, v13
	v_add_co_u32 v4, vcc_lo, v20, v4
	v_add_co_ci_u32_e64 v5, null, v21, v5, vcc_lo
	v_min3_f16 v15, v16, v17, v18
	v_min3_f16 v13, v13, v14, v15
	v_cvt_f32_f16_e32 v13, v13
	v_min_f32_e32 v12, v12, v13
	v_cvt_f16_f32_e32 v12, v12
	flat_store_short v[4:5], v12
	s_or_b32 exec_lo, exec_lo, s0
	s_and_b32 s1, s4, s8
	s_and_saveexec_b32 s0, s1
	s_cbranch_execz .LBB222_343
.LBB222_363:
	v_cmp_ne_u32_e32 vcc_lo, 1, v48
	v_lshlrev_b64 v[4:5], 1, v[40:41]
	s_cbranch_vccnz .LBB222_365
; %bb.364:
	v_add_co_u32 v12, vcc_lo, v22, v4
	v_add_co_ci_u32_e64 v13, null, v23, v5, vcc_lo
	flat_load_ushort v12, v[12:13]
	s_waitcnt vmcnt(0) lgkmcnt(0)
	v_mul_f16_e32 v12, v50, v12
	v_cvt_f32_f16_e32 v12, v12
	s_branch .LBB222_366
.LBB222_365:
	v_mov_b32_e32 v12, 0
.LBB222_366:
	v_pk_add_f16 v8, v8, v6
	v_pk_add_f16 v9, v9, v7
	v_max_f16_e32 v13, v54, v54
	v_lshrrev_b32_e32 v14, 16, v54
	v_add_co_u32 v4, vcc_lo, v20, v4
	v_lshrrev_b32_e32 v15, 16, v8
	v_lshrrev_b32_e32 v16, 16, v9
	v_min_f16_e32 v8, v13, v8
	v_add_co_ci_u32_e64 v5, null, v21, v5, vcc_lo
	v_min3_f16 v13, v14, v15, v16
	v_min3_f16 v8, v8, v9, v13
	v_max_f32_e32 v9, v12, v12
	v_cvt_f32_f16_e32 v8, v8
	v_min_f32_e32 v8, v9, v8
	v_cvt_f16_f32_e32 v8, v8
	flat_store_short v[4:5], v8
	s_or_b32 exec_lo, exec_lo, s0
	s_and_b32 s1, s5, s8
	s_and_saveexec_b32 s0, s1
	s_cbranch_execz .LBB222_344
.LBB222_367:
	v_cmp_ne_u32_e32 vcc_lo, 1, v48
	v_lshlrev_b64 v[4:5], 1, v[42:43]
	s_cbranch_vccnz .LBB222_369
; %bb.368:
	v_add_co_u32 v8, vcc_lo, v22, v4
	v_add_co_ci_u32_e64 v9, null, v23, v5, vcc_lo
	flat_load_ushort v8, v[8:9]
	s_waitcnt vmcnt(0) lgkmcnt(0)
	v_mul_f16_e32 v8, v50, v8
	v_cvt_f32_f16_e32 v8, v8
	s_branch .LBB222_370
.LBB222_369:
	v_mov_b32_e32 v8, 0
.LBB222_370:
	v_pk_add_f16 v9, v10, v6
	v_pk_add_f16 v10, v11, v7
	v_max_f16_e32 v11, v53, v53
	v_lshrrev_b32_e32 v12, 16, v53
	v_max_f32_e32 v8, v8, v8
	v_lshrrev_b32_e32 v13, 16, v9
	v_lshrrev_b32_e32 v14, 16, v10
	v_min_f16_e32 v9, v11, v9
	v_add_co_u32 v4, vcc_lo, v20, v4
	v_add_co_ci_u32_e64 v5, null, v21, v5, vcc_lo
	v_min3_f16 v11, v12, v13, v14
	v_min3_f16 v9, v9, v10, v11
	v_cvt_f32_f16_e32 v9, v9
	v_min_f32_e32 v8, v8, v9
	v_cvt_f16_f32_e32 v8, v8
	flat_store_short v[4:5], v8
	s_or_b32 exec_lo, exec_lo, s0
	s_and_b32 s1, s6, s8
	s_and_saveexec_b32 s0, s1
	s_cbranch_execz .LBB222_345
.LBB222_371:
	v_cmp_ne_u32_e32 vcc_lo, 1, v48
	v_lshlrev_b64 v[4:5], 1, v[44:45]
	s_cbranch_vccnz .LBB222_373
; %bb.372:
	v_add_co_u32 v8, vcc_lo, v22, v4
	v_add_co_ci_u32_e64 v9, null, v23, v5, vcc_lo
	flat_load_ushort v8, v[8:9]
	s_waitcnt vmcnt(0) lgkmcnt(0)
	v_mul_f16_e32 v8, v50, v8
	v_cvt_f32_f16_e32 v8, v8
	s_branch .LBB222_374
.LBB222_373:
	v_mov_b32_e32 v8, 0
.LBB222_374:
	v_pk_add_f16 v0, v0, v6
	v_pk_add_f16 v1, v1, v7
	v_max_f16_e32 v9, v52, v52
	v_lshrrev_b32_e32 v10, 16, v52
	v_lshrrev_b32_e32 v11, 16, v0
	;; [unrolled: 1-line block ×3, first 2 shown]
	v_min_f16_e32 v0, v9, v0
	v_min3_f16 v9, v10, v11, v12
	v_min3_f16 v0, v0, v1, v9
	v_max_f32_e32 v1, v8, v8
	v_cvt_f32_f16_e32 v0, v0
	v_min_f32_e32 v0, v1, v0
	v_cvt_f16_f32_e32 v8, v0
	v_add_co_u32 v0, vcc_lo, v20, v4
	v_add_co_ci_u32_e64 v1, null, v21, v5, vcc_lo
	flat_store_short v[0:1], v8
	s_or_b32 exec_lo, exec_lo, s0
	s_and_b32 s0, s7, s8
	s_and_saveexec_b32 s1, s0
	s_cbranch_execz .LBB222_346
.LBB222_375:
	v_cmp_ne_u32_e32 vcc_lo, 1, v48
	v_lshlrev_b64 v[0:1], 1, v[46:47]
	s_cbranch_vccnz .LBB222_377
; %bb.376:
	v_add_co_u32 v4, vcc_lo, v22, v0
	v_add_co_ci_u32_e64 v5, null, v23, v1, vcc_lo
	flat_load_ushort v4, v[4:5]
	s_waitcnt vmcnt(0) lgkmcnt(0)
	v_mul_f16_e32 v4, v50, v4
	v_cvt_f32_f16_e32 v4, v4
	s_branch .LBB222_378
.LBB222_377:
	v_mov_b32_e32 v4, 0
.LBB222_378:
	v_pk_add_f16 v2, v2, v6
	v_pk_add_f16 v3, v3, v7
	v_max_f16_e32 v5, v51, v51
	v_lshrrev_b32_e32 v6, 16, v51
	v_add_co_u32 v0, vcc_lo, v20, v0
	v_lshrrev_b32_e32 v7, 16, v2
	v_lshrrev_b32_e32 v8, 16, v3
	v_min_f16_e32 v2, v5, v2
	v_add_co_ci_u32_e64 v1, null, v21, v1, vcc_lo
	v_min3_f16 v5, v6, v7, v8
	v_min3_f16 v2, v2, v3, v5
	v_max_f32_e32 v3, v4, v4
	v_cvt_f32_f16_e32 v2, v2
	v_min_f32_e32 v2, v3, v2
	v_cvt_f16_f32_e32 v2, v2
	flat_store_short v[0:1], v2
	s_endpgm
	.section	.rodata,"a",@progbits
	.p2align	6, 0x0
	.amdhsa_kernel _ZN12_GLOBAL__N_120geam_min_plus_kernelIDF16_Dv2_DF16_S1_Li8ELi32ELi64ELi256ELi4ELi64ELi4ELi64ELi4ELc78ELc84ELb0ELb1ELb1EPKDF16_KS3_KPDF16_EEviiiT16_PT17_ilS9_ilS7_S9_ilPT18_ili26rocblas_geam_ex_operation_
		.amdhsa_group_segment_fixed_size 5120
		.amdhsa_private_segment_fixed_size 0
		.amdhsa_kernarg_size 136
		.amdhsa_user_sgpr_count 6
		.amdhsa_user_sgpr_private_segment_buffer 1
		.amdhsa_user_sgpr_dispatch_ptr 0
		.amdhsa_user_sgpr_queue_ptr 0
		.amdhsa_user_sgpr_kernarg_segment_ptr 1
		.amdhsa_user_sgpr_dispatch_id 0
		.amdhsa_user_sgpr_flat_scratch_init 0
		.amdhsa_user_sgpr_private_segment_size 0
		.amdhsa_wavefront_size32 1
		.amdhsa_uses_dynamic_stack 0
		.amdhsa_system_sgpr_private_segment_wavefront_offset 0
		.amdhsa_system_sgpr_workgroup_id_x 1
		.amdhsa_system_sgpr_workgroup_id_y 0
		.amdhsa_system_sgpr_workgroup_id_z 1
		.amdhsa_system_sgpr_workgroup_info 0
		.amdhsa_system_vgpr_workitem_id 1
		.amdhsa_next_free_vgpr 174
		.amdhsa_next_free_sgpr 29
		.amdhsa_reserve_vcc 1
		.amdhsa_reserve_flat_scratch 0
		.amdhsa_float_round_mode_32 0
		.amdhsa_float_round_mode_16_64 0
		.amdhsa_float_denorm_mode_32 3
		.amdhsa_float_denorm_mode_16_64 3
		.amdhsa_dx10_clamp 1
		.amdhsa_ieee_mode 1
		.amdhsa_fp16_overflow 0
		.amdhsa_workgroup_processor_mode 1
		.amdhsa_memory_ordered 1
		.amdhsa_forward_progress 1
		.amdhsa_shared_vgpr_count 0
		.amdhsa_exception_fp_ieee_invalid_op 0
		.amdhsa_exception_fp_denorm_src 0
		.amdhsa_exception_fp_ieee_div_zero 0
		.amdhsa_exception_fp_ieee_overflow 0
		.amdhsa_exception_fp_ieee_underflow 0
		.amdhsa_exception_fp_ieee_inexact 0
		.amdhsa_exception_int_div_zero 0
	.end_amdhsa_kernel
	.section	.text._ZN12_GLOBAL__N_120geam_min_plus_kernelIDF16_Dv2_DF16_S1_Li8ELi32ELi64ELi256ELi4ELi64ELi4ELi64ELi4ELc78ELc84ELb0ELb1ELb1EPKDF16_KS3_KPDF16_EEviiiT16_PT17_ilS9_ilS7_S9_ilPT18_ili26rocblas_geam_ex_operation_,"axG",@progbits,_ZN12_GLOBAL__N_120geam_min_plus_kernelIDF16_Dv2_DF16_S1_Li8ELi32ELi64ELi256ELi4ELi64ELi4ELi64ELi4ELc78ELc84ELb0ELb1ELb1EPKDF16_KS3_KPDF16_EEviiiT16_PT17_ilS9_ilS7_S9_ilPT18_ili26rocblas_geam_ex_operation_,comdat
.Lfunc_end222:
	.size	_ZN12_GLOBAL__N_120geam_min_plus_kernelIDF16_Dv2_DF16_S1_Li8ELi32ELi64ELi256ELi4ELi64ELi4ELi64ELi4ELc78ELc84ELb0ELb1ELb1EPKDF16_KS3_KPDF16_EEviiiT16_PT17_ilS9_ilS7_S9_ilPT18_ili26rocblas_geam_ex_operation_, .Lfunc_end222-_ZN12_GLOBAL__N_120geam_min_plus_kernelIDF16_Dv2_DF16_S1_Li8ELi32ELi64ELi256ELi4ELi64ELi4ELi64ELi4ELc78ELc84ELb0ELb1ELb1EPKDF16_KS3_KPDF16_EEviiiT16_PT17_ilS9_ilS7_S9_ilPT18_ili26rocblas_geam_ex_operation_
                                        ; -- End function
	.set _ZN12_GLOBAL__N_120geam_min_plus_kernelIDF16_Dv2_DF16_S1_Li8ELi32ELi64ELi256ELi4ELi64ELi4ELi64ELi4ELc78ELc84ELb0ELb1ELb1EPKDF16_KS3_KPDF16_EEviiiT16_PT17_ilS9_ilS7_S9_ilPT18_ili26rocblas_geam_ex_operation_.num_vgpr, 174
	.set _ZN12_GLOBAL__N_120geam_min_plus_kernelIDF16_Dv2_DF16_S1_Li8ELi32ELi64ELi256ELi4ELi64ELi4ELi64ELi4ELc78ELc84ELb0ELb1ELb1EPKDF16_KS3_KPDF16_EEviiiT16_PT17_ilS9_ilS7_S9_ilPT18_ili26rocblas_geam_ex_operation_.num_agpr, 0
	.set _ZN12_GLOBAL__N_120geam_min_plus_kernelIDF16_Dv2_DF16_S1_Li8ELi32ELi64ELi256ELi4ELi64ELi4ELi64ELi4ELc78ELc84ELb0ELb1ELb1EPKDF16_KS3_KPDF16_EEviiiT16_PT17_ilS9_ilS7_S9_ilPT18_ili26rocblas_geam_ex_operation_.numbered_sgpr, 29
	.set _ZN12_GLOBAL__N_120geam_min_plus_kernelIDF16_Dv2_DF16_S1_Li8ELi32ELi64ELi256ELi4ELi64ELi4ELi64ELi4ELc78ELc84ELb0ELb1ELb1EPKDF16_KS3_KPDF16_EEviiiT16_PT17_ilS9_ilS7_S9_ilPT18_ili26rocblas_geam_ex_operation_.num_named_barrier, 0
	.set _ZN12_GLOBAL__N_120geam_min_plus_kernelIDF16_Dv2_DF16_S1_Li8ELi32ELi64ELi256ELi4ELi64ELi4ELi64ELi4ELc78ELc84ELb0ELb1ELb1EPKDF16_KS3_KPDF16_EEviiiT16_PT17_ilS9_ilS7_S9_ilPT18_ili26rocblas_geam_ex_operation_.private_seg_size, 0
	.set _ZN12_GLOBAL__N_120geam_min_plus_kernelIDF16_Dv2_DF16_S1_Li8ELi32ELi64ELi256ELi4ELi64ELi4ELi64ELi4ELc78ELc84ELb0ELb1ELb1EPKDF16_KS3_KPDF16_EEviiiT16_PT17_ilS9_ilS7_S9_ilPT18_ili26rocblas_geam_ex_operation_.uses_vcc, 1
	.set _ZN12_GLOBAL__N_120geam_min_plus_kernelIDF16_Dv2_DF16_S1_Li8ELi32ELi64ELi256ELi4ELi64ELi4ELi64ELi4ELc78ELc84ELb0ELb1ELb1EPKDF16_KS3_KPDF16_EEviiiT16_PT17_ilS9_ilS7_S9_ilPT18_ili26rocblas_geam_ex_operation_.uses_flat_scratch, 0
	.set _ZN12_GLOBAL__N_120geam_min_plus_kernelIDF16_Dv2_DF16_S1_Li8ELi32ELi64ELi256ELi4ELi64ELi4ELi64ELi4ELc78ELc84ELb0ELb1ELb1EPKDF16_KS3_KPDF16_EEviiiT16_PT17_ilS9_ilS7_S9_ilPT18_ili26rocblas_geam_ex_operation_.has_dyn_sized_stack, 0
	.set _ZN12_GLOBAL__N_120geam_min_plus_kernelIDF16_Dv2_DF16_S1_Li8ELi32ELi64ELi256ELi4ELi64ELi4ELi64ELi4ELc78ELc84ELb0ELb1ELb1EPKDF16_KS3_KPDF16_EEviiiT16_PT17_ilS9_ilS7_S9_ilPT18_ili26rocblas_geam_ex_operation_.has_recursion, 0
	.set _ZN12_GLOBAL__N_120geam_min_plus_kernelIDF16_Dv2_DF16_S1_Li8ELi32ELi64ELi256ELi4ELi64ELi4ELi64ELi4ELc78ELc84ELb0ELb1ELb1EPKDF16_KS3_KPDF16_EEviiiT16_PT17_ilS9_ilS7_S9_ilPT18_ili26rocblas_geam_ex_operation_.has_indirect_call, 0
	.section	.AMDGPU.csdata,"",@progbits
; Kernel info:
; codeLenInByte = 23332
; TotalNumSgprs: 31
; NumVgprs: 174
; ScratchSize: 0
; MemoryBound: 0
; FloatMode: 240
; IeeeMode: 1
; LDSByteSize: 5120 bytes/workgroup (compile time only)
; SGPRBlocks: 0
; VGPRBlocks: 21
; NumSGPRsForWavesPerEU: 31
; NumVGPRsForWavesPerEU: 174
; Occupancy: 5
; WaveLimiterHint : 1
; COMPUTE_PGM_RSRC2:SCRATCH_EN: 0
; COMPUTE_PGM_RSRC2:USER_SGPR: 6
; COMPUTE_PGM_RSRC2:TRAP_HANDLER: 0
; COMPUTE_PGM_RSRC2:TGID_X_EN: 1
; COMPUTE_PGM_RSRC2:TGID_Y_EN: 0
; COMPUTE_PGM_RSRC2:TGID_Z_EN: 1
; COMPUTE_PGM_RSRC2:TIDIG_COMP_CNT: 1
	.section	.text._ZN12_GLOBAL__N_120geam_min_plus_kernelIDF16_Dv2_DF16_S1_Li8ELi32ELi64ELi256ELi4ELi64ELi4ELi64ELi4ELc78ELc84ELb1ELb1ELb1EDF16_KPKDF16_KPDF16_EEviiiT16_PT17_ilS9_ilS7_S9_ilPT18_ili26rocblas_geam_ex_operation_,"axG",@progbits,_ZN12_GLOBAL__N_120geam_min_plus_kernelIDF16_Dv2_DF16_S1_Li8ELi32ELi64ELi256ELi4ELi64ELi4ELi64ELi4ELc78ELc84ELb1ELb1ELb1EDF16_KPKDF16_KPDF16_EEviiiT16_PT17_ilS9_ilS7_S9_ilPT18_ili26rocblas_geam_ex_operation_,comdat
	.globl	_ZN12_GLOBAL__N_120geam_min_plus_kernelIDF16_Dv2_DF16_S1_Li8ELi32ELi64ELi256ELi4ELi64ELi4ELi64ELi4ELc78ELc84ELb1ELb1ELb1EDF16_KPKDF16_KPDF16_EEviiiT16_PT17_ilS9_ilS7_S9_ilPT18_ili26rocblas_geam_ex_operation_ ; -- Begin function _ZN12_GLOBAL__N_120geam_min_plus_kernelIDF16_Dv2_DF16_S1_Li8ELi32ELi64ELi256ELi4ELi64ELi4ELi64ELi4ELc78ELc84ELb1ELb1ELb1EDF16_KPKDF16_KPDF16_EEviiiT16_PT17_ilS9_ilS7_S9_ilPT18_ili26rocblas_geam_ex_operation_
	.p2align	8
	.type	_ZN12_GLOBAL__N_120geam_min_plus_kernelIDF16_Dv2_DF16_S1_Li8ELi32ELi64ELi256ELi4ELi64ELi4ELi64ELi4ELc78ELc84ELb1ELb1ELb1EDF16_KPKDF16_KPDF16_EEviiiT16_PT17_ilS9_ilS7_S9_ilPT18_ili26rocblas_geam_ex_operation_,@function
_ZN12_GLOBAL__N_120geam_min_plus_kernelIDF16_Dv2_DF16_S1_Li8ELi32ELi64ELi256ELi4ELi64ELi4ELi64ELi4ELc78ELc84ELb1ELb1ELb1EDF16_KPKDF16_KPDF16_EEviiiT16_PT17_ilS9_ilS7_S9_ilPT18_ili26rocblas_geam_ex_operation_: ; @_ZN12_GLOBAL__N_120geam_min_plus_kernelIDF16_Dv2_DF16_S1_Li8ELi32ELi64ELi256ELi4ELi64ELi4ELi64ELi4ELc78ELc84ELb1ELb1ELb1EDF16_KPKDF16_KPDF16_EEviiiT16_PT17_ilS9_ilS7_S9_ilPT18_ili26rocblas_geam_ex_operation_
; %bb.0:
	s_clause 0x1
	s_load_dwordx4 s[12:15], s[4:5], 0x0
	s_load_dwordx4 s[0:3], s[4:5], 0x20
	s_mov_b32 s16, s7
	s_mov_b32 s17, 0
	s_waitcnt lgkmcnt(0)
	v_cmp_eq_f16_e64 s7, s15, 0
	s_and_b32 vcc_lo, exec_lo, s7
	s_cbranch_vccnz .LBB223_3
; %bb.1:
	s_load_dwordx2 s[8:9], s[4:5], 0x10
	s_lshl_b64 s[10:11], s[16:17], 3
	s_waitcnt lgkmcnt(0)
	s_add_u32 s8, s8, s10
	s_addc_u32 s9, s9, s11
	s_lshl_b64 s[0:1], s[0:1], 1
	s_load_dwordx2 s[8:9], s[8:9], 0x0
	s_waitcnt lgkmcnt(0)
	s_add_u32 s8, s8, s0
	s_addc_u32 s9, s9, s1
	s_andn2_b32 vcc_lo, exec_lo, s7
	s_cbranch_vccnz .LBB223_4
.LBB223_2:
	s_mov_b32 s23, 0
	s_mov_b32 s22, s16
	s_mov_b32 s0, s23
	s_mov_b64 s[10:11], 0
	s_andn2_b32 vcc_lo, exec_lo, s0
	s_mov_b64 s[18:19], 0
	s_cbranch_vccz .LBB223_5
	s_branch .LBB223_6
.LBB223_3:
	s_mov_b64 s[8:9], 0
	s_andn2_b32 vcc_lo, exec_lo, s7
	s_cbranch_vccz .LBB223_2
.LBB223_4:
	s_mov_b64 s[22:23], s[16:17]
	s_mov_b64 s[10:11], 0
	;; [unrolled: 1-line block ×3, first 2 shown]
.LBB223_5:
	s_lshl_b64 s[0:1], s[16:17], 3
	s_load_dwordx2 s[16:17], s[4:5], 0x38
	s_add_u32 s0, s2, s0
	s_addc_u32 s1, s3, s1
	s_load_dwordx2 s[0:1], s[0:1], 0x0
	s_waitcnt lgkmcnt(0)
	s_lshl_b64 s[2:3], s[16:17], 1
	s_add_u32 s18, s0, s2
	s_addc_u32 s19, s1, s3
.LBB223_6:
	s_clause 0x1
	s_load_dword s15, s[4:5], 0x40
	s_load_dwordx4 s[0:3], s[4:5], 0x58
	s_waitcnt lgkmcnt(0)
	v_cmp_eq_f16_e64 s7, s15, 0
	v_cmp_neq_f16_e64 s24, s15, 0
	s_and_b32 vcc_lo, exec_lo, s7
	s_cbranch_vccnz .LBB223_8
; %bb.7:
	s_load_dwordx2 s[10:11], s[4:5], 0x48
	s_lshl_b64 s[16:17], s[22:23], 3
	s_waitcnt lgkmcnt(0)
	s_add_u32 s10, s10, s16
	s_addc_u32 s11, s11, s17
	s_lshl_b64 s[0:1], s[0:1], 1
	s_load_dwordx2 s[10:11], s[10:11], 0x0
	s_waitcnt lgkmcnt(0)
	s_add_u32 s10, s10, s0
	s_addc_u32 s11, s11, s1
.LBB223_8:
	s_load_dword s20, s[4:5], 0x18
	s_lshl_b64 s[0:1], s[22:23], 3
	v_mov_b32_e32 v12, 0x7c00
	v_mov_b32_e32 v13, 0x7c00
	s_waitcnt lgkmcnt(0)
	s_ashr_i32 s21, s20, 31
	s_add_u32 s16, s2, s0
	s_addc_u32 s17, s3, s1
	s_add_i32 s0, s12, -1
	s_ashr_i32 s1, s0, 31
	s_lshr_b32 s1, s1, 26
	s_add_i32 s0, s0, s1
	s_ashr_i32 s0, s0, 6
	s_add_i32 s2, s0, 1
	s_not_b32 s0, s0
	v_cvt_f32_u32_e32 v2, s2
	v_rcp_iflag_f32_e32 v2, v2
	v_mul_f32_e32 v2, 0x4f7ffffe, v2
	v_cvt_u32_f32_e32 v2, v2
	v_readfirstlane_b32 s1, v2
	v_lshl_add_u32 v2, v1, 3, v0
	s_mul_i32 s0, s0, s1
	v_and_b32_e32 v11, 63, v2
	s_mul_hi_u32 s0, s1, s0
	v_lshrrev_b32_e32 v45, 6, v2
	s_add_i32 s1, s1, s0
	s_mul_hi_u32 s0, s6, s1
	s_mul_i32 s1, s0, s2
	s_add_i32 s3, s0, 1
	s_sub_i32 s1, s6, s1
	s_sub_i32 s7, s1, s2
	s_cmp_ge_u32 s1, s2
	s_cselect_b32 s0, s3, s0
	s_cselect_b32 s1, s7, s1
	s_add_i32 s3, s0, 1
	s_cmp_ge_u32 s1, s2
	s_cselect_b32 s1, s3, s0
	s_mul_i32 s0, s1, s2
	s_sub_i32 s0, s6, s0
	v_cmp_le_i32_e64 s6, s14, v45
	s_lshl_b32 s25, s0, 6
	v_or_b32_e32 v2, s25, v11
	v_cmp_le_i32_e32 vcc_lo, s12, v2
	v_ashrrev_i32_e32 v3, 31, v2
	s_nor_b32 s0, vcc_lo, s6
	s_and_saveexec_b32 s2, s0
	s_cbranch_execz .LBB223_10
; %bb.9:
	v_mad_i64_i32 v[4:5], null, s20, v45, 0
	v_lshlrev_b64 v[6:7], 1, v[2:3]
	v_lshlrev_b64 v[4:5], 1, v[4:5]
	v_add_co_u32 v4, s0, s8, v4
	v_add_co_ci_u32_e64 v5, null, s9, v5, s0
	v_add_co_u32 v4, s0, v4, v6
	v_add_co_ci_u32_e64 v5, null, v5, v7, s0
	flat_load_ushort v13, v[4:5]
.LBB223_10:
	s_or_b32 exec_lo, exec_lo, s2
	s_load_dword s22, s[4:5], 0x30
	s_lshl_b32 s26, s1, 8
	v_or_b32_e32 v4, s26, v11
	v_cmp_le_i32_e64 s0, s13, v4
	s_waitcnt lgkmcnt(0)
	v_mad_i64_i32 v[5:6], null, v45, s22, 0
	v_lshlrev_b64 v[5:6], 1, v[5:6]
	v_add_co_u32 v7, s1, s18, v5
	v_add_co_ci_u32_e64 v8, null, s19, v6, s1
	v_ashrrev_i32_e32 v5, 31, v4
	s_nor_b32 s1, s0, s6
	s_and_saveexec_b32 s2, s1
	s_cbranch_execz .LBB223_12
; %bb.11:
	v_lshlrev_b64 v[9:10], 1, v[4:5]
	v_add_co_u32 v9, s1, v7, v9
	v_add_co_ci_u32_e64 v10, null, v8, v10, s1
	flat_load_ushort v12, v[9:10]
.LBB223_12:
	s_or_b32 exec_lo, exec_lo, s2
	v_or_b32_e32 v6, 64, v4
	v_mov_b32_e32 v14, 0x7c00
	v_mov_b32_e32 v15, 0x7c00
	v_cmp_le_i32_e64 s1, s13, v6
	s_nor_b32 s2, s1, s6
	s_and_saveexec_b32 s3, s2
	s_cbranch_execz .LBB223_14
; %bb.13:
	v_lshlrev_b64 v[9:10], 1, v[4:5]
	v_add_co_u32 v9, s2, v7, v9
	v_add_co_ci_u32_e64 v10, null, v8, v10, s2
	flat_load_ushort v15, v[9:10] offset:128
.LBB223_14:
	s_or_b32 exec_lo, exec_lo, s3
	v_or_b32_e32 v6, 0x80, v4
	s_ashr_i32 s23, s22, 31
	v_cmp_le_i32_e64 s2, s13, v6
	s_nor_b32 s3, s2, s6
	s_and_saveexec_b32 s7, s3
	s_cbranch_execz .LBB223_16
; %bb.15:
	v_lshlrev_b64 v[9:10], 1, v[4:5]
	v_add_co_u32 v9, s3, v7, v9
	v_add_co_ci_u32_e64 v10, null, v8, v10, s3
	flat_load_ushort v14, v[9:10] offset:256
.LBB223_16:
	s_or_b32 exec_lo, exec_lo, s7
	v_or_b32_e32 v6, 0xc0, v4
	v_mov_b32_e32 v16, 0x7c00
	v_cmp_le_i32_e64 s3, s13, v6
	v_mov_b32_e32 v6, 0x7c00
	s_nor_b32 s6, s3, s6
	s_and_saveexec_b32 s7, s6
	s_cbranch_execz .LBB223_18
; %bb.17:
	v_lshlrev_b64 v[9:10], 1, v[4:5]
	v_add_co_u32 v7, s6, v7, v9
	v_add_co_ci_u32_e64 v8, null, v8, v10, s6
	flat_load_ushort v16, v[7:8] offset:384
.LBB223_18:
	s_or_b32 exec_lo, exec_lo, s7
	v_add_nc_u32_e32 v7, 4, v45
	v_cmp_le_i32_e64 s6, s14, v7
	s_nor_b32 s7, vcc_lo, s6
	s_and_saveexec_b32 s27, s7
	s_cbranch_execz .LBB223_20
; %bb.19:
	v_mad_u64_u32 v[8:9], null, s20, v7, 0
	v_lshlrev_b64 v[17:18], 1, v[2:3]
	v_mov_b32_e32 v6, v9
	v_mad_u64_u32 v[9:10], null, s21, v7, v[6:7]
	v_lshlrev_b64 v[8:9], 1, v[8:9]
	v_add_co_u32 v6, s7, s8, v8
	v_add_co_ci_u32_e64 v9, null, s9, v9, s7
	v_add_co_u32 v8, s7, v6, v17
	v_add_co_ci_u32_e64 v9, null, v9, v18, s7
	flat_load_ushort v6, v[8:9]
.LBB223_20:
	s_or_b32 exec_lo, exec_lo, s27
	v_mad_u64_u32 v[8:9], null, v7, s22, 0
	v_mad_u64_u32 v[9:10], null, v7, s23, v[9:10]
	v_mov_b32_e32 v7, 0x7c00
	v_lshlrev_b64 v[8:9], 1, v[8:9]
	v_add_co_u32 v17, s7, s18, v8
	v_add_co_ci_u32_e64 v18, null, s19, v9, s7
	v_mov_b32_e32 v8, 0x7c00
	s_nor_b32 s7, s0, s6
	s_and_saveexec_b32 s27, s7
	s_cbranch_execz .LBB223_22
; %bb.21:
	v_lshlrev_b64 v[8:9], 1, v[4:5]
	v_add_co_u32 v8, s7, v17, v8
	v_add_co_ci_u32_e64 v9, null, v18, v9, s7
	flat_load_ushort v8, v[8:9]
.LBB223_22:
	s_or_b32 exec_lo, exec_lo, s27
	s_nor_b32 s7, s1, s6
	s_and_saveexec_b32 s27, s7
	s_cbranch_execz .LBB223_24
; %bb.23:
	v_lshlrev_b64 v[9:10], 1, v[4:5]
	v_add_co_u32 v9, s7, v17, v9
	v_add_co_ci_u32_e64 v10, null, v18, v10, s7
	flat_load_ushort v7, v[9:10] offset:128
.LBB223_24:
	s_or_b32 exec_lo, exec_lo, s27
	v_mov_b32_e32 v9, 0x7c00
	v_mov_b32_e32 v10, 0x7c00
	s_nor_b32 s7, s2, s6
	s_and_saveexec_b32 s27, s7
	s_cbranch_execz .LBB223_26
; %bb.25:
	v_lshlrev_b64 v[19:20], 1, v[4:5]
	v_add_co_u32 v19, s7, v17, v19
	v_add_co_ci_u32_e64 v20, null, v18, v20, s7
	flat_load_ushort v10, v[19:20] offset:256
.LBB223_26:
	s_or_b32 exec_lo, exec_lo, s27
	s_nor_b32 s6, s3, s6
	s_and_saveexec_b32 s7, s6
	s_cbranch_execz .LBB223_28
; %bb.27:
	v_lshlrev_b64 v[19:20], 1, v[4:5]
	v_add_co_u32 v17, s6, v17, v19
	v_add_co_ci_u32_e64 v18, null, v18, v20, s6
	flat_load_ushort v9, v[17:18] offset:384
.LBB223_28:
	s_or_b32 exec_lo, exec_lo, s7
	v_lshlrev_b32_e32 v11, 3, v11
	v_lshlrev_b32_e32 v47, 3, v0
	;; [unrolled: 1-line block ×3, first 2 shown]
	s_load_dwordx2 s[16:17], s[16:17], 0x0
	s_cmp_lt_i32 s14, 9
	v_lshl_add_u32 v68, v45, 1, v11
	v_add_nc_u32_e32 v27, 0x1000, v47
	s_waitcnt vmcnt(0)
	ds_write_b16 v68, v13 offset:4096
	s_waitcnt lgkmcnt(0)
	ds_write_b16 v68, v12
	ds_write_b16 v68, v15 offset:512
	ds_write_b16 v68, v14 offset:1024
	;; [unrolled: 1-line block ×3, first 2 shown]
	s_waitcnt lgkmcnt(0)
	s_barrier
	buffer_gl0_inv
	ds_read2_b64 v[11:14], v27 offset1:8
	ds_read2_b64 v[15:18], v46 offset1:32
	ds_read2_b64 v[19:22], v27 offset0:16 offset1:24
	ds_read2_b64 v[23:26], v27 offset0:32 offset1:40
	;; [unrolled: 1-line block ×4, first 2 shown]
	s_waitcnt lgkmcnt(4)
	v_pk_add_f16 v35, v11, v15
	v_pk_add_f16 v36, v13, v15
	s_waitcnt lgkmcnt(3)
	v_pk_add_f16 v37, v19, v15
	v_pk_add_f16 v38, v21, v15
	;; [unrolled: 3-line block ×4, first 2 shown]
	v_pk_add_f16 v43, v11, v17
	v_pk_add_f16 v44, v13, v17
	;; [unrolled: 1-line block ×24, first 2 shown]
	s_waitcnt lgkmcnt(0)
	v_pk_add_f16 v71, v11, v31
	v_pk_add_f16 v72, v13, v31
	v_pk_add_f16 v73, v19, v31
	v_pk_add_f16 v74, v21, v31
	v_pk_add_f16 v75, v23, v31
	v_pk_add_f16 v76, v25, v31
	v_pk_add_f16 v77, v27, v31
	v_pk_add_f16 v78, v29, v31
	v_pk_add_f16 v79, v11, v33
	v_pk_add_f16 v80, v13, v33
	v_pk_add_f16 v81, v19, v33
	v_pk_add_f16 v82, v21, v33
	v_pk_add_f16 v83, v23, v33
	ds_read2_b64 v[15:18], v46 offset0:128 offset1:160
	v_pk_add_f16 v84, v25, v33
	v_pk_add_f16 v112, v27, v33
	;; [unrolled: 1-line block ×19, first 2 shown]
	ds_read2_b64 v[31:34], v46 offset0:192 offset1:224
	s_waitcnt lgkmcnt(1)
	v_pk_add_f16 v125, v11, v15
	v_pk_add_f16 v126, v13, v15
	;; [unrolled: 1-line block ×32, first 2 shown]
	s_waitcnt lgkmcnt(0)
	v_pk_add_f16 v153, v11, v31
	v_pk_add_f16 v154, v13, v31
	;; [unrolled: 1-line block ×31, first 2 shown]
	v_pk_min_f16 v35, 0x7c00, v35 op_sel_hi:[0,1]
	v_pk_add_f16 v30, v30, v34
	v_pk_min_f16 v34, 0x7c00, v39 op_sel_hi:[0,1]
	v_pk_min_f16 v36, 0x7c00, v36 op_sel_hi:[0,1]
	;; [unrolled: 1-line block ×3, first 2 shown]
	v_pk_min_f16 v122, v35, v54
	v_pk_min_f16 v35, 0x7c00, v40 op_sel_hi:[0,1]
	v_pk_min_f16 v109, v34, v58
	v_pk_min_f16 v34, 0x7c00, v44 op_sel_hi:[0,1]
	v_pk_min_f16 v38, 0x7c00, v38 op_sel_hi:[0,1]
	v_pk_min_f16 v119, v36, v55
	v_pk_min_f16 v111, v37, v56
	v_pk_min_f16 v36, 0x7c00, v41 op_sel_hi:[0,1]
	v_pk_min_f16 v37, 0x7c00, v42 op_sel_hi:[0,1]
	v_pk_min_f16 v108, v35, v59
	v_pk_min_f16 v35, 0x7c00, v48 op_sel_hi:[0,1]
	v_pk_min_f16 v104, v34, v63
	v_pk_min_f16 v34, 0x7c00, v52 op_sel_hi:[0,1]
	v_pk_min_f16 v110, v38, v57
	v_pk_min_f16 v38, 0x7c00, v43 op_sel_hi:[0,1]
	v_pk_min_f16 v107, v36, v60
	v_pk_min_f16 v106, v37, v61
	v_pk_min_f16 v36, 0x7c00, v49 op_sel_hi:[0,1]
	v_pk_min_f16 v37, 0x7c00, v50 op_sel_hi:[0,1]
	v_pk_min_f16 v103, v35, v64
	v_pk_min_f16 v35, 0x7c00, v53 op_sel_hi:[0,1]
	v_pk_min_f16 v99, v34, v69
	v_pk_min_f16 v34, 0x7c00, v74 op_sel_hi:[0,1]
	v_pk_min_f16 v105, v38, v62
	;; [unrolled: 10-line block ×3, first 2 shown]
	v_pk_min_f16 v38, 0x7c00, v73 op_sel_hi:[0,1]
	v_pk_min_f16 v97, v36, v85
	v_pk_min_f16 v96, v37, v86
	v_pk_min_f16 v36, 0x7c00, v76 op_sel_hi:[0,1]
	v_pk_min_f16 v37, 0x7c00, v77 op_sel_hi:[0,1]
	v_pk_min_f16 v93, v35, v89
	v_pk_min_f16 v35, 0x7c00, v80 op_sel_hi:[0,1]
	v_pk_min_f16 v89, v34, v115
	v_pk_min_f16 v34, 0x7c00, v84 op_sel_hi:[0,1]
	v_pk_min_f16 v15, 0x7c00, v15 op_sel_hi:[0,1]
	v_pk_min_f16 v95, v38, v87
	v_pk_min_f16 v38, 0x7c00, v78 op_sel_hi:[0,1]
	v_pk_min_f16 v92, v36, v90
	v_pk_min_f16 v91, v37, v91
	v_pk_min_f16 v36, 0x7c00, v81 op_sel_hi:[0,1]
	v_pk_min_f16 v37, 0x7c00, v82 op_sel_hi:[0,1]
	v_pk_min_f16 v88, v35, v116
	v_pk_min_f16 v35, 0x7c00, v112 op_sel_hi:[0,1]
	v_pk_min_f16 v84, v34, v121
	;; [unrolled: 2-line block ×5, first 2 shown]
	v_pk_min_f16 v86, v37, v118
	v_pk_min_f16 v36, 0x7c00, v113 op_sel_hi:[0,1]
	v_pk_min_f16 v37, 0x7c00, v125 op_sel_hi:[0,1]
	v_pk_min_f16 v83, v35, v123
	v_pk_min_f16 v35, 0x7c00, v128 op_sel_hi:[0,1]
	v_pk_min_f16 v79, v34, v141
	v_pk_min_f16 v34, 0x7c00, v132 op_sel_hi:[0,1]
	v_pk_min_f16 v16, 0x7c00, v137 op_sel_hi:[0,1]
	;; [unrolled: 1-line block ×3, first 2 shown]
	v_pk_min_f16 v67, v15, v150
	v_pk_min_f16 v15, 0x7c00, v154 op_sel_hi:[0,1]
	v_pk_min_f16 v85, v38, v120
	v_pk_min_f16 v38, 0x7c00, v126 op_sel_hi:[0,1]
	v_pk_min_f16 v82, v36, v124
	v_pk_min_f16 v81, v37, v139
	v_pk_min_f16 v36, 0x7c00, v129 op_sel_hi:[0,1]
	v_pk_min_f16 v37, 0x7c00, v130 op_sel_hi:[0,1]
	v_pk_min_f16 v78, v35, v142
	v_pk_min_f16 v35, 0x7c00, v133 op_sel_hi:[0,1]
	v_pk_min_f16 v72, v34, v146
	;; [unrolled: 2-line block ×3, first 2 shown]
	v_pk_min_f16 v64, v17, v18
	v_pk_min_f16 v16, 0x7c00, v157 op_sel_hi:[0,1]
	v_pk_min_f16 v17, 0x7c00, v158 op_sel_hi:[0,1]
	v_pk_min_f16 v62, v15, v156
	v_pk_min_f16 v15, 0x7c00, v165 op_sel_hi:[0,1]
	v_pk_min_f16 v11, 0x7c00, v11 op_sel_hi:[0,1]
	;; [unrolled: 1-line block ×3, first 2 shown]
	v_pk_min_f16 v80, v38, v140
	v_pk_min_f16 v38, 0x7c00, v131 op_sel_hi:[0,1]
	v_pk_min_f16 v76, v36, v143
	v_pk_min_f16 v75, v37, v144
	v_pk_min_f16 v36, 0x7c00, v134 op_sel_hi:[0,1]
	v_pk_min_f16 v37, 0x7c00, v135 op_sel_hi:[0,1]
	v_pk_min_f16 v71, v35, v147
	v_pk_min_f16 v35, 0x7c00, v153 op_sel_hi:[0,1]
	v_pk_min_f16 v65, v34, v152
	v_pk_min_f16 v18, 0x7c00, v161 op_sel_hi:[0,1]
	v_pk_min_f16 v34, 0x7c00, v162 op_sel_hi:[0,1]
	v_pk_min_f16 v61, v16, v159
	v_pk_min_f16 v60, v17, v160
	v_pk_min_f16 v16, 0x7c00, v31 op_sel_hi:[0,1]
	v_pk_min_f16 v17, 0x7c00, v19 op_sel_hi:[0,1]
	v_pk_min_f16 v57, v15, v33
	v_pk_min_f16 v55, v11, v12
	v_pk_min_f16 v54, v13, v14
	v_pk_min_f16 v11, 0x7c00, v21 op_sel_hi:[0,1]
	v_pk_min_f16 v12, 0x7c00, v23 op_sel_hi:[0,1]
	;; [unrolled: 1-line block ×5, first 2 shown]
	v_pk_min_f16 v74, v38, v145
	v_pk_min_f16 v70, v36, v148
	;; [unrolled: 1-line block ×13, first 2 shown]
	ds_write_b16 v68, v6 offset:4608
	ds_write_b16 v68, v8 offset:2048
	;; [unrolled: 1-line block ×5, first 2 shown]
	s_waitcnt lgkmcnt(0)
	s_barrier
	buffer_gl0_inv
	s_cbranch_scc1 .LBB223_51
; %bb.29:
	v_add_nc_u32_e32 v6, v46, v0
	v_lshlrev_b64 v[2:3], 1, v[2:3]
	v_or_b32_e32 v77, 0x1000, v68
	v_or_b32_e32 v112, 0x1000, v47
	v_add_nc_u32_e32 v113, 0x1200, v68
	v_lshrrev_b32_e32 v6, 6, v6
	v_or_b32_e32 v114, 0x800, v68
	v_add_co_u32 v115, s6, s8, v2
	v_add_co_ci_u32_e64 v116, null, s9, v3, s6
	v_add_nc_u32_e32 v8, 8, v6
	v_add_nc_u32_e32 v12, 12, v6
	v_lshlrev_b64 v[2:3], 1, v[4:5]
	v_lshl_add_u32 v117, v0, 3, 0x1200
	v_or_b32_e32 v118, 0x800, v46
	v_mad_i64_i32 v[6:7], null, v8, s20, 0
	v_mad_i64_i32 v[8:9], null, v8, s22, 0
	;; [unrolled: 1-line block ×4, first 2 shown]
	v_add_co_u32 v120, s6, s18, v2
	v_lshlrev_b64 v[37:38], 1, v[6:7]
	v_lshlrev_b64 v[39:40], 1, v[8:9]
	;; [unrolled: 1-line block ×3, first 2 shown]
	v_add_co_ci_u32_e64 v121, null, s19, v3, s6
	v_lshlrev_b64 v[43:44], 1, v[12:13]
	s_add_i32 s27, s14, -8
	s_lshl_b64 s[8:9], s[20:21], 4
	s_lshl_b64 s[18:19], s[22:23], 4
	s_mov_b32 s20, 0
	s_branch .LBB223_31
.LBB223_30:                             ;   in Loop: Header=BB223_31 Depth=1
	s_or_b32 exec_lo, exec_lo, s7
	v_pk_add_f16 v14, v6, v33
	v_pk_max_f16 v15, v122, v122
	v_pk_add_f16 v16, v8, v33
	v_pk_max_f16 v119, v119, v119
	;; [unrolled: 2-line block ×3, first 2 shown]
	v_pk_min_f16 v14, v15, v14
	v_pk_max_f16 v15, v111, v111
	v_pk_add_f16 v111, v4, v33
	v_pk_add_f16 v128, v17, v33
	v_pk_max_f16 v109, v109, v109
	v_pk_add_f16 v129, v19, v33
	v_pk_min_f16 v16, v119, v16
	v_pk_min_f16 v15, v15, v122
	;; [unrolled: 1-line block ×3, first 2 shown]
	v_pk_add_f16 v111, v21, v33
	v_pk_max_f16 v107, v107, v107
	v_pk_add_f16 v33, v23, v33
	v_pk_max_f16 v106, v106, v106
	;; [unrolled: 2-line block ×4, first 2 shown]
	v_pk_min_f16 v109, v109, v128
	v_pk_add_f16 v128, v2, v35
	v_pk_min_f16 v107, v107, v111
	v_pk_min_f16 v33, v106, v33
	;; [unrolled: 1-line block ×4, first 2 shown]
	v_pk_add_f16 v106, v4, v35
	v_pk_max_f16 v102, v102, v102
	v_pk_add_f16 v111, v17, v35
	v_pk_add_f16 v119, v19, v35
	;; [unrolled: 1-line block ×4, first 2 shown]
	v_pk_max_f16 v98, v98, v98
	v_pk_max_f16 v101, v101, v101
	v_pk_max_f16 v100, v100, v100
	v_pk_max_f16 v99, v99, v99
	v_pk_min_f16 v102, v102, v106
	v_pk_min_f16 v35, v98, v35
	v_pk_add_f16 v98, v6, v29
	v_pk_max_f16 v97, v97, v97
	v_pk_add_f16 v106, v8, v29
	v_pk_max_f16 v96, v96, v96
	v_pk_min_f16 v101, v101, v111
	v_pk_min_f16 v100, v100, v119
	;; [unrolled: 1-line block ×3, first 2 shown]
	v_pk_add_f16 v111, v2, v29
	v_pk_max_f16 v95, v95, v95
	v_pk_add_f16 v119, v4, v29
	v_pk_max_f16 v94, v94, v94
	v_pk_add_f16 v122, v17, v29
	v_pk_min_f16 v97, v97, v98
	v_pk_min_f16 v96, v96, v106
	v_pk_add_f16 v98, v19, v29
	v_pk_max_f16 v92, v92, v92
	v_pk_add_f16 v106, v21, v29
	v_pk_add_f16 v29, v23, v29
	v_pk_max_f16 v90, v90, v90
	v_pk_min_f16 v95, v95, v111
	v_pk_min_f16 v94, v94, v119
	v_pk_max_f16 v91, v91, v91
	v_pk_add_f16 v111, v6, v31
	v_pk_max_f16 v89, v89, v89
	v_pk_add_f16 v119, v8, v31
	v_pk_max_f16 v88, v88, v88
	v_pk_min_f16 v92, v92, v98
	v_pk_min_f16 v29, v90, v29
	v_pk_add_f16 v90, v2, v31
	v_pk_max_f16 v87, v87, v87
	v_pk_add_f16 v98, v4, v31
	v_pk_max_f16 v86, v86, v86
	v_pk_min_f16 v91, v91, v106
	v_pk_min_f16 v89, v89, v111
	;; [unrolled: 1-line block ×3, first 2 shown]
	v_pk_add_f16 v106, v17, v31
	v_pk_max_f16 v85, v85, v85
	v_pk_add_f16 v111, v19, v31
	v_pk_max_f16 v84, v84, v84
	v_pk_add_f16 v119, v21, v31
	v_pk_min_f16 v87, v87, v90
	v_pk_min_f16 v86, v86, v98
	v_pk_add_f16 v31, v23, v31
	v_pk_max_f16 v82, v82, v82
	v_pk_add_f16 v90, v6, v10
	v_pk_max_f16 v81, v81, v81
	;; [unrolled: 2-line block ×3, first 2 shown]
	v_pk_min_f16 v85, v85, v106
	v_pk_min_f16 v84, v84, v111
	v_pk_add_f16 v106, v2, v10
	v_pk_max_f16 v79, v79, v79
	v_pk_add_f16 v111, v4, v10
	v_pk_min_f16 v31, v82, v31
	v_pk_min_f16 v81, v81, v90
	;; [unrolled: 1-line block ×3, first 2 shown]
	v_pk_add_f16 v82, v17, v10
	v_pk_max_f16 v76, v76, v76
	v_pk_add_f16 v90, v19, v10
	v_pk_add_f16 v98, v21, v10
	;; [unrolled: 1-line block ×3, first 2 shown]
	v_pk_max_f16 v73, v73, v73
	v_pk_min_f16 v79, v79, v106
	v_pk_max_f16 v75, v75, v75
	v_pk_max_f16 v74, v74, v74
	v_pk_add_f16 v106, v6, v12
	v_pk_max_f16 v72, v72, v72
	v_pk_min_f16 v76, v76, v82
	v_pk_min_f16 v10, v73, v10
	v_pk_add_f16 v73, v8, v12
	v_pk_max_f16 v71, v71, v71
	v_pk_add_f16 v82, v2, v12
	v_pk_max_f16 v70, v70, v70
	v_pk_min_f16 v75, v75, v90
	v_pk_min_f16 v74, v74, v98
	;; [unrolled: 1-line block ×3, first 2 shown]
	v_pk_add_f16 v90, v4, v12
	v_pk_add_f16 v98, v17, v12
	v_pk_max_f16 v67, v67, v67
	v_pk_add_f16 v106, v19, v12
	v_pk_min_f16 v71, v71, v73
	v_pk_min_f16 v70, v70, v82
	v_pk_add_f16 v73, v21, v12
	v_pk_max_f16 v65, v65, v65
	v_pk_add_f16 v12, v23, v12
	v_pk_max_f16 v64, v64, v64
	;; [unrolled: 2-line block ×3, first 2 shown]
	v_pk_max_f16 v69, v69, v69
	v_pk_min_f16 v67, v67, v98
	v_pk_add_f16 v98, v2, v25
	v_pk_min_f16 v65, v65, v73
	v_pk_min_f16 v12, v64, v12
	;; [unrolled: 1-line block ×3, first 2 shown]
	v_pk_add_f16 v64, v4, v25
	v_pk_add_f16 v73, v17, v25
	v_pk_max_f16 v59, v59, v59
	v_pk_add_f16 v82, v19, v25
	v_pk_max_f16 v58, v58, v58
	;; [unrolled: 2-line block ×4, first 2 shown]
	v_pk_min_f16 v69, v69, v90
	v_pk_add_f16 v90, v8, v25
	v_pk_max_f16 v62, v62, v62
	v_pk_max_f16 v61, v61, v61
	v_pk_min_f16 v59, v59, v73
	v_pk_min_f16 v58, v58, v82
	;; [unrolled: 1-line block ×4, first 2 shown]
	v_pk_add_f16 v2, v19, v27
	v_pk_max_f16 v4, v50, v50
	v_pk_max_f16 v83, v83, v83
	v_pk_min_f16 v62, v62, v90
	v_pk_min_f16 v61, v61, v98
	v_pk_max_f16 v60, v60, v60
	v_pk_add_f16 v90, v21, v25
	v_pk_max_f16 v57, v57, v57
	v_pk_add_f16 v17, v17, v27
	v_pk_max_f16 v51, v51, v51
	v_pk_min_f16 v98, v4, v2
	v_pk_add_f16 v2, v3, v34
	v_pk_add_f16 v4, v5, v34
	v_pk_max_f16 v108, v108, v108
	v_pk_min_f16 v83, v83, v119
	v_pk_max_f16 v78, v78, v78
	v_pk_max_f16 v66, v66, v66
	v_pk_add_f16 v25, v23, v25
	v_pk_min_f16 v60, v60, v64
	v_pk_min_f16 v64, v57, v90
	v_pk_add_f16 v6, v6, v27
	v_pk_add_f16 v8, v8, v27
	v_pk_min_f16 v90, v51, v17
	v_pk_add_f16 v17, v21, v27
	v_pk_add_f16 v21, v23, v27
	v_pk_max_f16 v23, v48, v48
	v_pk_add_f16 v27, v7, v34
	v_pk_add_f16 v48, v9, v34
	v_pk_min_f16 v119, v15, v2
	v_pk_min_f16 v110, v110, v4
	v_pk_add_f16 v2, v24, v34
	v_pk_add_f16 v4, v7, v36
	v_pk_min_f16 v108, v108, v129
	v_pk_max_f16 v103, v103, v103
	v_pk_min_f16 v78, v78, v111
	v_pk_min_f16 v66, v66, v106
	;; [unrolled: 1-line block ×4, first 2 shown]
	v_pk_add_f16 v14, v18, v34
	v_pk_add_f16 v16, v20, v34
	v_pk_min_f16 v132, v33, v2
	v_pk_min_f16 v105, v105, v4
	v_pk_add_f16 v2, v18, v36
	v_pk_add_f16 v4, v20, v36
	v_pk_min_f16 v103, v103, v128
	v_pk_min_f16 v109, v109, v14
	v_pk_min_f16 v108, v108, v16
	v_pk_add_f16 v14, v9, v36
	v_pk_add_f16 v15, v3, v36
	;; [unrolled: 1-line block ×3, first 2 shown]
	v_pk_min_f16 v101, v101, v2
	v_pk_min_f16 v100, v100, v4
	v_pk_add_f16 v2, v9, v30
	v_pk_add_f16 v4, v3, v30
	v_pk_max_f16 v93, v93, v93
	v_pk_min_f16 v104, v104, v14
	v_pk_min_f16 v103, v103, v15
	;; [unrolled: 1-line block ×3, first 2 shown]
	v_pk_add_f16 v14, v22, v36
	v_pk_add_f16 v15, v24, v36
	;; [unrolled: 1-line block ×3, first 2 shown]
	v_pk_min_f16 v96, v96, v2
	v_pk_min_f16 v95, v95, v4
	v_pk_add_f16 v2, v22, v30
	v_pk_add_f16 v4, v24, v30
	v_pk_min_f16 v93, v93, v122
	v_pk_min_f16 v99, v99, v14
	v_pk_min_f16 v133, v35, v15
	v_pk_min_f16 v97, v97, v16
	v_pk_add_f16 v14, v5, v30
	v_pk_add_f16 v15, v18, v30
	;; [unrolled: 1-line block ×3, first 2 shown]
	v_pk_min_f16 v91, v91, v2
	v_pk_min_f16 v134, v29, v4
	v_pk_add_f16 v2, v5, v32
	v_pk_add_f16 v4, v18, v32
	v_pk_min_f16 v94, v94, v14
	v_pk_min_f16 v93, v93, v15
	;; [unrolled: 1-line block ×3, first 2 shown]
	v_pk_add_f16 v14, v7, v32
	v_pk_add_f16 v15, v9, v32
	;; [unrolled: 1-line block ×3, first 2 shown]
	v_pk_min_f16 v86, v86, v2
	v_pk_min_f16 v85, v85, v4
	v_pk_add_f16 v2, v7, v11
	v_pk_add_f16 v4, v9, v11
	v_pk_min_f16 v89, v89, v14
	v_pk_min_f16 v88, v88, v15
	;; [unrolled: 1-line block ×3, first 2 shown]
	v_pk_add_f16 v14, v20, v32
	v_pk_add_f16 v15, v22, v32
	;; [unrolled: 1-line block ×3, first 2 shown]
	v_pk_min_f16 v81, v81, v2
	v_pk_min_f16 v80, v80, v4
	v_pk_add_f16 v2, v20, v11
	v_pk_add_f16 v4, v22, v11
	v_pk_max_f16 v54, v54, v54
	v_pk_min_f16 v84, v84, v14
	v_pk_min_f16 v83, v83, v15
	;; [unrolled: 1-line block ×3, first 2 shown]
	v_pk_add_f16 v14, v3, v11
	v_pk_add_f16 v15, v5, v11
	;; [unrolled: 1-line block ×4, first 2 shown]
	v_pk_min_f16 v75, v75, v2
	v_pk_min_f16 v74, v74, v4
	v_pk_add_f16 v2, v3, v13
	v_pk_add_f16 v4, v5, v13
	v_pk_max_f16 v56, v56, v56
	v_pk_min_f16 v8, v54, v8
	v_pk_max_f16 v19, v49, v49
	v_pk_min_f16 v79, v79, v14
	v_pk_add_f16 v14, v7, v13
	v_pk_min_f16 v136, v10, v11
	v_pk_add_f16 v11, v20, v13
	v_pk_min_f16 v57, v70, v2
	v_pk_min_f16 v54, v69, v4
	v_pk_add_f16 v2, v24, v13
	v_pk_add_f16 v4, v7, v26
	v_pk_min_f16 v25, v56, v25
	v_pk_max_f16 v55, v55, v55
	v_pk_min_f16 v19, v19, v17
	v_pk_add_f16 v17, v22, v34
	v_pk_min_f16 v78, v78, v15
	v_pk_add_f16 v15, v9, v13
	;; [unrolled: 2-line block ×3, first 2 shown]
	v_pk_add_f16 v14, v22, v13
	v_pk_min_f16 v52, v66, v11
	v_pk_add_f16 v11, v3, v26
	v_pk_add_f16 v13, v5, v26
	v_pk_min_f16 v51, v12, v2
	v_pk_min_f16 v49, v63, v4
	v_pk_add_f16 v2, v18, v26
	v_pk_add_f16 v4, v20, v26
	v_pk_min_f16 v6, v55, v6
	v_pk_min_f16 v107, v107, v17
	;; [unrolled: 1-line block ×6, first 2 shown]
	v_pk_add_f16 v10, v9, v26
	v_pk_min_f16 v36, v61, v11
	v_pk_min_f16 v32, v60, v13
	;; [unrolled: 1-line block ×4, first 2 shown]
	ds_read2_b64 v[14:17], v112 offset1:8
	ds_read2_b64 v[58:61], v46 offset1:32
	v_pk_min_f16 v48, v62, v10
	v_pk_add_f16 v10, v22, v26
	v_pk_add_f16 v11, v24, v26
	v_pk_min_f16 v21, v23, v21
	v_pk_add_f16 v7, v7, v28
	v_pk_add_f16 v2, v9, v28
	v_pk_min_f16 v29, v64, v10
	v_pk_min_f16 v25, v25, v11
	ds_read2_b64 v[10:13], v112 offset0:16 offset1:24
	v_pk_add_f16 v26, v3, v28
	v_pk_add_f16 v27, v5, v28
	;; [unrolled: 1-line block ×6, first 2 shown]
	v_pk_min_f16 v23, v6, v7
	v_pk_min_f16 v35, v8, v2
	ds_read2_b64 v[6:9], v112 offset0:32 offset1:40
	v_pk_min_f16 v24, v19, v22
	v_pk_min_f16 v22, v21, v28
	s_waitcnt lgkmcnt(2)
	v_pk_add_f16 v28, v14, v58
	v_pk_max_f16 v106, v106, v106
	v_pk_add_f16 v122, v15, v59
	ds_read2_b64 v[2:5], v112 offset0:48 offset1:56
	v_pk_max_f16 v110, v110, v110
	v_pk_add_f16 v66, v16, v58
	v_pk_min_f16 v28, v106, v28
	v_pk_max_f16 v111, v111, v111
	s_waitcnt lgkmcnt(2)
	v_pk_add_f16 v67, v10, v58
	v_pk_add_f16 v69, v12, v58
	;; [unrolled: 1-line block ×3, first 2 shown]
	v_pk_min_f16 v122, v28, v122
	v_pk_max_f16 v28, v119, v119
	v_pk_add_f16 v106, v17, v59
	v_pk_min_f16 v66, v111, v66
	v_pk_min_f16 v30, v82, v27
	v_pk_add_f16 v82, v16, v60
	v_pk_min_f16 v28, v28, v67
	v_pk_min_f16 v67, v110, v69
	s_waitcnt lgkmcnt(1)
	v_pk_add_f16 v71, v8, v58
	v_pk_add_f16 v152, v9, v59
	;; [unrolled: 1-line block ×3, first 2 shown]
	v_pk_min_f16 v119, v66, v106
	v_pk_min_f16 v110, v67, v150
	v_pk_max_f16 v67, v108, v108
	s_waitcnt lgkmcnt(0)
	v_pk_add_f16 v72, v2, v58
	v_pk_add_f16 v58, v4, v58
	v_pk_max_f16 v106, v107, v107
	v_pk_add_f16 v149, v11, v59
	v_pk_min_f16 v67, v67, v71
	v_pk_add_f16 v151, v7, v59
	v_pk_add_f16 v153, v3, v59
	;; [unrolled: 1-line block ×3, first 2 shown]
	v_pk_min_f16 v72, v106, v72
	v_pk_min_f16 v108, v67, v152
	v_pk_max_f16 v67, v132, v132
	v_pk_max_f16 v104, v104, v104
	v_pk_min_f16 v34, v73, v26
	v_pk_add_f16 v73, v14, v60
	v_pk_add_f16 v155, v17, v61
	v_pk_min_f16 v58, v67, v58
	v_pk_min_f16 v107, v72, v153
	v_pk_max_f16 v72, v105, v105
	v_pk_min_f16 v26, v98, v20
	ds_read2_b64 v[62:65], v46 offset0:64 offset1:96
	v_pk_min_f16 v106, v58, v59
	v_pk_min_f16 v59, v104, v82
	v_pk_add_f16 v98, v12, v60
	v_pk_add_f16 v154, v15, v61
	v_pk_min_f16 v72, v72, v73
	v_pk_min_f16 v27, v90, v18
	;; [unrolled: 1-line block ×3, first 2 shown]
	v_pk_max_f16 v59, v102, v102
	v_pk_add_f16 v90, v10, v60
	v_pk_add_f16 v157, v13, v61
	v_pk_min_f16 v105, v72, v154
	v_pk_max_f16 v72, v103, v103
	v_pk_min_f16 v59, v59, v98
	v_pk_add_f16 v137, v6, v60
	v_pk_add_f16 v138, v8, v60
	;; [unrolled: 1-line block ×3, first 2 shown]
	v_pk_min_f16 v72, v72, v90
	v_pk_max_f16 v73, v101, v101
	v_pk_min_f16 v102, v59, v157
	v_pk_max_f16 v59, v100, v100
	ds_read2_b64 v[128:131], v46 offset0:128 offset1:160
	ds_read2_b64 v[18:21], v46 offset0:192 offset1:224
	v_pk_add_f16 v139, v2, v60
	v_pk_add_f16 v158, v7, v61
	;; [unrolled: 1-line block ×3, first 2 shown]
	v_pk_min_f16 v103, v72, v156
	v_pk_min_f16 v72, v73, v137
	v_pk_max_f16 v73, v99, v99
	v_pk_min_f16 v59, v59, v138
	v_pk_add_f16 v60, v4, v60
	s_waitcnt lgkmcnt(2)
	v_pk_add_f16 v140, v14, v62
	v_pk_add_f16 v160, v3, v61
	v_pk_min_f16 v101, v72, v158
	v_pk_min_f16 v72, v73, v139
	v_pk_max_f16 v73, v133, v133
	v_pk_min_f16 v100, v59, v159
	v_pk_max_f16 v59, v97, v97
	v_pk_add_f16 v141, v16, v62
	v_pk_add_f16 v142, v10, v62
	;; [unrolled: 1-line block ×3, first 2 shown]
	v_pk_min_f16 v111, v28, v149
	v_pk_max_f16 v28, v109, v109
	v_pk_min_f16 v99, v72, v160
	v_pk_min_f16 v60, v73, v60
	v_pk_max_f16 v72, v96, v96
	v_pk_max_f16 v73, v95, v95
	v_pk_min_f16 v59, v59, v140
	v_pk_add_f16 v82, v15, v63
	v_pk_add_f16 v143, v12, v62
	v_pk_min_f16 v28, v28, v70
	v_pk_min_f16 v72, v72, v141
	;; [unrolled: 1-line block ×3, first 2 shown]
	v_pk_add_f16 v90, v17, v63
	v_pk_min_f16 v98, v60, v61
	v_pk_add_f16 v60, v11, v63
	v_pk_min_f16 v97, v59, v82
	v_pk_max_f16 v59, v94, v94
	v_pk_add_f16 v144, v6, v62
	v_pk_add_f16 v145, v8, v62
	;; [unrolled: 1-line block ×12, first 2 shown]
	s_waitcnt lgkmcnt(1)
	v_pk_add_f16 v66, v14, v128
	v_pk_add_f16 v69, v16, v128
	;; [unrolled: 1-line block ×6, first 2 shown]
	v_pk_min_f16 v109, v28, v151
	v_pk_add_f16 v28, v2, v128
	v_pk_add_f16 v128, v4, v128
	;; [unrolled: 1-line block ×10, first 2 shown]
	s_waitcnt lgkmcnt(0)
	v_pk_add_f16 v155, v14, v18
	v_pk_add_f16 v166, v16, v18
	;; [unrolled: 1-line block ×13, first 2 shown]
	v_pk_min_f16 v96, v72, v90
	v_pk_add_f16 v8, v8, v20
	v_pk_min_f16 v95, v73, v60
	v_pk_add_f16 v2, v2, v20
	v_pk_min_f16 v59, v59, v143
	v_pk_max_f16 v61, v92, v92
	v_pk_add_f16 v72, v13, v63
	v_pk_max_f16 v73, v91, v91
	v_pk_add_f16 v4, v4, v20
	v_pk_max_f16 v20, v134, v134
	v_pk_add_f16 v82, v7, v63
	v_pk_min_f16 v61, v61, v145
	v_pk_add_f16 v90, v9, v63
	v_pk_min_f16 v73, v73, v146
	v_pk_add_f16 v91, v3, v63
	;; [unrolled: 2-line block ×3, first 2 shown]
	v_pk_min_f16 v20, v20, v62
	v_pk_max_f16 v63, v87, v87
	v_pk_max_f16 v60, v93, v93
	v_pk_min_f16 v92, v61, v90
	v_pk_min_f16 v91, v73, v91
	v_pk_add_f16 v73, v11, v65
	v_pk_min_f16 v63, v63, v161
	v_pk_min_f16 v90, v20, v59
	v_pk_max_f16 v20, v86, v86
	v_pk_min_f16 v60, v60, v144
	v_pk_add_f16 v59, v13, v65
	v_pk_min_f16 v87, v63, v73
	v_pk_max_f16 v63, v83, v83
	v_pk_min_f16 v20, v20, v162
	v_pk_min_f16 v93, v60, v82
	v_pk_max_f16 v60, v89, v89
	v_pk_max_f16 v61, v88, v88
	v_pk_add_f16 v73, v3, v65
	v_pk_min_f16 v63, v63, v165
	v_pk_min_f16 v86, v20, v59
	v_pk_max_f16 v20, v135, v135
	v_pk_add_f16 v62, v15, v65
	v_pk_min_f16 v60, v60, v147
	v_pk_add_f16 v72, v17, v65
	v_pk_min_f16 v61, v61, v148
	v_pk_min_f16 v83, v63, v73
	v_pk_add_f16 v59, v5, v65
	v_pk_min_f16 v20, v20, v64
	v_pk_max_f16 v63, v79, v79
	v_pk_min_f16 v89, v60, v62
	v_pk_min_f16 v88, v61, v72
	v_pk_add_f16 v62, v7, v65
	v_pk_add_f16 v72, v9, v65
	;; [unrolled: 1-line block ×3, first 2 shown]
	v_pk_min_f16 v63, v63, v149
	v_pk_min_f16 v82, v20, v59
	v_pk_max_f16 v20, v78, v78
	v_pk_add_f16 v59, v13, v129
	v_pk_max_f16 v61, v84, v84
	v_pk_min_f16 v79, v63, v65
	v_pk_max_f16 v63, v74, v74
	v_pk_min_f16 v20, v20, v150
	v_pk_add_f16 v65, v3, v129
	v_pk_max_f16 v60, v85, v85
	v_pk_min_f16 v61, v61, v164
	v_pk_min_f16 v28, v63, v28
	;; [unrolled: 1-line block ×3, first 2 shown]
	v_pk_max_f16 v20, v136, v136
	v_pk_min_f16 v60, v60, v163
	v_pk_min_f16 v84, v61, v72
	v_pk_min_f16 v74, v28, v65
	v_pk_add_f16 v28, v5, v129
	v_pk_min_f16 v20, v20, v128
	v_pk_max_f16 v61, v80, v80
	v_pk_min_f16 v85, v60, v62
	v_pk_max_f16 v60, v81, v81
	v_pk_add_f16 v64, v17, v129
	v_pk_min_f16 v73, v20, v28
	v_pk_max_f16 v20, v54, v54
	v_pk_min_f16 v61, v61, v69
	v_pk_add_f16 v28, v13, v131
	v_pk_add_f16 v62, v15, v129
	v_pk_min_f16 v60, v60, v66
	v_pk_min_f16 v20, v20, v152
	;; [unrolled: 1-line block ×3, first 2 shown]
	v_pk_max_f16 v61, v75, v75
	v_pk_add_f16 v64, v9, v129
	v_pk_min_f16 v81, v60, v62
	v_pk_min_f16 v69, v20, v28
	v_pk_max_f16 v20, v51, v51
	v_pk_max_f16 v60, v76, v76
	v_pk_min_f16 v61, v61, v71
	v_pk_add_f16 v28, v5, v131
	v_pk_add_f16 v62, v7, v129
	v_pk_min_f16 v20, v20, v130
	v_pk_min_f16 v60, v60, v70
	;; [unrolled: 1-line block ×3, first 2 shown]
	v_pk_max_f16 v56, v56, v56
	v_pk_max_f16 v55, v55, v55
	v_pk_min_f16 v64, v20, v28
	v_pk_max_f16 v20, v32, v32
	v_pk_min_f16 v76, v60, v62
	v_pk_add_f16 v59, v15, v131
	v_pk_min_f16 v56, v56, v132
	v_pk_add_f16 v60, v17, v131
	v_pk_min_f16 v55, v55, v151
	v_pk_max_f16 v52, v52, v52
	v_pk_max_f16 v50, v50, v50
	v_pk_add_f16 v28, v13, v19
	v_pk_min_f16 v20, v20, v137
	v_pk_min_f16 v72, v56, v59
	;; [unrolled: 1-line block ×3, first 2 shown]
	v_pk_max_f16 v53, v53, v53
	v_pk_add_f16 v55, v9, v131
	v_pk_min_f16 v52, v52, v153
	v_pk_add_f16 v56, v3, v131
	v_pk_min_f16 v50, v50, v154
	v_pk_min_f16 v60, v20, v28
	v_pk_max_f16 v20, v25, v25
	v_pk_max_f16 v23, v23, v23
	;; [unrolled: 1-line block ×4, first 2 shown]
	v_pk_add_f16 v61, v11, v131
	v_pk_add_f16 v54, v7, v131
	v_pk_min_f16 v53, v53, v58
	v_pk_min_f16 v66, v52, v55
	;; [unrolled: 1-line block ×3, first 2 shown]
	v_pk_add_f16 v50, v15, v19
	v_pk_add_f16 v52, v11, v19
	;; [unrolled: 1-line block ×3, first 2 shown]
	v_pk_min_f16 v14, v23, v14
	v_pk_add_f16 v11, v11, v21
	v_pk_min_f16 v10, v25, v10
	v_pk_min_f16 v57, v57, v67
	;; [unrolled: 1-line block ×3, first 2 shown]
	v_pk_max_f16 v48, v48, v48
	v_pk_max_f16 v36, v36, v36
	v_pk_min_f16 v55, v14, v15
	v_pk_max_f16 v14, v30, v30
	v_pk_min_f16 v53, v10, v11
	v_pk_max_f16 v10, v27, v27
	v_pk_max_f16 v49, v49, v49
	v_pk_add_f16 v51, v17, v19
	v_pk_min_f16 v48, v48, v166
	v_pk_min_f16 v36, v36, v156
	v_pk_max_f16 v32, v33, v33
	v_pk_max_f16 v31, v31, v31
	v_pk_max_f16 v29, v29, v29
	v_pk_min_f16 v18, v20, v18
	v_pk_max_f16 v20, v35, v35
	v_pk_add_f16 v11, v13, v21
	v_pk_min_f16 v12, v14, v12
	v_pk_max_f16 v13, v26, v26
	v_pk_min_f16 v6, v10, v6
	v_pk_max_f16 v10, v24, v24
	v_pk_max_f16 v14, v22, v22
	v_pk_min_f16 v70, v57, v61
	v_pk_min_f16 v49, v49, v155
	;; [unrolled: 1-line block ×4, first 2 shown]
	v_pk_add_f16 v33, v7, v19
	v_pk_min_f16 v32, v32, v157
	v_pk_add_f16 v36, v9, v19
	v_pk_min_f16 v31, v31, v158
	;; [unrolled: 2-line block ×3, first 2 shown]
	v_pk_add_f16 v19, v5, v19
	v_pk_add_f16 v17, v17, v21
	v_pk_min_f16 v16, v20, v16
	v_pk_add_f16 v7, v7, v21
	v_pk_add_f16 v9, v9, v21
	v_pk_min_f16 v8, v13, v8
	v_pk_add_f16 v3, v3, v21
	v_pk_min_f16 v2, v10, v2
	;; [unrolled: 2-line block ×3, first 2 shown]
	v_add_co_u32 v115, s6, v115, s8
	v_add_co_ci_u32_e64 v116, null, s9, v116, s6
	v_add_co_u32 v120, s6, v120, s18
	v_pk_min_f16 v63, v49, v50
	v_pk_min_f16 v59, v32, v33
	;; [unrolled: 1-line block ×11, first 2 shown]
	v_add_co_ci_u32_e64 v121, null, s19, v121, s6
	s_add_i32 s20, s20, 8
	s_waitcnt vmcnt(0)
	ds_write_b16 v113, v123
	ds_write_b16 v114, v125
	ds_write_b16 v114, v124 offset:512
	ds_write_b16 v114, v127 offset:1024
	;; [unrolled: 1-line block ×3, first 2 shown]
	s_cmp_ge_i32 s20, s27
	s_waitcnt lgkmcnt(0)
	s_barrier
	buffer_gl0_inv
	s_cbranch_scc1 .LBB223_51
.LBB223_31:                             ; =>This Inner Loop Header: Depth=1
	v_add_nc_u32_e32 v14, s20, v45
	v_mov_b32_e32 v15, 0x7c00
	v_mov_b32_e32 v16, 0x7c00
	v_add_nc_u32_e32 v2, 8, v14
	v_cmp_le_i32_e64 s6, s14, v2
	s_nor_b32 s7, vcc_lo, s6
	s_and_saveexec_b32 s21, s7
	s_cbranch_execz .LBB223_33
; %bb.32:                               ;   in Loop: Header=BB223_31 Depth=1
	v_add_co_u32 v2, s7, v115, v37
	v_add_co_ci_u32_e64 v3, null, v116, v38, s7
	flat_load_ushort v16, v[2:3]
.LBB223_33:                             ;   in Loop: Header=BB223_31 Depth=1
	s_or_b32 exec_lo, exec_lo, s21
	s_nor_b32 s7, s0, s6
	s_and_saveexec_b32 s21, s7
	s_cbranch_execz .LBB223_35
; %bb.34:                               ;   in Loop: Header=BB223_31 Depth=1
	v_add_co_u32 v2, s7, v120, v39
	v_add_co_ci_u32_e64 v3, null, v121, v40, s7
	flat_load_ushort v15, v[2:3]
.LBB223_35:                             ;   in Loop: Header=BB223_31 Depth=1
	s_or_b32 exec_lo, exec_lo, s21
	v_mov_b32_e32 v124, 0x7c00
	v_mov_b32_e32 v125, 0x7c00
	s_nor_b32 s7, s1, s6
	s_and_saveexec_b32 s21, s7
	s_cbranch_execz .LBB223_37
; %bb.36:                               ;   in Loop: Header=BB223_31 Depth=1
	v_add_co_u32 v2, s7, v120, v39
	v_add_co_ci_u32_e64 v3, null, v121, v40, s7
	flat_load_ushort v125, v[2:3] offset:128
.LBB223_37:                             ;   in Loop: Header=BB223_31 Depth=1
	s_or_b32 exec_lo, exec_lo, s21
	s_nor_b32 s7, s2, s6
	s_and_saveexec_b32 s21, s7
	s_cbranch_execz .LBB223_39
; %bb.38:                               ;   in Loop: Header=BB223_31 Depth=1
	v_add_co_u32 v2, s7, v120, v39
	v_add_co_ci_u32_e64 v3, null, v121, v40, s7
	flat_load_ushort v124, v[2:3] offset:256
.LBB223_39:                             ;   in Loop: Header=BB223_31 Depth=1
	s_or_b32 exec_lo, exec_lo, s21
	v_mov_b32_e32 v123, 0x7c00
	v_mov_b32_e32 v126, 0x7c00
	s_nor_b32 s6, s3, s6
	s_and_saveexec_b32 s7, s6
	s_cbranch_execz .LBB223_41
; %bb.40:                               ;   in Loop: Header=BB223_31 Depth=1
	v_add_co_u32 v2, s6, v120, v39
	v_add_co_ci_u32_e64 v3, null, v121, v40, s6
	flat_load_ushort v126, v[2:3] offset:384
.LBB223_41:                             ;   in Loop: Header=BB223_31 Depth=1
	s_or_b32 exec_lo, exec_lo, s7
	ds_read2_b64 v[6:9], v117 offset1:8
	ds_read2_b64 v[2:5], v117 offset0:16 offset1:24
	ds_read2_b64 v[17:20], v117 offset0:32 offset1:40
	;; [unrolled: 1-line block ×3, first 2 shown]
	ds_read2_b64 v[33:36], v118 offset1:32
	ds_read2_b64 v[29:32], v118 offset0:64 offset1:96
	ds_read2_b64 v[10:13], v118 offset0:128 offset1:160
	ds_read2_b64 v[25:28], v118 offset0:192 offset1:224
	v_add_nc_u32_e32 v14, 12, v14
	s_waitcnt vmcnt(0) lgkmcnt(8)
	ds_write_b16 v77, v16
	ds_write_b16 v68, v15
	ds_write_b16 v68, v125 offset:512
	ds_write_b16 v68, v124 offset:1024
	;; [unrolled: 1-line block ×3, first 2 shown]
	s_waitcnt lgkmcnt(0)
	s_barrier
	v_cmp_le_i32_e64 s6, s14, v14
	buffer_gl0_inv
	s_nor_b32 s7, vcc_lo, s6
	s_and_saveexec_b32 s21, s7
	s_cbranch_execz .LBB223_43
; %bb.42:                               ;   in Loop: Header=BB223_31 Depth=1
	v_add_co_u32 v14, s7, v115, v43
	v_add_co_ci_u32_e64 v15, null, v116, v44, s7
	flat_load_ushort v123, v[14:15]
.LBB223_43:                             ;   in Loop: Header=BB223_31 Depth=1
	s_or_b32 exec_lo, exec_lo, s21
	v_mov_b32_e32 v124, 0x7c00
	v_mov_b32_e32 v125, 0x7c00
	s_nor_b32 s7, s0, s6
	s_and_saveexec_b32 s21, s7
	s_cbranch_execz .LBB223_45
; %bb.44:                               ;   in Loop: Header=BB223_31 Depth=1
	v_add_co_u32 v14, s7, v120, v41
	v_add_co_ci_u32_e64 v15, null, v121, v42, s7
	flat_load_ushort v125, v[14:15]
.LBB223_45:                             ;   in Loop: Header=BB223_31 Depth=1
	s_or_b32 exec_lo, exec_lo, s21
	s_nor_b32 s7, s1, s6
	s_and_saveexec_b32 s21, s7
	s_cbranch_execz .LBB223_47
; %bb.46:                               ;   in Loop: Header=BB223_31 Depth=1
	v_add_co_u32 v14, s7, v120, v41
	v_add_co_ci_u32_e64 v15, null, v121, v42, s7
	flat_load_ushort v124, v[14:15] offset:128
.LBB223_47:                             ;   in Loop: Header=BB223_31 Depth=1
	s_or_b32 exec_lo, exec_lo, s21
	v_mov_b32_e32 v126, 0x7c00
	v_mov_b32_e32 v127, 0x7c00
	s_nor_b32 s7, s2, s6
	s_and_saveexec_b32 s21, s7
	s_cbranch_execz .LBB223_49
; %bb.48:                               ;   in Loop: Header=BB223_31 Depth=1
	v_add_co_u32 v14, s7, v120, v41
	v_add_co_ci_u32_e64 v15, null, v121, v42, s7
	flat_load_ushort v127, v[14:15] offset:256
.LBB223_49:                             ;   in Loop: Header=BB223_31 Depth=1
	s_or_b32 exec_lo, exec_lo, s21
	s_nor_b32 s6, s3, s6
	s_and_saveexec_b32 s7, s6
	s_cbranch_execz .LBB223_30
; %bb.50:                               ;   in Loop: Header=BB223_31 Depth=1
	v_add_co_u32 v14, s6, v120, v41
	v_add_co_ci_u32_e64 v15, null, v121, v42, s6
	flat_load_ushort v126, v[14:15] offset:384
	s_branch .LBB223_30
.LBB223_51:
	s_clause 0x2
	s_load_dword s14, s[4:5], 0x50
	s_load_dword s9, s[4:5], 0x68
	s_load_dwordx2 s[2:3], s[4:5], 0x70
	v_add_nc_u32_e32 v2, 0x1000, v47
	v_add_nc_u32_e32 v77, s26, v1
	;; [unrolled: 1-line block ×4, first 2 shown]
	ds_read2_b64 v[16:19], v2 offset0:64 offset1:72
	ds_read2_b64 v[12:15], v2 offset0:80 offset1:88
	;; [unrolled: 1-line block ×4, first 2 shown]
	ds_read2_b64 v[28:31], v4 offset1:32
	ds_read2_b64 v[24:27], v4 offset0:64 offset1:96
	ds_read2_b64 v[20:23], v4 offset0:128 offset1:160
	;; [unrolled: 1-line block ×3, first 2 shown]
	v_cmp_gt_i32_e64 s0, s12, v32
	v_cmp_gt_i32_e64 s8, s13, v77
	v_ashrrev_i32_e32 v33, 31, v32
	v_cndmask_b32_e64 v68, 0, 1, s24
	s_waitcnt lgkmcnt(0)
	v_mad_i64_i32 v[34:35], null, v77, s14, 0
	v_mad_i64_i32 v[36:37], null, v77, s9, 0
	s_lshl_b64 s[2:3], s[2:3], 1
	s_add_u32 s16, s16, s2
	s_addc_u32 s17, s17, s3
	v_lshlrev_b64 v[34:35], 1, v[34:35]
	s_and_b32 s2, s0, s8
	v_lshlrev_b64 v[36:37], 1, v[36:37]
	v_add_co_u32 v114, vcc_lo, s10, v34
	v_add_co_ci_u32_e64 v115, null, s11, v35, vcc_lo
	v_add_co_u32 v112, vcc_lo, s16, v36
	v_add_co_ci_u32_e64 v113, null, s17, v37, vcc_lo
	s_and_saveexec_b32 s1, s2
	s_cbranch_execz .LBB223_56
; %bb.52:
	s_andn2_b32 vcc_lo, exec_lo, s24
	s_cbranch_vccnz .LBB223_54
; %bb.53:
	v_lshlrev_b64 v[34:35], 1, v[32:33]
	v_add_co_u32 v34, vcc_lo, v114, v34
	v_add_co_ci_u32_e64 v35, null, v115, v35, vcc_lo
	flat_load_ushort v34, v[34:35]
	s_waitcnt vmcnt(0) lgkmcnt(0)
	v_mul_f16_e32 v34, s15, v34
	v_cvt_f32_f16_e32 v34, v34
	s_branch .LBB223_55
.LBB223_54:
	v_mov_b32_e32 v34, 0
.LBB223_55:
	v_pk_add_f16 v35, v16, v28
	v_pk_add_f16 v36, v17, v29
	v_max_f16_e32 v37, v122, v122
	v_lshrrev_b32_e32 v38, 16, v122
	v_max_f32_e32 v34, v34, v34
	v_lshrrev_b32_e32 v39, 16, v35
	v_lshrrev_b32_e32 v40, 16, v36
	v_min_f16_e32 v35, v37, v35
	v_min3_f16 v37, v38, v39, v40
	v_min3_f16 v35, v35, v36, v37
	v_cvt_f32_f16_e32 v35, v35
	v_min_f32_e32 v36, v34, v35
	v_lshlrev_b64 v[34:35], 1, v[32:33]
	v_cvt_f16_f32_e32 v36, v36
	v_add_co_u32 v34, vcc_lo, v112, v34
	v_add_co_ci_u32_e64 v35, null, v113, v35, vcc_lo
	flat_store_short v[34:35], v36
.LBB223_56:
	s_or_b32 exec_lo, exec_lo, s1
	v_add_nc_u32_e32 v34, 8, v32
	v_cmp_gt_i32_e64 s1, s12, v34
	v_ashrrev_i32_e32 v35, 31, v34
	s_and_b32 s3, s1, s8
	s_and_saveexec_b32 s2, s3
	s_cbranch_execz .LBB223_61
; %bb.57:
	v_cmp_ne_u32_e32 vcc_lo, 1, v68
	s_cbranch_vccnz .LBB223_59
; %bb.58:
	v_lshlrev_b64 v[36:37], 1, v[34:35]
	v_add_co_u32 v36, vcc_lo, v114, v36
	v_add_co_ci_u32_e64 v37, null, v115, v37, vcc_lo
	flat_load_ushort v36, v[36:37]
	s_waitcnt vmcnt(0) lgkmcnt(0)
	v_mul_f16_e32 v36, s15, v36
	v_cvt_f32_f16_e32 v36, v36
	s_branch .LBB223_60
.LBB223_59:
	v_mov_b32_e32 v36, 0
.LBB223_60:
	v_pk_add_f16 v37, v18, v28
	v_pk_add_f16 v38, v19, v29
	v_max_f16_e32 v39, v119, v119
	v_lshrrev_b32_e32 v40, 16, v119
	v_max_f32_e32 v36, v36, v36
	v_lshrrev_b32_e32 v41, 16, v37
	v_lshrrev_b32_e32 v42, 16, v38
	v_min_f16_e32 v37, v39, v37
	v_min3_f16 v39, v40, v41, v42
	v_min3_f16 v37, v37, v38, v39
	v_cvt_f32_f16_e32 v37, v37
	v_min_f32_e32 v38, v36, v37
	v_lshlrev_b64 v[36:37], 1, v[34:35]
	v_cvt_f16_f32_e32 v38, v38
	v_add_co_u32 v36, vcc_lo, v112, v36
	v_add_co_ci_u32_e64 v37, null, v113, v37, vcc_lo
	flat_store_short v[36:37], v38
.LBB223_61:
	s_or_b32 exec_lo, exec_lo, s2
	v_add_nc_u32_e32 v36, 16, v32
	v_cmp_gt_i32_e64 s2, s12, v36
	v_ashrrev_i32_e32 v37, 31, v36
	s_and_b32 s4, s2, s8
	s_and_saveexec_b32 s3, s4
	s_cbranch_execz .LBB223_66
; %bb.62:
	v_cmp_ne_u32_e32 vcc_lo, 1, v68
	s_cbranch_vccnz .LBB223_64
; %bb.63:
	v_lshlrev_b64 v[38:39], 1, v[36:37]
	v_add_co_u32 v38, vcc_lo, v114, v38
	v_add_co_ci_u32_e64 v39, null, v115, v39, vcc_lo
	flat_load_ushort v38, v[38:39]
	s_waitcnt vmcnt(0) lgkmcnt(0)
	v_mul_f16_e32 v38, s15, v38
	v_cvt_f32_f16_e32 v38, v38
	s_branch .LBB223_65
.LBB223_64:
	v_mov_b32_e32 v38, 0
.LBB223_65:
	v_pk_add_f16 v39, v12, v28
	v_pk_add_f16 v40, v13, v29
	v_max_f16_e32 v41, v111, v111
	v_lshrrev_b32_e32 v42, 16, v111
	v_max_f32_e32 v38, v38, v38
	v_lshrrev_b32_e32 v43, 16, v39
	v_lshrrev_b32_e32 v44, 16, v40
	v_min_f16_e32 v39, v41, v39
	v_min3_f16 v41, v42, v43, v44
	v_min3_f16 v39, v39, v40, v41
	v_cvt_f32_f16_e32 v39, v39
	v_min_f32_e32 v40, v38, v39
	v_lshlrev_b64 v[38:39], 1, v[36:37]
	v_cvt_f16_f32_e32 v40, v40
	v_add_co_u32 v38, vcc_lo, v112, v38
	v_add_co_ci_u32_e64 v39, null, v113, v39, vcc_lo
	flat_store_short v[38:39], v40
.LBB223_66:
	;; [unrolled: 40-line block ×6, first 2 shown]
	s_or_b32 exec_lo, exec_lo, s7
	v_add_nc_u32_e32 v46, 56, v32
	v_cmp_gt_i32_e64 s7, s12, v46
	v_ashrrev_i32_e32 v47, 31, v46
	s_and_b32 s12, s7, s8
	s_and_saveexec_b32 s8, s12
	s_cbranch_execz .LBB223_91
; %bb.87:
	v_cmp_ne_u32_e32 vcc_lo, 1, v68
	s_cbranch_vccnz .LBB223_89
; %bb.88:
	v_lshlrev_b64 v[107:108], 1, v[46:47]
	v_add_co_u32 v107, vcc_lo, v114, v107
	v_add_co_ci_u32_e64 v108, null, v115, v108, vcc_lo
	flat_load_ushort v107, v[107:108]
	s_waitcnt vmcnt(0) lgkmcnt(0)
	v_mul_f16_e32 v107, s15, v107
	v_cvt_f32_f16_e32 v107, v107
	s_branch .LBB223_90
.LBB223_89:
	v_mov_b32_e32 v107, 0
.LBB223_90:
	v_pk_add_f16 v28, v2, v28
	v_pk_add_f16 v29, v3, v29
	v_max_f16_e32 v108, v106, v106
	v_lshrrev_b32_e32 v106, 16, v106
	v_lshrrev_b32_e32 v109, 16, v28
	;; [unrolled: 1-line block ×3, first 2 shown]
	v_min_f16_e32 v28, v108, v28
	v_min3_f16 v106, v106, v109, v110
	v_min3_f16 v28, v28, v29, v106
	v_max_f32_e32 v29, v107, v107
	v_cvt_f32_f16_e32 v28, v28
	v_min_f32_e32 v106, v29, v28
	v_lshlrev_b64 v[28:29], 1, v[46:47]
	v_cvt_f16_f32_e32 v106, v106
	v_add_co_u32 v28, vcc_lo, v112, v28
	v_add_co_ci_u32_e64 v29, null, v113, v29, vcc_lo
	flat_store_short v[28:29], v106
.LBB223_91:
	s_or_b32 exec_lo, exec_lo, s8
	v_add_nc_u32_e32 v108, 32, v77
	v_mad_i64_i32 v[28:29], null, v108, s14, 0
	v_mad_i64_i32 v[106:107], null, v108, s9, 0
	v_cmp_gt_i32_e64 s8, s13, v108
	v_lshlrev_b64 v[28:29], 1, v[28:29]
	s_and_b32 s18, s0, s8
	v_lshlrev_b64 v[108:109], 1, v[106:107]
	v_add_co_u32 v106, vcc_lo, s10, v28
	v_add_co_ci_u32_e64 v107, null, s11, v29, vcc_lo
	v_add_co_u32 v28, vcc_lo, s16, v108
	v_add_co_ci_u32_e64 v29, null, s17, v109, vcc_lo
	s_and_saveexec_b32 s12, s18
	s_cbranch_execnz .LBB223_99
; %bb.92:
	s_or_b32 exec_lo, exec_lo, s12
	s_and_b32 s18, s1, s8
	s_and_saveexec_b32 s12, s18
	s_cbranch_execnz .LBB223_103
.LBB223_93:
	s_or_b32 exec_lo, exec_lo, s12
	s_and_b32 s18, s2, s8
	s_and_saveexec_b32 s12, s18
	s_cbranch_execnz .LBB223_107
.LBB223_94:
	s_or_b32 exec_lo, exec_lo, s12
	s_and_b32 s18, s3, s8
	s_and_saveexec_b32 s12, s18
	s_cbranch_execnz .LBB223_111
.LBB223_95:
	s_or_b32 exec_lo, exec_lo, s12
	s_and_b32 s18, s4, s8
	s_and_saveexec_b32 s12, s18
	s_cbranch_execnz .LBB223_115
.LBB223_96:
	s_or_b32 exec_lo, exec_lo, s12
	s_and_b32 s18, s5, s8
	s_and_saveexec_b32 s12, s18
	s_cbranch_execnz .LBB223_119
.LBB223_97:
	s_or_b32 exec_lo, exec_lo, s12
	s_and_b32 s18, s6, s8
	s_and_saveexec_b32 s12, s18
	s_cbranch_execnz .LBB223_123
.LBB223_98:
	s_or_b32 exec_lo, exec_lo, s12
	s_and_b32 s12, s7, s8
	s_and_saveexec_b32 s8, s12
	s_cbranch_execnz .LBB223_127
	s_branch .LBB223_131
.LBB223_99:
	v_cmp_ne_u32_e32 vcc_lo, 1, v68
	s_cbranch_vccnz .LBB223_101
; %bb.100:
	v_lshlrev_b64 v[108:109], 1, v[32:33]
	v_add_co_u32 v108, vcc_lo, v106, v108
	v_add_co_ci_u32_e64 v109, null, v107, v109, vcc_lo
	flat_load_ushort v108, v[108:109]
	s_waitcnt vmcnt(0) lgkmcnt(0)
	v_mul_f16_e32 v108, s15, v108
	v_cvt_f32_f16_e32 v108, v108
	s_branch .LBB223_102
.LBB223_101:
	v_mov_b32_e32 v108, 0
.LBB223_102:
	v_pk_add_f16 v109, v16, v30
	v_pk_add_f16 v110, v17, v31
	v_max_f16_e32 v111, v105, v105
	v_lshrrev_b32_e32 v105, 16, v105
	v_max_f32_e32 v108, v108, v108
	v_lshrrev_b32_e32 v112, 16, v109
	v_lshrrev_b32_e32 v113, 16, v110
	v_min_f16_e32 v109, v111, v109
	v_min3_f16 v105, v105, v112, v113
	v_min3_f16 v105, v109, v110, v105
	v_cvt_f32_f16_e32 v105, v105
	v_min_f32_e32 v105, v108, v105
	v_lshlrev_b64 v[108:109], 1, v[32:33]
	v_cvt_f16_f32_e32 v105, v105
	v_add_co_u32 v108, vcc_lo, v28, v108
	v_add_co_ci_u32_e64 v109, null, v29, v109, vcc_lo
	flat_store_short v[108:109], v105
	s_or_b32 exec_lo, exec_lo, s12
	s_and_b32 s18, s1, s8
	s_and_saveexec_b32 s12, s18
	s_cbranch_execz .LBB223_93
.LBB223_103:
	v_cmp_ne_u32_e32 vcc_lo, 1, v68
	s_cbranch_vccnz .LBB223_105
; %bb.104:
	v_lshlrev_b64 v[108:109], 1, v[34:35]
	v_add_co_u32 v108, vcc_lo, v106, v108
	v_add_co_ci_u32_e64 v109, null, v107, v109, vcc_lo
	flat_load_ushort v105, v[108:109]
	s_waitcnt vmcnt(0) lgkmcnt(0)
	v_mul_f16_e32 v105, s15, v105
	v_cvt_f32_f16_e32 v105, v105
	s_branch .LBB223_106
.LBB223_105:
	v_mov_b32_e32 v105, 0
.LBB223_106:
	v_pk_add_f16 v108, v18, v30
	v_pk_add_f16 v109, v19, v31
	v_max_f16_e32 v110, v104, v104
	v_lshrrev_b32_e32 v104, 16, v104
	v_max_f32_e32 v105, v105, v105
	v_lshrrev_b32_e32 v111, 16, v108
	v_lshrrev_b32_e32 v112, 16, v109
	v_min_f16_e32 v108, v110, v108
	v_min3_f16 v104, v104, v111, v112
	v_min3_f16 v104, v108, v109, v104
	v_cvt_f32_f16_e32 v104, v104
	v_min_f32_e32 v108, v105, v104
	v_lshlrev_b64 v[104:105], 1, v[34:35]
	v_cvt_f16_f32_e32 v108, v108
	v_add_co_u32 v104, vcc_lo, v28, v104
	v_add_co_ci_u32_e64 v105, null, v29, v105, vcc_lo
	flat_store_short v[104:105], v108
	s_or_b32 exec_lo, exec_lo, s12
	s_and_b32 s18, s2, s8
	s_and_saveexec_b32 s12, s18
	s_cbranch_execz .LBB223_94
.LBB223_107:
	v_cmp_ne_u32_e32 vcc_lo, 1, v68
	s_cbranch_vccnz .LBB223_109
; %bb.108:
	v_lshlrev_b64 v[104:105], 1, v[36:37]
	v_add_co_u32 v104, vcc_lo, v106, v104
	v_add_co_ci_u32_e64 v105, null, v107, v105, vcc_lo
	flat_load_ushort v104, v[104:105]
	s_waitcnt vmcnt(0) lgkmcnt(0)
	v_mul_f16_e32 v104, s15, v104
	v_cvt_f32_f16_e32 v104, v104
	s_branch .LBB223_110
.LBB223_109:
	v_mov_b32_e32 v104, 0
.LBB223_110:
	v_pk_add_f16 v105, v12, v30
	v_pk_add_f16 v108, v13, v31
	v_max_f16_e32 v109, v103, v103
	v_lshrrev_b32_e32 v103, 16, v103
	v_max_f32_e32 v104, v104, v104
	v_lshrrev_b32_e32 v110, 16, v105
	v_lshrrev_b32_e32 v111, 16, v108
	v_min_f16_e32 v105, v109, v105
	v_min3_f16 v103, v103, v110, v111
	v_min3_f16 v103, v105, v108, v103
	v_cvt_f32_f16_e32 v103, v103
	v_min_f32_e32 v105, v104, v103
	v_lshlrev_b64 v[103:104], 1, v[36:37]
	v_cvt_f16_f32_e32 v105, v105
	v_add_co_u32 v103, vcc_lo, v28, v103
	v_add_co_ci_u32_e64 v104, null, v29, v104, vcc_lo
	flat_store_short v[103:104], v105
	s_or_b32 exec_lo, exec_lo, s12
	s_and_b32 s18, s3, s8
	s_and_saveexec_b32 s12, s18
	s_cbranch_execz .LBB223_95
.LBB223_111:
	v_cmp_ne_u32_e32 vcc_lo, 1, v68
	s_cbranch_vccnz .LBB223_113
; %bb.112:
	v_lshlrev_b64 v[103:104], 1, v[38:39]
	v_add_co_u32 v103, vcc_lo, v106, v103
	v_add_co_ci_u32_e64 v104, null, v107, v104, vcc_lo
	flat_load_ushort v103, v[103:104]
	s_waitcnt vmcnt(0) lgkmcnt(0)
	v_mul_f16_e32 v103, s15, v103
	v_cvt_f32_f16_e32 v103, v103
	s_branch .LBB223_114
.LBB223_113:
	v_mov_b32_e32 v103, 0
.LBB223_114:
	v_pk_add_f16 v104, v14, v30
	v_pk_add_f16 v105, v15, v31
	v_max_f16_e32 v108, v102, v102
	v_lshrrev_b32_e32 v102, 16, v102
	v_max_f32_e32 v103, v103, v103
	v_lshrrev_b32_e32 v109, 16, v104
	v_lshrrev_b32_e32 v110, 16, v105
	v_min_f16_e32 v104, v108, v104
	v_min3_f16 v102, v102, v109, v110
	v_min3_f16 v102, v104, v105, v102
	v_cvt_f32_f16_e32 v102, v102
	v_min_f32_e32 v104, v103, v102
	v_lshlrev_b64 v[102:103], 1, v[38:39]
	v_cvt_f16_f32_e32 v104, v104
	v_add_co_u32 v102, vcc_lo, v28, v102
	v_add_co_ci_u32_e64 v103, null, v29, v103, vcc_lo
	flat_store_short v[102:103], v104
	s_or_b32 exec_lo, exec_lo, s12
	s_and_b32 s18, s4, s8
	s_and_saveexec_b32 s12, s18
	s_cbranch_execz .LBB223_96
.LBB223_115:
	v_cmp_ne_u32_e32 vcc_lo, 1, v68
	s_cbranch_vccnz .LBB223_117
; %bb.116:
	v_lshlrev_b64 v[102:103], 1, v[40:41]
	v_add_co_u32 v102, vcc_lo, v106, v102
	v_add_co_ci_u32_e64 v103, null, v107, v103, vcc_lo
	flat_load_ushort v102, v[102:103]
	s_waitcnt vmcnt(0) lgkmcnt(0)
	v_mul_f16_e32 v102, s15, v102
	v_cvt_f32_f16_e32 v102, v102
	s_branch .LBB223_118
.LBB223_117:
	v_mov_b32_e32 v102, 0
.LBB223_118:
	v_pk_add_f16 v103, v8, v30
	v_pk_add_f16 v104, v9, v31
	v_max_f16_e32 v105, v101, v101
	v_lshrrev_b32_e32 v101, 16, v101
	v_max_f32_e32 v102, v102, v102
	v_lshrrev_b32_e32 v108, 16, v103
	v_lshrrev_b32_e32 v109, 16, v104
	v_min_f16_e32 v103, v105, v103
	v_min3_f16 v101, v101, v108, v109
	v_min3_f16 v101, v103, v104, v101
	v_cvt_f32_f16_e32 v101, v101
	v_min_f32_e32 v103, v102, v101
	v_lshlrev_b64 v[101:102], 1, v[40:41]
	v_cvt_f16_f32_e32 v103, v103
	v_add_co_u32 v101, vcc_lo, v28, v101
	v_add_co_ci_u32_e64 v102, null, v29, v102, vcc_lo
	flat_store_short v[101:102], v103
	s_or_b32 exec_lo, exec_lo, s12
	s_and_b32 s18, s5, s8
	s_and_saveexec_b32 s12, s18
	s_cbranch_execz .LBB223_97
.LBB223_119:
	v_cmp_ne_u32_e32 vcc_lo, 1, v68
	s_cbranch_vccnz .LBB223_121
; %bb.120:
	v_lshlrev_b64 v[101:102], 1, v[42:43]
	v_add_co_u32 v101, vcc_lo, v106, v101
	v_add_co_ci_u32_e64 v102, null, v107, v102, vcc_lo
	flat_load_ushort v101, v[101:102]
	s_waitcnt vmcnt(0) lgkmcnt(0)
	v_mul_f16_e32 v101, s15, v101
	v_cvt_f32_f16_e32 v101, v101
	s_branch .LBB223_122
.LBB223_121:
	v_mov_b32_e32 v101, 0
.LBB223_122:
	v_pk_add_f16 v102, v10, v30
	v_pk_add_f16 v103, v11, v31
	v_max_f16_e32 v104, v100, v100
	v_lshrrev_b32_e32 v100, 16, v100
	v_max_f32_e32 v101, v101, v101
	v_lshrrev_b32_e32 v105, 16, v102
	v_lshrrev_b32_e32 v108, 16, v103
	v_min_f16_e32 v102, v104, v102
	v_min3_f16 v100, v100, v105, v108
	v_min3_f16 v100, v102, v103, v100
	v_cvt_f32_f16_e32 v100, v100
	v_min_f32_e32 v102, v101, v100
	v_lshlrev_b64 v[100:101], 1, v[42:43]
	v_cvt_f16_f32_e32 v102, v102
	v_add_co_u32 v100, vcc_lo, v28, v100
	v_add_co_ci_u32_e64 v101, null, v29, v101, vcc_lo
	flat_store_short v[100:101], v102
	s_or_b32 exec_lo, exec_lo, s12
	s_and_b32 s18, s6, s8
	s_and_saveexec_b32 s12, s18
	s_cbranch_execz .LBB223_98
.LBB223_123:
	v_cmp_ne_u32_e32 vcc_lo, 1, v68
	s_cbranch_vccnz .LBB223_125
; %bb.124:
	v_lshlrev_b64 v[100:101], 1, v[44:45]
	v_add_co_u32 v100, vcc_lo, v106, v100
	v_add_co_ci_u32_e64 v101, null, v107, v101, vcc_lo
	flat_load_ushort v100, v[100:101]
	s_waitcnt vmcnt(0) lgkmcnt(0)
	v_mul_f16_e32 v100, s15, v100
	v_cvt_f32_f16_e32 v100, v100
	s_branch .LBB223_126
.LBB223_125:
	v_mov_b32_e32 v100, 0
.LBB223_126:
	v_pk_add_f16 v101, v0, v30
	v_pk_add_f16 v102, v1, v31
	v_max_f16_e32 v103, v99, v99
	v_lshrrev_b32_e32 v99, 16, v99
	v_max_f32_e32 v100, v100, v100
	v_lshrrev_b32_e32 v104, 16, v101
	v_lshrrev_b32_e32 v105, 16, v102
	v_min_f16_e32 v101, v103, v101
	v_min3_f16 v99, v99, v104, v105
	v_min3_f16 v99, v101, v102, v99
	v_cvt_f32_f16_e32 v99, v99
	v_min_f32_e32 v101, v100, v99
	v_lshlrev_b64 v[99:100], 1, v[44:45]
	v_cvt_f16_f32_e32 v101, v101
	v_add_co_u32 v99, vcc_lo, v28, v99
	v_add_co_ci_u32_e64 v100, null, v29, v100, vcc_lo
	flat_store_short v[99:100], v101
	s_or_b32 exec_lo, exec_lo, s12
	s_and_b32 s12, s7, s8
	s_and_saveexec_b32 s8, s12
	s_cbranch_execz .LBB223_131
.LBB223_127:
	v_cmp_ne_u32_e32 vcc_lo, 1, v68
	s_cbranch_vccnz .LBB223_129
; %bb.128:
	v_lshlrev_b64 v[99:100], 1, v[46:47]
	v_add_co_u32 v99, vcc_lo, v106, v99
	v_add_co_ci_u32_e64 v100, null, v107, v100, vcc_lo
	flat_load_ushort v99, v[99:100]
	s_waitcnt vmcnt(0) lgkmcnt(0)
	v_mul_f16_e32 v99, s15, v99
	v_cvt_f32_f16_e32 v99, v99
	s_branch .LBB223_130
.LBB223_129:
	v_mov_b32_e32 v99, 0
.LBB223_130:
	v_pk_add_f16 v30, v2, v30
	v_pk_add_f16 v31, v3, v31
	v_max_f16_e32 v100, v98, v98
	v_lshrrev_b32_e32 v98, 16, v98
	v_lshrrev_b32_e32 v101, 16, v30
	;; [unrolled: 1-line block ×3, first 2 shown]
	v_min_f16_e32 v30, v100, v30
	v_min3_f16 v98, v98, v101, v102
	v_min3_f16 v30, v30, v31, v98
	v_max_f32_e32 v31, v99, v99
	v_cvt_f32_f16_e32 v30, v30
	v_min_f32_e32 v98, v31, v30
	v_lshlrev_b64 v[30:31], 1, v[46:47]
	v_cvt_f16_f32_e32 v98, v98
	v_add_co_u32 v28, vcc_lo, v28, v30
	v_add_co_ci_u32_e64 v29, null, v29, v31, vcc_lo
	flat_store_short v[28:29], v98
.LBB223_131:
	s_or_b32 exec_lo, exec_lo, s8
	v_add_nc_u32_e32 v98, 64, v77
	v_mad_i64_i32 v[28:29], null, v98, s14, 0
	v_mad_i64_i32 v[30:31], null, v98, s9, 0
	v_cmp_gt_i32_e64 s8, s13, v98
	v_lshlrev_b64 v[28:29], 1, v[28:29]
	s_and_b32 s18, s0, s8
	v_lshlrev_b64 v[98:99], 1, v[30:31]
	v_add_co_u32 v30, vcc_lo, s10, v28
	v_add_co_ci_u32_e64 v31, null, s11, v29, vcc_lo
	v_add_co_u32 v28, vcc_lo, s16, v98
	v_add_co_ci_u32_e64 v29, null, s17, v99, vcc_lo
	s_and_saveexec_b32 s12, s18
	s_cbranch_execnz .LBB223_139
; %bb.132:
	s_or_b32 exec_lo, exec_lo, s12
	s_and_b32 s18, s1, s8
	s_and_saveexec_b32 s12, s18
	s_cbranch_execnz .LBB223_143
.LBB223_133:
	s_or_b32 exec_lo, exec_lo, s12
	s_and_b32 s18, s2, s8
	s_and_saveexec_b32 s12, s18
	s_cbranch_execnz .LBB223_147
.LBB223_134:
	s_or_b32 exec_lo, exec_lo, s12
	s_and_b32 s18, s3, s8
	s_and_saveexec_b32 s12, s18
	s_cbranch_execnz .LBB223_151
.LBB223_135:
	s_or_b32 exec_lo, exec_lo, s12
	s_and_b32 s18, s4, s8
	s_and_saveexec_b32 s12, s18
	s_cbranch_execnz .LBB223_155
.LBB223_136:
	s_or_b32 exec_lo, exec_lo, s12
	s_and_b32 s18, s5, s8
	s_and_saveexec_b32 s12, s18
	s_cbranch_execnz .LBB223_159
.LBB223_137:
	s_or_b32 exec_lo, exec_lo, s12
	s_and_b32 s18, s6, s8
	s_and_saveexec_b32 s12, s18
	s_cbranch_execnz .LBB223_163
.LBB223_138:
	s_or_b32 exec_lo, exec_lo, s12
	s_and_b32 s12, s7, s8
	s_and_saveexec_b32 s8, s12
	s_cbranch_execnz .LBB223_167
	s_branch .LBB223_171
.LBB223_139:
	v_cmp_ne_u32_e32 vcc_lo, 1, v68
	s_cbranch_vccnz .LBB223_141
; %bb.140:
	v_lshlrev_b64 v[98:99], 1, v[32:33]
	v_add_co_u32 v98, vcc_lo, v30, v98
	v_add_co_ci_u32_e64 v99, null, v31, v99, vcc_lo
	flat_load_ushort v98, v[98:99]
	s_waitcnt vmcnt(0) lgkmcnt(0)
	v_mul_f16_e32 v98, s15, v98
	v_cvt_f32_f16_e32 v98, v98
	s_branch .LBB223_142
.LBB223_141:
	v_mov_b32_e32 v98, 0
.LBB223_142:
	v_pk_add_f16 v99, v16, v24
	v_pk_add_f16 v100, v17, v25
	v_max_f16_e32 v101, v97, v97
	v_lshrrev_b32_e32 v97, 16, v97
	v_max_f32_e32 v98, v98, v98
	v_lshrrev_b32_e32 v102, 16, v99
	v_lshrrev_b32_e32 v103, 16, v100
	v_min_f16_e32 v99, v101, v99
	v_min3_f16 v97, v97, v102, v103
	v_min3_f16 v97, v99, v100, v97
	v_cvt_f32_f16_e32 v97, v97
	v_min_f32_e32 v99, v98, v97
	v_lshlrev_b64 v[97:98], 1, v[32:33]
	v_cvt_f16_f32_e32 v99, v99
	v_add_co_u32 v97, vcc_lo, v28, v97
	v_add_co_ci_u32_e64 v98, null, v29, v98, vcc_lo
	flat_store_short v[97:98], v99
	s_or_b32 exec_lo, exec_lo, s12
	s_and_b32 s18, s1, s8
	s_and_saveexec_b32 s12, s18
	s_cbranch_execz .LBB223_133
.LBB223_143:
	v_cmp_ne_u32_e32 vcc_lo, 1, v68
	s_cbranch_vccnz .LBB223_145
; %bb.144:
	v_lshlrev_b64 v[97:98], 1, v[34:35]
	v_add_co_u32 v97, vcc_lo, v30, v97
	v_add_co_ci_u32_e64 v98, null, v31, v98, vcc_lo
	flat_load_ushort v97, v[97:98]
	s_waitcnt vmcnt(0) lgkmcnt(0)
	v_mul_f16_e32 v97, s15, v97
	v_cvt_f32_f16_e32 v97, v97
	s_branch .LBB223_146
.LBB223_145:
	v_mov_b32_e32 v97, 0
.LBB223_146:
	v_pk_add_f16 v98, v18, v24
	v_pk_add_f16 v99, v19, v25
	v_max_f16_e32 v100, v96, v96
	v_lshrrev_b32_e32 v96, 16, v96
	v_max_f32_e32 v97, v97, v97
	v_lshrrev_b32_e32 v101, 16, v98
	v_lshrrev_b32_e32 v102, 16, v99
	v_min_f16_e32 v98, v100, v98
	v_min3_f16 v96, v96, v101, v102
	v_min3_f16 v96, v98, v99, v96
	v_cvt_f32_f16_e32 v96, v96
	v_min_f32_e32 v98, v97, v96
	v_lshlrev_b64 v[96:97], 1, v[34:35]
	v_cvt_f16_f32_e32 v98, v98
	v_add_co_u32 v96, vcc_lo, v28, v96
	v_add_co_ci_u32_e64 v97, null, v29, v97, vcc_lo
	flat_store_short v[96:97], v98
	s_or_b32 exec_lo, exec_lo, s12
	s_and_b32 s18, s2, s8
	s_and_saveexec_b32 s12, s18
	s_cbranch_execz .LBB223_134
.LBB223_147:
	v_cmp_ne_u32_e32 vcc_lo, 1, v68
	s_cbranch_vccnz .LBB223_149
; %bb.148:
	v_lshlrev_b64 v[96:97], 1, v[36:37]
	v_add_co_u32 v96, vcc_lo, v30, v96
	v_add_co_ci_u32_e64 v97, null, v31, v97, vcc_lo
	flat_load_ushort v96, v[96:97]
	s_waitcnt vmcnt(0) lgkmcnt(0)
	v_mul_f16_e32 v96, s15, v96
	v_cvt_f32_f16_e32 v96, v96
	s_branch .LBB223_150
.LBB223_149:
	v_mov_b32_e32 v96, 0
.LBB223_150:
	v_pk_add_f16 v97, v12, v24
	v_pk_add_f16 v98, v13, v25
	v_max_f16_e32 v99, v95, v95
	v_lshrrev_b32_e32 v95, 16, v95
	v_max_f32_e32 v96, v96, v96
	v_lshrrev_b32_e32 v100, 16, v97
	v_lshrrev_b32_e32 v101, 16, v98
	v_min_f16_e32 v97, v99, v97
	v_min3_f16 v95, v95, v100, v101
	v_min3_f16 v95, v97, v98, v95
	v_cvt_f32_f16_e32 v95, v95
	v_min_f32_e32 v97, v96, v95
	v_lshlrev_b64 v[95:96], 1, v[36:37]
	v_cvt_f16_f32_e32 v97, v97
	v_add_co_u32 v95, vcc_lo, v28, v95
	v_add_co_ci_u32_e64 v96, null, v29, v96, vcc_lo
	flat_store_short v[95:96], v97
	s_or_b32 exec_lo, exec_lo, s12
	s_and_b32 s18, s3, s8
	s_and_saveexec_b32 s12, s18
	s_cbranch_execz .LBB223_135
.LBB223_151:
	v_cmp_ne_u32_e32 vcc_lo, 1, v68
	s_cbranch_vccnz .LBB223_153
; %bb.152:
	v_lshlrev_b64 v[95:96], 1, v[38:39]
	v_add_co_u32 v95, vcc_lo, v30, v95
	v_add_co_ci_u32_e64 v96, null, v31, v96, vcc_lo
	flat_load_ushort v95, v[95:96]
	s_waitcnt vmcnt(0) lgkmcnt(0)
	v_mul_f16_e32 v95, s15, v95
	v_cvt_f32_f16_e32 v95, v95
	s_branch .LBB223_154
.LBB223_153:
	v_mov_b32_e32 v95, 0
.LBB223_154:
	v_pk_add_f16 v96, v14, v24
	v_pk_add_f16 v97, v15, v25
	v_max_f16_e32 v98, v94, v94
	v_lshrrev_b32_e32 v94, 16, v94
	v_max_f32_e32 v95, v95, v95
	v_lshrrev_b32_e32 v99, 16, v96
	v_lshrrev_b32_e32 v100, 16, v97
	v_min_f16_e32 v96, v98, v96
	v_min3_f16 v94, v94, v99, v100
	v_min3_f16 v94, v96, v97, v94
	v_cvt_f32_f16_e32 v94, v94
	v_min_f32_e32 v96, v95, v94
	v_lshlrev_b64 v[94:95], 1, v[38:39]
	v_cvt_f16_f32_e32 v96, v96
	v_add_co_u32 v94, vcc_lo, v28, v94
	v_add_co_ci_u32_e64 v95, null, v29, v95, vcc_lo
	flat_store_short v[94:95], v96
	s_or_b32 exec_lo, exec_lo, s12
	s_and_b32 s18, s4, s8
	s_and_saveexec_b32 s12, s18
	s_cbranch_execz .LBB223_136
.LBB223_155:
	v_cmp_ne_u32_e32 vcc_lo, 1, v68
	s_cbranch_vccnz .LBB223_157
; %bb.156:
	v_lshlrev_b64 v[94:95], 1, v[40:41]
	v_add_co_u32 v94, vcc_lo, v30, v94
	v_add_co_ci_u32_e64 v95, null, v31, v95, vcc_lo
	flat_load_ushort v94, v[94:95]
	s_waitcnt vmcnt(0) lgkmcnt(0)
	v_mul_f16_e32 v94, s15, v94
	v_cvt_f32_f16_e32 v94, v94
	s_branch .LBB223_158
.LBB223_157:
	v_mov_b32_e32 v94, 0
.LBB223_158:
	v_pk_add_f16 v95, v8, v24
	v_pk_add_f16 v96, v9, v25
	v_max_f16_e32 v97, v93, v93
	v_lshrrev_b32_e32 v93, 16, v93
	v_max_f32_e32 v94, v94, v94
	v_lshrrev_b32_e32 v98, 16, v95
	v_lshrrev_b32_e32 v99, 16, v96
	v_min_f16_e32 v95, v97, v95
	v_min3_f16 v93, v93, v98, v99
	v_min3_f16 v93, v95, v96, v93
	v_cvt_f32_f16_e32 v93, v93
	v_min_f32_e32 v95, v94, v93
	v_lshlrev_b64 v[93:94], 1, v[40:41]
	v_cvt_f16_f32_e32 v95, v95
	v_add_co_u32 v93, vcc_lo, v28, v93
	v_add_co_ci_u32_e64 v94, null, v29, v94, vcc_lo
	flat_store_short v[93:94], v95
	s_or_b32 exec_lo, exec_lo, s12
	s_and_b32 s18, s5, s8
	s_and_saveexec_b32 s12, s18
	s_cbranch_execz .LBB223_137
.LBB223_159:
	v_cmp_ne_u32_e32 vcc_lo, 1, v68
	s_cbranch_vccnz .LBB223_161
; %bb.160:
	v_lshlrev_b64 v[93:94], 1, v[42:43]
	v_add_co_u32 v93, vcc_lo, v30, v93
	v_add_co_ci_u32_e64 v94, null, v31, v94, vcc_lo
	flat_load_ushort v93, v[93:94]
	s_waitcnt vmcnt(0) lgkmcnt(0)
	v_mul_f16_e32 v93, s15, v93
	v_cvt_f32_f16_e32 v93, v93
	s_branch .LBB223_162
.LBB223_161:
	v_mov_b32_e32 v93, 0
.LBB223_162:
	v_pk_add_f16 v94, v10, v24
	v_pk_add_f16 v95, v11, v25
	v_max_f16_e32 v96, v92, v92
	v_lshrrev_b32_e32 v92, 16, v92
	v_max_f32_e32 v93, v93, v93
	v_lshrrev_b32_e32 v97, 16, v94
	v_lshrrev_b32_e32 v98, 16, v95
	v_min_f16_e32 v94, v96, v94
	v_min3_f16 v92, v92, v97, v98
	v_min3_f16 v92, v94, v95, v92
	v_cvt_f32_f16_e32 v92, v92
	v_min_f32_e32 v94, v93, v92
	v_lshlrev_b64 v[92:93], 1, v[42:43]
	v_cvt_f16_f32_e32 v94, v94
	v_add_co_u32 v92, vcc_lo, v28, v92
	v_add_co_ci_u32_e64 v93, null, v29, v93, vcc_lo
	flat_store_short v[92:93], v94
	s_or_b32 exec_lo, exec_lo, s12
	s_and_b32 s18, s6, s8
	s_and_saveexec_b32 s12, s18
	s_cbranch_execz .LBB223_138
.LBB223_163:
	v_cmp_ne_u32_e32 vcc_lo, 1, v68
	s_cbranch_vccnz .LBB223_165
; %bb.164:
	v_lshlrev_b64 v[92:93], 1, v[44:45]
	v_add_co_u32 v92, vcc_lo, v30, v92
	v_add_co_ci_u32_e64 v93, null, v31, v93, vcc_lo
	flat_load_ushort v92, v[92:93]
	s_waitcnt vmcnt(0) lgkmcnt(0)
	v_mul_f16_e32 v92, s15, v92
	v_cvt_f32_f16_e32 v92, v92
	s_branch .LBB223_166
.LBB223_165:
	v_mov_b32_e32 v92, 0
.LBB223_166:
	v_pk_add_f16 v93, v0, v24
	v_pk_add_f16 v94, v1, v25
	v_max_f16_e32 v95, v91, v91
	v_lshrrev_b32_e32 v91, 16, v91
	v_max_f32_e32 v92, v92, v92
	v_lshrrev_b32_e32 v96, 16, v93
	v_lshrrev_b32_e32 v97, 16, v94
	v_min_f16_e32 v93, v95, v93
	v_min3_f16 v91, v91, v96, v97
	v_min3_f16 v91, v93, v94, v91
	v_cvt_f32_f16_e32 v91, v91
	v_min_f32_e32 v93, v92, v91
	v_lshlrev_b64 v[91:92], 1, v[44:45]
	v_cvt_f16_f32_e32 v93, v93
	v_add_co_u32 v91, vcc_lo, v28, v91
	v_add_co_ci_u32_e64 v92, null, v29, v92, vcc_lo
	flat_store_short v[91:92], v93
	s_or_b32 exec_lo, exec_lo, s12
	s_and_b32 s12, s7, s8
	s_and_saveexec_b32 s8, s12
	s_cbranch_execz .LBB223_171
.LBB223_167:
	v_cmp_ne_u32_e32 vcc_lo, 1, v68
	s_cbranch_vccnz .LBB223_169
; %bb.168:
	v_lshlrev_b64 v[91:92], 1, v[46:47]
	v_add_co_u32 v30, vcc_lo, v30, v91
	v_add_co_ci_u32_e64 v31, null, v31, v92, vcc_lo
	flat_load_ushort v30, v[30:31]
	s_waitcnt vmcnt(0) lgkmcnt(0)
	v_mul_f16_e32 v30, s15, v30
	v_cvt_f32_f16_e32 v30, v30
	s_branch .LBB223_170
.LBB223_169:
	v_mov_b32_e32 v30, 0
.LBB223_170:
	v_pk_add_f16 v24, v2, v24
	v_pk_add_f16 v25, v3, v25
	v_max_f16_e32 v31, v90, v90
	v_lshrrev_b32_e32 v90, 16, v90
	v_lshrrev_b32_e32 v91, 16, v24
	;; [unrolled: 1-line block ×3, first 2 shown]
	v_min_f16_e32 v24, v31, v24
	v_min3_f16 v31, v90, v91, v92
	v_min3_f16 v24, v24, v25, v31
	v_max_f32_e32 v25, v30, v30
	v_cvt_f32_f16_e32 v24, v24
	v_min_f32_e32 v30, v25, v24
	v_lshlrev_b64 v[24:25], 1, v[46:47]
	v_cvt_f16_f32_e32 v30, v30
	v_add_co_u32 v24, vcc_lo, v28, v24
	v_add_co_ci_u32_e64 v25, null, v29, v25, vcc_lo
	flat_store_short v[24:25], v30
.LBB223_171:
	s_or_b32 exec_lo, exec_lo, s8
	v_add_nc_u32_e32 v30, 0x60, v77
	v_mad_i64_i32 v[24:25], null, v30, s14, 0
	v_mad_i64_i32 v[28:29], null, v30, s9, 0
	v_cmp_gt_i32_e64 s8, s13, v30
	v_lshlrev_b64 v[24:25], 1, v[24:25]
	s_and_b32 s18, s0, s8
	v_lshlrev_b64 v[30:31], 1, v[28:29]
	v_add_co_u32 v28, vcc_lo, s10, v24
	v_add_co_ci_u32_e64 v29, null, s11, v25, vcc_lo
	v_add_co_u32 v24, vcc_lo, s16, v30
	v_add_co_ci_u32_e64 v25, null, s17, v31, vcc_lo
	s_and_saveexec_b32 s12, s18
	s_cbranch_execnz .LBB223_179
; %bb.172:
	s_or_b32 exec_lo, exec_lo, s12
	s_and_b32 s18, s1, s8
	s_and_saveexec_b32 s12, s18
	s_cbranch_execnz .LBB223_183
.LBB223_173:
	s_or_b32 exec_lo, exec_lo, s12
	s_and_b32 s18, s2, s8
	s_and_saveexec_b32 s12, s18
	s_cbranch_execnz .LBB223_187
.LBB223_174:
	s_or_b32 exec_lo, exec_lo, s12
	s_and_b32 s18, s3, s8
	s_and_saveexec_b32 s12, s18
	s_cbranch_execnz .LBB223_191
.LBB223_175:
	s_or_b32 exec_lo, exec_lo, s12
	s_and_b32 s18, s4, s8
	s_and_saveexec_b32 s12, s18
	s_cbranch_execnz .LBB223_195
.LBB223_176:
	s_or_b32 exec_lo, exec_lo, s12
	s_and_b32 s18, s5, s8
	s_and_saveexec_b32 s12, s18
	s_cbranch_execnz .LBB223_199
.LBB223_177:
	s_or_b32 exec_lo, exec_lo, s12
	s_and_b32 s18, s6, s8
	s_and_saveexec_b32 s12, s18
	s_cbranch_execnz .LBB223_203
.LBB223_178:
	s_or_b32 exec_lo, exec_lo, s12
	s_and_b32 s12, s7, s8
	s_and_saveexec_b32 s8, s12
	s_cbranch_execnz .LBB223_207
	s_branch .LBB223_211
.LBB223_179:
	v_cmp_ne_u32_e32 vcc_lo, 1, v68
	s_cbranch_vccnz .LBB223_181
; %bb.180:
	v_lshlrev_b64 v[30:31], 1, v[32:33]
	v_add_co_u32 v30, vcc_lo, v28, v30
	v_add_co_ci_u32_e64 v31, null, v29, v31, vcc_lo
	flat_load_ushort v30, v[30:31]
	s_waitcnt vmcnt(0) lgkmcnt(0)
	v_mul_f16_e32 v30, s15, v30
	v_cvt_f32_f16_e32 v30, v30
	s_branch .LBB223_182
.LBB223_181:
	v_mov_b32_e32 v30, 0
.LBB223_182:
	v_pk_add_f16 v31, v16, v26
	v_pk_add_f16 v90, v17, v27
	v_max_f16_e32 v91, v89, v89
	v_lshrrev_b32_e32 v89, 16, v89
	v_max_f32_e32 v30, v30, v30
	v_lshrrev_b32_e32 v92, 16, v31
	v_lshrrev_b32_e32 v93, 16, v90
	v_min_f16_e32 v31, v91, v31
	v_min3_f16 v89, v89, v92, v93
	v_min3_f16 v31, v31, v90, v89
	v_cvt_f32_f16_e32 v31, v31
	v_min_f32_e32 v89, v30, v31
	v_lshlrev_b64 v[30:31], 1, v[32:33]
	v_cvt_f16_f32_e32 v89, v89
	v_add_co_u32 v30, vcc_lo, v24, v30
	v_add_co_ci_u32_e64 v31, null, v25, v31, vcc_lo
	flat_store_short v[30:31], v89
	s_or_b32 exec_lo, exec_lo, s12
	s_and_b32 s18, s1, s8
	s_and_saveexec_b32 s12, s18
	s_cbranch_execz .LBB223_173
.LBB223_183:
	v_cmp_ne_u32_e32 vcc_lo, 1, v68
	s_cbranch_vccnz .LBB223_185
; %bb.184:
	v_lshlrev_b64 v[30:31], 1, v[34:35]
	v_add_co_u32 v30, vcc_lo, v28, v30
	v_add_co_ci_u32_e64 v31, null, v29, v31, vcc_lo
	flat_load_ushort v30, v[30:31]
	s_waitcnt vmcnt(0) lgkmcnt(0)
	v_mul_f16_e32 v30, s15, v30
	v_cvt_f32_f16_e32 v30, v30
	s_branch .LBB223_186
.LBB223_185:
	v_mov_b32_e32 v30, 0
.LBB223_186:
	v_pk_add_f16 v31, v18, v26
	v_pk_add_f16 v89, v19, v27
	v_max_f16_e32 v90, v88, v88
	v_lshrrev_b32_e32 v88, 16, v88
	v_max_f32_e32 v30, v30, v30
	v_lshrrev_b32_e32 v91, 16, v31
	v_lshrrev_b32_e32 v92, 16, v89
	v_min_f16_e32 v31, v90, v31
	v_min3_f16 v88, v88, v91, v92
	v_min3_f16 v31, v31, v89, v88
	v_cvt_f32_f16_e32 v31, v31
	v_min_f32_e32 v88, v30, v31
	v_lshlrev_b64 v[30:31], 1, v[34:35]
	v_cvt_f16_f32_e32 v88, v88
	v_add_co_u32 v30, vcc_lo, v24, v30
	v_add_co_ci_u32_e64 v31, null, v25, v31, vcc_lo
	flat_store_short v[30:31], v88
	s_or_b32 exec_lo, exec_lo, s12
	s_and_b32 s18, s2, s8
	s_and_saveexec_b32 s12, s18
	s_cbranch_execz .LBB223_174
.LBB223_187:
	v_cmp_ne_u32_e32 vcc_lo, 1, v68
	s_cbranch_vccnz .LBB223_189
; %bb.188:
	v_lshlrev_b64 v[30:31], 1, v[36:37]
	v_add_co_u32 v30, vcc_lo, v28, v30
	v_add_co_ci_u32_e64 v31, null, v29, v31, vcc_lo
	flat_load_ushort v30, v[30:31]
	s_waitcnt vmcnt(0) lgkmcnt(0)
	v_mul_f16_e32 v30, s15, v30
	v_cvt_f32_f16_e32 v30, v30
	s_branch .LBB223_190
.LBB223_189:
	v_mov_b32_e32 v30, 0
.LBB223_190:
	v_pk_add_f16 v31, v12, v26
	v_pk_add_f16 v88, v13, v27
	v_max_f16_e32 v89, v87, v87
	v_lshrrev_b32_e32 v87, 16, v87
	v_max_f32_e32 v30, v30, v30
	v_lshrrev_b32_e32 v90, 16, v31
	v_lshrrev_b32_e32 v91, 16, v88
	v_min_f16_e32 v31, v89, v31
	v_min3_f16 v87, v87, v90, v91
	v_min3_f16 v31, v31, v88, v87
	v_cvt_f32_f16_e32 v31, v31
	v_min_f32_e32 v87, v30, v31
	v_lshlrev_b64 v[30:31], 1, v[36:37]
	v_cvt_f16_f32_e32 v87, v87
	v_add_co_u32 v30, vcc_lo, v24, v30
	v_add_co_ci_u32_e64 v31, null, v25, v31, vcc_lo
	flat_store_short v[30:31], v87
	s_or_b32 exec_lo, exec_lo, s12
	s_and_b32 s18, s3, s8
	s_and_saveexec_b32 s12, s18
	s_cbranch_execz .LBB223_175
.LBB223_191:
	v_cmp_ne_u32_e32 vcc_lo, 1, v68
	s_cbranch_vccnz .LBB223_193
; %bb.192:
	v_lshlrev_b64 v[30:31], 1, v[38:39]
	v_add_co_u32 v30, vcc_lo, v28, v30
	v_add_co_ci_u32_e64 v31, null, v29, v31, vcc_lo
	flat_load_ushort v30, v[30:31]
	s_waitcnt vmcnt(0) lgkmcnt(0)
	v_mul_f16_e32 v30, s15, v30
	v_cvt_f32_f16_e32 v30, v30
	s_branch .LBB223_194
.LBB223_193:
	v_mov_b32_e32 v30, 0
.LBB223_194:
	v_pk_add_f16 v31, v14, v26
	v_pk_add_f16 v87, v15, v27
	v_max_f16_e32 v88, v86, v86
	v_lshrrev_b32_e32 v86, 16, v86
	v_max_f32_e32 v30, v30, v30
	v_lshrrev_b32_e32 v89, 16, v31
	v_lshrrev_b32_e32 v90, 16, v87
	v_min_f16_e32 v31, v88, v31
	v_min3_f16 v86, v86, v89, v90
	v_min3_f16 v31, v31, v87, v86
	v_cvt_f32_f16_e32 v31, v31
	v_min_f32_e32 v86, v30, v31
	v_lshlrev_b64 v[30:31], 1, v[38:39]
	v_cvt_f16_f32_e32 v86, v86
	v_add_co_u32 v30, vcc_lo, v24, v30
	v_add_co_ci_u32_e64 v31, null, v25, v31, vcc_lo
	flat_store_short v[30:31], v86
	s_or_b32 exec_lo, exec_lo, s12
	s_and_b32 s18, s4, s8
	s_and_saveexec_b32 s12, s18
	s_cbranch_execz .LBB223_176
.LBB223_195:
	v_cmp_ne_u32_e32 vcc_lo, 1, v68
	s_cbranch_vccnz .LBB223_197
; %bb.196:
	v_lshlrev_b64 v[30:31], 1, v[40:41]
	v_add_co_u32 v30, vcc_lo, v28, v30
	v_add_co_ci_u32_e64 v31, null, v29, v31, vcc_lo
	flat_load_ushort v30, v[30:31]
	s_waitcnt vmcnt(0) lgkmcnt(0)
	v_mul_f16_e32 v30, s15, v30
	v_cvt_f32_f16_e32 v30, v30
	s_branch .LBB223_198
.LBB223_197:
	v_mov_b32_e32 v30, 0
.LBB223_198:
	v_pk_add_f16 v31, v8, v26
	v_pk_add_f16 v86, v9, v27
	v_max_f16_e32 v87, v85, v85
	v_lshrrev_b32_e32 v85, 16, v85
	v_max_f32_e32 v30, v30, v30
	v_lshrrev_b32_e32 v88, 16, v31
	v_lshrrev_b32_e32 v89, 16, v86
	v_min_f16_e32 v31, v87, v31
	v_min3_f16 v85, v85, v88, v89
	v_min3_f16 v31, v31, v86, v85
	v_cvt_f32_f16_e32 v31, v31
	v_min_f32_e32 v85, v30, v31
	v_lshlrev_b64 v[30:31], 1, v[40:41]
	v_cvt_f16_f32_e32 v85, v85
	v_add_co_u32 v30, vcc_lo, v24, v30
	v_add_co_ci_u32_e64 v31, null, v25, v31, vcc_lo
	flat_store_short v[30:31], v85
	s_or_b32 exec_lo, exec_lo, s12
	s_and_b32 s18, s5, s8
	s_and_saveexec_b32 s12, s18
	s_cbranch_execz .LBB223_177
.LBB223_199:
	v_cmp_ne_u32_e32 vcc_lo, 1, v68
	s_cbranch_vccnz .LBB223_201
; %bb.200:
	v_lshlrev_b64 v[30:31], 1, v[42:43]
	v_add_co_u32 v30, vcc_lo, v28, v30
	v_add_co_ci_u32_e64 v31, null, v29, v31, vcc_lo
	flat_load_ushort v30, v[30:31]
	s_waitcnt vmcnt(0) lgkmcnt(0)
	v_mul_f16_e32 v30, s15, v30
	v_cvt_f32_f16_e32 v30, v30
	s_branch .LBB223_202
.LBB223_201:
	v_mov_b32_e32 v30, 0
.LBB223_202:
	v_pk_add_f16 v31, v10, v26
	v_pk_add_f16 v85, v11, v27
	v_max_f16_e32 v86, v84, v84
	v_lshrrev_b32_e32 v84, 16, v84
	v_max_f32_e32 v30, v30, v30
	v_lshrrev_b32_e32 v87, 16, v31
	v_lshrrev_b32_e32 v88, 16, v85
	v_min_f16_e32 v31, v86, v31
	v_min3_f16 v84, v84, v87, v88
	v_min3_f16 v31, v31, v85, v84
	v_cvt_f32_f16_e32 v31, v31
	v_min_f32_e32 v84, v30, v31
	v_lshlrev_b64 v[30:31], 1, v[42:43]
	v_cvt_f16_f32_e32 v84, v84
	v_add_co_u32 v30, vcc_lo, v24, v30
	v_add_co_ci_u32_e64 v31, null, v25, v31, vcc_lo
	flat_store_short v[30:31], v84
	s_or_b32 exec_lo, exec_lo, s12
	s_and_b32 s18, s6, s8
	s_and_saveexec_b32 s12, s18
	s_cbranch_execz .LBB223_178
.LBB223_203:
	v_cmp_ne_u32_e32 vcc_lo, 1, v68
	s_cbranch_vccnz .LBB223_205
; %bb.204:
	v_lshlrev_b64 v[30:31], 1, v[44:45]
	v_add_co_u32 v30, vcc_lo, v28, v30
	v_add_co_ci_u32_e64 v31, null, v29, v31, vcc_lo
	flat_load_ushort v30, v[30:31]
	s_waitcnt vmcnt(0) lgkmcnt(0)
	v_mul_f16_e32 v30, s15, v30
	v_cvt_f32_f16_e32 v30, v30
	s_branch .LBB223_206
.LBB223_205:
	v_mov_b32_e32 v30, 0
.LBB223_206:
	v_pk_add_f16 v31, v0, v26
	v_pk_add_f16 v84, v1, v27
	v_max_f16_e32 v85, v83, v83
	v_lshrrev_b32_e32 v83, 16, v83
	v_max_f32_e32 v30, v30, v30
	v_lshrrev_b32_e32 v86, 16, v31
	v_lshrrev_b32_e32 v87, 16, v84
	v_min_f16_e32 v31, v85, v31
	v_min3_f16 v83, v83, v86, v87
	v_min3_f16 v31, v31, v84, v83
	v_cvt_f32_f16_e32 v31, v31
	v_min_f32_e32 v83, v30, v31
	v_lshlrev_b64 v[30:31], 1, v[44:45]
	v_cvt_f16_f32_e32 v83, v83
	v_add_co_u32 v30, vcc_lo, v24, v30
	v_add_co_ci_u32_e64 v31, null, v25, v31, vcc_lo
	flat_store_short v[30:31], v83
	s_or_b32 exec_lo, exec_lo, s12
	s_and_b32 s12, s7, s8
	s_and_saveexec_b32 s8, s12
	s_cbranch_execz .LBB223_211
.LBB223_207:
	v_cmp_ne_u32_e32 vcc_lo, 1, v68
	s_cbranch_vccnz .LBB223_209
; %bb.208:
	v_lshlrev_b64 v[30:31], 1, v[46:47]
	v_add_co_u32 v28, vcc_lo, v28, v30
	v_add_co_ci_u32_e64 v29, null, v29, v31, vcc_lo
	flat_load_ushort v28, v[28:29]
	s_waitcnt vmcnt(0) lgkmcnt(0)
	v_mul_f16_e32 v28, s15, v28
	v_cvt_f32_f16_e32 v28, v28
	s_branch .LBB223_210
.LBB223_209:
	v_mov_b32_e32 v28, 0
.LBB223_210:
	v_pk_add_f16 v26, v2, v26
	v_pk_add_f16 v27, v3, v27
	v_max_f16_e32 v29, v82, v82
	v_lshrrev_b32_e32 v30, 16, v82
	v_lshrrev_b32_e32 v31, 16, v26
	;; [unrolled: 1-line block ×3, first 2 shown]
	v_min_f16_e32 v26, v29, v26
	v_min3_f16 v29, v30, v31, v82
	v_min3_f16 v26, v26, v27, v29
	v_max_f32_e32 v27, v28, v28
	v_cvt_f32_f16_e32 v26, v26
	v_min_f32_e32 v28, v27, v26
	v_lshlrev_b64 v[26:27], 1, v[46:47]
	v_cvt_f16_f32_e32 v28, v28
	v_add_co_u32 v24, vcc_lo, v24, v26
	v_add_co_ci_u32_e64 v25, null, v25, v27, vcc_lo
	flat_store_short v[24:25], v28
.LBB223_211:
	s_or_b32 exec_lo, exec_lo, s8
	v_add_nc_u32_e32 v28, 0x80, v77
	v_mad_i64_i32 v[24:25], null, v28, s14, 0
	v_mad_i64_i32 v[26:27], null, v28, s9, 0
	v_cmp_gt_i32_e64 s8, s13, v28
	v_lshlrev_b64 v[24:25], 1, v[24:25]
	s_and_b32 s18, s0, s8
	v_lshlrev_b64 v[28:29], 1, v[26:27]
	v_add_co_u32 v26, vcc_lo, s10, v24
	v_add_co_ci_u32_e64 v27, null, s11, v25, vcc_lo
	v_add_co_u32 v24, vcc_lo, s16, v28
	v_add_co_ci_u32_e64 v25, null, s17, v29, vcc_lo
	s_and_saveexec_b32 s12, s18
	s_cbranch_execnz .LBB223_219
; %bb.212:
	s_or_b32 exec_lo, exec_lo, s12
	s_and_b32 s18, s1, s8
	s_and_saveexec_b32 s12, s18
	s_cbranch_execnz .LBB223_223
.LBB223_213:
	s_or_b32 exec_lo, exec_lo, s12
	s_and_b32 s18, s2, s8
	s_and_saveexec_b32 s12, s18
	s_cbranch_execnz .LBB223_227
.LBB223_214:
	s_or_b32 exec_lo, exec_lo, s12
	s_and_b32 s18, s3, s8
	s_and_saveexec_b32 s12, s18
	s_cbranch_execnz .LBB223_231
.LBB223_215:
	s_or_b32 exec_lo, exec_lo, s12
	s_and_b32 s18, s4, s8
	s_and_saveexec_b32 s12, s18
	s_cbranch_execnz .LBB223_235
.LBB223_216:
	s_or_b32 exec_lo, exec_lo, s12
	s_and_b32 s18, s5, s8
	s_and_saveexec_b32 s12, s18
	s_cbranch_execnz .LBB223_239
.LBB223_217:
	s_or_b32 exec_lo, exec_lo, s12
	s_and_b32 s18, s6, s8
	s_and_saveexec_b32 s12, s18
	s_cbranch_execnz .LBB223_243
.LBB223_218:
	s_or_b32 exec_lo, exec_lo, s12
	s_and_b32 s12, s7, s8
	s_and_saveexec_b32 s8, s12
	s_cbranch_execnz .LBB223_247
	s_branch .LBB223_251
.LBB223_219:
	v_cmp_ne_u32_e32 vcc_lo, 1, v68
	s_cbranch_vccnz .LBB223_221
; %bb.220:
	v_lshlrev_b64 v[28:29], 1, v[32:33]
	v_add_co_u32 v28, vcc_lo, v26, v28
	v_add_co_ci_u32_e64 v29, null, v27, v29, vcc_lo
	flat_load_ushort v28, v[28:29]
	s_waitcnt vmcnt(0) lgkmcnt(0)
	v_mul_f16_e32 v28, s15, v28
	v_cvt_f32_f16_e32 v28, v28
	s_branch .LBB223_222
.LBB223_221:
	v_mov_b32_e32 v28, 0
.LBB223_222:
	v_pk_add_f16 v29, v16, v20
	v_pk_add_f16 v30, v17, v21
	v_max_f16_e32 v31, v81, v81
	v_lshrrev_b32_e32 v81, 16, v81
	v_max_f32_e32 v28, v28, v28
	v_lshrrev_b32_e32 v82, 16, v29
	v_lshrrev_b32_e32 v83, 16, v30
	v_min_f16_e32 v29, v31, v29
	v_min3_f16 v31, v81, v82, v83
	v_min3_f16 v29, v29, v30, v31
	v_cvt_f32_f16_e32 v29, v29
	v_min_f32_e32 v30, v28, v29
	v_lshlrev_b64 v[28:29], 1, v[32:33]
	v_cvt_f16_f32_e32 v30, v30
	v_add_co_u32 v28, vcc_lo, v24, v28
	v_add_co_ci_u32_e64 v29, null, v25, v29, vcc_lo
	flat_store_short v[28:29], v30
	s_or_b32 exec_lo, exec_lo, s12
	s_and_b32 s18, s1, s8
	s_and_saveexec_b32 s12, s18
	s_cbranch_execz .LBB223_213
.LBB223_223:
	v_cmp_ne_u32_e32 vcc_lo, 1, v68
	s_cbranch_vccnz .LBB223_225
; %bb.224:
	v_lshlrev_b64 v[28:29], 1, v[34:35]
	v_add_co_u32 v28, vcc_lo, v26, v28
	v_add_co_ci_u32_e64 v29, null, v27, v29, vcc_lo
	flat_load_ushort v28, v[28:29]
	s_waitcnt vmcnt(0) lgkmcnt(0)
	v_mul_f16_e32 v28, s15, v28
	v_cvt_f32_f16_e32 v28, v28
	s_branch .LBB223_226
.LBB223_225:
	v_mov_b32_e32 v28, 0
.LBB223_226:
	v_pk_add_f16 v29, v18, v20
	v_pk_add_f16 v30, v19, v21
	v_max_f16_e32 v31, v80, v80
	v_lshrrev_b32_e32 v80, 16, v80
	v_max_f32_e32 v28, v28, v28
	v_lshrrev_b32_e32 v81, 16, v29
	v_lshrrev_b32_e32 v82, 16, v30
	v_min_f16_e32 v29, v31, v29
	v_min3_f16 v31, v80, v81, v82
	v_min3_f16 v29, v29, v30, v31
	v_cvt_f32_f16_e32 v29, v29
	v_min_f32_e32 v30, v28, v29
	v_lshlrev_b64 v[28:29], 1, v[34:35]
	v_cvt_f16_f32_e32 v30, v30
	v_add_co_u32 v28, vcc_lo, v24, v28
	v_add_co_ci_u32_e64 v29, null, v25, v29, vcc_lo
	flat_store_short v[28:29], v30
	s_or_b32 exec_lo, exec_lo, s12
	s_and_b32 s18, s2, s8
	s_and_saveexec_b32 s12, s18
	s_cbranch_execz .LBB223_214
.LBB223_227:
	v_cmp_ne_u32_e32 vcc_lo, 1, v68
	s_cbranch_vccnz .LBB223_229
; %bb.228:
	v_lshlrev_b64 v[28:29], 1, v[36:37]
	v_add_co_u32 v28, vcc_lo, v26, v28
	v_add_co_ci_u32_e64 v29, null, v27, v29, vcc_lo
	flat_load_ushort v28, v[28:29]
	s_waitcnt vmcnt(0) lgkmcnt(0)
	v_mul_f16_e32 v28, s15, v28
	v_cvt_f32_f16_e32 v28, v28
	s_branch .LBB223_230
.LBB223_229:
	v_mov_b32_e32 v28, 0
.LBB223_230:
	v_pk_add_f16 v29, v12, v20
	v_pk_add_f16 v30, v13, v21
	v_max_f16_e32 v31, v79, v79
	v_lshrrev_b32_e32 v79, 16, v79
	v_max_f32_e32 v28, v28, v28
	v_lshrrev_b32_e32 v80, 16, v29
	v_lshrrev_b32_e32 v81, 16, v30
	v_min_f16_e32 v29, v31, v29
	v_min3_f16 v31, v79, v80, v81
	v_min3_f16 v29, v29, v30, v31
	v_cvt_f32_f16_e32 v29, v29
	v_min_f32_e32 v30, v28, v29
	v_lshlrev_b64 v[28:29], 1, v[36:37]
	v_cvt_f16_f32_e32 v30, v30
	v_add_co_u32 v28, vcc_lo, v24, v28
	v_add_co_ci_u32_e64 v29, null, v25, v29, vcc_lo
	flat_store_short v[28:29], v30
	s_or_b32 exec_lo, exec_lo, s12
	s_and_b32 s18, s3, s8
	s_and_saveexec_b32 s12, s18
	s_cbranch_execz .LBB223_215
.LBB223_231:
	v_cmp_ne_u32_e32 vcc_lo, 1, v68
	s_cbranch_vccnz .LBB223_233
; %bb.232:
	v_lshlrev_b64 v[28:29], 1, v[38:39]
	v_add_co_u32 v28, vcc_lo, v26, v28
	v_add_co_ci_u32_e64 v29, null, v27, v29, vcc_lo
	flat_load_ushort v28, v[28:29]
	s_waitcnt vmcnt(0) lgkmcnt(0)
	v_mul_f16_e32 v28, s15, v28
	v_cvt_f32_f16_e32 v28, v28
	s_branch .LBB223_234
.LBB223_233:
	v_mov_b32_e32 v28, 0
.LBB223_234:
	v_pk_add_f16 v29, v14, v20
	v_pk_add_f16 v30, v15, v21
	v_max_f16_e32 v31, v78, v78
	v_lshrrev_b32_e32 v78, 16, v78
	v_max_f32_e32 v28, v28, v28
	v_lshrrev_b32_e32 v79, 16, v29
	v_lshrrev_b32_e32 v80, 16, v30
	v_min_f16_e32 v29, v31, v29
	v_min3_f16 v31, v78, v79, v80
	v_min3_f16 v29, v29, v30, v31
	v_cvt_f32_f16_e32 v29, v29
	v_min_f32_e32 v30, v28, v29
	v_lshlrev_b64 v[28:29], 1, v[38:39]
	v_cvt_f16_f32_e32 v30, v30
	v_add_co_u32 v28, vcc_lo, v24, v28
	v_add_co_ci_u32_e64 v29, null, v25, v29, vcc_lo
	flat_store_short v[28:29], v30
	s_or_b32 exec_lo, exec_lo, s12
	s_and_b32 s18, s4, s8
	s_and_saveexec_b32 s12, s18
	s_cbranch_execz .LBB223_216
.LBB223_235:
	v_cmp_ne_u32_e32 vcc_lo, 1, v68
	s_cbranch_vccnz .LBB223_237
; %bb.236:
	v_lshlrev_b64 v[28:29], 1, v[40:41]
	v_add_co_u32 v28, vcc_lo, v26, v28
	v_add_co_ci_u32_e64 v29, null, v27, v29, vcc_lo
	flat_load_ushort v28, v[28:29]
	s_waitcnt vmcnt(0) lgkmcnt(0)
	v_mul_f16_e32 v28, s15, v28
	v_cvt_f32_f16_e32 v28, v28
	s_branch .LBB223_238
.LBB223_237:
	v_mov_b32_e32 v28, 0
.LBB223_238:
	v_pk_add_f16 v29, v8, v20
	v_pk_add_f16 v30, v9, v21
	v_max_f16_e32 v31, v76, v76
	v_lshrrev_b32_e32 v76, 16, v76
	v_max_f32_e32 v28, v28, v28
	v_lshrrev_b32_e32 v78, 16, v29
	v_lshrrev_b32_e32 v79, 16, v30
	v_min_f16_e32 v29, v31, v29
	v_min3_f16 v31, v76, v78, v79
	v_min3_f16 v29, v29, v30, v31
	v_cvt_f32_f16_e32 v29, v29
	v_min_f32_e32 v30, v28, v29
	v_lshlrev_b64 v[28:29], 1, v[40:41]
	v_cvt_f16_f32_e32 v30, v30
	v_add_co_u32 v28, vcc_lo, v24, v28
	v_add_co_ci_u32_e64 v29, null, v25, v29, vcc_lo
	flat_store_short v[28:29], v30
	s_or_b32 exec_lo, exec_lo, s12
	s_and_b32 s18, s5, s8
	s_and_saveexec_b32 s12, s18
	s_cbranch_execz .LBB223_217
.LBB223_239:
	v_cmp_ne_u32_e32 vcc_lo, 1, v68
	s_cbranch_vccnz .LBB223_241
; %bb.240:
	v_lshlrev_b64 v[28:29], 1, v[42:43]
	v_add_co_u32 v28, vcc_lo, v26, v28
	v_add_co_ci_u32_e64 v29, null, v27, v29, vcc_lo
	flat_load_ushort v28, v[28:29]
	s_waitcnt vmcnt(0) lgkmcnt(0)
	v_mul_f16_e32 v28, s15, v28
	v_cvt_f32_f16_e32 v28, v28
	s_branch .LBB223_242
.LBB223_241:
	v_mov_b32_e32 v28, 0
.LBB223_242:
	v_pk_add_f16 v29, v10, v20
	v_pk_add_f16 v30, v11, v21
	v_max_f16_e32 v31, v75, v75
	v_lshrrev_b32_e32 v75, 16, v75
	v_max_f32_e32 v28, v28, v28
	v_lshrrev_b32_e32 v76, 16, v29
	v_lshrrev_b32_e32 v78, 16, v30
	v_min_f16_e32 v29, v31, v29
	v_min3_f16 v31, v75, v76, v78
	v_min3_f16 v29, v29, v30, v31
	v_cvt_f32_f16_e32 v29, v29
	v_min_f32_e32 v30, v28, v29
	v_lshlrev_b64 v[28:29], 1, v[42:43]
	v_cvt_f16_f32_e32 v30, v30
	v_add_co_u32 v28, vcc_lo, v24, v28
	v_add_co_ci_u32_e64 v29, null, v25, v29, vcc_lo
	flat_store_short v[28:29], v30
	s_or_b32 exec_lo, exec_lo, s12
	s_and_b32 s18, s6, s8
	s_and_saveexec_b32 s12, s18
	s_cbranch_execz .LBB223_218
.LBB223_243:
	v_cmp_ne_u32_e32 vcc_lo, 1, v68
	s_cbranch_vccnz .LBB223_245
; %bb.244:
	v_lshlrev_b64 v[28:29], 1, v[44:45]
	v_add_co_u32 v28, vcc_lo, v26, v28
	v_add_co_ci_u32_e64 v29, null, v27, v29, vcc_lo
	flat_load_ushort v28, v[28:29]
	s_waitcnt vmcnt(0) lgkmcnt(0)
	v_mul_f16_e32 v28, s15, v28
	v_cvt_f32_f16_e32 v28, v28
	s_branch .LBB223_246
.LBB223_245:
	v_mov_b32_e32 v28, 0
.LBB223_246:
	v_pk_add_f16 v29, v0, v20
	v_pk_add_f16 v30, v1, v21
	v_max_f16_e32 v31, v74, v74
	v_lshrrev_b32_e32 v74, 16, v74
	v_max_f32_e32 v28, v28, v28
	v_lshrrev_b32_e32 v75, 16, v29
	v_lshrrev_b32_e32 v76, 16, v30
	v_min_f16_e32 v29, v31, v29
	v_min3_f16 v31, v74, v75, v76
	v_min3_f16 v29, v29, v30, v31
	v_cvt_f32_f16_e32 v29, v29
	v_min_f32_e32 v30, v28, v29
	v_lshlrev_b64 v[28:29], 1, v[44:45]
	v_cvt_f16_f32_e32 v30, v30
	v_add_co_u32 v28, vcc_lo, v24, v28
	v_add_co_ci_u32_e64 v29, null, v25, v29, vcc_lo
	flat_store_short v[28:29], v30
	s_or_b32 exec_lo, exec_lo, s12
	s_and_b32 s12, s7, s8
	s_and_saveexec_b32 s8, s12
	s_cbranch_execz .LBB223_251
.LBB223_247:
	v_cmp_ne_u32_e32 vcc_lo, 1, v68
	s_cbranch_vccnz .LBB223_249
; %bb.248:
	v_lshlrev_b64 v[28:29], 1, v[46:47]
	v_add_co_u32 v26, vcc_lo, v26, v28
	v_add_co_ci_u32_e64 v27, null, v27, v29, vcc_lo
	flat_load_ushort v26, v[26:27]
	s_waitcnt vmcnt(0) lgkmcnt(0)
	v_mul_f16_e32 v26, s15, v26
	v_cvt_f32_f16_e32 v26, v26
	s_branch .LBB223_250
.LBB223_249:
	v_mov_b32_e32 v26, 0
.LBB223_250:
	v_pk_add_f16 v20, v2, v20
	v_pk_add_f16 v21, v3, v21
	v_max_f16_e32 v27, v73, v73
	v_lshrrev_b32_e32 v28, 16, v73
	v_lshrrev_b32_e32 v29, 16, v20
	;; [unrolled: 1-line block ×3, first 2 shown]
	v_min_f16_e32 v20, v27, v20
	v_min3_f16 v27, v28, v29, v30
	v_min3_f16 v20, v20, v21, v27
	v_max_f32_e32 v21, v26, v26
	v_cvt_f32_f16_e32 v20, v20
	v_min_f32_e32 v26, v21, v20
	v_lshlrev_b64 v[20:21], 1, v[46:47]
	v_cvt_f16_f32_e32 v26, v26
	v_add_co_u32 v20, vcc_lo, v24, v20
	v_add_co_ci_u32_e64 v21, null, v25, v21, vcc_lo
	flat_store_short v[20:21], v26
.LBB223_251:
	s_or_b32 exec_lo, exec_lo, s8
	v_add_nc_u32_e32 v26, 0xa0, v77
	v_mad_i64_i32 v[20:21], null, v26, s14, 0
	v_mad_i64_i32 v[24:25], null, v26, s9, 0
	v_cmp_gt_i32_e64 s8, s13, v26
	v_lshlrev_b64 v[20:21], 1, v[20:21]
	s_and_b32 s18, s0, s8
	v_lshlrev_b64 v[26:27], 1, v[24:25]
	v_add_co_u32 v24, vcc_lo, s10, v20
	v_add_co_ci_u32_e64 v25, null, s11, v21, vcc_lo
	v_add_co_u32 v20, vcc_lo, s16, v26
	v_add_co_ci_u32_e64 v21, null, s17, v27, vcc_lo
	s_and_saveexec_b32 s12, s18
	s_cbranch_execnz .LBB223_259
; %bb.252:
	s_or_b32 exec_lo, exec_lo, s12
	s_and_b32 s18, s1, s8
	s_and_saveexec_b32 s12, s18
	s_cbranch_execnz .LBB223_263
.LBB223_253:
	s_or_b32 exec_lo, exec_lo, s12
	s_and_b32 s18, s2, s8
	s_and_saveexec_b32 s12, s18
	s_cbranch_execnz .LBB223_267
.LBB223_254:
	s_or_b32 exec_lo, exec_lo, s12
	s_and_b32 s18, s3, s8
	s_and_saveexec_b32 s12, s18
	s_cbranch_execnz .LBB223_271
.LBB223_255:
	s_or_b32 exec_lo, exec_lo, s12
	s_and_b32 s18, s4, s8
	s_and_saveexec_b32 s12, s18
	s_cbranch_execnz .LBB223_275
.LBB223_256:
	s_or_b32 exec_lo, exec_lo, s12
	s_and_b32 s18, s5, s8
	s_and_saveexec_b32 s12, s18
	s_cbranch_execnz .LBB223_279
.LBB223_257:
	s_or_b32 exec_lo, exec_lo, s12
	s_and_b32 s18, s6, s8
	s_and_saveexec_b32 s12, s18
	s_cbranch_execnz .LBB223_283
.LBB223_258:
	s_or_b32 exec_lo, exec_lo, s12
	s_and_b32 s12, s7, s8
	s_and_saveexec_b32 s8, s12
	s_cbranch_execnz .LBB223_287
	s_branch .LBB223_291
.LBB223_259:
	v_cmp_ne_u32_e32 vcc_lo, 1, v68
	s_cbranch_vccnz .LBB223_261
; %bb.260:
	v_lshlrev_b64 v[26:27], 1, v[32:33]
	v_add_co_u32 v26, vcc_lo, v24, v26
	v_add_co_ci_u32_e64 v27, null, v25, v27, vcc_lo
	flat_load_ushort v26, v[26:27]
	s_waitcnt vmcnt(0) lgkmcnt(0)
	v_mul_f16_e32 v26, s15, v26
	v_cvt_f32_f16_e32 v26, v26
	s_branch .LBB223_262
.LBB223_261:
	v_mov_b32_e32 v26, 0
.LBB223_262:
	v_pk_add_f16 v27, v16, v22
	v_pk_add_f16 v28, v17, v23
	v_max_f16_e32 v29, v72, v72
	v_lshrrev_b32_e32 v30, 16, v72
	v_max_f32_e32 v26, v26, v26
	v_lshrrev_b32_e32 v31, 16, v27
	v_lshrrev_b32_e32 v72, 16, v28
	v_min_f16_e32 v27, v29, v27
	v_min3_f16 v29, v30, v31, v72
	v_min3_f16 v27, v27, v28, v29
	v_cvt_f32_f16_e32 v27, v27
	v_min_f32_e32 v28, v26, v27
	v_lshlrev_b64 v[26:27], 1, v[32:33]
	v_cvt_f16_f32_e32 v28, v28
	v_add_co_u32 v26, vcc_lo, v20, v26
	v_add_co_ci_u32_e64 v27, null, v21, v27, vcc_lo
	flat_store_short v[26:27], v28
	s_or_b32 exec_lo, exec_lo, s12
	s_and_b32 s18, s1, s8
	s_and_saveexec_b32 s12, s18
	s_cbranch_execz .LBB223_253
.LBB223_263:
	v_cmp_ne_u32_e32 vcc_lo, 1, v68
	s_cbranch_vccnz .LBB223_265
; %bb.264:
	v_lshlrev_b64 v[26:27], 1, v[34:35]
	v_add_co_u32 v26, vcc_lo, v24, v26
	v_add_co_ci_u32_e64 v27, null, v25, v27, vcc_lo
	flat_load_ushort v26, v[26:27]
	s_waitcnt vmcnt(0) lgkmcnt(0)
	v_mul_f16_e32 v26, s15, v26
	v_cvt_f32_f16_e32 v26, v26
	s_branch .LBB223_266
.LBB223_265:
	v_mov_b32_e32 v26, 0
.LBB223_266:
	v_pk_add_f16 v27, v18, v22
	v_pk_add_f16 v28, v19, v23
	v_max_f16_e32 v29, v71, v71
	v_lshrrev_b32_e32 v30, 16, v71
	v_max_f32_e32 v26, v26, v26
	v_lshrrev_b32_e32 v31, 16, v27
	v_lshrrev_b32_e32 v71, 16, v28
	v_min_f16_e32 v27, v29, v27
	v_min3_f16 v29, v30, v31, v71
	v_min3_f16 v27, v27, v28, v29
	v_cvt_f32_f16_e32 v27, v27
	v_min_f32_e32 v28, v26, v27
	v_lshlrev_b64 v[26:27], 1, v[34:35]
	v_cvt_f16_f32_e32 v28, v28
	v_add_co_u32 v26, vcc_lo, v20, v26
	v_add_co_ci_u32_e64 v27, null, v21, v27, vcc_lo
	flat_store_short v[26:27], v28
	s_or_b32 exec_lo, exec_lo, s12
	s_and_b32 s18, s2, s8
	s_and_saveexec_b32 s12, s18
	s_cbranch_execz .LBB223_254
.LBB223_267:
	v_cmp_ne_u32_e32 vcc_lo, 1, v68
	s_cbranch_vccnz .LBB223_269
; %bb.268:
	v_lshlrev_b64 v[26:27], 1, v[36:37]
	v_add_co_u32 v26, vcc_lo, v24, v26
	v_add_co_ci_u32_e64 v27, null, v25, v27, vcc_lo
	flat_load_ushort v26, v[26:27]
	s_waitcnt vmcnt(0) lgkmcnt(0)
	v_mul_f16_e32 v26, s15, v26
	v_cvt_f32_f16_e32 v26, v26
	s_branch .LBB223_270
.LBB223_269:
	v_mov_b32_e32 v26, 0
.LBB223_270:
	v_pk_add_f16 v27, v12, v22
	v_pk_add_f16 v28, v13, v23
	v_max_f16_e32 v29, v70, v70
	v_lshrrev_b32_e32 v30, 16, v70
	v_max_f32_e32 v26, v26, v26
	v_lshrrev_b32_e32 v31, 16, v27
	v_lshrrev_b32_e32 v70, 16, v28
	v_min_f16_e32 v27, v29, v27
	v_min3_f16 v29, v30, v31, v70
	v_min3_f16 v27, v27, v28, v29
	v_cvt_f32_f16_e32 v27, v27
	v_min_f32_e32 v28, v26, v27
	v_lshlrev_b64 v[26:27], 1, v[36:37]
	v_cvt_f16_f32_e32 v28, v28
	v_add_co_u32 v26, vcc_lo, v20, v26
	v_add_co_ci_u32_e64 v27, null, v21, v27, vcc_lo
	flat_store_short v[26:27], v28
	s_or_b32 exec_lo, exec_lo, s12
	s_and_b32 s18, s3, s8
	s_and_saveexec_b32 s12, s18
	s_cbranch_execz .LBB223_255
.LBB223_271:
	v_cmp_ne_u32_e32 vcc_lo, 1, v68
	s_cbranch_vccnz .LBB223_273
; %bb.272:
	v_lshlrev_b64 v[26:27], 1, v[38:39]
	v_add_co_u32 v26, vcc_lo, v24, v26
	v_add_co_ci_u32_e64 v27, null, v25, v27, vcc_lo
	flat_load_ushort v26, v[26:27]
	s_waitcnt vmcnt(0) lgkmcnt(0)
	v_mul_f16_e32 v26, s15, v26
	v_cvt_f32_f16_e32 v26, v26
	s_branch .LBB223_274
.LBB223_273:
	v_mov_b32_e32 v26, 0
.LBB223_274:
	v_pk_add_f16 v27, v14, v22
	v_pk_add_f16 v28, v15, v23
	v_max_f16_e32 v29, v69, v69
	v_lshrrev_b32_e32 v30, 16, v69
	v_max_f32_e32 v26, v26, v26
	v_lshrrev_b32_e32 v31, 16, v27
	v_lshrrev_b32_e32 v69, 16, v28
	v_min_f16_e32 v27, v29, v27
	v_min3_f16 v29, v30, v31, v69
	v_min3_f16 v27, v27, v28, v29
	v_cvt_f32_f16_e32 v27, v27
	v_min_f32_e32 v28, v26, v27
	v_lshlrev_b64 v[26:27], 1, v[38:39]
	v_cvt_f16_f32_e32 v28, v28
	v_add_co_u32 v26, vcc_lo, v20, v26
	v_add_co_ci_u32_e64 v27, null, v21, v27, vcc_lo
	flat_store_short v[26:27], v28
	s_or_b32 exec_lo, exec_lo, s12
	s_and_b32 s18, s4, s8
	s_and_saveexec_b32 s12, s18
	s_cbranch_execz .LBB223_256
.LBB223_275:
	v_cmp_ne_u32_e32 vcc_lo, 1, v68
	s_cbranch_vccnz .LBB223_277
; %bb.276:
	v_lshlrev_b64 v[26:27], 1, v[40:41]
	v_add_co_u32 v26, vcc_lo, v24, v26
	v_add_co_ci_u32_e64 v27, null, v25, v27, vcc_lo
	flat_load_ushort v26, v[26:27]
	s_waitcnt vmcnt(0) lgkmcnt(0)
	v_mul_f16_e32 v26, s15, v26
	v_cvt_f32_f16_e32 v26, v26
	s_branch .LBB223_278
.LBB223_277:
	v_mov_b32_e32 v26, 0
.LBB223_278:
	v_pk_add_f16 v27, v8, v22
	v_pk_add_f16 v28, v9, v23
	v_max_f16_e32 v29, v67, v67
	v_lshrrev_b32_e32 v30, 16, v67
	v_max_f32_e32 v26, v26, v26
	v_lshrrev_b32_e32 v31, 16, v27
	v_lshrrev_b32_e32 v67, 16, v28
	v_min_f16_e32 v27, v29, v27
	v_min3_f16 v29, v30, v31, v67
	v_min3_f16 v27, v27, v28, v29
	v_cvt_f32_f16_e32 v27, v27
	v_min_f32_e32 v28, v26, v27
	v_lshlrev_b64 v[26:27], 1, v[40:41]
	v_cvt_f16_f32_e32 v28, v28
	v_add_co_u32 v26, vcc_lo, v20, v26
	v_add_co_ci_u32_e64 v27, null, v21, v27, vcc_lo
	flat_store_short v[26:27], v28
	s_or_b32 exec_lo, exec_lo, s12
	s_and_b32 s18, s5, s8
	s_and_saveexec_b32 s12, s18
	s_cbranch_execz .LBB223_257
.LBB223_279:
	v_cmp_ne_u32_e32 vcc_lo, 1, v68
	s_cbranch_vccnz .LBB223_281
; %bb.280:
	v_lshlrev_b64 v[26:27], 1, v[42:43]
	v_add_co_u32 v26, vcc_lo, v24, v26
	v_add_co_ci_u32_e64 v27, null, v25, v27, vcc_lo
	flat_load_ushort v26, v[26:27]
	s_waitcnt vmcnt(0) lgkmcnt(0)
	v_mul_f16_e32 v26, s15, v26
	v_cvt_f32_f16_e32 v26, v26
	s_branch .LBB223_282
.LBB223_281:
	v_mov_b32_e32 v26, 0
.LBB223_282:
	v_pk_add_f16 v27, v10, v22
	v_pk_add_f16 v28, v11, v23
	v_max_f16_e32 v29, v66, v66
	v_lshrrev_b32_e32 v30, 16, v66
	v_max_f32_e32 v26, v26, v26
	v_lshrrev_b32_e32 v31, 16, v27
	v_lshrrev_b32_e32 v66, 16, v28
	v_min_f16_e32 v27, v29, v27
	v_min3_f16 v29, v30, v31, v66
	v_min3_f16 v27, v27, v28, v29
	v_cvt_f32_f16_e32 v27, v27
	v_min_f32_e32 v28, v26, v27
	v_lshlrev_b64 v[26:27], 1, v[42:43]
	v_cvt_f16_f32_e32 v28, v28
	v_add_co_u32 v26, vcc_lo, v20, v26
	v_add_co_ci_u32_e64 v27, null, v21, v27, vcc_lo
	flat_store_short v[26:27], v28
	s_or_b32 exec_lo, exec_lo, s12
	s_and_b32 s18, s6, s8
	s_and_saveexec_b32 s12, s18
	s_cbranch_execz .LBB223_258
.LBB223_283:
	v_cmp_ne_u32_e32 vcc_lo, 1, v68
	s_cbranch_vccnz .LBB223_285
; %bb.284:
	v_lshlrev_b64 v[26:27], 1, v[44:45]
	v_add_co_u32 v26, vcc_lo, v24, v26
	v_add_co_ci_u32_e64 v27, null, v25, v27, vcc_lo
	flat_load_ushort v26, v[26:27]
	s_waitcnt vmcnt(0) lgkmcnt(0)
	v_mul_f16_e32 v26, s15, v26
	v_cvt_f32_f16_e32 v26, v26
	s_branch .LBB223_286
.LBB223_285:
	v_mov_b32_e32 v26, 0
.LBB223_286:
	v_pk_add_f16 v27, v0, v22
	v_pk_add_f16 v28, v1, v23
	v_max_f16_e32 v29, v65, v65
	v_lshrrev_b32_e32 v30, 16, v65
	v_max_f32_e32 v26, v26, v26
	v_lshrrev_b32_e32 v31, 16, v27
	v_lshrrev_b32_e32 v65, 16, v28
	v_min_f16_e32 v27, v29, v27
	v_min3_f16 v29, v30, v31, v65
	v_min3_f16 v27, v27, v28, v29
	v_cvt_f32_f16_e32 v27, v27
	v_min_f32_e32 v28, v26, v27
	v_lshlrev_b64 v[26:27], 1, v[44:45]
	v_cvt_f16_f32_e32 v28, v28
	v_add_co_u32 v26, vcc_lo, v20, v26
	v_add_co_ci_u32_e64 v27, null, v21, v27, vcc_lo
	flat_store_short v[26:27], v28
	s_or_b32 exec_lo, exec_lo, s12
	s_and_b32 s12, s7, s8
	s_and_saveexec_b32 s8, s12
	s_cbranch_execz .LBB223_291
.LBB223_287:
	v_cmp_ne_u32_e32 vcc_lo, 1, v68
	s_cbranch_vccnz .LBB223_289
; %bb.288:
	v_lshlrev_b64 v[26:27], 1, v[46:47]
	v_add_co_u32 v24, vcc_lo, v24, v26
	v_add_co_ci_u32_e64 v25, null, v25, v27, vcc_lo
	flat_load_ushort v24, v[24:25]
	s_waitcnt vmcnt(0) lgkmcnt(0)
	v_mul_f16_e32 v24, s15, v24
	v_cvt_f32_f16_e32 v24, v24
	s_branch .LBB223_290
.LBB223_289:
	v_mov_b32_e32 v24, 0
.LBB223_290:
	v_pk_add_f16 v22, v2, v22
	v_pk_add_f16 v23, v3, v23
	v_max_f16_e32 v25, v64, v64
	v_lshrrev_b32_e32 v26, 16, v64
	v_lshrrev_b32_e32 v27, 16, v22
	;; [unrolled: 1-line block ×3, first 2 shown]
	v_min_f16_e32 v22, v25, v22
	v_min3_f16 v25, v26, v27, v28
	v_min3_f16 v22, v22, v23, v25
	v_max_f32_e32 v23, v24, v24
	v_cvt_f32_f16_e32 v22, v22
	v_min_f32_e32 v24, v23, v22
	v_lshlrev_b64 v[22:23], 1, v[46:47]
	v_cvt_f16_f32_e32 v24, v24
	v_add_co_u32 v20, vcc_lo, v20, v22
	v_add_co_ci_u32_e64 v21, null, v21, v23, vcc_lo
	flat_store_short v[20:21], v24
.LBB223_291:
	s_or_b32 exec_lo, exec_lo, s8
	v_add_nc_u32_e32 v24, 0xc0, v77
	v_mad_i64_i32 v[20:21], null, v24, s14, 0
	v_mad_i64_i32 v[22:23], null, v24, s9, 0
	v_cmp_gt_i32_e64 s8, s13, v24
	v_lshlrev_b64 v[20:21], 1, v[20:21]
	s_and_b32 s18, s0, s8
	v_lshlrev_b64 v[24:25], 1, v[22:23]
	v_add_co_u32 v22, vcc_lo, s10, v20
	v_add_co_ci_u32_e64 v23, null, s11, v21, vcc_lo
	v_add_co_u32 v20, vcc_lo, s16, v24
	v_add_co_ci_u32_e64 v21, null, s17, v25, vcc_lo
	s_and_saveexec_b32 s12, s18
	s_cbranch_execnz .LBB223_299
; %bb.292:
	s_or_b32 exec_lo, exec_lo, s12
	s_and_b32 s18, s1, s8
	s_and_saveexec_b32 s12, s18
	s_cbranch_execnz .LBB223_303
.LBB223_293:
	s_or_b32 exec_lo, exec_lo, s12
	s_and_b32 s18, s2, s8
	s_and_saveexec_b32 s12, s18
	s_cbranch_execnz .LBB223_307
.LBB223_294:
	s_or_b32 exec_lo, exec_lo, s12
	s_and_b32 s18, s3, s8
	s_and_saveexec_b32 s12, s18
	s_cbranch_execnz .LBB223_311
.LBB223_295:
	s_or_b32 exec_lo, exec_lo, s12
	s_and_b32 s18, s4, s8
	s_and_saveexec_b32 s12, s18
	s_cbranch_execnz .LBB223_315
.LBB223_296:
	s_or_b32 exec_lo, exec_lo, s12
	s_and_b32 s18, s5, s8
	s_and_saveexec_b32 s12, s18
	s_cbranch_execnz .LBB223_319
.LBB223_297:
	s_or_b32 exec_lo, exec_lo, s12
	s_and_b32 s18, s6, s8
	s_and_saveexec_b32 s12, s18
	s_cbranch_execnz .LBB223_323
.LBB223_298:
	s_or_b32 exec_lo, exec_lo, s12
	s_and_b32 s12, s7, s8
	s_and_saveexec_b32 s8, s12
	s_cbranch_execnz .LBB223_327
	s_branch .LBB223_331
.LBB223_299:
	v_cmp_ne_u32_e32 vcc_lo, 1, v68
	s_cbranch_vccnz .LBB223_301
; %bb.300:
	v_lshlrev_b64 v[24:25], 1, v[32:33]
	v_add_co_u32 v24, vcc_lo, v22, v24
	v_add_co_ci_u32_e64 v25, null, v23, v25, vcc_lo
	flat_load_ushort v24, v[24:25]
	s_waitcnt vmcnt(0) lgkmcnt(0)
	v_mul_f16_e32 v24, s15, v24
	v_cvt_f32_f16_e32 v24, v24
	s_branch .LBB223_302
.LBB223_301:
	v_mov_b32_e32 v24, 0
.LBB223_302:
	v_pk_add_f16 v25, v16, v4
	v_pk_add_f16 v26, v17, v5
	v_max_f16_e32 v27, v63, v63
	v_lshrrev_b32_e32 v28, 16, v63
	v_max_f32_e32 v24, v24, v24
	v_lshrrev_b32_e32 v29, 16, v25
	v_lshrrev_b32_e32 v30, 16, v26
	v_min_f16_e32 v25, v27, v25
	v_min3_f16 v27, v28, v29, v30
	v_min3_f16 v25, v25, v26, v27
	v_cvt_f32_f16_e32 v25, v25
	v_min_f32_e32 v26, v24, v25
	v_lshlrev_b64 v[24:25], 1, v[32:33]
	v_cvt_f16_f32_e32 v26, v26
	v_add_co_u32 v24, vcc_lo, v20, v24
	v_add_co_ci_u32_e64 v25, null, v21, v25, vcc_lo
	flat_store_short v[24:25], v26
	s_or_b32 exec_lo, exec_lo, s12
	s_and_b32 s18, s1, s8
	s_and_saveexec_b32 s12, s18
	s_cbranch_execz .LBB223_293
.LBB223_303:
	v_cmp_ne_u32_e32 vcc_lo, 1, v68
	s_cbranch_vccnz .LBB223_305
; %bb.304:
	v_lshlrev_b64 v[24:25], 1, v[34:35]
	v_add_co_u32 v24, vcc_lo, v22, v24
	v_add_co_ci_u32_e64 v25, null, v23, v25, vcc_lo
	flat_load_ushort v24, v[24:25]
	s_waitcnt vmcnt(0) lgkmcnt(0)
	v_mul_f16_e32 v24, s15, v24
	v_cvt_f32_f16_e32 v24, v24
	s_branch .LBB223_306
.LBB223_305:
	v_mov_b32_e32 v24, 0
.LBB223_306:
	v_pk_add_f16 v25, v18, v4
	v_pk_add_f16 v26, v19, v5
	v_max_f16_e32 v27, v62, v62
	v_lshrrev_b32_e32 v28, 16, v62
	v_max_f32_e32 v24, v24, v24
	v_lshrrev_b32_e32 v29, 16, v25
	v_lshrrev_b32_e32 v30, 16, v26
	v_min_f16_e32 v25, v27, v25
	v_min3_f16 v27, v28, v29, v30
	v_min3_f16 v25, v25, v26, v27
	v_cvt_f32_f16_e32 v25, v25
	v_min_f32_e32 v26, v24, v25
	v_lshlrev_b64 v[24:25], 1, v[34:35]
	v_cvt_f16_f32_e32 v26, v26
	v_add_co_u32 v24, vcc_lo, v20, v24
	v_add_co_ci_u32_e64 v25, null, v21, v25, vcc_lo
	flat_store_short v[24:25], v26
	s_or_b32 exec_lo, exec_lo, s12
	s_and_b32 s18, s2, s8
	s_and_saveexec_b32 s12, s18
	s_cbranch_execz .LBB223_294
.LBB223_307:
	v_cmp_ne_u32_e32 vcc_lo, 1, v68
	s_cbranch_vccnz .LBB223_309
; %bb.308:
	v_lshlrev_b64 v[24:25], 1, v[36:37]
	v_add_co_u32 v24, vcc_lo, v22, v24
	v_add_co_ci_u32_e64 v25, null, v23, v25, vcc_lo
	flat_load_ushort v24, v[24:25]
	s_waitcnt vmcnt(0) lgkmcnt(0)
	v_mul_f16_e32 v24, s15, v24
	v_cvt_f32_f16_e32 v24, v24
	s_branch .LBB223_310
.LBB223_309:
	v_mov_b32_e32 v24, 0
.LBB223_310:
	v_pk_add_f16 v25, v12, v4
	v_pk_add_f16 v26, v13, v5
	v_max_f16_e32 v27, v61, v61
	v_lshrrev_b32_e32 v28, 16, v61
	v_max_f32_e32 v24, v24, v24
	v_lshrrev_b32_e32 v29, 16, v25
	v_lshrrev_b32_e32 v30, 16, v26
	v_min_f16_e32 v25, v27, v25
	v_min3_f16 v27, v28, v29, v30
	v_min3_f16 v25, v25, v26, v27
	v_cvt_f32_f16_e32 v25, v25
	v_min_f32_e32 v26, v24, v25
	v_lshlrev_b64 v[24:25], 1, v[36:37]
	v_cvt_f16_f32_e32 v26, v26
	v_add_co_u32 v24, vcc_lo, v20, v24
	v_add_co_ci_u32_e64 v25, null, v21, v25, vcc_lo
	flat_store_short v[24:25], v26
	s_or_b32 exec_lo, exec_lo, s12
	s_and_b32 s18, s3, s8
	s_and_saveexec_b32 s12, s18
	s_cbranch_execz .LBB223_295
.LBB223_311:
	v_cmp_ne_u32_e32 vcc_lo, 1, v68
	s_cbranch_vccnz .LBB223_313
; %bb.312:
	v_lshlrev_b64 v[24:25], 1, v[38:39]
	v_add_co_u32 v24, vcc_lo, v22, v24
	v_add_co_ci_u32_e64 v25, null, v23, v25, vcc_lo
	flat_load_ushort v24, v[24:25]
	s_waitcnt vmcnt(0) lgkmcnt(0)
	v_mul_f16_e32 v24, s15, v24
	v_cvt_f32_f16_e32 v24, v24
	s_branch .LBB223_314
.LBB223_313:
	v_mov_b32_e32 v24, 0
.LBB223_314:
	v_pk_add_f16 v25, v14, v4
	v_pk_add_f16 v26, v15, v5
	v_max_f16_e32 v27, v60, v60
	v_lshrrev_b32_e32 v28, 16, v60
	v_max_f32_e32 v24, v24, v24
	v_lshrrev_b32_e32 v29, 16, v25
	v_lshrrev_b32_e32 v30, 16, v26
	v_min_f16_e32 v25, v27, v25
	v_min3_f16 v27, v28, v29, v30
	v_min3_f16 v25, v25, v26, v27
	v_cvt_f32_f16_e32 v25, v25
	v_min_f32_e32 v26, v24, v25
	v_lshlrev_b64 v[24:25], 1, v[38:39]
	v_cvt_f16_f32_e32 v26, v26
	v_add_co_u32 v24, vcc_lo, v20, v24
	v_add_co_ci_u32_e64 v25, null, v21, v25, vcc_lo
	flat_store_short v[24:25], v26
	s_or_b32 exec_lo, exec_lo, s12
	s_and_b32 s18, s4, s8
	s_and_saveexec_b32 s12, s18
	s_cbranch_execz .LBB223_296
.LBB223_315:
	v_cmp_ne_u32_e32 vcc_lo, 1, v68
	s_cbranch_vccnz .LBB223_317
; %bb.316:
	v_lshlrev_b64 v[24:25], 1, v[40:41]
	v_add_co_u32 v24, vcc_lo, v22, v24
	v_add_co_ci_u32_e64 v25, null, v23, v25, vcc_lo
	flat_load_ushort v24, v[24:25]
	s_waitcnt vmcnt(0) lgkmcnt(0)
	v_mul_f16_e32 v24, s15, v24
	v_cvt_f32_f16_e32 v24, v24
	s_branch .LBB223_318
.LBB223_317:
	v_mov_b32_e32 v24, 0
.LBB223_318:
	v_pk_add_f16 v25, v8, v4
	v_pk_add_f16 v26, v9, v5
	v_max_f16_e32 v27, v59, v59
	v_lshrrev_b32_e32 v28, 16, v59
	v_max_f32_e32 v24, v24, v24
	v_lshrrev_b32_e32 v29, 16, v25
	v_lshrrev_b32_e32 v30, 16, v26
	v_min_f16_e32 v25, v27, v25
	v_min3_f16 v27, v28, v29, v30
	v_min3_f16 v25, v25, v26, v27
	v_cvt_f32_f16_e32 v25, v25
	v_min_f32_e32 v26, v24, v25
	v_lshlrev_b64 v[24:25], 1, v[40:41]
	v_cvt_f16_f32_e32 v26, v26
	v_add_co_u32 v24, vcc_lo, v20, v24
	v_add_co_ci_u32_e64 v25, null, v21, v25, vcc_lo
	flat_store_short v[24:25], v26
	s_or_b32 exec_lo, exec_lo, s12
	s_and_b32 s18, s5, s8
	s_and_saveexec_b32 s12, s18
	s_cbranch_execz .LBB223_297
.LBB223_319:
	v_cmp_ne_u32_e32 vcc_lo, 1, v68
	s_cbranch_vccnz .LBB223_321
; %bb.320:
	v_lshlrev_b64 v[24:25], 1, v[42:43]
	v_add_co_u32 v24, vcc_lo, v22, v24
	v_add_co_ci_u32_e64 v25, null, v23, v25, vcc_lo
	flat_load_ushort v24, v[24:25]
	s_waitcnt vmcnt(0) lgkmcnt(0)
	v_mul_f16_e32 v24, s15, v24
	v_cvt_f32_f16_e32 v24, v24
	s_branch .LBB223_322
.LBB223_321:
	v_mov_b32_e32 v24, 0
.LBB223_322:
	v_pk_add_f16 v25, v10, v4
	v_pk_add_f16 v26, v11, v5
	v_max_f16_e32 v27, v58, v58
	v_lshrrev_b32_e32 v28, 16, v58
	v_max_f32_e32 v24, v24, v24
	v_lshrrev_b32_e32 v29, 16, v25
	v_lshrrev_b32_e32 v30, 16, v26
	v_min_f16_e32 v25, v27, v25
	v_min3_f16 v27, v28, v29, v30
	v_min3_f16 v25, v25, v26, v27
	v_cvt_f32_f16_e32 v25, v25
	v_min_f32_e32 v26, v24, v25
	v_lshlrev_b64 v[24:25], 1, v[42:43]
	v_cvt_f16_f32_e32 v26, v26
	v_add_co_u32 v24, vcc_lo, v20, v24
	v_add_co_ci_u32_e64 v25, null, v21, v25, vcc_lo
	flat_store_short v[24:25], v26
	s_or_b32 exec_lo, exec_lo, s12
	s_and_b32 s18, s6, s8
	s_and_saveexec_b32 s12, s18
	s_cbranch_execz .LBB223_298
.LBB223_323:
	v_cmp_ne_u32_e32 vcc_lo, 1, v68
	s_cbranch_vccnz .LBB223_325
; %bb.324:
	v_lshlrev_b64 v[24:25], 1, v[44:45]
	v_add_co_u32 v24, vcc_lo, v22, v24
	v_add_co_ci_u32_e64 v25, null, v23, v25, vcc_lo
	flat_load_ushort v24, v[24:25]
	s_waitcnt vmcnt(0) lgkmcnt(0)
	v_mul_f16_e32 v24, s15, v24
	v_cvt_f32_f16_e32 v24, v24
	s_branch .LBB223_326
.LBB223_325:
	v_mov_b32_e32 v24, 0
.LBB223_326:
	v_pk_add_f16 v25, v0, v4
	v_pk_add_f16 v26, v1, v5
	v_max_f16_e32 v27, v57, v57
	v_lshrrev_b32_e32 v28, 16, v57
	v_max_f32_e32 v24, v24, v24
	v_lshrrev_b32_e32 v29, 16, v25
	v_lshrrev_b32_e32 v30, 16, v26
	v_min_f16_e32 v25, v27, v25
	v_min3_f16 v27, v28, v29, v30
	v_min3_f16 v25, v25, v26, v27
	v_cvt_f32_f16_e32 v25, v25
	v_min_f32_e32 v26, v24, v25
	v_lshlrev_b64 v[24:25], 1, v[44:45]
	v_cvt_f16_f32_e32 v26, v26
	v_add_co_u32 v24, vcc_lo, v20, v24
	v_add_co_ci_u32_e64 v25, null, v21, v25, vcc_lo
	flat_store_short v[24:25], v26
	s_or_b32 exec_lo, exec_lo, s12
	s_and_b32 s12, s7, s8
	s_and_saveexec_b32 s8, s12
	s_cbranch_execz .LBB223_331
.LBB223_327:
	v_cmp_ne_u32_e32 vcc_lo, 1, v68
	s_cbranch_vccnz .LBB223_329
; %bb.328:
	v_lshlrev_b64 v[24:25], 1, v[46:47]
	v_add_co_u32 v22, vcc_lo, v22, v24
	v_add_co_ci_u32_e64 v23, null, v23, v25, vcc_lo
	flat_load_ushort v22, v[22:23]
	s_waitcnt vmcnt(0) lgkmcnt(0)
	v_mul_f16_e32 v22, s15, v22
	v_cvt_f32_f16_e32 v22, v22
	s_branch .LBB223_330
.LBB223_329:
	v_mov_b32_e32 v22, 0
.LBB223_330:
	v_pk_add_f16 v4, v2, v4
	v_pk_add_f16 v5, v3, v5
	v_max_f16_e32 v23, v56, v56
	v_lshrrev_b32_e32 v24, 16, v56
	v_lshrrev_b32_e32 v25, 16, v4
	;; [unrolled: 1-line block ×3, first 2 shown]
	v_min_f16_e32 v4, v23, v4
	v_min3_f16 v23, v24, v25, v26
	v_min3_f16 v4, v4, v5, v23
	v_max_f32_e32 v5, v22, v22
	v_cvt_f32_f16_e32 v4, v4
	v_min_f32_e32 v22, v5, v4
	v_lshlrev_b64 v[4:5], 1, v[46:47]
	v_cvt_f16_f32_e32 v22, v22
	v_add_co_u32 v4, vcc_lo, v20, v4
	v_add_co_ci_u32_e64 v5, null, v21, v5, vcc_lo
	flat_store_short v[4:5], v22
.LBB223_331:
	s_or_b32 exec_lo, exec_lo, s8
	v_add_nc_u32_e32 v22, 0xe0, v77
	v_mad_i64_i32 v[4:5], null, v22, s14, 0
	v_mad_i64_i32 v[20:21], null, v22, s9, 0
	v_cmp_gt_i32_e64 s8, s13, v22
	v_lshlrev_b64 v[4:5], 1, v[4:5]
	s_and_b32 s9, s0, s8
	v_lshlrev_b64 v[20:21], 1, v[20:21]
	v_add_co_u32 v22, vcc_lo, s10, v4
	v_add_co_ci_u32_e64 v23, null, s11, v5, vcc_lo
	v_add_co_u32 v20, vcc_lo, s16, v20
	v_add_co_ci_u32_e64 v21, null, s17, v21, vcc_lo
	s_and_saveexec_b32 s0, s9
	s_cbranch_execnz .LBB223_340
; %bb.332:
	s_or_b32 exec_lo, exec_lo, s0
	s_and_b32 s1, s1, s8
	s_and_saveexec_b32 s0, s1
	s_cbranch_execnz .LBB223_344
.LBB223_333:
	s_or_b32 exec_lo, exec_lo, s0
	s_and_b32 s1, s2, s8
	s_and_saveexec_b32 s0, s1
	s_cbranch_execnz .LBB223_348
.LBB223_334:
	s_or_b32 exec_lo, exec_lo, s0
	s_and_b32 s1, s3, s8
	s_and_saveexec_b32 s0, s1
	s_cbranch_execnz .LBB223_352
.LBB223_335:
	s_or_b32 exec_lo, exec_lo, s0
	s_and_b32 s1, s4, s8
	s_and_saveexec_b32 s0, s1
	s_cbranch_execnz .LBB223_356
.LBB223_336:
	s_or_b32 exec_lo, exec_lo, s0
	s_and_b32 s1, s5, s8
	s_and_saveexec_b32 s0, s1
	s_cbranch_execnz .LBB223_360
.LBB223_337:
	s_or_b32 exec_lo, exec_lo, s0
	s_and_b32 s1, s6, s8
	s_and_saveexec_b32 s0, s1
	s_cbranch_execnz .LBB223_364
.LBB223_338:
	s_or_b32 exec_lo, exec_lo, s0
	s_and_b32 s0, s7, s8
	s_and_saveexec_b32 s1, s0
	s_cbranch_execnz .LBB223_368
.LBB223_339:
	s_endpgm
.LBB223_340:
	v_cmp_ne_u32_e32 vcc_lo, 1, v68
	v_lshlrev_b64 v[4:5], 1, v[32:33]
	s_cbranch_vccnz .LBB223_342
; %bb.341:
	v_add_co_u32 v24, vcc_lo, v22, v4
	v_add_co_ci_u32_e64 v25, null, v23, v5, vcc_lo
	flat_load_ushort v24, v[24:25]
	s_waitcnt vmcnt(0) lgkmcnt(0)
	v_mul_f16_e32 v24, s15, v24
	v_cvt_f32_f16_e32 v24, v24
	s_branch .LBB223_343
.LBB223_342:
	v_mov_b32_e32 v24, 0
.LBB223_343:
	v_pk_add_f16 v16, v16, v6
	v_pk_add_f16 v17, v17, v7
	v_max_f16_e32 v25, v55, v55
	v_lshrrev_b32_e32 v26, 16, v55
	v_add_co_u32 v4, vcc_lo, v20, v4
	v_lshrrev_b32_e32 v27, 16, v16
	v_lshrrev_b32_e32 v28, 16, v17
	v_min_f16_e32 v16, v25, v16
	v_add_co_ci_u32_e64 v5, null, v21, v5, vcc_lo
	v_min3_f16 v25, v26, v27, v28
	v_min3_f16 v16, v16, v17, v25
	v_max_f32_e32 v17, v24, v24
	v_cvt_f32_f16_e32 v16, v16
	v_min_f32_e32 v16, v17, v16
	v_cvt_f16_f32_e32 v16, v16
	flat_store_short v[4:5], v16
	s_or_b32 exec_lo, exec_lo, s0
	s_and_b32 s1, s1, s8
	s_and_saveexec_b32 s0, s1
	s_cbranch_execz .LBB223_333
.LBB223_344:
	v_cmp_ne_u32_e32 vcc_lo, 1, v68
	v_lshlrev_b64 v[4:5], 1, v[34:35]
	s_cbranch_vccnz .LBB223_346
; %bb.345:
	v_add_co_u32 v16, vcc_lo, v22, v4
	v_add_co_ci_u32_e64 v17, null, v23, v5, vcc_lo
	flat_load_ushort v16, v[16:17]
	s_waitcnt vmcnt(0) lgkmcnt(0)
	v_mul_f16_e32 v16, s15, v16
	v_cvt_f32_f16_e32 v16, v16
	s_branch .LBB223_347
.LBB223_346:
	v_mov_b32_e32 v16, 0
.LBB223_347:
	v_pk_add_f16 v17, v18, v6
	v_pk_add_f16 v18, v19, v7
	v_max_f16_e32 v19, v54, v54
	v_lshrrev_b32_e32 v24, 16, v54
	v_max_f32_e32 v16, v16, v16
	v_lshrrev_b32_e32 v25, 16, v17
	v_lshrrev_b32_e32 v26, 16, v18
	v_min_f16_e32 v17, v19, v17
	v_add_co_u32 v4, vcc_lo, v20, v4
	v_add_co_ci_u32_e64 v5, null, v21, v5, vcc_lo
	v_min3_f16 v19, v24, v25, v26
	v_min3_f16 v17, v17, v18, v19
	v_cvt_f32_f16_e32 v17, v17
	v_min_f32_e32 v16, v16, v17
	v_cvt_f16_f32_e32 v16, v16
	flat_store_short v[4:5], v16
	s_or_b32 exec_lo, exec_lo, s0
	s_and_b32 s1, s2, s8
	s_and_saveexec_b32 s0, s1
	s_cbranch_execz .LBB223_334
.LBB223_348:
	v_cmp_ne_u32_e32 vcc_lo, 1, v68
	v_lshlrev_b64 v[4:5], 1, v[36:37]
	s_cbranch_vccnz .LBB223_350
; %bb.349:
	v_add_co_u32 v16, vcc_lo, v22, v4
	v_add_co_ci_u32_e64 v17, null, v23, v5, vcc_lo
	flat_load_ushort v16, v[16:17]
	s_waitcnt vmcnt(0) lgkmcnt(0)
	v_mul_f16_e32 v16, s15, v16
	v_cvt_f32_f16_e32 v16, v16
	s_branch .LBB223_351
.LBB223_350:
	v_mov_b32_e32 v16, 0
.LBB223_351:
	v_pk_add_f16 v12, v12, v6
	v_pk_add_f16 v13, v13, v7
	v_max_f16_e32 v17, v53, v53
	v_lshrrev_b32_e32 v18, 16, v53
	v_add_co_u32 v4, vcc_lo, v20, v4
	v_lshrrev_b32_e32 v19, 16, v12
	v_lshrrev_b32_e32 v24, 16, v13
	v_min_f16_e32 v12, v17, v12
	v_add_co_ci_u32_e64 v5, null, v21, v5, vcc_lo
	v_min3_f16 v17, v18, v19, v24
	v_min3_f16 v12, v12, v13, v17
	v_max_f32_e32 v13, v16, v16
	v_cvt_f32_f16_e32 v12, v12
	v_min_f32_e32 v12, v13, v12
	v_cvt_f16_f32_e32 v12, v12
	flat_store_short v[4:5], v12
	s_or_b32 exec_lo, exec_lo, s0
	s_and_b32 s1, s3, s8
	s_and_saveexec_b32 s0, s1
	s_cbranch_execz .LBB223_335
.LBB223_352:
	v_cmp_ne_u32_e32 vcc_lo, 1, v68
	v_lshlrev_b64 v[4:5], 1, v[38:39]
	s_cbranch_vccnz .LBB223_354
; %bb.353:
	v_add_co_u32 v12, vcc_lo, v22, v4
	v_add_co_ci_u32_e64 v13, null, v23, v5, vcc_lo
	flat_load_ushort v12, v[12:13]
	s_waitcnt vmcnt(0) lgkmcnt(0)
	v_mul_f16_e32 v12, s15, v12
	v_cvt_f32_f16_e32 v12, v12
	s_branch .LBB223_355
.LBB223_354:
	v_mov_b32_e32 v12, 0
.LBB223_355:
	v_pk_add_f16 v13, v14, v6
	v_pk_add_f16 v14, v15, v7
	v_max_f16_e32 v15, v52, v52
	v_lshrrev_b32_e32 v16, 16, v52
	v_max_f32_e32 v12, v12, v12
	v_lshrrev_b32_e32 v17, 16, v13
	v_lshrrev_b32_e32 v18, 16, v14
	v_min_f16_e32 v13, v15, v13
	v_add_co_u32 v4, vcc_lo, v20, v4
	v_add_co_ci_u32_e64 v5, null, v21, v5, vcc_lo
	v_min3_f16 v15, v16, v17, v18
	v_min3_f16 v13, v13, v14, v15
	v_cvt_f32_f16_e32 v13, v13
	v_min_f32_e32 v12, v12, v13
	v_cvt_f16_f32_e32 v12, v12
	flat_store_short v[4:5], v12
	s_or_b32 exec_lo, exec_lo, s0
	s_and_b32 s1, s4, s8
	s_and_saveexec_b32 s0, s1
	s_cbranch_execz .LBB223_336
.LBB223_356:
	v_cmp_ne_u32_e32 vcc_lo, 1, v68
	v_lshlrev_b64 v[4:5], 1, v[40:41]
	s_cbranch_vccnz .LBB223_358
; %bb.357:
	v_add_co_u32 v12, vcc_lo, v22, v4
	v_add_co_ci_u32_e64 v13, null, v23, v5, vcc_lo
	flat_load_ushort v12, v[12:13]
	s_waitcnt vmcnt(0) lgkmcnt(0)
	v_mul_f16_e32 v12, s15, v12
	v_cvt_f32_f16_e32 v12, v12
	s_branch .LBB223_359
.LBB223_358:
	v_mov_b32_e32 v12, 0
.LBB223_359:
	v_pk_add_f16 v8, v8, v6
	v_pk_add_f16 v9, v9, v7
	v_max_f16_e32 v13, v51, v51
	v_lshrrev_b32_e32 v14, 16, v51
	v_add_co_u32 v4, vcc_lo, v20, v4
	v_lshrrev_b32_e32 v15, 16, v8
	v_lshrrev_b32_e32 v16, 16, v9
	v_min_f16_e32 v8, v13, v8
	v_add_co_ci_u32_e64 v5, null, v21, v5, vcc_lo
	v_min3_f16 v13, v14, v15, v16
	v_min3_f16 v8, v8, v9, v13
	v_max_f32_e32 v9, v12, v12
	v_cvt_f32_f16_e32 v8, v8
	v_min_f32_e32 v8, v9, v8
	v_cvt_f16_f32_e32 v8, v8
	flat_store_short v[4:5], v8
	s_or_b32 exec_lo, exec_lo, s0
	s_and_b32 s1, s5, s8
	s_and_saveexec_b32 s0, s1
	s_cbranch_execz .LBB223_337
.LBB223_360:
	v_cmp_ne_u32_e32 vcc_lo, 1, v68
	v_lshlrev_b64 v[4:5], 1, v[42:43]
	s_cbranch_vccnz .LBB223_362
; %bb.361:
	v_add_co_u32 v8, vcc_lo, v22, v4
	v_add_co_ci_u32_e64 v9, null, v23, v5, vcc_lo
	flat_load_ushort v8, v[8:9]
	s_waitcnt vmcnt(0) lgkmcnt(0)
	v_mul_f16_e32 v8, s15, v8
	v_cvt_f32_f16_e32 v8, v8
	s_branch .LBB223_363
.LBB223_362:
	v_mov_b32_e32 v8, 0
.LBB223_363:
	v_pk_add_f16 v9, v10, v6
	v_pk_add_f16 v10, v11, v7
	v_max_f16_e32 v11, v50, v50
	v_lshrrev_b32_e32 v12, 16, v50
	v_max_f32_e32 v8, v8, v8
	v_lshrrev_b32_e32 v13, 16, v9
	v_lshrrev_b32_e32 v14, 16, v10
	v_min_f16_e32 v9, v11, v9
	v_add_co_u32 v4, vcc_lo, v20, v4
	v_add_co_ci_u32_e64 v5, null, v21, v5, vcc_lo
	v_min3_f16 v11, v12, v13, v14
	v_min3_f16 v9, v9, v10, v11
	v_cvt_f32_f16_e32 v9, v9
	v_min_f32_e32 v8, v8, v9
	v_cvt_f16_f32_e32 v8, v8
	flat_store_short v[4:5], v8
	s_or_b32 exec_lo, exec_lo, s0
	s_and_b32 s1, s6, s8
	s_and_saveexec_b32 s0, s1
	s_cbranch_execz .LBB223_338
.LBB223_364:
	v_cmp_ne_u32_e32 vcc_lo, 1, v68
	v_lshlrev_b64 v[4:5], 1, v[44:45]
	s_cbranch_vccnz .LBB223_366
; %bb.365:
	v_add_co_u32 v8, vcc_lo, v22, v4
	v_add_co_ci_u32_e64 v9, null, v23, v5, vcc_lo
	flat_load_ushort v8, v[8:9]
	s_waitcnt vmcnt(0) lgkmcnt(0)
	v_mul_f16_e32 v8, s15, v8
	v_cvt_f32_f16_e32 v8, v8
	s_branch .LBB223_367
.LBB223_366:
	v_mov_b32_e32 v8, 0
.LBB223_367:
	v_pk_add_f16 v0, v0, v6
	v_pk_add_f16 v1, v1, v7
	v_max_f16_e32 v9, v49, v49
	v_lshrrev_b32_e32 v10, 16, v49
	v_lshrrev_b32_e32 v11, 16, v0
	;; [unrolled: 1-line block ×3, first 2 shown]
	v_min_f16_e32 v0, v9, v0
	v_min3_f16 v9, v10, v11, v12
	v_min3_f16 v0, v0, v1, v9
	v_max_f32_e32 v1, v8, v8
	v_cvt_f32_f16_e32 v0, v0
	v_min_f32_e32 v0, v1, v0
	v_cvt_f16_f32_e32 v8, v0
	v_add_co_u32 v0, vcc_lo, v20, v4
	v_add_co_ci_u32_e64 v1, null, v21, v5, vcc_lo
	flat_store_short v[0:1], v8
	s_or_b32 exec_lo, exec_lo, s0
	s_and_b32 s0, s7, s8
	s_and_saveexec_b32 s1, s0
	s_cbranch_execz .LBB223_339
.LBB223_368:
	v_cmp_ne_u32_e32 vcc_lo, 1, v68
	v_lshlrev_b64 v[0:1], 1, v[46:47]
	s_cbranch_vccnz .LBB223_370
; %bb.369:
	v_add_co_u32 v4, vcc_lo, v22, v0
	v_add_co_ci_u32_e64 v5, null, v23, v1, vcc_lo
	flat_load_ushort v4, v[4:5]
	s_waitcnt vmcnt(0) lgkmcnt(0)
	v_mul_f16_e32 v4, s15, v4
	v_cvt_f32_f16_e32 v4, v4
	s_branch .LBB223_371
.LBB223_370:
	v_mov_b32_e32 v4, 0
.LBB223_371:
	v_pk_add_f16 v2, v2, v6
	v_pk_add_f16 v3, v3, v7
	v_max_f16_e32 v5, v48, v48
	v_lshrrev_b32_e32 v6, 16, v48
	v_add_co_u32 v0, vcc_lo, v20, v0
	v_lshrrev_b32_e32 v7, 16, v2
	v_lshrrev_b32_e32 v8, 16, v3
	v_min_f16_e32 v2, v5, v2
	v_add_co_ci_u32_e64 v1, null, v21, v1, vcc_lo
	v_min3_f16 v5, v6, v7, v8
	v_min3_f16 v2, v2, v3, v5
	v_max_f32_e32 v3, v4, v4
	v_cvt_f32_f16_e32 v2, v2
	v_min_f32_e32 v2, v3, v2
	v_cvt_f16_f32_e32 v2, v2
	flat_store_short v[0:1], v2
	s_endpgm
	.section	.rodata,"a",@progbits
	.p2align	6, 0x0
	.amdhsa_kernel _ZN12_GLOBAL__N_120geam_min_plus_kernelIDF16_Dv2_DF16_S1_Li8ELi32ELi64ELi256ELi4ELi64ELi4ELi64ELi4ELc78ELc84ELb1ELb1ELb1EDF16_KPKDF16_KPDF16_EEviiiT16_PT17_ilS9_ilS7_S9_ilPT18_ili26rocblas_geam_ex_operation_
		.amdhsa_group_segment_fixed_size 5120
		.amdhsa_private_segment_fixed_size 0
		.amdhsa_kernarg_size 128
		.amdhsa_user_sgpr_count 6
		.amdhsa_user_sgpr_private_segment_buffer 1
		.amdhsa_user_sgpr_dispatch_ptr 0
		.amdhsa_user_sgpr_queue_ptr 0
		.amdhsa_user_sgpr_kernarg_segment_ptr 1
		.amdhsa_user_sgpr_dispatch_id 0
		.amdhsa_user_sgpr_flat_scratch_init 0
		.amdhsa_user_sgpr_private_segment_size 0
		.amdhsa_wavefront_size32 1
		.amdhsa_uses_dynamic_stack 0
		.amdhsa_system_sgpr_private_segment_wavefront_offset 0
		.amdhsa_system_sgpr_workgroup_id_x 1
		.amdhsa_system_sgpr_workgroup_id_y 0
		.amdhsa_system_sgpr_workgroup_id_z 1
		.amdhsa_system_sgpr_workgroup_info 0
		.amdhsa_system_vgpr_workitem_id 1
		.amdhsa_next_free_vgpr 167
		.amdhsa_next_free_sgpr 28
		.amdhsa_reserve_vcc 1
		.amdhsa_reserve_flat_scratch 0
		.amdhsa_float_round_mode_32 0
		.amdhsa_float_round_mode_16_64 0
		.amdhsa_float_denorm_mode_32 3
		.amdhsa_float_denorm_mode_16_64 3
		.amdhsa_dx10_clamp 1
		.amdhsa_ieee_mode 1
		.amdhsa_fp16_overflow 0
		.amdhsa_workgroup_processor_mode 1
		.amdhsa_memory_ordered 1
		.amdhsa_forward_progress 1
		.amdhsa_shared_vgpr_count 0
		.amdhsa_exception_fp_ieee_invalid_op 0
		.amdhsa_exception_fp_denorm_src 0
		.amdhsa_exception_fp_ieee_div_zero 0
		.amdhsa_exception_fp_ieee_overflow 0
		.amdhsa_exception_fp_ieee_underflow 0
		.amdhsa_exception_fp_ieee_inexact 0
		.amdhsa_exception_int_div_zero 0
	.end_amdhsa_kernel
	.section	.text._ZN12_GLOBAL__N_120geam_min_plus_kernelIDF16_Dv2_DF16_S1_Li8ELi32ELi64ELi256ELi4ELi64ELi4ELi64ELi4ELc78ELc84ELb1ELb1ELb1EDF16_KPKDF16_KPDF16_EEviiiT16_PT17_ilS9_ilS7_S9_ilPT18_ili26rocblas_geam_ex_operation_,"axG",@progbits,_ZN12_GLOBAL__N_120geam_min_plus_kernelIDF16_Dv2_DF16_S1_Li8ELi32ELi64ELi256ELi4ELi64ELi4ELi64ELi4ELc78ELc84ELb1ELb1ELb1EDF16_KPKDF16_KPDF16_EEviiiT16_PT17_ilS9_ilS7_S9_ilPT18_ili26rocblas_geam_ex_operation_,comdat
.Lfunc_end223:
	.size	_ZN12_GLOBAL__N_120geam_min_plus_kernelIDF16_Dv2_DF16_S1_Li8ELi32ELi64ELi256ELi4ELi64ELi4ELi64ELi4ELc78ELc84ELb1ELb1ELb1EDF16_KPKDF16_KPDF16_EEviiiT16_PT17_ilS9_ilS7_S9_ilPT18_ili26rocblas_geam_ex_operation_, .Lfunc_end223-_ZN12_GLOBAL__N_120geam_min_plus_kernelIDF16_Dv2_DF16_S1_Li8ELi32ELi64ELi256ELi4ELi64ELi4ELi64ELi4ELc78ELc84ELb1ELb1ELb1EDF16_KPKDF16_KPDF16_EEviiiT16_PT17_ilS9_ilS7_S9_ilPT18_ili26rocblas_geam_ex_operation_
                                        ; -- End function
	.set _ZN12_GLOBAL__N_120geam_min_plus_kernelIDF16_Dv2_DF16_S1_Li8ELi32ELi64ELi256ELi4ELi64ELi4ELi64ELi4ELc78ELc84ELb1ELb1ELb1EDF16_KPKDF16_KPDF16_EEviiiT16_PT17_ilS9_ilS7_S9_ilPT18_ili26rocblas_geam_ex_operation_.num_vgpr, 167
	.set _ZN12_GLOBAL__N_120geam_min_plus_kernelIDF16_Dv2_DF16_S1_Li8ELi32ELi64ELi256ELi4ELi64ELi4ELi64ELi4ELc78ELc84ELb1ELb1ELb1EDF16_KPKDF16_KPDF16_EEviiiT16_PT17_ilS9_ilS7_S9_ilPT18_ili26rocblas_geam_ex_operation_.num_agpr, 0
	.set _ZN12_GLOBAL__N_120geam_min_plus_kernelIDF16_Dv2_DF16_S1_Li8ELi32ELi64ELi256ELi4ELi64ELi4ELi64ELi4ELc78ELc84ELb1ELb1ELb1EDF16_KPKDF16_KPDF16_EEviiiT16_PT17_ilS9_ilS7_S9_ilPT18_ili26rocblas_geam_ex_operation_.numbered_sgpr, 28
	.set _ZN12_GLOBAL__N_120geam_min_plus_kernelIDF16_Dv2_DF16_S1_Li8ELi32ELi64ELi256ELi4ELi64ELi4ELi64ELi4ELc78ELc84ELb1ELb1ELb1EDF16_KPKDF16_KPDF16_EEviiiT16_PT17_ilS9_ilS7_S9_ilPT18_ili26rocblas_geam_ex_operation_.num_named_barrier, 0
	.set _ZN12_GLOBAL__N_120geam_min_plus_kernelIDF16_Dv2_DF16_S1_Li8ELi32ELi64ELi256ELi4ELi64ELi4ELi64ELi4ELc78ELc84ELb1ELb1ELb1EDF16_KPKDF16_KPDF16_EEviiiT16_PT17_ilS9_ilS7_S9_ilPT18_ili26rocblas_geam_ex_operation_.private_seg_size, 0
	.set _ZN12_GLOBAL__N_120geam_min_plus_kernelIDF16_Dv2_DF16_S1_Li8ELi32ELi64ELi256ELi4ELi64ELi4ELi64ELi4ELc78ELc84ELb1ELb1ELb1EDF16_KPKDF16_KPDF16_EEviiiT16_PT17_ilS9_ilS7_S9_ilPT18_ili26rocblas_geam_ex_operation_.uses_vcc, 1
	.set _ZN12_GLOBAL__N_120geam_min_plus_kernelIDF16_Dv2_DF16_S1_Li8ELi32ELi64ELi256ELi4ELi64ELi4ELi64ELi4ELc78ELc84ELb1ELb1ELb1EDF16_KPKDF16_KPDF16_EEviiiT16_PT17_ilS9_ilS7_S9_ilPT18_ili26rocblas_geam_ex_operation_.uses_flat_scratch, 0
	.set _ZN12_GLOBAL__N_120geam_min_plus_kernelIDF16_Dv2_DF16_S1_Li8ELi32ELi64ELi256ELi4ELi64ELi4ELi64ELi4ELc78ELc84ELb1ELb1ELb1EDF16_KPKDF16_KPDF16_EEviiiT16_PT17_ilS9_ilS7_S9_ilPT18_ili26rocblas_geam_ex_operation_.has_dyn_sized_stack, 0
	.set _ZN12_GLOBAL__N_120geam_min_plus_kernelIDF16_Dv2_DF16_S1_Li8ELi32ELi64ELi256ELi4ELi64ELi4ELi64ELi4ELc78ELc84ELb1ELb1ELb1EDF16_KPKDF16_KPDF16_EEviiiT16_PT17_ilS9_ilS7_S9_ilPT18_ili26rocblas_geam_ex_operation_.has_recursion, 0
	.set _ZN12_GLOBAL__N_120geam_min_plus_kernelIDF16_Dv2_DF16_S1_Li8ELi32ELi64ELi256ELi4ELi64ELi4ELi64ELi4ELc78ELc84ELb1ELb1ELb1EDF16_KPKDF16_KPDF16_EEviiiT16_PT17_ilS9_ilS7_S9_ilPT18_ili26rocblas_geam_ex_operation_.has_indirect_call, 0
	.section	.AMDGPU.csdata,"",@progbits
; Kernel info:
; codeLenInByte = 22896
; TotalNumSgprs: 30
; NumVgprs: 167
; ScratchSize: 0
; MemoryBound: 0
; FloatMode: 240
; IeeeMode: 1
; LDSByteSize: 5120 bytes/workgroup (compile time only)
; SGPRBlocks: 0
; VGPRBlocks: 20
; NumSGPRsForWavesPerEU: 30
; NumVGPRsForWavesPerEU: 167
; Occupancy: 5
; WaveLimiterHint : 1
; COMPUTE_PGM_RSRC2:SCRATCH_EN: 0
; COMPUTE_PGM_RSRC2:USER_SGPR: 6
; COMPUTE_PGM_RSRC2:TRAP_HANDLER: 0
; COMPUTE_PGM_RSRC2:TGID_X_EN: 1
; COMPUTE_PGM_RSRC2:TGID_Y_EN: 0
; COMPUTE_PGM_RSRC2:TGID_Z_EN: 1
; COMPUTE_PGM_RSRC2:TIDIG_COMP_CNT: 1
	.section	.text._ZN12_GLOBAL__N_120geam_min_plus_kernelIDF16_Dv2_DF16_S1_Li8ELi32ELi64ELi256ELi4ELi64ELi4ELi64ELi4ELc78ELc84ELb0ELb1ELb1EDF16_KPKDF16_KPDF16_EEviiiT16_PT17_ilS9_ilS7_S9_ilPT18_ili26rocblas_geam_ex_operation_,"axG",@progbits,_ZN12_GLOBAL__N_120geam_min_plus_kernelIDF16_Dv2_DF16_S1_Li8ELi32ELi64ELi256ELi4ELi64ELi4ELi64ELi4ELc78ELc84ELb0ELb1ELb1EDF16_KPKDF16_KPDF16_EEviiiT16_PT17_ilS9_ilS7_S9_ilPT18_ili26rocblas_geam_ex_operation_,comdat
	.globl	_ZN12_GLOBAL__N_120geam_min_plus_kernelIDF16_Dv2_DF16_S1_Li8ELi32ELi64ELi256ELi4ELi64ELi4ELi64ELi4ELc78ELc84ELb0ELb1ELb1EDF16_KPKDF16_KPDF16_EEviiiT16_PT17_ilS9_ilS7_S9_ilPT18_ili26rocblas_geam_ex_operation_ ; -- Begin function _ZN12_GLOBAL__N_120geam_min_plus_kernelIDF16_Dv2_DF16_S1_Li8ELi32ELi64ELi256ELi4ELi64ELi4ELi64ELi4ELc78ELc84ELb0ELb1ELb1EDF16_KPKDF16_KPDF16_EEviiiT16_PT17_ilS9_ilS7_S9_ilPT18_ili26rocblas_geam_ex_operation_
	.p2align	8
	.type	_ZN12_GLOBAL__N_120geam_min_plus_kernelIDF16_Dv2_DF16_S1_Li8ELi32ELi64ELi256ELi4ELi64ELi4ELi64ELi4ELc78ELc84ELb0ELb1ELb1EDF16_KPKDF16_KPDF16_EEviiiT16_PT17_ilS9_ilS7_S9_ilPT18_ili26rocblas_geam_ex_operation_,@function
_ZN12_GLOBAL__N_120geam_min_plus_kernelIDF16_Dv2_DF16_S1_Li8ELi32ELi64ELi256ELi4ELi64ELi4ELi64ELi4ELc78ELc84ELb0ELb1ELb1EDF16_KPKDF16_KPDF16_EEviiiT16_PT17_ilS9_ilS7_S9_ilPT18_ili26rocblas_geam_ex_operation_: ; @_ZN12_GLOBAL__N_120geam_min_plus_kernelIDF16_Dv2_DF16_S1_Li8ELi32ELi64ELi256ELi4ELi64ELi4ELi64ELi4ELc78ELc84ELb0ELb1ELb1EDF16_KPKDF16_KPDF16_EEviiiT16_PT17_ilS9_ilS7_S9_ilPT18_ili26rocblas_geam_ex_operation_
; %bb.0:
	s_clause 0x1
	s_load_dwordx4 s[12:15], s[4:5], 0x0
	s_load_dwordx4 s[0:3], s[4:5], 0x20
	s_mov_b32 s16, s7
	s_mov_b32 s17, 0
	s_waitcnt lgkmcnt(0)
	v_cmp_eq_f16_e64 s7, s15, 0
	s_and_b32 vcc_lo, exec_lo, s7
	s_cbranch_vccnz .LBB224_3
; %bb.1:
	s_load_dwordx2 s[8:9], s[4:5], 0x10
	s_lshl_b64 s[10:11], s[16:17], 3
	s_waitcnt lgkmcnt(0)
	s_add_u32 s8, s8, s10
	s_addc_u32 s9, s9, s11
	s_lshl_b64 s[0:1], s[0:1], 1
	s_load_dwordx2 s[8:9], s[8:9], 0x0
	s_waitcnt lgkmcnt(0)
	s_add_u32 s18, s8, s0
	s_addc_u32 s19, s9, s1
	s_andn2_b32 vcc_lo, exec_lo, s7
	s_cbranch_vccnz .LBB224_4
.LBB224_2:
	s_mov_b32 s23, 0
	s_mov_b32 s22, s16
	;; [unrolled: 1-line block ×3, first 2 shown]
	s_mov_b64 s[10:11], 0
	s_andn2_b32 vcc_lo, exec_lo, s0
	s_mov_b64 s[8:9], 0
	s_cbranch_vccz .LBB224_5
	s_branch .LBB224_6
.LBB224_3:
	s_mov_b64 s[18:19], 0
	s_andn2_b32 vcc_lo, exec_lo, s7
	s_cbranch_vccz .LBB224_2
.LBB224_4:
	s_mov_b64 s[22:23], s[16:17]
	s_mov_b64 s[10:11], 0
	s_mov_b64 s[8:9], 0
.LBB224_5:
	s_lshl_b64 s[0:1], s[16:17], 3
	s_load_dwordx2 s[8:9], s[4:5], 0x38
	s_add_u32 s0, s2, s0
	s_addc_u32 s1, s3, s1
	s_load_dwordx2 s[0:1], s[0:1], 0x0
	s_waitcnt lgkmcnt(0)
	s_lshl_b64 s[2:3], s[8:9], 1
	s_add_u32 s8, s0, s2
	s_addc_u32 s9, s1, s3
.LBB224_6:
	s_clause 0x1
	s_load_dword s24, s[4:5], 0x40
	s_load_dwordx4 s[0:3], s[4:5], 0x58
	s_waitcnt lgkmcnt(0)
	v_cmp_eq_f16_e64 s7, s24, 0
	v_cmp_neq_f16_e64 s25, s24, 0
	s_and_b32 vcc_lo, exec_lo, s7
	s_cbranch_vccnz .LBB224_8
; %bb.7:
	s_load_dwordx2 s[10:11], s[4:5], 0x48
	s_lshl_b64 s[16:17], s[22:23], 3
	s_waitcnt lgkmcnt(0)
	s_add_u32 s10, s10, s16
	s_addc_u32 s11, s11, s17
	s_lshl_b64 s[0:1], s[0:1], 1
	s_load_dwordx2 s[10:11], s[10:11], 0x0
	s_waitcnt lgkmcnt(0)
	s_add_u32 s10, s10, s0
	s_addc_u32 s11, s11, s1
.LBB224_8:
	s_load_dword s20, s[4:5], 0x18
	s_lshl_b64 s[0:1], s[22:23], 3
	v_lshl_add_u32 v3, v1, 3, v0
	v_cmp_eq_f16_e64 s26, s15, 0
                                        ; implicit-def: $vgpr18
	v_and_b32_e32 v17, 63, v3
	v_lshrrev_b32_e32 v93, 6, v3
	s_waitcnt lgkmcnt(0)
	s_ashr_i32 s21, s20, 31
	s_add_u32 s16, s2, s0
	s_addc_u32 s17, s3, s1
	s_add_i32 s0, s12, -1
	s_ashr_i32 s1, s0, 31
	s_lshr_b32 s1, s1, 26
	s_add_i32 s0, s0, s1
	s_ashr_i32 s0, s0, 6
	s_add_i32 s2, s0, 1
	s_not_b32 s0, s0
	v_cvt_f32_u32_e32 v2, s2
	v_rcp_iflag_f32_e32 v2, v2
	v_mul_f32_e32 v2, 0x4f7ffffe, v2
	v_cvt_u32_f32_e32 v2, v2
	v_readfirstlane_b32 s1, v2
	s_mul_i32 s0, s0, s1
	s_mul_hi_u32 s0, s1, s0
	s_add_i32 s1, s1, s0
	s_mul_hi_u32 s0, s6, s1
	s_mul_i32 s1, s0, s2
	s_add_i32 s3, s0, 1
	s_sub_i32 s1, s6, s1
	s_sub_i32 s7, s1, s2
	s_cmp_ge_u32 s1, s2
	s_cselect_b32 s0, s3, s0
	s_cselect_b32 s1, s7, s1
	s_add_i32 s3, s0, 1
	s_cmp_ge_u32 s1, s2
	s_cselect_b32 s1, s3, s0
                                        ; implicit-def: $sgpr3
	s_mul_i32 s0, s1, s2
	s_sub_i32 s0, s6, s0
	v_cmp_le_i32_e64 s6, s14, v93
	s_lshl_b32 s22, s0, 6
	v_or_b32_e32 v2, s22, v17
	v_cmp_le_i32_e32 vcc_lo, s12, v2
	v_ashrrev_i32_e32 v3, 31, v2
	s_or_b32 s2, vcc_lo, s6
	s_nor_b32 s0, s26, s2
	s_and_saveexec_b32 s7, s0
	s_xor_b32 s7, exec_lo, s7
	s_cbranch_execz .LBB224_10
; %bb.9:
	s_add_i32 s3, s14, -1
	v_lshlrev_b64 v[6:7], 1, v[2:3]
	v_min_u32_e32 v4, s3, v93
	v_mad_i64_i32 v[4:5], null, s20, v4, 0
	v_lshlrev_b64 v[4:5], 1, v[4:5]
	v_add_co_u32 v4, s0, s18, v4
	v_add_co_ci_u32_e64 v5, null, s19, v5, s0
	v_add_co_u32 v4, s0, v4, v6
	v_add_co_ci_u32_e64 v5, null, v5, v7, s0
	flat_load_ushort v4, v[4:5]
	s_waitcnt vmcnt(0) lgkmcnt(0)
	v_mul_f16_e32 v18, s15, v4
.LBB224_10:
	s_or_saveexec_b32 s0, s7
	v_mov_b32_e32 v4, s3
	s_xor_b32 exec_lo, exec_lo, s0
; %bb.11:
	s_add_i32 s3, s14, -1
	v_cndmask_b32_e64 v18, 0, 0x7c00, s2
	v_mov_b32_e32 v4, s3
; %bb.12:
	s_or_b32 exec_lo, exec_lo, s0
	s_load_dword s27, s[4:5], 0x30
	v_min_i32_e32 v4, v93, v4
	s_lshl_b32 s23, s1, 8
	s_waitcnt lgkmcnt(0)
	v_mad_i64_i32 v[5:6], null, v4, s27, 0
	v_or_b32_e32 v4, s23, v17
	v_cmp_le_i32_e64 s0, s13, v4
	v_lshlrev_b64 v[5:6], 1, v[5:6]
	s_or_b32 s2, s0, s6
	v_cndmask_b32_e64 v19, 0, 0x7c00, s2
	v_add_co_u32 v12, s1, s8, v5
	v_add_co_ci_u32_e64 v13, null, s9, v6, s1
	v_ashrrev_i32_e32 v5, 31, v4
	s_nor_b32 s1, s26, s2
	s_and_saveexec_b32 s2, s1
	s_cbranch_execz .LBB224_14
; %bb.13:
	v_lshlrev_b64 v[6:7], 1, v[4:5]
	v_add_co_u32 v6, s1, v12, v6
	v_add_co_ci_u32_e64 v7, null, v13, v7, s1
	flat_load_ushort v6, v[6:7]
	s_waitcnt vmcnt(0) lgkmcnt(0)
	v_mul_f16_e32 v19, s15, v6
.LBB224_14:
	s_or_b32 exec_lo, exec_lo, s2
	v_or_b32_e32 v6, 64, v4
	s_add_i32 s7, s13, -1
	v_cmp_le_i32_e64 s1, s13, v6
	v_min_i32_e32 v6, s7, v6
	s_or_b32 s2, s1, s6
	v_ashrrev_i32_e32 v7, 31, v6
	v_cndmask_b32_e64 v20, 0, 0x7c00, s2
	s_nor_b32 s2, s2, s26
	s_and_saveexec_b32 s3, s2
	s_cbranch_execz .LBB224_16
; %bb.15:
	v_lshlrev_b64 v[8:9], 1, v[6:7]
	v_add_co_u32 v8, s2, v12, v8
	v_add_co_ci_u32_e64 v9, null, v13, v9, s2
	flat_load_ushort v8, v[8:9]
	s_waitcnt vmcnt(0) lgkmcnt(0)
	v_mul_f16_e32 v20, s15, v8
.LBB224_16:
	s_or_b32 exec_lo, exec_lo, s3
	v_or_b32_e32 v8, 0x80, v4
	v_cmp_le_i32_e64 s2, s13, v8
	v_min_i32_e32 v8, s7, v8
	s_or_b32 s3, s2, s6
	v_ashrrev_i32_e32 v9, 31, v8
	v_cndmask_b32_e64 v21, 0, 0x7c00, s3
	s_nor_b32 s3, s3, s26
	s_and_saveexec_b32 s28, s3
	s_cbranch_execz .LBB224_18
; %bb.17:
	v_lshlrev_b64 v[10:11], 1, v[8:9]
	v_add_co_u32 v10, s3, v12, v10
	v_add_co_ci_u32_e64 v11, null, v13, v11, s3
	flat_load_ushort v10, v[10:11]
	s_waitcnt vmcnt(0) lgkmcnt(0)
	v_mul_f16_e32 v21, s15, v10
.LBB224_18:
	s_or_b32 exec_lo, exec_lo, s28
	v_or_b32_e32 v10, 0xc0, v4
	v_cmp_le_i32_e64 s3, s13, v10
	v_min_i32_e32 v10, s7, v10
	s_or_b32 s6, s3, s6
	v_ashrrev_i32_e32 v11, 31, v10
	v_cndmask_b32_e64 v22, 0, 0x7c00, s6
	s_nor_b32 s6, s6, s26
	s_and_saveexec_b32 s7, s6
	s_cbranch_execz .LBB224_20
; %bb.19:
	v_lshlrev_b64 v[14:15], 1, v[10:11]
	v_add_co_u32 v12, s6, v12, v14
	v_add_co_ci_u32_e64 v13, null, v13, v15, s6
	flat_load_ushort v12, v[12:13]
	s_waitcnt vmcnt(0) lgkmcnt(0)
	v_mul_f16_e32 v22, s15, v12
.LBB224_20:
	s_or_b32 exec_lo, exec_lo, s7
	v_add_nc_u32_e32 v13, 4, v93
                                        ; implicit-def: $vgpr12
                                        ; implicit-def: $sgpr29
	v_cmp_le_i32_e64 s6, s14, v13
	s_or_b32 s28, vcc_lo, s6
	s_nor_b32 s7, s26, s28
	s_and_saveexec_b32 s30, s7
	s_xor_b32 s30, exec_lo, s30
	s_cbranch_execz .LBB224_22
; %bb.21:
	s_add_i32 s29, s14, -1
	v_lshlrev_b64 v[23:24], 1, v[2:3]
	v_min_u32_e32 v16, s29, v13
	v_mad_u64_u32 v[14:15], null, s20, v16, 0
	v_mov_b32_e32 v12, v15
	v_mad_u64_u32 v[15:16], null, s21, v16, v[12:13]
	v_lshlrev_b64 v[14:15], 1, v[14:15]
	v_add_co_u32 v12, s7, s18, v14
	v_add_co_ci_u32_e64 v15, null, s19, v15, s7
	v_add_co_u32 v14, s7, v12, v23
	v_add_co_ci_u32_e64 v15, null, v15, v24, s7
	flat_load_ushort v12, v[14:15]
	s_waitcnt vmcnt(0) lgkmcnt(0)
	v_mul_f16_e32 v12, s15, v12
.LBB224_22:
	s_or_saveexec_b32 s7, s30
	v_mov_b32_e32 v14, s29
	s_xor_b32 exec_lo, exec_lo, s7
; %bb.23:
	s_add_i32 s29, s14, -1
	v_cndmask_b32_e64 v12, 0, 0x7c00, s28
	v_mov_b32_e32 v14, s29
; %bb.24:
	s_or_b32 exec_lo, exec_lo, s7
	v_min_i32_e32 v13, v13, v14
	v_mad_i64_i32 v[13:14], null, v13, s27, 0
	v_lshlrev_b64 v[13:14], 1, v[13:14]
	v_add_co_u32 v23, s7, s8, v13
	v_add_co_ci_u32_e64 v24, null, s9, v14, s7
	s_or_b32 s7, s0, s6
	v_cndmask_b32_e64 v13, 0, 0x7c00, s7
	s_nor_b32 s7, s26, s7
	s_and_saveexec_b32 s28, s7
	s_cbranch_execz .LBB224_26
; %bb.25:
	v_lshlrev_b64 v[13:14], 1, v[4:5]
	v_add_co_u32 v13, s7, v23, v13
	v_add_co_ci_u32_e64 v14, null, v24, v14, s7
	flat_load_ushort v13, v[13:14]
	s_waitcnt vmcnt(0) lgkmcnt(0)
	v_mul_f16_e32 v13, s15, v13
.LBB224_26:
	s_or_b32 exec_lo, exec_lo, s28
	s_or_b32 s7, s1, s6
	v_cndmask_b32_e64 v14, 0, 0x7c00, s7
	s_nor_b32 s7, s7, s26
	s_and_saveexec_b32 s28, s7
	s_cbranch_execz .LBB224_28
; %bb.27:
	v_lshlrev_b64 v[14:15], 1, v[6:7]
	v_add_co_u32 v14, s7, v23, v14
	v_add_co_ci_u32_e64 v15, null, v24, v15, s7
	flat_load_ushort v14, v[14:15]
	s_waitcnt vmcnt(0) lgkmcnt(0)
	v_mul_f16_e32 v14, s15, v14
.LBB224_28:
	s_or_b32 exec_lo, exec_lo, s28
	;; [unrolled: 14-line block ×4, first 2 shown]
	v_lshlrev_b32_e32 v17, 3, v17
	v_lshlrev_b32_e32 v98, 3, v0
	;; [unrolled: 1-line block ×3, first 2 shown]
	s_load_dwordx2 s[16:17], s[16:17], 0x0
	s_cmp_lt_i32 s14, 9
	v_lshl_add_u32 v103, v93, 1, v17
	v_add_nc_u32_e32 v33, 0x1000, v98
	ds_write_b16 v103, v18 offset:4096
	ds_write_b16 v103, v19
	ds_write_b16 v103, v20 offset:512
	ds_write_b16 v103, v21 offset:1024
	;; [unrolled: 1-line block ×3, first 2 shown]
	s_waitcnt lgkmcnt(0)
	s_barrier
	buffer_gl0_inv
	ds_read2_b64 v[17:20], v33 offset1:8
	ds_read2_b64 v[21:24], v97 offset1:32
	ds_read2_b64 v[25:28], v33 offset0:16 offset1:24
	ds_read2_b64 v[29:32], v33 offset0:32 offset1:40
	;; [unrolled: 1-line block ×4, first 2 shown]
	s_waitcnt lgkmcnt(4)
	v_pk_add_f16 v41, v17, v21
	v_pk_add_f16 v42, v19, v21
	s_waitcnt lgkmcnt(3)
	v_pk_add_f16 v43, v25, v21
	v_pk_add_f16 v44, v27, v21
	;; [unrolled: 3-line block ×4, first 2 shown]
	v_pk_add_f16 v49, v17, v23
	v_pk_add_f16 v50, v19, v23
	;; [unrolled: 1-line block ×24, first 2 shown]
	s_waitcnt lgkmcnt(0)
	v_pk_add_f16 v73, v17, v37
	v_pk_add_f16 v74, v19, v37
	;; [unrolled: 1-line block ×13, first 2 shown]
	ds_read2_b64 v[21:24], v97 offset0:128 offset1:160
	v_pk_add_f16 v115, v31, v39
	v_pk_add_f16 v116, v33, v39
	;; [unrolled: 1-line block ×19, first 2 shown]
	ds_read2_b64 v[37:40], v97 offset0:192 offset1:224
	s_waitcnt lgkmcnt(1)
	v_pk_add_f16 v131, v17, v21
	v_pk_add_f16 v132, v19, v21
	;; [unrolled: 1-line block ×32, first 2 shown]
	s_waitcnt lgkmcnt(0)
	v_pk_add_f16 v159, v17, v37
	v_pk_add_f16 v160, v19, v37
	;; [unrolled: 1-line block ×31, first 2 shown]
	v_pk_min_f16 v41, 0x7c00, v41 op_sel_hi:[0,1]
	v_pk_add_f16 v36, v36, v40
	v_pk_min_f16 v40, 0x7c00, v45 op_sel_hi:[0,1]
	v_pk_min_f16 v42, 0x7c00, v42 op_sel_hi:[0,1]
	;; [unrolled: 1-line block ×3, first 2 shown]
	v_pk_min_f16 v125, v41, v57
	v_pk_min_f16 v41, 0x7c00, v46 op_sel_hi:[0,1]
	v_pk_min_f16 v113, v40, v61
	v_pk_min_f16 v40, 0x7c00, v50 op_sel_hi:[0,1]
	v_pk_min_f16 v44, 0x7c00, v44 op_sel_hi:[0,1]
	v_pk_min_f16 v124, v42, v58
	v_pk_min_f16 v120, v43, v59
	v_pk_min_f16 v42, 0x7c00, v47 op_sel_hi:[0,1]
	v_pk_min_f16 v43, 0x7c00, v48 op_sel_hi:[0,1]
	v_pk_min_f16 v112, v41, v62
	v_pk_min_f16 v41, 0x7c00, v51 op_sel_hi:[0,1]
	v_pk_min_f16 v108, v40, v66
	v_pk_min_f16 v40, 0x7c00, v55 op_sel_hi:[0,1]
	v_pk_min_f16 v114, v44, v60
	v_pk_min_f16 v44, 0x7c00, v49 op_sel_hi:[0,1]
	v_pk_min_f16 v111, v42, v63
	v_pk_min_f16 v110, v43, v64
	v_pk_min_f16 v42, 0x7c00, v52 op_sel_hi:[0,1]
	v_pk_min_f16 v43, 0x7c00, v53 op_sel_hi:[0,1]
	v_pk_min_f16 v107, v41, v67
	v_pk_min_f16 v41, 0x7c00, v56 op_sel_hi:[0,1]
	v_pk_min_f16 v102, v40, v71
	v_pk_min_f16 v40, 0x7c00, v76 op_sel_hi:[0,1]
	v_pk_min_f16 v109, v44, v65
	;; [unrolled: 10-line block ×3, first 2 shown]
	v_pk_min_f16 v44, 0x7c00, v75 op_sel_hi:[0,1]
	v_pk_min_f16 v100, v42, v86
	v_pk_min_f16 v99, v43, v87
	v_pk_min_f16 v42, 0x7c00, v78 op_sel_hi:[0,1]
	v_pk_min_f16 v43, 0x7c00, v79 op_sel_hi:[0,1]
	v_pk_min_f16 v94, v41, v90
	v_pk_min_f16 v41, 0x7c00, v82 op_sel_hi:[0,1]
	v_pk_min_f16 v89, v40, v121
	v_pk_min_f16 v40, 0x7c00, v115 op_sel_hi:[0,1]
	v_pk_min_f16 v21, 0x7c00, v21 op_sel_hi:[0,1]
	v_pk_min_f16 v96, v44, v88
	v_pk_min_f16 v44, 0x7c00, v80 op_sel_hi:[0,1]
	v_pk_min_f16 v92, v42, v91
	v_pk_min_f16 v91, v43, v118
	v_pk_min_f16 v42, 0x7c00, v83 op_sel_hi:[0,1]
	v_pk_min_f16 v43, 0x7c00, v84 op_sel_hi:[0,1]
	v_pk_min_f16 v88, v41, v122
	v_pk_min_f16 v41, 0x7c00, v116 op_sel_hi:[0,1]
	v_pk_min_f16 v84, v40, v128
	;; [unrolled: 2-line block ×5, first 2 shown]
	v_pk_min_f16 v86, v43, v126
	v_pk_min_f16 v42, 0x7c00, v117 op_sel_hi:[0,1]
	v_pk_min_f16 v43, 0x7c00, v131 op_sel_hi:[0,1]
	v_pk_min_f16 v83, v41, v129
	v_pk_min_f16 v41, 0x7c00, v134 op_sel_hi:[0,1]
	v_pk_min_f16 v79, v40, v147
	v_pk_min_f16 v40, 0x7c00, v138 op_sel_hi:[0,1]
	v_pk_min_f16 v22, 0x7c00, v143 op_sel_hi:[0,1]
	;; [unrolled: 1-line block ×3, first 2 shown]
	v_pk_min_f16 v69, v21, v156
	v_pk_min_f16 v21, 0x7c00, v160 op_sel_hi:[0,1]
	v_pk_min_f16 v85, v44, v127
	v_pk_min_f16 v44, 0x7c00, v132 op_sel_hi:[0,1]
	v_pk_min_f16 v82, v42, v130
	v_pk_min_f16 v81, v43, v145
	v_pk_min_f16 v42, 0x7c00, v135 op_sel_hi:[0,1]
	v_pk_min_f16 v43, 0x7c00, v136 op_sel_hi:[0,1]
	v_pk_min_f16 v78, v41, v148
	v_pk_min_f16 v41, 0x7c00, v139 op_sel_hi:[0,1]
	v_pk_min_f16 v73, v40, v152
	;; [unrolled: 2-line block ×3, first 2 shown]
	v_pk_min_f16 v66, v23, v24
	v_pk_min_f16 v22, 0x7c00, v163 op_sel_hi:[0,1]
	v_pk_min_f16 v23, 0x7c00, v164 op_sel_hi:[0,1]
	v_pk_min_f16 v64, v21, v162
	v_pk_min_f16 v21, 0x7c00, v171 op_sel_hi:[0,1]
	v_pk_min_f16 v17, 0x7c00, v17 op_sel_hi:[0,1]
	;; [unrolled: 1-line block ×3, first 2 shown]
	v_pk_min_f16 v80, v44, v146
	v_pk_min_f16 v44, 0x7c00, v137 op_sel_hi:[0,1]
	v_pk_min_f16 v77, v42, v149
	v_pk_min_f16 v76, v43, v150
	v_pk_min_f16 v42, 0x7c00, v140 op_sel_hi:[0,1]
	v_pk_min_f16 v43, 0x7c00, v141 op_sel_hi:[0,1]
	v_pk_min_f16 v72, v41, v153
	v_pk_min_f16 v41, 0x7c00, v159 op_sel_hi:[0,1]
	v_pk_min_f16 v67, v40, v158
	v_pk_min_f16 v24, 0x7c00, v167 op_sel_hi:[0,1]
	v_pk_min_f16 v40, 0x7c00, v168 op_sel_hi:[0,1]
	v_pk_min_f16 v63, v22, v165
	v_pk_min_f16 v62, v23, v166
	v_pk_min_f16 v22, 0x7c00, v37 op_sel_hi:[0,1]
	v_pk_min_f16 v23, 0x7c00, v25 op_sel_hi:[0,1]
	v_pk_min_f16 v59, v21, v39
	v_pk_min_f16 v57, v17, v18
	;; [unrolled: 1-line block ×3, first 2 shown]
	v_pk_min_f16 v17, 0x7c00, v27 op_sel_hi:[0,1]
	v_pk_min_f16 v18, 0x7c00, v29 op_sel_hi:[0,1]
	;; [unrolled: 1-line block ×5, first 2 shown]
	v_pk_min_f16 v75, v44, v151
	v_pk_min_f16 v71, v42, v154
	;; [unrolled: 1-line block ×13, first 2 shown]
	ds_write_b16 v103, v12 offset:4608
	ds_write_b16 v103, v13 offset:2048
	;; [unrolled: 1-line block ×5, first 2 shown]
	s_waitcnt lgkmcnt(0)
	s_barrier
	buffer_gl0_inv
	s_cbranch_scc1 .LBB224_59
; %bb.33:
	v_add_nc_u32_e32 v12, v97, v0
	v_lshlrev_b64 v[38:39], 1, v[4:5]
	v_lshlrev_b64 v[2:3], 1, v[2:3]
	v_lshlrev_b64 v[40:41], 1, v[6:7]
	v_lshlrev_b64 v[42:43], 1, v[8:9]
	v_lshrrev_b32_e32 v12, 6, v12
	v_lshlrev_b64 v[48:49], 1, v[10:11]
	v_or_b32_e32 v115, 0x1000, v103
	v_add_co_u32 v121, s6, s18, v2
	v_add_nc_u32_e32 v13, 12, v12
	v_add_nc_u32_e32 v12, 8, v12
	v_or_b32_e32 v116, 0x1000, v98
	v_add_nc_u32_e32 v117, 0x1200, v103
	v_or_b32_e32 v118, 0x800, v103
	v_mad_i64_i32 v[4:5], null, v13, s20, 0
	v_mad_i64_i32 v[12:13], null, v12, s20, 0
	v_lshl_add_u32 v119, v0, 3, 0x1200
	v_add_co_ci_u32_e64 v122, null, s19, v3, s6
	v_or_b32_e32 v123, 0x800, v97
	v_lshlrev_b64 v[44:45], 1, v[4:5]
	s_add_i32 s28, s14, -8
	v_lshlrev_b64 v[46:47], 1, v[12:13]
	s_add_i32 s29, s14, -1
	s_lshl_b64 s[18:19], s[20:21], 4
	s_mov_b32 s20, 0
	s_branch .LBB224_35
.LBB224_34:                             ;   in Loop: Header=BB224_35 Depth=1
	s_or_b32 exec_lo, exec_lo, s7
	v_pk_add_f16 v6, v17, v34
	v_pk_max_f16 v7, v125, v125
	v_pk_add_f16 v8, v19, v34
	v_pk_max_f16 v21, v124, v124
	;; [unrolled: 2-line block ×3, first 2 shown]
	v_pk_min_f16 v6, v7, v6
	v_pk_max_f16 v7, v120, v120
	v_pk_add_f16 v120, v4, v34
	v_pk_add_f16 v125, v9, v34
	v_pk_max_f16 v113, v113, v113
	v_pk_add_f16 v131, v11, v34
	v_pk_min_f16 v8, v21, v8
	v_pk_min_f16 v7, v7, v124
	;; [unrolled: 1-line block ×3, first 2 shown]
	v_pk_add_f16 v114, v13, v34
	v_pk_max_f16 v111, v111, v111
	v_pk_add_f16 v34, v15, v34
	v_pk_max_f16 v110, v110, v110
	;; [unrolled: 2-line block ×4, first 2 shown]
	v_pk_min_f16 v113, v113, v125
	v_pk_add_f16 v125, v2, v36
	v_pk_min_f16 v111, v111, v114
	v_pk_min_f16 v34, v110, v34
	v_pk_min_f16 v109, v109, v120
	v_pk_min_f16 v108, v108, v124
	v_pk_add_f16 v110, v4, v36
	v_pk_max_f16 v106, v106, v106
	v_pk_add_f16 v114, v9, v36
	v_pk_add_f16 v120, v11, v36
	;; [unrolled: 1-line block ×4, first 2 shown]
	v_pk_max_f16 v101, v101, v101
	v_pk_max_f16 v105, v105, v105
	v_pk_max_f16 v104, v104, v104
	v_pk_max_f16 v102, v102, v102
	v_pk_min_f16 v106, v106, v110
	v_pk_min_f16 v36, v101, v36
	v_pk_add_f16 v101, v17, v30
	v_pk_max_f16 v100, v100, v100
	v_pk_add_f16 v110, v19, v30
	v_pk_max_f16 v99, v99, v99
	v_pk_min_f16 v105, v105, v114
	v_pk_min_f16 v104, v104, v120
	v_pk_min_f16 v102, v102, v124
	v_pk_add_f16 v114, v2, v30
	v_pk_max_f16 v96, v96, v96
	v_pk_add_f16 v120, v4, v30
	v_pk_max_f16 v95, v95, v95
	v_pk_add_f16 v124, v9, v30
	v_pk_min_f16 v100, v100, v101
	v_pk_min_f16 v99, v99, v110
	v_pk_add_f16 v101, v11, v30
	v_pk_max_f16 v92, v92, v92
	v_pk_add_f16 v110, v13, v30
	v_pk_add_f16 v30, v15, v30
	v_pk_max_f16 v90, v90, v90
	v_pk_min_f16 v96, v96, v114
	v_pk_min_f16 v95, v95, v120
	v_pk_max_f16 v91, v91, v91
	v_pk_add_f16 v114, v17, v32
	v_pk_max_f16 v89, v89, v89
	v_pk_add_f16 v120, v19, v32
	v_pk_max_f16 v88, v88, v88
	v_pk_min_f16 v92, v92, v101
	v_pk_min_f16 v30, v90, v30
	v_pk_add_f16 v90, v2, v32
	v_pk_max_f16 v87, v87, v87
	v_pk_add_f16 v101, v4, v32
	v_pk_max_f16 v86, v86, v86
	v_pk_min_f16 v91, v91, v110
	v_pk_min_f16 v89, v89, v114
	;; [unrolled: 1-line block ×3, first 2 shown]
	v_pk_add_f16 v110, v9, v32
	v_pk_max_f16 v85, v85, v85
	v_pk_add_f16 v114, v11, v32
	v_pk_max_f16 v84, v84, v84
	v_pk_add_f16 v120, v13, v32
	v_pk_min_f16 v87, v87, v90
	v_pk_min_f16 v86, v86, v101
	v_pk_add_f16 v32, v15, v32
	v_pk_max_f16 v82, v82, v82
	v_pk_add_f16 v90, v17, v26
	v_pk_max_f16 v81, v81, v81
	;; [unrolled: 2-line block ×3, first 2 shown]
	v_pk_min_f16 v85, v85, v110
	v_pk_min_f16 v84, v84, v114
	v_pk_add_f16 v110, v2, v26
	v_pk_max_f16 v79, v79, v79
	v_pk_add_f16 v114, v4, v26
	v_pk_min_f16 v32, v82, v32
	v_pk_min_f16 v81, v81, v90
	v_pk_min_f16 v80, v80, v101
	v_pk_add_f16 v82, v9, v26
	v_pk_add_f16 v90, v11, v26
	v_pk_add_f16 v101, v13, v26
	v_pk_add_f16 v26, v15, v26
	v_pk_max_f16 v74, v74, v74
	v_pk_min_f16 v79, v79, v110
	v_pk_max_f16 v77, v77, v77
	v_pk_max_f16 v76, v76, v76
	v_pk_max_f16 v75, v75, v75
	v_pk_add_f16 v110, v17, v28
	v_pk_max_f16 v73, v73, v73
	v_pk_min_f16 v26, v74, v26
	v_pk_add_f16 v74, v19, v28
	v_pk_max_f16 v72, v72, v72
	v_pk_min_f16 v77, v77, v82
	v_pk_min_f16 v76, v76, v90
	;; [unrolled: 1-line block ×4, first 2 shown]
	v_pk_add_f16 v82, v2, v28
	v_pk_add_f16 v90, v4, v28
	;; [unrolled: 1-line block ×3, first 2 shown]
	v_pk_max_f16 v69, v69, v69
	v_pk_add_f16 v110, v11, v28
	v_pk_min_f16 v72, v72, v74
	v_pk_add_f16 v74, v13, v28
	v_pk_add_f16 v28, v15, v28
	v_pk_max_f16 v66, v66, v66
	v_pk_max_f16 v78, v78, v78
	;; [unrolled: 1-line block ×4, first 2 shown]
	v_pk_min_f16 v69, v69, v101
	v_pk_max_f16 v67, v67, v67
	v_pk_add_f16 v101, v2, v22
	v_pk_min_f16 v28, v66, v28
	v_pk_add_f16 v66, v4, v22
	v_pk_add_f16 v2, v2, v24
	v_pk_max_f16 v55, v55, v55
	v_pk_add_f16 v4, v4, v24
	v_pk_max_f16 v54, v54, v54
	v_pk_max_f16 v94, v94, v94
	;; [unrolled: 1-line block ×3, first 2 shown]
	v_pk_min_f16 v78, v78, v114
	v_pk_max_f16 v71, v71, v71
	v_pk_min_f16 v70, v70, v90
	v_pk_min_f16 v68, v68, v110
	v_pk_add_f16 v90, v19, v22
	v_pk_max_f16 v64, v64, v64
	v_pk_max_f16 v63, v63, v63
	v_pk_min_f16 v67, v67, v74
	v_pk_add_f16 v74, v9, v22
	v_pk_add_f16 v19, v19, v24
	v_pk_max_f16 v56, v56, v56
	v_pk_add_f16 v9, v9, v24
	v_pk_max_f16 v53, v53, v53
	v_pk_min_f16 v110, v55, v2
	v_pk_min_f16 v114, v54, v4
	v_pk_add_f16 v2, v11, v24
	v_pk_max_f16 v4, v52, v52
	v_pk_max_f16 v112, v112, v112
	;; [unrolled: 1-line block ×3, first 2 shown]
	v_pk_min_f16 v94, v94, v124
	v_pk_min_f16 v83, v83, v120
	;; [unrolled: 1-line block ×3, first 2 shown]
	v_pk_add_f16 v82, v17, v22
	v_pk_min_f16 v64, v64, v90
	v_pk_min_f16 v63, v63, v101
	v_pk_add_f16 v90, v13, v22
	v_pk_add_f16 v17, v17, v24
	v_pk_min_f16 v101, v56, v19
	v_pk_min_f16 v120, v53, v9
	v_pk_add_f16 v9, v13, v24
	v_pk_add_f16 v13, v15, v24
	;; [unrolled: 1-line block ×4, first 2 shown]
	v_pk_min_f16 v124, v4, v2
	v_pk_add_f16 v2, v3, v35
	v_pk_min_f16 v112, v112, v131
	v_pk_min_f16 v107, v107, v125
	v_pk_min_f16 v125, v6, v19
	v_pk_min_f16 v135, v8, v24
	v_pk_add_f16 v4, v5, v35
	v_pk_add_f16 v6, v10, v35
	;; [unrolled: 1-line block ×3, first 2 shown]
	v_pk_min_f16 v136, v7, v2
	v_pk_add_f16 v7, v3, v37
	v_pk_min_f16 v137, v21, v4
	v_pk_min_f16 v113, v113, v6
	v_pk_min_f16 v112, v112, v8
	v_pk_add_f16 v2, v16, v35
	v_pk_add_f16 v4, v18, v37
	v_pk_add_f16 v6, v20, v37
	v_pk_add_f16 v8, v5, v37
	v_pk_min_f16 v107, v107, v7
	v_pk_add_f16 v7, v16, v37
	v_pk_min_f16 v138, v34, v2
	v_pk_min_f16 v109, v109, v4
	v_pk_min_f16 v108, v108, v6
	v_pk_min_f16 v106, v106, v8
	v_pk_add_f16 v2, v10, v37
	v_pk_add_f16 v4, v12, v37
	v_pk_add_f16 v6, v14, v37
	v_pk_add_f16 v8, v18, v31
	v_pk_min_f16 v139, v36, v7
	v_pk_add_f16 v7, v10, v31
	v_pk_min_f16 v105, v105, v2
	;; [unrolled: 10-line block ×3, first 2 shown]
	v_pk_min_f16 v96, v96, v4
	v_pk_min_f16 v95, v95, v6
	;; [unrolled: 1-line block ×3, first 2 shown]
	v_pk_add_f16 v2, v14, v31
	v_pk_add_f16 v4, v16, v31
	;; [unrolled: 1-line block ×4, first 2 shown]
	v_pk_min_f16 v88, v88, v7
	v_pk_add_f16 v7, v14, v33
	v_pk_max_f16 v62, v62, v62
	v_pk_min_f16 v91, v91, v2
	v_pk_min_f16 v140, v30, v4
	;; [unrolled: 1-line block ×4, first 2 shown]
	v_pk_add_f16 v2, v5, v33
	v_pk_add_f16 v4, v10, v33
	;; [unrolled: 1-line block ×4, first 2 shown]
	v_pk_min_f16 v83, v83, v7
	v_pk_add_f16 v7, v5, v27
	v_pk_max_f16 v65, v65, v65
	v_pk_max_f16 v59, v59, v59
	v_pk_min_f16 v66, v62, v66
	v_pk_min_f16 v86, v86, v2
	;; [unrolled: 1-line block ×5, first 2 shown]
	v_pk_add_f16 v2, v18, v27
	v_pk_add_f16 v4, v20, v27
	;; [unrolled: 1-line block ×4, first 2 shown]
	v_pk_min_f16 v62, v78, v7
	v_pk_add_f16 v7, v18, v29
	v_pk_min_f16 v65, v65, v82
	v_pk_max_f16 v61, v61, v61
	v_pk_add_f16 v82, v11, v22
	v_pk_max_f16 v60, v60, v60
	v_pk_add_f16 v22, v15, v22
	v_pk_max_f16 v58, v58, v58
	v_pk_min_f16 v90, v59, v90
	v_pk_min_f16 v81, v81, v2
	;; [unrolled: 1-line block ×5, first 2 shown]
	v_pk_add_f16 v2, v12, v27
	v_pk_add_f16 v4, v14, v27
	;; [unrolled: 1-line block ×4, first 2 shown]
	v_pk_min_f16 v56, v73, v7
	v_pk_add_f16 v7, v12, v29
	v_pk_min_f16 v74, v61, v74
	v_pk_min_f16 v82, v60, v82
	;; [unrolled: 1-line block ×3, first 2 shown]
	v_pk_max_f16 v57, v57, v57
	v_pk_max_f16 v11, v51, v51
	v_pk_min_f16 v61, v76, v2
	v_pk_min_f16 v60, v75, v4
	;; [unrolled: 1-line block ×4, first 2 shown]
	v_pk_add_f16 v2, v3, v29
	v_pk_add_f16 v4, v5, v29
	;; [unrolled: 1-line block ×4, first 2 shown]
	v_pk_min_f16 v52, v68, v7
	v_pk_add_f16 v7, v3, v23
	v_pk_min_f16 v17, v57, v17
	v_pk_max_f16 v15, v50, v50
	v_pk_min_f16 v11, v11, v9
	v_pk_add_f16 v9, v14, v35
	v_pk_min_f16 v57, v71, v2
	v_pk_min_f16 v54, v70, v4
	;; [unrolled: 1-line block ×4, first 2 shown]
	v_pk_add_f16 v2, v16, v29
	v_pk_add_f16 v4, v18, v23
	;; [unrolled: 1-line block ×4, first 2 shown]
	v_pk_min_f16 v35, v63, v7
	v_pk_add_f16 v7, v16, v23
	v_pk_min_f16 v51, v28, v2
	v_pk_min_f16 v37, v65, v4
	;; [unrolled: 1-line block ×4, first 2 shown]
	v_pk_add_f16 v2, v10, v23
	v_pk_add_f16 v4, v12, v23
	;; [unrolled: 1-line block ×4, first 2 shown]
	v_pk_min_f16 v26, v22, v7
	ds_read2_b64 v[21:24], v116 offset1:8
	ds_read2_b64 v[63:66], v97 offset1:32
	v_pk_min_f16 v13, v15, v13
	v_pk_min_f16 v32, v74, v2
	;; [unrolled: 1-line block ×3, first 2 shown]
	v_pk_add_f16 v2, v20, v25
	ds_read2_b64 v[17:20], v116 offset0:16 offset1:24
	v_pk_min_f16 v111, v111, v9
	v_pk_min_f16 v28, v90, v6
	v_pk_add_f16 v27, v3, v25
	ds_read2_b64 v[6:9], v116 offset0:32 offset1:40
	v_pk_add_f16 v14, v14, v25
	v_pk_add_f16 v71, v16, v25
	;; [unrolled: 1-line block ×3, first 2 shown]
	v_pk_min_f16 v33, v110, v27
	v_pk_max_f16 v110, v125, v125
	v_pk_min_f16 v16, v11, v14
	v_pk_min_f16 v14, v13, v71
	;; [unrolled: 1-line block ×4, first 2 shown]
	v_pk_add_f16 v29, v5, v25
	s_waitcnt lgkmcnt(2)
	v_pk_add_f16 v71, v21, v63
	ds_read2_b64 v[2:5], v116 offset0:48 offset1:56
	v_pk_add_f16 v10, v10, v25
	v_pk_min_f16 v25, v124, v12
	v_pk_add_f16 v72, v23, v63
	s_waitcnt lgkmcnt(2)
	v_pk_add_f16 v73, v17, v63
	v_pk_max_f16 v124, v135, v135
	v_pk_min_f16 v71, v110, v71
	v_pk_max_f16 v110, v136, v136
	v_pk_min_f16 v27, v120, v10
	v_pk_add_f16 v120, v24, v64
	v_pk_add_f16 v155, v18, v64
	v_pk_min_f16 v72, v124, v72
	v_pk_min_f16 v73, v110, v73
	s_waitcnt lgkmcnt(1)
	v_pk_add_f16 v75, v6, v63
	v_pk_add_f16 v76, v8, v63
	;; [unrolled: 1-line block ×3, first 2 shown]
	v_pk_min_f16 v124, v72, v120
	v_pk_min_f16 v120, v73, v155
	v_pk_max_f16 v73, v113, v113
	v_pk_max_f16 v110, v112, v112
	s_waitcnt lgkmcnt(0)
	v_pk_add_f16 v77, v2, v63
	v_pk_add_f16 v158, v9, v64
	;; [unrolled: 1-line block ×3, first 2 shown]
	v_pk_min_f16 v73, v73, v75
	v_pk_min_f16 v76, v110, v76
	v_pk_add_f16 v63, v4, v63
	v_pk_add_f16 v78, v21, v65
	;; [unrolled: 1-line block ×3, first 2 shown]
	v_pk_min_f16 v113, v73, v157
	v_pk_max_f16 v73, v111, v111
	v_pk_min_f16 v112, v76, v158
	v_pk_max_f16 v76, v138, v138
	v_pk_add_f16 v101, v19, v65
	v_pk_add_f16 v160, v22, v66
	v_pk_min_f16 v73, v73, v77
	v_pk_max_f16 v77, v109, v109
	v_pk_min_f16 v63, v76, v63
	v_pk_max_f16 v76, v106, v106
	ds_read2_b64 v[67:70], v97 offset0:64 offset1:96
	v_pk_min_f16 v111, v73, v159
	v_pk_min_f16 v73, v77, v78
	v_pk_add_f16 v90, v17, v65
	v_pk_add_f16 v163, v20, v66
	v_pk_min_f16 v76, v76, v101
	v_pk_add_f16 v143, v8, v65
	v_pk_min_f16 v109, v73, v160
	v_pk_max_f16 v73, v107, v107
	v_pk_add_f16 v162, v18, v66
	v_pk_min_f16 v106, v76, v163
	v_pk_max_f16 v76, v104, v104
	ds_read2_b64 v[131:134], v97 offset0:128 offset1:160
	ds_read2_b64 v[10:13], v97 offset0:192 offset1:224
	v_pk_min_f16 v73, v73, v90
	v_pk_add_f16 v142, v6, v65
	v_pk_add_f16 v165, v9, v66
	v_pk_min_f16 v76, v76, v143
	v_pk_min_f16 v29, v114, v29
	;; [unrolled: 1-line block ×3, first 2 shown]
	v_pk_max_f16 v73, v105, v105
	v_pk_add_f16 v82, v23, v65
	v_pk_add_f16 v144, v2, v65
	;; [unrolled: 1-line block ×7, first 2 shown]
	v_pk_min_f16 v73, v73, v142
	v_pk_max_f16 v77, v102, v102
	v_pk_min_f16 v104, v76, v165
	v_pk_max_f16 v76, v139, v139
	s_waitcnt lgkmcnt(2)
	v_pk_add_f16 v147, v17, v67
	v_pk_add_f16 v161, v24, v66
	;; [unrolled: 1-line block ×4, first 2 shown]
	v_pk_max_f16 v72, v137, v137
	v_pk_min_f16 v110, v63, v64
	v_pk_max_f16 v63, v108, v108
	v_pk_min_f16 v105, v73, v164
	v_pk_min_f16 v73, v77, v144
	;; [unrolled: 1-line block ×3, first 2 shown]
	v_pk_max_f16 v77, v96, v96
	v_pk_add_f16 v146, v23, v67
	v_pk_add_f16 v148, v19, v67
	v_pk_min_f16 v72, v72, v74
	v_pk_min_f16 v63, v63, v82
	v_pk_max_f16 v76, v99, v99
	v_pk_min_f16 v77, v77, v147
	v_pk_min_f16 v101, v65, v66
	v_pk_add_f16 v65, v18, v68
	v_pk_max_f16 v66, v95, v95
	v_pk_add_f16 v145, v21, v67
	v_pk_add_f16 v149, v6, v67
	;; [unrolled: 1-line block ×13, first 2 shown]
	v_pk_min_f16 v125, v71, v114
	s_waitcnt lgkmcnt(1)
	v_pk_add_f16 v71, v21, v131
	v_pk_add_f16 v136, v23, v131
	;; [unrolled: 1-line block ×6, first 2 shown]
	v_pk_min_f16 v114, v72, v156
	v_pk_add_f16 v72, v2, v131
	v_pk_add_f16 v131, v4, v131
	v_pk_add_f16 v156, v21, v133
	v_pk_add_f16 v138, v23, v133
	v_pk_add_f16 v157, v17, v133
	v_pk_add_f16 v158, v19, v133
	v_pk_add_f16 v159, v6, v133
	v_pk_add_f16 v170, v8, v133
	v_pk_add_f16 v64, v2, v133
	v_pk_add_f16 v133, v4, v133
	s_waitcnt lgkmcnt(0)
	v_pk_add_f16 v160, v21, v10
	v_pk_add_f16 v171, v23, v10
	v_pk_min_f16 v108, v63, v161
	v_pk_add_f16 v63, v17, v10
	v_pk_add_f16 v161, v19, v10
	;; [unrolled: 1-line block ×12, first 2 shown]
	v_pk_min_f16 v76, v76, v146
	v_pk_add_f16 v82, v24, v68
	v_pk_add_f16 v2, v2, v12
	;; [unrolled: 1-line block ×3, first 2 shown]
	v_pk_min_f16 v96, v77, v65
	v_pk_add_f16 v12, v20, v68
	v_pk_max_f16 v65, v94, v94
	v_pk_min_f16 v66, v66, v148
	v_pk_min_f16 v99, v76, v82
	v_pk_add_f16 v76, v7, v68
	v_pk_min_f16 v102, v73, v166
	v_pk_min_f16 v65, v65, v149
	;; [unrolled: 1-line block ×3, first 2 shown]
	v_pk_max_f16 v12, v140, v140
	v_pk_max_f16 v73, v100, v100
	v_pk_add_f16 v78, v22, v68
	v_pk_min_f16 v94, v65, v76
	v_pk_add_f16 v65, v5, v68
	v_pk_min_f16 v12, v12, v67
	v_pk_min_f16 v73, v73, v145
	v_pk_max_f16 v77, v91, v91
	v_pk_max_f16 v66, v89, v89
	v_pk_add_f16 v82, v3, v68
	v_pk_min_f16 v90, v12, v65
	v_pk_max_f16 v12, v86, v86
	v_pk_add_f16 v65, v20, v70
	v_pk_min_f16 v100, v73, v78
	v_pk_add_f16 v78, v9, v68
	v_pk_min_f16 v77, v77, v151
	v_pk_min_f16 v12, v12, v167
	v_pk_add_f16 v68, v22, v70
	v_pk_min_f16 v66, v66, v152
	v_pk_max_f16 v73, v92, v92
	v_pk_min_f16 v91, v77, v82
	v_pk_min_f16 v86, v12, v65
	v_pk_max_f16 v12, v141, v141
	v_pk_add_f16 v65, v5, v70
	v_pk_max_f16 v67, v88, v88
	v_pk_min_f16 v89, v66, v68
	v_pk_max_f16 v66, v85, v85
	v_pk_min_f16 v12, v12, v69
	v_pk_min_f16 v73, v73, v150
	v_pk_add_f16 v76, v24, v70
	v_pk_min_f16 v67, v67, v153
	v_pk_add_f16 v68, v7, v70
	v_pk_min_f16 v82, v12, v65
	v_pk_max_f16 v12, v62, v62
	v_pk_min_f16 v66, v66, v168
	v_pk_add_f16 v62, v20, v132
	v_pk_min_f16 v92, v73, v78
	v_pk_min_f16 v88, v67, v76
	;; [unrolled: 1-line block ×3, first 2 shown]
	v_pk_max_f16 v67, v84, v84
	v_pk_min_f16 v85, v66, v68
	v_pk_max_f16 v66, v81, v81
	v_pk_max_f16 v73, v87, v87
	v_pk_min_f16 v78, v12, v62
	v_pk_max_f16 v12, v58, v58
	v_pk_add_f16 v76, v9, v70
	v_pk_min_f16 v67, v67, v135
	v_pk_add_f16 v68, v22, v132
	v_pk_min_f16 v66, v66, v71
	v_pk_max_f16 v59, v59, v59
	v_pk_max_f16 v61, v61, v61
	v_pk_add_f16 v58, v5, v132
	v_pk_min_f16 v12, v12, v131
	v_pk_add_f16 v77, v18, v70
	v_pk_min_f16 v73, v73, v154
	v_pk_min_f16 v84, v67, v76
	v_pk_max_f16 v67, v80, v80
	v_pk_max_f16 v69, v79, v79
	v_pk_min_f16 v81, v66, v68
	v_pk_min_f16 v59, v59, v74
	v_pk_add_f16 v66, v9, v132
	v_pk_min_f16 v61, v61, v75
	v_pk_max_f16 v57, v57, v57
	v_pk_min_f16 v74, v12, v58
	v_pk_max_f16 v12, v54, v54
	v_pk_min_f16 v87, v73, v77
	v_pk_add_f16 v77, v3, v70
	v_pk_add_f16 v70, v24, v132
	v_pk_min_f16 v67, v67, v136
	v_pk_add_f16 v71, v18, v132
	v_pk_min_f16 v69, v69, v137
	v_pk_max_f16 v60, v60, v60
	v_pk_min_f16 v76, v61, v66
	v_pk_add_f16 v61, v18, v134
	v_pk_min_f16 v57, v57, v157
	v_pk_add_f16 v54, v20, v134
	v_pk_min_f16 v12, v12, v158
	v_pk_max_f16 v50, v50, v50
	v_pk_max_f16 v73, v83, v83
	v_pk_min_f16 v80, v67, v70
	v_pk_min_f16 v79, v69, v71
	v_pk_add_f16 v67, v3, v132
	v_pk_min_f16 v60, v60, v72
	v_pk_min_f16 v71, v57, v61
	v_pk_add_f16 v57, v3, v134
	v_pk_min_f16 v50, v50, v64
	v_pk_min_f16 v70, v12, v54
	v_pk_max_f16 v12, v51, v51
	v_pk_min_f16 v73, v73, v169
	v_pk_add_f16 v65, v7, v132
	v_pk_min_f16 v75, v60, v67
	v_pk_max_f16 v56, v56, v56
	v_pk_max_f16 v55, v55, v55
	v_pk_min_f16 v67, v50, v57
	v_pk_add_f16 v50, v5, v134
	v_pk_min_f16 v12, v12, v133
	v_pk_min_f16 v83, v73, v77
	;; [unrolled: 1-line block ×3, first 2 shown]
	v_pk_add_f16 v59, v22, v134
	v_pk_min_f16 v56, v56, v156
	v_pk_add_f16 v60, v24, v134
	v_pk_min_f16 v55, v55, v138
	v_pk_max_f16 v53, v53, v53
	v_pk_max_f16 v52, v52, v52
	v_pk_min_f16 v66, v12, v50
	v_pk_max_f16 v12, v31, v31
	v_pk_min_f16 v73, v56, v59
	v_pk_min_f16 v72, v55, v60
	v_pk_add_f16 v55, v7, v134
	v_pk_min_f16 v53, v53, v159
	v_pk_add_f16 v56, v9, v134
	v_pk_min_f16 v52, v52, v170
	v_pk_max_f16 v37, v37, v37
	v_pk_max_f16 v36, v36, v36
	;; [unrolled: 1-line block ×3, first 2 shown]
	v_pk_add_f16 v31, v20, v11
	v_pk_min_f16 v12, v12, v161
	v_pk_min_f16 v69, v53, v55
	;; [unrolled: 1-line block ×3, first 2 shown]
	v_pk_add_f16 v51, v22, v11
	v_pk_min_f16 v37, v37, v160
	v_pk_add_f16 v52, v24, v11
	v_pk_min_f16 v36, v36, v171
	;; [unrolled: 2-line block ×3, first 2 shown]
	v_pk_min_f16 v62, v12, v31
	v_pk_max_f16 v12, v26, v26
	v_pk_min_f16 v65, v37, v51
	v_pk_min_f16 v64, v36, v52
	;; [unrolled: 1-line block ×3, first 2 shown]
	v_pk_add_f16 v35, v7, v11
	v_pk_add_f16 v36, v9, v11
	;; [unrolled: 1-line block ×4, first 2 shown]
	v_pk_max_f16 v15, v15, v15
	v_pk_min_f16 v10, v12, v10
	v_pk_max_f16 v12, v34, v34
	v_pk_add_f16 v22, v22, v13
	v_pk_max_f16 v32, v32, v32
	v_pk_min_f16 v15, v15, v21
	v_pk_min_f16 v58, v10, v11
	v_pk_max_f16 v11, v27, v27
	v_pk_max_f16 v30, v30, v30
	;; [unrolled: 1-line block ×4, first 2 shown]
	v_pk_add_f16 v21, v24, v13
	v_pk_min_f16 v12, v12, v23
	v_pk_min_f16 v57, v15, v22
	v_pk_max_f16 v10, v29, v29
	v_pk_max_f16 v15, v25, v25
	v_pk_min_f16 v6, v11, v6
	v_pk_max_f16 v11, v16, v16
	v_pk_max_f16 v14, v14, v14
	v_pk_min_f16 v32, v32, v162
	v_pk_min_f16 v30, v30, v163
	;; [unrolled: 1-line block ×3, first 2 shown]
	v_pk_add_f16 v18, v18, v13
	v_pk_min_f16 v17, v26, v17
	v_pk_min_f16 v56, v12, v21
	v_pk_add_f16 v12, v20, v13
	v_pk_min_f16 v10, v10, v19
	v_pk_add_f16 v7, v7, v13
	v_pk_add_f16 v9, v9, v13
	v_pk_min_f16 v8, v15, v8
	v_pk_add_f16 v3, v3, v13
	v_pk_min_f16 v2, v11, v2
	;; [unrolled: 2-line block ×3, first 2 shown]
	v_add_co_u32 v121, s6, v121, s18
	v_pk_min_f16 v61, v32, v35
	v_pk_min_f16 v60, v30, v36
	;; [unrolled: 1-line block ×9, first 2 shown]
	v_add_co_ci_u32_e64 v122, null, s19, v122, s6
	s_add_i32 s20, s20, 8
	ds_write_b16 v117, v126
	ds_write_b16 v118, v127
	ds_write_b16 v118, v128 offset:512
	ds_write_b16 v118, v129 offset:1024
	;; [unrolled: 1-line block ×3, first 2 shown]
	s_cmp_ge_i32 s20, s28
	s_waitcnt lgkmcnt(0)
	s_barrier
	buffer_gl0_inv
	s_cbranch_scc1 .LBB224_59
.LBB224_35:                             ; =>This Inner Loop Header: Depth=1
	v_add_nc_u32_e32 v6, s20, v93
                                        ; implicit-def: $vgpr7
	v_add_nc_u32_e32 v2, 8, v6
	v_cmp_le_i32_e64 s6, s14, v2
	s_or_b32 s21, vcc_lo, s6
	s_nor_b32 s7, s26, s21
	s_and_saveexec_b32 s30, s7
	s_xor_b32 s30, exec_lo, s30
	s_cbranch_execz .LBB224_37
; %bb.36:                               ;   in Loop: Header=BB224_35 Depth=1
	v_add_co_u32 v3, s7, v121, v46
	v_add_co_ci_u32_e64 v4, null, v122, v47, s7
	flat_load_ushort v3, v[3:4]
	s_waitcnt vmcnt(0) lgkmcnt(0)
	v_mul_f16_e32 v7, s15, v3
.LBB224_37:                             ;   in Loop: Header=BB224_35 Depth=1
	s_andn2_saveexec_b32 s7, s30
; %bb.38:                               ;   in Loop: Header=BB224_35 Depth=1
	v_cndmask_b32_e64 v7, 0, 0x7c00, s21
; %bb.39:                               ;   in Loop: Header=BB224_35 Depth=1
	s_or_b32 exec_lo, exec_lo, s7
	v_min_i32_e32 v2, s29, v2
	v_mad_i64_i32 v[2:3], null, v2, s27, 0
	v_lshlrev_b64 v[2:3], 1, v[2:3]
	v_add_co_u32 v2, s7, s8, v2
	v_add_co_ci_u32_e64 v3, null, s9, v3, s7
	s_or_b32 s7, s0, s6
	v_cndmask_b32_e64 v8, 0, 0x7c00, s7
	s_nor_b32 s7, s26, s7
	s_and_saveexec_b32 s21, s7
	s_cbranch_execz .LBB224_41
; %bb.40:                               ;   in Loop: Header=BB224_35 Depth=1
	v_add_co_u32 v4, s7, v2, v38
	v_add_co_ci_u32_e64 v5, null, v3, v39, s7
	flat_load_ushort v4, v[4:5]
	s_waitcnt vmcnt(0) lgkmcnt(0)
	v_mul_f16_e32 v8, s15, v4
.LBB224_41:                             ;   in Loop: Header=BB224_35 Depth=1
	s_or_b32 exec_lo, exec_lo, s21
	s_or_b32 s7, s1, s6
	v_cndmask_b32_e64 v21, 0, 0x7c00, s7
	s_nor_b32 s7, s7, s26
	s_and_saveexec_b32 s21, s7
	s_cbranch_execz .LBB224_43
; %bb.42:                               ;   in Loop: Header=BB224_35 Depth=1
	v_add_co_u32 v4, s7, v2, v40
	v_add_co_ci_u32_e64 v5, null, v3, v41, s7
	flat_load_ushort v4, v[4:5]
	s_waitcnt vmcnt(0) lgkmcnt(0)
	v_mul_f16_e32 v21, s15, v4
.LBB224_43:                             ;   in Loop: Header=BB224_35 Depth=1
	s_or_b32 exec_lo, exec_lo, s21
	;; [unrolled: 13-line block ×4, first 2 shown]
	ds_read2_b64 v[17:20], v119 offset1:8
	ds_read2_b64 v[2:5], v119 offset0:16 offset1:24
	ds_read2_b64 v[9:12], v119 offset0:32 offset1:40
	;; [unrolled: 1-line block ×3, first 2 shown]
	ds_read2_b64 v[34:37], v123 offset1:32
	ds_read2_b64 v[30:33], v123 offset0:64 offset1:96
	ds_read2_b64 v[26:29], v123 offset0:128 offset1:160
	ds_read2_b64 v[22:25], v123 offset0:192 offset1:224
	v_add_nc_u32_e32 v6, 12, v6
	ds_write_b16 v115, v7
	ds_write_b16 v103, v8
	ds_write_b16 v103, v21 offset:512
	ds_write_b16 v103, v126 offset:1024
	;; [unrolled: 1-line block ×3, first 2 shown]
	s_waitcnt lgkmcnt(0)
	s_barrier
	v_cmp_le_i32_e64 s6, s14, v6
	buffer_gl0_inv
                                        ; implicit-def: $vgpr126
	s_or_b32 s21, vcc_lo, s6
	s_nor_b32 s7, s26, s21
	s_and_saveexec_b32 s30, s7
	s_xor_b32 s30, exec_lo, s30
	s_cbranch_execz .LBB224_49
; %bb.48:                               ;   in Loop: Header=BB224_35 Depth=1
	v_add_co_u32 v7, s7, v121, v44
	v_add_co_ci_u32_e64 v8, null, v122, v45, s7
	flat_load_ushort v7, v[7:8]
	s_waitcnt vmcnt(0) lgkmcnt(0)
	v_mul_f16_e32 v126, s15, v7
.LBB224_49:                             ;   in Loop: Header=BB224_35 Depth=1
	s_andn2_saveexec_b32 s7, s30
; %bb.50:                               ;   in Loop: Header=BB224_35 Depth=1
	v_cndmask_b32_e64 v126, 0, 0x7c00, s21
; %bb.51:                               ;   in Loop: Header=BB224_35 Depth=1
	s_or_b32 exec_lo, exec_lo, s7
	v_min_i32_e32 v6, s29, v6
	v_mad_i64_i32 v[6:7], null, v6, s27, 0
	v_lshlrev_b64 v[6:7], 1, v[6:7]
	v_add_co_u32 v6, s7, s8, v6
	v_add_co_ci_u32_e64 v7, null, s9, v7, s7
	s_or_b32 s7, s0, s6
	v_cndmask_b32_e64 v127, 0, 0x7c00, s7
	s_nor_b32 s7, s26, s7
	s_and_saveexec_b32 s21, s7
	s_cbranch_execz .LBB224_53
; %bb.52:                               ;   in Loop: Header=BB224_35 Depth=1
	v_add_co_u32 v127, s7, v6, v38
	v_add_co_ci_u32_e64 v128, null, v7, v39, s7
	flat_load_ushort v8, v[127:128]
	s_waitcnt vmcnt(0) lgkmcnt(0)
	v_mul_f16_e32 v127, s15, v8
.LBB224_53:                             ;   in Loop: Header=BB224_35 Depth=1
	s_or_b32 exec_lo, exec_lo, s21
	s_or_b32 s7, s1, s6
	v_cndmask_b32_e64 v128, 0, 0x7c00, s7
	s_nor_b32 s7, s7, s26
	s_and_saveexec_b32 s21, s7
	s_cbranch_execz .LBB224_55
; %bb.54:                               ;   in Loop: Header=BB224_35 Depth=1
	v_add_co_u32 v128, s7, v6, v40
	v_add_co_ci_u32_e64 v129, null, v7, v41, s7
	flat_load_ushort v8, v[128:129]
	s_waitcnt vmcnt(0) lgkmcnt(0)
	v_mul_f16_e32 v128, s15, v8
.LBB224_55:                             ;   in Loop: Header=BB224_35 Depth=1
	s_or_b32 exec_lo, exec_lo, s21
	;; [unrolled: 13-line block ×3, first 2 shown]
	s_or_b32 s6, s3, s6
	v_cndmask_b32_e64 v130, 0, 0x7c00, s6
	s_nor_b32 s6, s6, s26
	s_and_saveexec_b32 s7, s6
	s_cbranch_execz .LBB224_34
; %bb.58:                               ;   in Loop: Header=BB224_35 Depth=1
	v_add_co_u32 v6, s6, v6, v48
	v_add_co_ci_u32_e64 v7, null, v7, v49, s6
	flat_load_ushort v6, v[6:7]
	s_waitcnt vmcnt(0) lgkmcnt(0)
	v_mul_f16_e32 v130, s15, v6
	s_branch .LBB224_34
.LBB224_59:
	s_clause 0x2
	s_load_dword s14, s[4:5], 0x50
	s_load_dword s9, s[4:5], 0x68
	s_load_dwordx2 s[2:3], s[4:5], 0x70
	v_add_nc_u32_e32 v2, 0x1000, v98
	v_add_nc_u32_e32 v49, s23, v1
	;; [unrolled: 1-line block ×4, first 2 shown]
	ds_read2_b64 v[16:19], v2 offset0:64 offset1:72
	ds_read2_b64 v[12:15], v2 offset0:80 offset1:88
	;; [unrolled: 1-line block ×4, first 2 shown]
	ds_read2_b64 v[28:31], v4 offset1:32
	ds_read2_b64 v[24:27], v4 offset0:64 offset1:96
	ds_read2_b64 v[20:23], v4 offset0:128 offset1:160
	;; [unrolled: 1-line block ×3, first 2 shown]
	v_cmp_gt_i32_e64 s0, s12, v32
	v_cmp_gt_i32_e64 s8, s13, v49
	v_ashrrev_i32_e32 v33, 31, v32
	v_cndmask_b32_e64 v48, 0, 1, s25
	s_waitcnt lgkmcnt(0)
	v_mad_i64_i32 v[34:35], null, v49, s14, 0
	v_mad_i64_i32 v[36:37], null, v49, s9, 0
	s_lshl_b64 s[2:3], s[2:3], 1
	s_add_u32 s15, s16, s2
	s_addc_u32 s16, s17, s3
	v_lshlrev_b64 v[34:35], 1, v[34:35]
	s_and_b32 s2, s0, s8
	v_lshlrev_b64 v[36:37], 1, v[36:37]
	v_add_co_u32 v98, vcc_lo, s10, v34
	v_add_co_ci_u32_e64 v103, null, s11, v35, vcc_lo
	v_add_co_u32 v93, vcc_lo, s15, v36
	v_add_co_ci_u32_e64 v97, null, s16, v37, vcc_lo
	s_and_saveexec_b32 s1, s2
	s_cbranch_execz .LBB224_64
; %bb.60:
	s_andn2_b32 vcc_lo, exec_lo, s25
	s_cbranch_vccnz .LBB224_62
; %bb.61:
	v_lshlrev_b64 v[34:35], 1, v[32:33]
	v_add_co_u32 v34, vcc_lo, v98, v34
	v_add_co_ci_u32_e64 v35, null, v103, v35, vcc_lo
	flat_load_ushort v34, v[34:35]
	s_waitcnt vmcnt(0) lgkmcnt(0)
	v_mul_f16_e32 v34, s24, v34
	v_cvt_f32_f16_e32 v34, v34
	s_branch .LBB224_63
.LBB224_62:
	v_mov_b32_e32 v34, 0
.LBB224_63:
	v_pk_add_f16 v35, v16, v28
	v_pk_add_f16 v36, v17, v29
	v_max_f16_e32 v37, v125, v125
	v_lshrrev_b32_e32 v38, 16, v125
	v_max_f32_e32 v34, v34, v34
	v_lshrrev_b32_e32 v39, 16, v35
	v_lshrrev_b32_e32 v40, 16, v36
	v_min_f16_e32 v35, v37, v35
	v_min3_f16 v37, v38, v39, v40
	v_min3_f16 v35, v35, v36, v37
	v_cvt_f32_f16_e32 v35, v35
	v_min_f32_e32 v36, v34, v35
	v_lshlrev_b64 v[34:35], 1, v[32:33]
	v_cvt_f16_f32_e32 v36, v36
	v_add_co_u32 v34, vcc_lo, v93, v34
	v_add_co_ci_u32_e64 v35, null, v97, v35, vcc_lo
	flat_store_short v[34:35], v36
.LBB224_64:
	s_or_b32 exec_lo, exec_lo, s1
	v_add_nc_u32_e32 v34, 8, v32
	v_cmp_gt_i32_e64 s1, s12, v34
	v_ashrrev_i32_e32 v35, 31, v34
	s_and_b32 s3, s1, s8
	s_and_saveexec_b32 s2, s3
	s_cbranch_execz .LBB224_69
; %bb.65:
	v_cmp_ne_u32_e32 vcc_lo, 1, v48
	s_cbranch_vccnz .LBB224_67
; %bb.66:
	v_lshlrev_b64 v[36:37], 1, v[34:35]
	v_add_co_u32 v36, vcc_lo, v98, v36
	v_add_co_ci_u32_e64 v37, null, v103, v37, vcc_lo
	flat_load_ushort v36, v[36:37]
	s_waitcnt vmcnt(0) lgkmcnt(0)
	v_mul_f16_e32 v36, s24, v36
	v_cvt_f32_f16_e32 v36, v36
	s_branch .LBB224_68
.LBB224_67:
	v_mov_b32_e32 v36, 0
.LBB224_68:
	v_pk_add_f16 v37, v18, v28
	v_pk_add_f16 v38, v19, v29
	v_max_f16_e32 v39, v124, v124
	v_lshrrev_b32_e32 v40, 16, v124
	v_max_f32_e32 v36, v36, v36
	v_lshrrev_b32_e32 v41, 16, v37
	v_lshrrev_b32_e32 v42, 16, v38
	v_min_f16_e32 v37, v39, v37
	v_min3_f16 v39, v40, v41, v42
	v_min3_f16 v37, v37, v38, v39
	v_cvt_f32_f16_e32 v37, v37
	v_min_f32_e32 v38, v36, v37
	v_lshlrev_b64 v[36:37], 1, v[34:35]
	v_cvt_f16_f32_e32 v38, v38
	v_add_co_u32 v36, vcc_lo, v93, v36
	v_add_co_ci_u32_e64 v37, null, v97, v37, vcc_lo
	flat_store_short v[36:37], v38
.LBB224_69:
	s_or_b32 exec_lo, exec_lo, s2
	v_add_nc_u32_e32 v36, 16, v32
	v_cmp_gt_i32_e64 s2, s12, v36
	v_ashrrev_i32_e32 v37, 31, v36
	s_and_b32 s4, s2, s8
	s_and_saveexec_b32 s3, s4
	s_cbranch_execz .LBB224_74
; %bb.70:
	v_cmp_ne_u32_e32 vcc_lo, 1, v48
	s_cbranch_vccnz .LBB224_72
; %bb.71:
	v_lshlrev_b64 v[38:39], 1, v[36:37]
	v_add_co_u32 v38, vcc_lo, v98, v38
	v_add_co_ci_u32_e64 v39, null, v103, v39, vcc_lo
	flat_load_ushort v38, v[38:39]
	s_waitcnt vmcnt(0) lgkmcnt(0)
	v_mul_f16_e32 v38, s24, v38
	v_cvt_f32_f16_e32 v38, v38
	s_branch .LBB224_73
.LBB224_72:
	v_mov_b32_e32 v38, 0
.LBB224_73:
	v_pk_add_f16 v39, v12, v28
	v_pk_add_f16 v40, v13, v29
	v_max_f16_e32 v41, v120, v120
	v_lshrrev_b32_e32 v42, 16, v120
	v_max_f32_e32 v38, v38, v38
	v_lshrrev_b32_e32 v43, 16, v39
	v_lshrrev_b32_e32 v44, 16, v40
	v_min_f16_e32 v39, v41, v39
	v_min3_f16 v41, v42, v43, v44
	v_min3_f16 v39, v39, v40, v41
	v_cvt_f32_f16_e32 v39, v39
	v_min_f32_e32 v40, v38, v39
	v_lshlrev_b64 v[38:39], 1, v[36:37]
	v_cvt_f16_f32_e32 v40, v40
	v_add_co_u32 v38, vcc_lo, v93, v38
	v_add_co_ci_u32_e64 v39, null, v97, v39, vcc_lo
	flat_store_short v[38:39], v40
.LBB224_74:
	;; [unrolled: 40-line block ×6, first 2 shown]
	s_or_b32 exec_lo, exec_lo, s7
	v_add_nc_u32_e32 v46, 56, v32
	v_cmp_gt_i32_e64 s7, s12, v46
	v_ashrrev_i32_e32 v47, 31, v46
	s_and_b32 s12, s7, s8
	s_and_saveexec_b32 s8, s12
	s_cbranch_execz .LBB224_99
; %bb.95:
	v_cmp_ne_u32_e32 vcc_lo, 1, v48
	s_cbranch_vccnz .LBB224_97
; %bb.96:
	v_lshlrev_b64 v[111:112], 1, v[46:47]
	v_add_co_u32 v111, vcc_lo, v98, v111
	v_add_co_ci_u32_e64 v112, null, v103, v112, vcc_lo
	flat_load_ushort v98, v[111:112]
	s_waitcnt vmcnt(0) lgkmcnt(0)
	v_mul_f16_e32 v98, s24, v98
	v_cvt_f32_f16_e32 v98, v98
	s_branch .LBB224_98
.LBB224_97:
	v_mov_b32_e32 v98, 0
.LBB224_98:
	v_pk_add_f16 v28, v2, v28
	v_pk_add_f16 v29, v3, v29
	v_max_f16_e32 v103, v110, v110
	v_lshrrev_b32_e32 v110, 16, v110
	v_lshrrev_b32_e32 v111, 16, v28
	;; [unrolled: 1-line block ×3, first 2 shown]
	v_min_f16_e32 v28, v103, v28
	v_min3_f16 v103, v110, v111, v112
	v_min3_f16 v28, v28, v29, v103
	v_max_f32_e32 v29, v98, v98
	v_cvt_f32_f16_e32 v28, v28
	v_min_f32_e32 v98, v29, v28
	v_lshlrev_b64 v[28:29], 1, v[46:47]
	v_cvt_f16_f32_e32 v98, v98
	v_add_co_u32 v28, vcc_lo, v93, v28
	v_add_co_ci_u32_e64 v29, null, v97, v29, vcc_lo
	flat_store_short v[28:29], v98
.LBB224_99:
	s_or_b32 exec_lo, exec_lo, s8
	v_add_nc_u32_e32 v93, 32, v49
	v_mad_i64_i32 v[28:29], null, v93, s14, 0
	v_mad_i64_i32 v[97:98], null, v93, s9, 0
	v_cmp_gt_i32_e64 s8, s13, v93
	v_lshlrev_b64 v[28:29], 1, v[28:29]
	s_and_b32 s17, s0, s8
	v_lshlrev_b64 v[110:111], 1, v[97:98]
	v_add_co_u32 v93, vcc_lo, s10, v28
	v_add_co_ci_u32_e64 v97, null, s11, v29, vcc_lo
	v_add_co_u32 v28, vcc_lo, s15, v110
	v_add_co_ci_u32_e64 v29, null, s16, v111, vcc_lo
	s_and_saveexec_b32 s12, s17
	s_cbranch_execnz .LBB224_107
; %bb.100:
	s_or_b32 exec_lo, exec_lo, s12
	s_and_b32 s17, s1, s8
	s_and_saveexec_b32 s12, s17
	s_cbranch_execnz .LBB224_111
.LBB224_101:
	s_or_b32 exec_lo, exec_lo, s12
	s_and_b32 s17, s2, s8
	s_and_saveexec_b32 s12, s17
	s_cbranch_execnz .LBB224_115
.LBB224_102:
	s_or_b32 exec_lo, exec_lo, s12
	s_and_b32 s17, s3, s8
	s_and_saveexec_b32 s12, s17
	s_cbranch_execnz .LBB224_119
.LBB224_103:
	s_or_b32 exec_lo, exec_lo, s12
	s_and_b32 s17, s4, s8
	s_and_saveexec_b32 s12, s17
	s_cbranch_execnz .LBB224_123
.LBB224_104:
	s_or_b32 exec_lo, exec_lo, s12
	s_and_b32 s17, s5, s8
	s_and_saveexec_b32 s12, s17
	s_cbranch_execnz .LBB224_127
.LBB224_105:
	s_or_b32 exec_lo, exec_lo, s12
	s_and_b32 s17, s6, s8
	s_and_saveexec_b32 s12, s17
	s_cbranch_execnz .LBB224_131
.LBB224_106:
	s_or_b32 exec_lo, exec_lo, s12
	s_and_b32 s12, s7, s8
	s_and_saveexec_b32 s8, s12
	s_cbranch_execnz .LBB224_135
	s_branch .LBB224_139
.LBB224_107:
	v_cmp_ne_u32_e32 vcc_lo, 1, v48
	s_cbranch_vccnz .LBB224_109
; %bb.108:
	v_lshlrev_b64 v[110:111], 1, v[32:33]
	v_add_co_u32 v110, vcc_lo, v93, v110
	v_add_co_ci_u32_e64 v111, null, v97, v111, vcc_lo
	flat_load_ushort v98, v[110:111]
	s_waitcnt vmcnt(0) lgkmcnt(0)
	v_mul_f16_e32 v98, s24, v98
	v_cvt_f32_f16_e32 v98, v98
	s_branch .LBB224_110
.LBB224_109:
	v_mov_b32_e32 v98, 0
.LBB224_110:
	v_pk_add_f16 v103, v16, v30
	v_pk_add_f16 v110, v17, v31
	v_max_f16_e32 v111, v109, v109
	v_lshrrev_b32_e32 v109, 16, v109
	v_max_f32_e32 v98, v98, v98
	v_lshrrev_b32_e32 v112, 16, v103
	v_lshrrev_b32_e32 v113, 16, v110
	v_min_f16_e32 v103, v111, v103
	v_min3_f16 v109, v109, v112, v113
	v_min3_f16 v103, v103, v110, v109
	v_lshlrev_b64 v[109:110], 1, v[32:33]
	v_cvt_f32_f16_e32 v103, v103
	v_add_co_u32 v109, vcc_lo, v28, v109
	v_add_co_ci_u32_e64 v110, null, v29, v110, vcc_lo
	v_min_f32_e32 v98, v98, v103
	v_cvt_f16_f32_e32 v98, v98
	flat_store_short v[109:110], v98
	s_or_b32 exec_lo, exec_lo, s12
	s_and_b32 s17, s1, s8
	s_and_saveexec_b32 s12, s17
	s_cbranch_execz .LBB224_101
.LBB224_111:
	v_cmp_ne_u32_e32 vcc_lo, 1, v48
	s_cbranch_vccnz .LBB224_113
; %bb.112:
	v_lshlrev_b64 v[109:110], 1, v[34:35]
	v_add_co_u32 v109, vcc_lo, v93, v109
	v_add_co_ci_u32_e64 v110, null, v97, v110, vcc_lo
	flat_load_ushort v98, v[109:110]
	s_waitcnt vmcnt(0) lgkmcnt(0)
	v_mul_f16_e32 v98, s24, v98
	v_cvt_f32_f16_e32 v98, v98
	s_branch .LBB224_114
.LBB224_113:
	v_mov_b32_e32 v98, 0
.LBB224_114:
	v_pk_add_f16 v103, v18, v30
	v_pk_add_f16 v109, v19, v31
	v_max_f16_e32 v110, v108, v108
	v_lshrrev_b32_e32 v108, 16, v108
	v_max_f32_e32 v98, v98, v98
	v_lshrrev_b32_e32 v111, 16, v103
	v_lshrrev_b32_e32 v112, 16, v109
	v_min_f16_e32 v103, v110, v103
	v_min3_f16 v108, v108, v111, v112
	v_min3_f16 v103, v103, v109, v108
	v_lshlrev_b64 v[108:109], 1, v[34:35]
	v_cvt_f32_f16_e32 v103, v103
	v_add_co_u32 v108, vcc_lo, v28, v108
	v_add_co_ci_u32_e64 v109, null, v29, v109, vcc_lo
	v_min_f32_e32 v98, v98, v103
	v_cvt_f16_f32_e32 v98, v98
	flat_store_short v[108:109], v98
	s_or_b32 exec_lo, exec_lo, s12
	s_and_b32 s17, s2, s8
	s_and_saveexec_b32 s12, s17
	s_cbranch_execz .LBB224_102
.LBB224_115:
	v_cmp_ne_u32_e32 vcc_lo, 1, v48
	s_cbranch_vccnz .LBB224_117
; %bb.116:
	v_lshlrev_b64 v[108:109], 1, v[36:37]
	v_add_co_u32 v108, vcc_lo, v93, v108
	v_add_co_ci_u32_e64 v109, null, v97, v109, vcc_lo
	flat_load_ushort v98, v[108:109]
	s_waitcnt vmcnt(0) lgkmcnt(0)
	v_mul_f16_e32 v98, s24, v98
	v_cvt_f32_f16_e32 v98, v98
	s_branch .LBB224_118
.LBB224_117:
	v_mov_b32_e32 v98, 0
.LBB224_118:
	v_pk_add_f16 v103, v12, v30
	v_pk_add_f16 v108, v13, v31
	v_max_f16_e32 v109, v107, v107
	v_lshrrev_b32_e32 v107, 16, v107
	v_max_f32_e32 v98, v98, v98
	v_lshrrev_b32_e32 v110, 16, v103
	v_lshrrev_b32_e32 v111, 16, v108
	v_min_f16_e32 v103, v109, v103
	v_min3_f16 v107, v107, v110, v111
	v_min3_f16 v103, v103, v108, v107
	v_lshlrev_b64 v[107:108], 1, v[36:37]
	v_cvt_f32_f16_e32 v103, v103
	v_add_co_u32 v107, vcc_lo, v28, v107
	v_add_co_ci_u32_e64 v108, null, v29, v108, vcc_lo
	v_min_f32_e32 v98, v98, v103
	v_cvt_f16_f32_e32 v98, v98
	flat_store_short v[107:108], v98
	s_or_b32 exec_lo, exec_lo, s12
	s_and_b32 s17, s3, s8
	s_and_saveexec_b32 s12, s17
	s_cbranch_execz .LBB224_103
.LBB224_119:
	v_cmp_ne_u32_e32 vcc_lo, 1, v48
	s_cbranch_vccnz .LBB224_121
; %bb.120:
	v_lshlrev_b64 v[107:108], 1, v[38:39]
	v_add_co_u32 v107, vcc_lo, v93, v107
	v_add_co_ci_u32_e64 v108, null, v97, v108, vcc_lo
	flat_load_ushort v98, v[107:108]
	s_waitcnt vmcnt(0) lgkmcnt(0)
	v_mul_f16_e32 v98, s24, v98
	v_cvt_f32_f16_e32 v98, v98
	s_branch .LBB224_122
.LBB224_121:
	v_mov_b32_e32 v98, 0
.LBB224_122:
	v_pk_add_f16 v103, v14, v30
	v_pk_add_f16 v107, v15, v31
	v_max_f16_e32 v108, v106, v106
	v_lshrrev_b32_e32 v106, 16, v106
	v_max_f32_e32 v98, v98, v98
	v_lshrrev_b32_e32 v109, 16, v103
	v_lshrrev_b32_e32 v110, 16, v107
	v_min_f16_e32 v103, v108, v103
	v_min3_f16 v106, v106, v109, v110
	v_min3_f16 v103, v103, v107, v106
	v_lshlrev_b64 v[106:107], 1, v[38:39]
	v_cvt_f32_f16_e32 v103, v103
	v_add_co_u32 v106, vcc_lo, v28, v106
	v_add_co_ci_u32_e64 v107, null, v29, v107, vcc_lo
	v_min_f32_e32 v98, v98, v103
	v_cvt_f16_f32_e32 v98, v98
	flat_store_short v[106:107], v98
	s_or_b32 exec_lo, exec_lo, s12
	s_and_b32 s17, s4, s8
	s_and_saveexec_b32 s12, s17
	s_cbranch_execz .LBB224_104
.LBB224_123:
	v_cmp_ne_u32_e32 vcc_lo, 1, v48
	s_cbranch_vccnz .LBB224_125
; %bb.124:
	v_lshlrev_b64 v[106:107], 1, v[40:41]
	v_add_co_u32 v106, vcc_lo, v93, v106
	v_add_co_ci_u32_e64 v107, null, v97, v107, vcc_lo
	flat_load_ushort v98, v[106:107]
	s_waitcnt vmcnt(0) lgkmcnt(0)
	v_mul_f16_e32 v98, s24, v98
	v_cvt_f32_f16_e32 v98, v98
	s_branch .LBB224_126
.LBB224_125:
	v_mov_b32_e32 v98, 0
.LBB224_126:
	v_pk_add_f16 v103, v8, v30
	v_pk_add_f16 v106, v9, v31
	v_max_f16_e32 v107, v105, v105
	v_lshrrev_b32_e32 v105, 16, v105
	v_max_f32_e32 v98, v98, v98
	v_lshrrev_b32_e32 v108, 16, v103
	v_lshrrev_b32_e32 v109, 16, v106
	v_min_f16_e32 v103, v107, v103
	v_min3_f16 v105, v105, v108, v109
	v_min3_f16 v103, v103, v106, v105
	v_lshlrev_b64 v[105:106], 1, v[40:41]
	v_cvt_f32_f16_e32 v103, v103
	v_add_co_u32 v105, vcc_lo, v28, v105
	v_add_co_ci_u32_e64 v106, null, v29, v106, vcc_lo
	v_min_f32_e32 v98, v98, v103
	v_cvt_f16_f32_e32 v98, v98
	flat_store_short v[105:106], v98
	s_or_b32 exec_lo, exec_lo, s12
	s_and_b32 s17, s5, s8
	s_and_saveexec_b32 s12, s17
	s_cbranch_execz .LBB224_105
.LBB224_127:
	v_cmp_ne_u32_e32 vcc_lo, 1, v48
	s_cbranch_vccnz .LBB224_129
; %bb.128:
	v_lshlrev_b64 v[105:106], 1, v[42:43]
	v_add_co_u32 v105, vcc_lo, v93, v105
	v_add_co_ci_u32_e64 v106, null, v97, v106, vcc_lo
	flat_load_ushort v98, v[105:106]
	s_waitcnt vmcnt(0) lgkmcnt(0)
	v_mul_f16_e32 v98, s24, v98
	v_cvt_f32_f16_e32 v98, v98
	s_branch .LBB224_130
.LBB224_129:
	v_mov_b32_e32 v98, 0
.LBB224_130:
	v_pk_add_f16 v103, v10, v30
	v_pk_add_f16 v105, v11, v31
	v_max_f16_e32 v106, v104, v104
	v_lshrrev_b32_e32 v104, 16, v104
	v_max_f32_e32 v98, v98, v98
	v_lshrrev_b32_e32 v107, 16, v103
	v_lshrrev_b32_e32 v108, 16, v105
	v_min_f16_e32 v103, v106, v103
	v_min3_f16 v104, v104, v107, v108
	v_min3_f16 v103, v103, v105, v104
	v_cvt_f32_f16_e32 v103, v103
	v_min_f32_e32 v98, v98, v103
	v_lshlrev_b64 v[103:104], 1, v[42:43]
	v_cvt_f16_f32_e32 v98, v98
	v_add_co_u32 v103, vcc_lo, v28, v103
	v_add_co_ci_u32_e64 v104, null, v29, v104, vcc_lo
	flat_store_short v[103:104], v98
	s_or_b32 exec_lo, exec_lo, s12
	s_and_b32 s17, s6, s8
	s_and_saveexec_b32 s12, s17
	s_cbranch_execz .LBB224_106
.LBB224_131:
	v_cmp_ne_u32_e32 vcc_lo, 1, v48
	s_cbranch_vccnz .LBB224_133
; %bb.132:
	v_lshlrev_b64 v[103:104], 1, v[44:45]
	v_add_co_u32 v103, vcc_lo, v93, v103
	v_add_co_ci_u32_e64 v104, null, v97, v104, vcc_lo
	flat_load_ushort v98, v[103:104]
	s_waitcnt vmcnt(0) lgkmcnt(0)
	v_mul_f16_e32 v98, s24, v98
	v_cvt_f32_f16_e32 v98, v98
	s_branch .LBB224_134
.LBB224_133:
	v_mov_b32_e32 v98, 0
.LBB224_134:
	v_pk_add_f16 v103, v0, v30
	v_pk_add_f16 v104, v1, v31
	v_max_f16_e32 v105, v102, v102
	v_lshrrev_b32_e32 v102, 16, v102
	v_max_f32_e32 v98, v98, v98
	v_lshrrev_b32_e32 v106, 16, v103
	v_lshrrev_b32_e32 v107, 16, v104
	v_min_f16_e32 v103, v105, v103
	v_min3_f16 v102, v102, v106, v107
	v_min3_f16 v102, v103, v104, v102
	v_cvt_f32_f16_e32 v102, v102
	v_min_f32_e32 v98, v98, v102
	v_lshlrev_b64 v[102:103], 1, v[44:45]
	v_cvt_f16_f32_e32 v98, v98
	v_add_co_u32 v102, vcc_lo, v28, v102
	v_add_co_ci_u32_e64 v103, null, v29, v103, vcc_lo
	flat_store_short v[102:103], v98
	s_or_b32 exec_lo, exec_lo, s12
	s_and_b32 s12, s7, s8
	s_and_saveexec_b32 s8, s12
	s_cbranch_execz .LBB224_139
.LBB224_135:
	v_cmp_ne_u32_e32 vcc_lo, 1, v48
	s_cbranch_vccnz .LBB224_137
; %bb.136:
	v_lshlrev_b64 v[102:103], 1, v[46:47]
	v_add_co_u32 v102, vcc_lo, v93, v102
	v_add_co_ci_u32_e64 v103, null, v97, v103, vcc_lo
	flat_load_ushort v93, v[102:103]
	s_waitcnt vmcnt(0) lgkmcnt(0)
	v_mul_f16_e32 v93, s24, v93
	v_cvt_f32_f16_e32 v93, v93
	s_branch .LBB224_138
.LBB224_137:
	v_mov_b32_e32 v93, 0
.LBB224_138:
	v_pk_add_f16 v30, v2, v30
	v_pk_add_f16 v31, v3, v31
	v_max_f16_e32 v97, v101, v101
	v_lshrrev_b32_e32 v98, 16, v101
	v_lshrrev_b32_e32 v101, 16, v30
	;; [unrolled: 1-line block ×3, first 2 shown]
	v_min_f16_e32 v30, v97, v30
	v_min3_f16 v97, v98, v101, v102
	v_min3_f16 v30, v30, v31, v97
	v_max_f32_e32 v31, v93, v93
	v_cvt_f32_f16_e32 v30, v30
	v_min_f32_e32 v93, v31, v30
	v_lshlrev_b64 v[30:31], 1, v[46:47]
	v_cvt_f16_f32_e32 v93, v93
	v_add_co_u32 v28, vcc_lo, v28, v30
	v_add_co_ci_u32_e64 v29, null, v29, v31, vcc_lo
	flat_store_short v[28:29], v93
.LBB224_139:
	s_or_b32 exec_lo, exec_lo, s8
	v_add_nc_u32_e32 v93, 64, v49
	v_mad_i64_i32 v[28:29], null, v93, s14, 0
	v_mad_i64_i32 v[30:31], null, v93, s9, 0
	v_cmp_gt_i32_e64 s8, s13, v93
	v_lshlrev_b64 v[28:29], 1, v[28:29]
	s_and_b32 s17, s0, s8
	v_lshlrev_b64 v[97:98], 1, v[30:31]
	v_add_co_u32 v30, vcc_lo, s10, v28
	v_add_co_ci_u32_e64 v31, null, s11, v29, vcc_lo
	v_add_co_u32 v28, vcc_lo, s15, v97
	v_add_co_ci_u32_e64 v29, null, s16, v98, vcc_lo
	s_and_saveexec_b32 s12, s17
	s_cbranch_execnz .LBB224_147
; %bb.140:
	s_or_b32 exec_lo, exec_lo, s12
	s_and_b32 s17, s1, s8
	s_and_saveexec_b32 s12, s17
	s_cbranch_execnz .LBB224_151
.LBB224_141:
	s_or_b32 exec_lo, exec_lo, s12
	s_and_b32 s17, s2, s8
	s_and_saveexec_b32 s12, s17
	s_cbranch_execnz .LBB224_155
.LBB224_142:
	s_or_b32 exec_lo, exec_lo, s12
	s_and_b32 s17, s3, s8
	s_and_saveexec_b32 s12, s17
	s_cbranch_execnz .LBB224_159
.LBB224_143:
	s_or_b32 exec_lo, exec_lo, s12
	s_and_b32 s17, s4, s8
	s_and_saveexec_b32 s12, s17
	s_cbranch_execnz .LBB224_163
.LBB224_144:
	s_or_b32 exec_lo, exec_lo, s12
	s_and_b32 s17, s5, s8
	s_and_saveexec_b32 s12, s17
	s_cbranch_execnz .LBB224_167
.LBB224_145:
	s_or_b32 exec_lo, exec_lo, s12
	s_and_b32 s17, s6, s8
	s_and_saveexec_b32 s12, s17
	s_cbranch_execnz .LBB224_171
.LBB224_146:
	s_or_b32 exec_lo, exec_lo, s12
	s_and_b32 s12, s7, s8
	s_and_saveexec_b32 s8, s12
	s_cbranch_execnz .LBB224_175
	s_branch .LBB224_179
.LBB224_147:
	v_cmp_ne_u32_e32 vcc_lo, 1, v48
	s_cbranch_vccnz .LBB224_149
; %bb.148:
	v_lshlrev_b64 v[97:98], 1, v[32:33]
	v_add_co_u32 v97, vcc_lo, v30, v97
	v_add_co_ci_u32_e64 v98, null, v31, v98, vcc_lo
	flat_load_ushort v93, v[97:98]
	s_waitcnt vmcnt(0) lgkmcnt(0)
	v_mul_f16_e32 v93, s24, v93
	v_cvt_f32_f16_e32 v93, v93
	s_branch .LBB224_150
.LBB224_149:
	v_mov_b32_e32 v93, 0
.LBB224_150:
	v_pk_add_f16 v97, v16, v24
	v_pk_add_f16 v98, v17, v25
	v_max_f16_e32 v101, v100, v100
	v_lshrrev_b32_e32 v100, 16, v100
	v_max_f32_e32 v93, v93, v93
	v_lshrrev_b32_e32 v102, 16, v97
	v_lshrrev_b32_e32 v103, 16, v98
	v_min_f16_e32 v97, v101, v97
	v_min3_f16 v100, v100, v102, v103
	v_min3_f16 v97, v97, v98, v100
	v_cvt_f32_f16_e32 v97, v97
	v_min_f32_e32 v93, v93, v97
	v_lshlrev_b64 v[97:98], 1, v[32:33]
	v_cvt_f16_f32_e32 v93, v93
	v_add_co_u32 v97, vcc_lo, v28, v97
	v_add_co_ci_u32_e64 v98, null, v29, v98, vcc_lo
	flat_store_short v[97:98], v93
	s_or_b32 exec_lo, exec_lo, s12
	s_and_b32 s17, s1, s8
	s_and_saveexec_b32 s12, s17
	s_cbranch_execz .LBB224_141
.LBB224_151:
	v_cmp_ne_u32_e32 vcc_lo, 1, v48
	s_cbranch_vccnz .LBB224_153
; %bb.152:
	v_lshlrev_b64 v[97:98], 1, v[34:35]
	v_add_co_u32 v97, vcc_lo, v30, v97
	v_add_co_ci_u32_e64 v98, null, v31, v98, vcc_lo
	flat_load_ushort v93, v[97:98]
	s_waitcnt vmcnt(0) lgkmcnt(0)
	v_mul_f16_e32 v93, s24, v93
	v_cvt_f32_f16_e32 v93, v93
	s_branch .LBB224_154
.LBB224_153:
	v_mov_b32_e32 v93, 0
.LBB224_154:
	v_pk_add_f16 v97, v18, v24
	v_pk_add_f16 v98, v19, v25
	v_max_f16_e32 v100, v99, v99
	v_lshrrev_b32_e32 v99, 16, v99
	v_max_f32_e32 v93, v93, v93
	v_lshrrev_b32_e32 v101, 16, v97
	v_lshrrev_b32_e32 v102, 16, v98
	v_min_f16_e32 v97, v100, v97
	v_min3_f16 v99, v99, v101, v102
	v_min3_f16 v97, v97, v98, v99
	v_cvt_f32_f16_e32 v97, v97
	v_min_f32_e32 v93, v93, v97
	v_lshlrev_b64 v[97:98], 1, v[34:35]
	v_cvt_f16_f32_e32 v93, v93
	v_add_co_u32 v97, vcc_lo, v28, v97
	v_add_co_ci_u32_e64 v98, null, v29, v98, vcc_lo
	flat_store_short v[97:98], v93
	s_or_b32 exec_lo, exec_lo, s12
	s_and_b32 s17, s2, s8
	s_and_saveexec_b32 s12, s17
	s_cbranch_execz .LBB224_142
.LBB224_155:
	v_cmp_ne_u32_e32 vcc_lo, 1, v48
	s_cbranch_vccnz .LBB224_157
; %bb.156:
	v_lshlrev_b64 v[97:98], 1, v[36:37]
	v_add_co_u32 v97, vcc_lo, v30, v97
	v_add_co_ci_u32_e64 v98, null, v31, v98, vcc_lo
	flat_load_ushort v93, v[97:98]
	s_waitcnt vmcnt(0) lgkmcnt(0)
	v_mul_f16_e32 v93, s24, v93
	v_cvt_f32_f16_e32 v93, v93
	s_branch .LBB224_158
.LBB224_157:
	v_mov_b32_e32 v93, 0
.LBB224_158:
	v_pk_add_f16 v97, v12, v24
	v_pk_add_f16 v98, v13, v25
	v_max_f16_e32 v99, v96, v96
	v_lshrrev_b32_e32 v96, 16, v96
	v_max_f32_e32 v93, v93, v93
	v_lshrrev_b32_e32 v100, 16, v97
	v_lshrrev_b32_e32 v101, 16, v98
	v_min_f16_e32 v97, v99, v97
	v_min3_f16 v96, v96, v100, v101
	v_min3_f16 v96, v97, v98, v96
	v_cvt_f32_f16_e32 v96, v96
	v_min_f32_e32 v93, v93, v96
	v_lshlrev_b64 v[96:97], 1, v[36:37]
	v_cvt_f16_f32_e32 v93, v93
	v_add_co_u32 v96, vcc_lo, v28, v96
	v_add_co_ci_u32_e64 v97, null, v29, v97, vcc_lo
	flat_store_short v[96:97], v93
	s_or_b32 exec_lo, exec_lo, s12
	s_and_b32 s17, s3, s8
	s_and_saveexec_b32 s12, s17
	s_cbranch_execz .LBB224_143
.LBB224_159:
	v_cmp_ne_u32_e32 vcc_lo, 1, v48
	s_cbranch_vccnz .LBB224_161
; %bb.160:
	v_lshlrev_b64 v[96:97], 1, v[38:39]
	v_add_co_u32 v96, vcc_lo, v30, v96
	v_add_co_ci_u32_e64 v97, null, v31, v97, vcc_lo
	flat_load_ushort v93, v[96:97]
	s_waitcnt vmcnt(0) lgkmcnt(0)
	v_mul_f16_e32 v93, s24, v93
	v_cvt_f32_f16_e32 v93, v93
	s_branch .LBB224_162
.LBB224_161:
	v_mov_b32_e32 v93, 0
.LBB224_162:
	v_pk_add_f16 v96, v14, v24
	v_pk_add_f16 v97, v15, v25
	v_max_f16_e32 v98, v95, v95
	v_lshrrev_b32_e32 v95, 16, v95
	v_max_f32_e32 v93, v93, v93
	v_lshrrev_b32_e32 v99, 16, v96
	v_lshrrev_b32_e32 v100, 16, v97
	v_min_f16_e32 v96, v98, v96
	v_min3_f16 v95, v95, v99, v100
	v_min3_f16 v95, v96, v97, v95
	v_cvt_f32_f16_e32 v95, v95
	v_min_f32_e32 v93, v93, v95
	v_lshlrev_b64 v[95:96], 1, v[38:39]
	v_cvt_f16_f32_e32 v93, v93
	v_add_co_u32 v95, vcc_lo, v28, v95
	v_add_co_ci_u32_e64 v96, null, v29, v96, vcc_lo
	flat_store_short v[95:96], v93
	s_or_b32 exec_lo, exec_lo, s12
	s_and_b32 s17, s4, s8
	s_and_saveexec_b32 s12, s17
	s_cbranch_execz .LBB224_144
.LBB224_163:
	v_cmp_ne_u32_e32 vcc_lo, 1, v48
	s_cbranch_vccnz .LBB224_165
; %bb.164:
	v_lshlrev_b64 v[95:96], 1, v[40:41]
	v_add_co_u32 v95, vcc_lo, v30, v95
	v_add_co_ci_u32_e64 v96, null, v31, v96, vcc_lo
	flat_load_ushort v93, v[95:96]
	s_waitcnt vmcnt(0) lgkmcnt(0)
	v_mul_f16_e32 v93, s24, v93
	v_cvt_f32_f16_e32 v93, v93
	s_branch .LBB224_166
.LBB224_165:
	v_mov_b32_e32 v93, 0
.LBB224_166:
	v_pk_add_f16 v95, v8, v24
	v_pk_add_f16 v96, v9, v25
	v_max_f16_e32 v97, v94, v94
	v_lshrrev_b32_e32 v94, 16, v94
	v_max_f32_e32 v93, v93, v93
	v_lshrrev_b32_e32 v98, 16, v95
	v_lshrrev_b32_e32 v99, 16, v96
	v_min_f16_e32 v95, v97, v95
	v_min3_f16 v94, v94, v98, v99
	v_min3_f16 v94, v95, v96, v94
	v_cvt_f32_f16_e32 v94, v94
	v_min_f32_e32 v95, v93, v94
	v_lshlrev_b64 v[93:94], 1, v[40:41]
	v_cvt_f16_f32_e32 v95, v95
	v_add_co_u32 v93, vcc_lo, v28, v93
	v_add_co_ci_u32_e64 v94, null, v29, v94, vcc_lo
	flat_store_short v[93:94], v95
	s_or_b32 exec_lo, exec_lo, s12
	s_and_b32 s17, s5, s8
	s_and_saveexec_b32 s12, s17
	s_cbranch_execz .LBB224_145
.LBB224_167:
	v_cmp_ne_u32_e32 vcc_lo, 1, v48
	s_cbranch_vccnz .LBB224_169
; %bb.168:
	v_lshlrev_b64 v[93:94], 1, v[42:43]
	v_add_co_u32 v93, vcc_lo, v30, v93
	v_add_co_ci_u32_e64 v94, null, v31, v94, vcc_lo
	flat_load_ushort v93, v[93:94]
	s_waitcnt vmcnt(0) lgkmcnt(0)
	v_mul_f16_e32 v93, s24, v93
	v_cvt_f32_f16_e32 v93, v93
	s_branch .LBB224_170
.LBB224_169:
	v_mov_b32_e32 v93, 0
.LBB224_170:
	v_pk_add_f16 v94, v10, v24
	v_pk_add_f16 v95, v11, v25
	v_max_f16_e32 v96, v92, v92
	v_lshrrev_b32_e32 v92, 16, v92
	v_max_f32_e32 v93, v93, v93
	v_lshrrev_b32_e32 v97, 16, v94
	v_lshrrev_b32_e32 v98, 16, v95
	v_min_f16_e32 v94, v96, v94
	v_min3_f16 v92, v92, v97, v98
	v_min3_f16 v92, v94, v95, v92
	v_cvt_f32_f16_e32 v92, v92
	v_min_f32_e32 v94, v93, v92
	v_lshlrev_b64 v[92:93], 1, v[42:43]
	v_cvt_f16_f32_e32 v94, v94
	v_add_co_u32 v92, vcc_lo, v28, v92
	v_add_co_ci_u32_e64 v93, null, v29, v93, vcc_lo
	flat_store_short v[92:93], v94
	s_or_b32 exec_lo, exec_lo, s12
	s_and_b32 s17, s6, s8
	s_and_saveexec_b32 s12, s17
	s_cbranch_execz .LBB224_146
.LBB224_171:
	v_cmp_ne_u32_e32 vcc_lo, 1, v48
	s_cbranch_vccnz .LBB224_173
; %bb.172:
	v_lshlrev_b64 v[92:93], 1, v[44:45]
	v_add_co_u32 v92, vcc_lo, v30, v92
	v_add_co_ci_u32_e64 v93, null, v31, v93, vcc_lo
	flat_load_ushort v92, v[92:93]
	s_waitcnt vmcnt(0) lgkmcnt(0)
	v_mul_f16_e32 v92, s24, v92
	v_cvt_f32_f16_e32 v92, v92
	s_branch .LBB224_174
.LBB224_173:
	v_mov_b32_e32 v92, 0
.LBB224_174:
	v_pk_add_f16 v93, v0, v24
	v_pk_add_f16 v94, v1, v25
	v_max_f16_e32 v95, v91, v91
	v_lshrrev_b32_e32 v91, 16, v91
	v_max_f32_e32 v92, v92, v92
	v_lshrrev_b32_e32 v96, 16, v93
	v_lshrrev_b32_e32 v97, 16, v94
	v_min_f16_e32 v93, v95, v93
	v_min3_f16 v91, v91, v96, v97
	v_min3_f16 v91, v93, v94, v91
	v_cvt_f32_f16_e32 v91, v91
	v_min_f32_e32 v93, v92, v91
	v_lshlrev_b64 v[91:92], 1, v[44:45]
	v_cvt_f16_f32_e32 v93, v93
	v_add_co_u32 v91, vcc_lo, v28, v91
	v_add_co_ci_u32_e64 v92, null, v29, v92, vcc_lo
	flat_store_short v[91:92], v93
	s_or_b32 exec_lo, exec_lo, s12
	s_and_b32 s12, s7, s8
	s_and_saveexec_b32 s8, s12
	s_cbranch_execz .LBB224_179
.LBB224_175:
	v_cmp_ne_u32_e32 vcc_lo, 1, v48
	s_cbranch_vccnz .LBB224_177
; %bb.176:
	v_lshlrev_b64 v[91:92], 1, v[46:47]
	v_add_co_u32 v30, vcc_lo, v30, v91
	v_add_co_ci_u32_e64 v31, null, v31, v92, vcc_lo
	flat_load_ushort v30, v[30:31]
	s_waitcnt vmcnt(0) lgkmcnt(0)
	v_mul_f16_e32 v30, s24, v30
	v_cvt_f32_f16_e32 v30, v30
	s_branch .LBB224_178
.LBB224_177:
	v_mov_b32_e32 v30, 0
.LBB224_178:
	v_pk_add_f16 v24, v2, v24
	v_pk_add_f16 v25, v3, v25
	v_max_f16_e32 v31, v90, v90
	v_lshrrev_b32_e32 v90, 16, v90
	v_lshrrev_b32_e32 v91, 16, v24
	;; [unrolled: 1-line block ×3, first 2 shown]
	v_min_f16_e32 v24, v31, v24
	v_min3_f16 v31, v90, v91, v92
	v_min3_f16 v24, v24, v25, v31
	v_max_f32_e32 v25, v30, v30
	v_cvt_f32_f16_e32 v24, v24
	v_min_f32_e32 v30, v25, v24
	v_lshlrev_b64 v[24:25], 1, v[46:47]
	v_cvt_f16_f32_e32 v30, v30
	v_add_co_u32 v24, vcc_lo, v28, v24
	v_add_co_ci_u32_e64 v25, null, v29, v25, vcc_lo
	flat_store_short v[24:25], v30
.LBB224_179:
	s_or_b32 exec_lo, exec_lo, s8
	v_add_nc_u32_e32 v30, 0x60, v49
	v_mad_i64_i32 v[24:25], null, v30, s14, 0
	v_mad_i64_i32 v[28:29], null, v30, s9, 0
	v_cmp_gt_i32_e64 s8, s13, v30
	v_lshlrev_b64 v[24:25], 1, v[24:25]
	s_and_b32 s17, s0, s8
	v_lshlrev_b64 v[30:31], 1, v[28:29]
	v_add_co_u32 v28, vcc_lo, s10, v24
	v_add_co_ci_u32_e64 v29, null, s11, v25, vcc_lo
	v_add_co_u32 v24, vcc_lo, s15, v30
	v_add_co_ci_u32_e64 v25, null, s16, v31, vcc_lo
	s_and_saveexec_b32 s12, s17
	s_cbranch_execnz .LBB224_187
; %bb.180:
	s_or_b32 exec_lo, exec_lo, s12
	s_and_b32 s17, s1, s8
	s_and_saveexec_b32 s12, s17
	s_cbranch_execnz .LBB224_191
.LBB224_181:
	s_or_b32 exec_lo, exec_lo, s12
	s_and_b32 s17, s2, s8
	s_and_saveexec_b32 s12, s17
	s_cbranch_execnz .LBB224_195
.LBB224_182:
	s_or_b32 exec_lo, exec_lo, s12
	s_and_b32 s17, s3, s8
	s_and_saveexec_b32 s12, s17
	s_cbranch_execnz .LBB224_199
.LBB224_183:
	s_or_b32 exec_lo, exec_lo, s12
	s_and_b32 s17, s4, s8
	s_and_saveexec_b32 s12, s17
	s_cbranch_execnz .LBB224_203
.LBB224_184:
	s_or_b32 exec_lo, exec_lo, s12
	s_and_b32 s17, s5, s8
	s_and_saveexec_b32 s12, s17
	s_cbranch_execnz .LBB224_207
.LBB224_185:
	s_or_b32 exec_lo, exec_lo, s12
	s_and_b32 s17, s6, s8
	s_and_saveexec_b32 s12, s17
	s_cbranch_execnz .LBB224_211
.LBB224_186:
	s_or_b32 exec_lo, exec_lo, s12
	s_and_b32 s12, s7, s8
	s_and_saveexec_b32 s8, s12
	s_cbranch_execnz .LBB224_215
	s_branch .LBB224_219
.LBB224_187:
	v_cmp_ne_u32_e32 vcc_lo, 1, v48
	s_cbranch_vccnz .LBB224_189
; %bb.188:
	v_lshlrev_b64 v[30:31], 1, v[32:33]
	v_add_co_u32 v30, vcc_lo, v28, v30
	v_add_co_ci_u32_e64 v31, null, v29, v31, vcc_lo
	flat_load_ushort v30, v[30:31]
	s_waitcnt vmcnt(0) lgkmcnt(0)
	v_mul_f16_e32 v30, s24, v30
	v_cvt_f32_f16_e32 v30, v30
	s_branch .LBB224_190
.LBB224_189:
	v_mov_b32_e32 v30, 0
.LBB224_190:
	v_pk_add_f16 v31, v16, v26
	v_pk_add_f16 v90, v17, v27
	v_max_f16_e32 v91, v89, v89
	v_lshrrev_b32_e32 v89, 16, v89
	v_max_f32_e32 v30, v30, v30
	v_lshrrev_b32_e32 v92, 16, v31
	v_lshrrev_b32_e32 v93, 16, v90
	v_min_f16_e32 v31, v91, v31
	v_min3_f16 v89, v89, v92, v93
	v_min3_f16 v31, v31, v90, v89
	v_cvt_f32_f16_e32 v31, v31
	v_min_f32_e32 v89, v30, v31
	v_lshlrev_b64 v[30:31], 1, v[32:33]
	v_cvt_f16_f32_e32 v89, v89
	v_add_co_u32 v30, vcc_lo, v24, v30
	v_add_co_ci_u32_e64 v31, null, v25, v31, vcc_lo
	flat_store_short v[30:31], v89
	s_or_b32 exec_lo, exec_lo, s12
	s_and_b32 s17, s1, s8
	s_and_saveexec_b32 s12, s17
	s_cbranch_execz .LBB224_181
.LBB224_191:
	v_cmp_ne_u32_e32 vcc_lo, 1, v48
	s_cbranch_vccnz .LBB224_193
; %bb.192:
	v_lshlrev_b64 v[30:31], 1, v[34:35]
	v_add_co_u32 v30, vcc_lo, v28, v30
	v_add_co_ci_u32_e64 v31, null, v29, v31, vcc_lo
	flat_load_ushort v30, v[30:31]
	s_waitcnt vmcnt(0) lgkmcnt(0)
	v_mul_f16_e32 v30, s24, v30
	v_cvt_f32_f16_e32 v30, v30
	s_branch .LBB224_194
.LBB224_193:
	v_mov_b32_e32 v30, 0
.LBB224_194:
	v_pk_add_f16 v31, v18, v26
	v_pk_add_f16 v89, v19, v27
	v_max_f16_e32 v90, v88, v88
	v_lshrrev_b32_e32 v88, 16, v88
	v_max_f32_e32 v30, v30, v30
	v_lshrrev_b32_e32 v91, 16, v31
	v_lshrrev_b32_e32 v92, 16, v89
	v_min_f16_e32 v31, v90, v31
	v_min3_f16 v88, v88, v91, v92
	v_min3_f16 v31, v31, v89, v88
	v_cvt_f32_f16_e32 v31, v31
	v_min_f32_e32 v88, v30, v31
	v_lshlrev_b64 v[30:31], 1, v[34:35]
	v_cvt_f16_f32_e32 v88, v88
	v_add_co_u32 v30, vcc_lo, v24, v30
	v_add_co_ci_u32_e64 v31, null, v25, v31, vcc_lo
	flat_store_short v[30:31], v88
	s_or_b32 exec_lo, exec_lo, s12
	s_and_b32 s17, s2, s8
	s_and_saveexec_b32 s12, s17
	s_cbranch_execz .LBB224_182
.LBB224_195:
	v_cmp_ne_u32_e32 vcc_lo, 1, v48
	s_cbranch_vccnz .LBB224_197
; %bb.196:
	v_lshlrev_b64 v[30:31], 1, v[36:37]
	v_add_co_u32 v30, vcc_lo, v28, v30
	v_add_co_ci_u32_e64 v31, null, v29, v31, vcc_lo
	flat_load_ushort v30, v[30:31]
	s_waitcnt vmcnt(0) lgkmcnt(0)
	v_mul_f16_e32 v30, s24, v30
	v_cvt_f32_f16_e32 v30, v30
	s_branch .LBB224_198
.LBB224_197:
	v_mov_b32_e32 v30, 0
.LBB224_198:
	v_pk_add_f16 v31, v12, v26
	v_pk_add_f16 v88, v13, v27
	v_max_f16_e32 v89, v87, v87
	v_lshrrev_b32_e32 v87, 16, v87
	v_max_f32_e32 v30, v30, v30
	v_lshrrev_b32_e32 v90, 16, v31
	v_lshrrev_b32_e32 v91, 16, v88
	v_min_f16_e32 v31, v89, v31
	v_min3_f16 v87, v87, v90, v91
	v_min3_f16 v31, v31, v88, v87
	v_cvt_f32_f16_e32 v31, v31
	v_min_f32_e32 v87, v30, v31
	v_lshlrev_b64 v[30:31], 1, v[36:37]
	v_cvt_f16_f32_e32 v87, v87
	v_add_co_u32 v30, vcc_lo, v24, v30
	v_add_co_ci_u32_e64 v31, null, v25, v31, vcc_lo
	flat_store_short v[30:31], v87
	s_or_b32 exec_lo, exec_lo, s12
	s_and_b32 s17, s3, s8
	s_and_saveexec_b32 s12, s17
	s_cbranch_execz .LBB224_183
.LBB224_199:
	v_cmp_ne_u32_e32 vcc_lo, 1, v48
	s_cbranch_vccnz .LBB224_201
; %bb.200:
	v_lshlrev_b64 v[30:31], 1, v[38:39]
	v_add_co_u32 v30, vcc_lo, v28, v30
	v_add_co_ci_u32_e64 v31, null, v29, v31, vcc_lo
	flat_load_ushort v30, v[30:31]
	s_waitcnt vmcnt(0) lgkmcnt(0)
	v_mul_f16_e32 v30, s24, v30
	v_cvt_f32_f16_e32 v30, v30
	s_branch .LBB224_202
.LBB224_201:
	v_mov_b32_e32 v30, 0
.LBB224_202:
	v_pk_add_f16 v31, v14, v26
	v_pk_add_f16 v87, v15, v27
	v_max_f16_e32 v88, v86, v86
	v_lshrrev_b32_e32 v86, 16, v86
	v_max_f32_e32 v30, v30, v30
	v_lshrrev_b32_e32 v89, 16, v31
	v_lshrrev_b32_e32 v90, 16, v87
	v_min_f16_e32 v31, v88, v31
	v_min3_f16 v86, v86, v89, v90
	v_min3_f16 v31, v31, v87, v86
	v_cvt_f32_f16_e32 v31, v31
	v_min_f32_e32 v86, v30, v31
	v_lshlrev_b64 v[30:31], 1, v[38:39]
	v_cvt_f16_f32_e32 v86, v86
	v_add_co_u32 v30, vcc_lo, v24, v30
	v_add_co_ci_u32_e64 v31, null, v25, v31, vcc_lo
	flat_store_short v[30:31], v86
	s_or_b32 exec_lo, exec_lo, s12
	s_and_b32 s17, s4, s8
	s_and_saveexec_b32 s12, s17
	s_cbranch_execz .LBB224_184
.LBB224_203:
	v_cmp_ne_u32_e32 vcc_lo, 1, v48
	s_cbranch_vccnz .LBB224_205
; %bb.204:
	v_lshlrev_b64 v[30:31], 1, v[40:41]
	v_add_co_u32 v30, vcc_lo, v28, v30
	v_add_co_ci_u32_e64 v31, null, v29, v31, vcc_lo
	flat_load_ushort v30, v[30:31]
	s_waitcnt vmcnt(0) lgkmcnt(0)
	v_mul_f16_e32 v30, s24, v30
	v_cvt_f32_f16_e32 v30, v30
	s_branch .LBB224_206
.LBB224_205:
	v_mov_b32_e32 v30, 0
.LBB224_206:
	v_pk_add_f16 v31, v8, v26
	v_pk_add_f16 v86, v9, v27
	v_max_f16_e32 v87, v85, v85
	v_lshrrev_b32_e32 v85, 16, v85
	v_max_f32_e32 v30, v30, v30
	v_lshrrev_b32_e32 v88, 16, v31
	v_lshrrev_b32_e32 v89, 16, v86
	v_min_f16_e32 v31, v87, v31
	v_min3_f16 v85, v85, v88, v89
	v_min3_f16 v31, v31, v86, v85
	v_cvt_f32_f16_e32 v31, v31
	v_min_f32_e32 v85, v30, v31
	v_lshlrev_b64 v[30:31], 1, v[40:41]
	v_cvt_f16_f32_e32 v85, v85
	v_add_co_u32 v30, vcc_lo, v24, v30
	v_add_co_ci_u32_e64 v31, null, v25, v31, vcc_lo
	flat_store_short v[30:31], v85
	s_or_b32 exec_lo, exec_lo, s12
	s_and_b32 s17, s5, s8
	s_and_saveexec_b32 s12, s17
	s_cbranch_execz .LBB224_185
.LBB224_207:
	v_cmp_ne_u32_e32 vcc_lo, 1, v48
	s_cbranch_vccnz .LBB224_209
; %bb.208:
	v_lshlrev_b64 v[30:31], 1, v[42:43]
	v_add_co_u32 v30, vcc_lo, v28, v30
	v_add_co_ci_u32_e64 v31, null, v29, v31, vcc_lo
	flat_load_ushort v30, v[30:31]
	s_waitcnt vmcnt(0) lgkmcnt(0)
	v_mul_f16_e32 v30, s24, v30
	v_cvt_f32_f16_e32 v30, v30
	s_branch .LBB224_210
.LBB224_209:
	v_mov_b32_e32 v30, 0
.LBB224_210:
	v_pk_add_f16 v31, v10, v26
	v_pk_add_f16 v85, v11, v27
	v_max_f16_e32 v86, v84, v84
	v_lshrrev_b32_e32 v84, 16, v84
	v_max_f32_e32 v30, v30, v30
	v_lshrrev_b32_e32 v87, 16, v31
	v_lshrrev_b32_e32 v88, 16, v85
	v_min_f16_e32 v31, v86, v31
	v_min3_f16 v84, v84, v87, v88
	v_min3_f16 v31, v31, v85, v84
	v_cvt_f32_f16_e32 v31, v31
	v_min_f32_e32 v84, v30, v31
	v_lshlrev_b64 v[30:31], 1, v[42:43]
	v_cvt_f16_f32_e32 v84, v84
	v_add_co_u32 v30, vcc_lo, v24, v30
	v_add_co_ci_u32_e64 v31, null, v25, v31, vcc_lo
	flat_store_short v[30:31], v84
	s_or_b32 exec_lo, exec_lo, s12
	s_and_b32 s17, s6, s8
	s_and_saveexec_b32 s12, s17
	s_cbranch_execz .LBB224_186
.LBB224_211:
	v_cmp_ne_u32_e32 vcc_lo, 1, v48
	s_cbranch_vccnz .LBB224_213
; %bb.212:
	v_lshlrev_b64 v[30:31], 1, v[44:45]
	v_add_co_u32 v30, vcc_lo, v28, v30
	v_add_co_ci_u32_e64 v31, null, v29, v31, vcc_lo
	flat_load_ushort v30, v[30:31]
	s_waitcnt vmcnt(0) lgkmcnt(0)
	v_mul_f16_e32 v30, s24, v30
	v_cvt_f32_f16_e32 v30, v30
	s_branch .LBB224_214
.LBB224_213:
	v_mov_b32_e32 v30, 0
.LBB224_214:
	v_pk_add_f16 v31, v0, v26
	v_pk_add_f16 v84, v1, v27
	v_max_f16_e32 v85, v83, v83
	v_lshrrev_b32_e32 v83, 16, v83
	v_max_f32_e32 v30, v30, v30
	v_lshrrev_b32_e32 v86, 16, v31
	v_lshrrev_b32_e32 v87, 16, v84
	v_min_f16_e32 v31, v85, v31
	v_min3_f16 v83, v83, v86, v87
	v_min3_f16 v31, v31, v84, v83
	v_cvt_f32_f16_e32 v31, v31
	v_min_f32_e32 v83, v30, v31
	v_lshlrev_b64 v[30:31], 1, v[44:45]
	v_cvt_f16_f32_e32 v83, v83
	v_add_co_u32 v30, vcc_lo, v24, v30
	v_add_co_ci_u32_e64 v31, null, v25, v31, vcc_lo
	flat_store_short v[30:31], v83
	s_or_b32 exec_lo, exec_lo, s12
	s_and_b32 s12, s7, s8
	s_and_saveexec_b32 s8, s12
	s_cbranch_execz .LBB224_219
.LBB224_215:
	v_cmp_ne_u32_e32 vcc_lo, 1, v48
	s_cbranch_vccnz .LBB224_217
; %bb.216:
	v_lshlrev_b64 v[30:31], 1, v[46:47]
	v_add_co_u32 v28, vcc_lo, v28, v30
	v_add_co_ci_u32_e64 v29, null, v29, v31, vcc_lo
	flat_load_ushort v28, v[28:29]
	s_waitcnt vmcnt(0) lgkmcnt(0)
	v_mul_f16_e32 v28, s24, v28
	v_cvt_f32_f16_e32 v28, v28
	s_branch .LBB224_218
.LBB224_217:
	v_mov_b32_e32 v28, 0
.LBB224_218:
	v_pk_add_f16 v26, v2, v26
	v_pk_add_f16 v27, v3, v27
	v_max_f16_e32 v29, v82, v82
	v_lshrrev_b32_e32 v30, 16, v82
	v_lshrrev_b32_e32 v31, 16, v26
	;; [unrolled: 1-line block ×3, first 2 shown]
	v_min_f16_e32 v26, v29, v26
	v_min3_f16 v29, v30, v31, v82
	v_min3_f16 v26, v26, v27, v29
	v_max_f32_e32 v27, v28, v28
	v_cvt_f32_f16_e32 v26, v26
	v_min_f32_e32 v28, v27, v26
	v_lshlrev_b64 v[26:27], 1, v[46:47]
	v_cvt_f16_f32_e32 v28, v28
	v_add_co_u32 v24, vcc_lo, v24, v26
	v_add_co_ci_u32_e64 v25, null, v25, v27, vcc_lo
	flat_store_short v[24:25], v28
.LBB224_219:
	s_or_b32 exec_lo, exec_lo, s8
	v_add_nc_u32_e32 v28, 0x80, v49
	v_mad_i64_i32 v[24:25], null, v28, s14, 0
	v_mad_i64_i32 v[26:27], null, v28, s9, 0
	v_cmp_gt_i32_e64 s8, s13, v28
	v_lshlrev_b64 v[24:25], 1, v[24:25]
	s_and_b32 s17, s0, s8
	v_lshlrev_b64 v[28:29], 1, v[26:27]
	v_add_co_u32 v26, vcc_lo, s10, v24
	v_add_co_ci_u32_e64 v27, null, s11, v25, vcc_lo
	v_add_co_u32 v24, vcc_lo, s15, v28
	v_add_co_ci_u32_e64 v25, null, s16, v29, vcc_lo
	s_and_saveexec_b32 s12, s17
	s_cbranch_execnz .LBB224_227
; %bb.220:
	s_or_b32 exec_lo, exec_lo, s12
	s_and_b32 s17, s1, s8
	s_and_saveexec_b32 s12, s17
	s_cbranch_execnz .LBB224_231
.LBB224_221:
	s_or_b32 exec_lo, exec_lo, s12
	s_and_b32 s17, s2, s8
	s_and_saveexec_b32 s12, s17
	s_cbranch_execnz .LBB224_235
.LBB224_222:
	s_or_b32 exec_lo, exec_lo, s12
	s_and_b32 s17, s3, s8
	s_and_saveexec_b32 s12, s17
	s_cbranch_execnz .LBB224_239
.LBB224_223:
	s_or_b32 exec_lo, exec_lo, s12
	s_and_b32 s17, s4, s8
	s_and_saveexec_b32 s12, s17
	s_cbranch_execnz .LBB224_243
.LBB224_224:
	s_or_b32 exec_lo, exec_lo, s12
	s_and_b32 s17, s5, s8
	s_and_saveexec_b32 s12, s17
	s_cbranch_execnz .LBB224_247
.LBB224_225:
	s_or_b32 exec_lo, exec_lo, s12
	s_and_b32 s17, s6, s8
	s_and_saveexec_b32 s12, s17
	s_cbranch_execnz .LBB224_251
.LBB224_226:
	s_or_b32 exec_lo, exec_lo, s12
	s_and_b32 s12, s7, s8
	s_and_saveexec_b32 s8, s12
	s_cbranch_execnz .LBB224_255
	s_branch .LBB224_259
.LBB224_227:
	v_cmp_ne_u32_e32 vcc_lo, 1, v48
	s_cbranch_vccnz .LBB224_229
; %bb.228:
	v_lshlrev_b64 v[28:29], 1, v[32:33]
	v_add_co_u32 v28, vcc_lo, v26, v28
	v_add_co_ci_u32_e64 v29, null, v27, v29, vcc_lo
	flat_load_ushort v28, v[28:29]
	s_waitcnt vmcnt(0) lgkmcnt(0)
	v_mul_f16_e32 v28, s24, v28
	v_cvt_f32_f16_e32 v28, v28
	s_branch .LBB224_230
.LBB224_229:
	v_mov_b32_e32 v28, 0
.LBB224_230:
	v_pk_add_f16 v29, v16, v20
	v_pk_add_f16 v30, v17, v21
	v_max_f16_e32 v31, v81, v81
	v_lshrrev_b32_e32 v81, 16, v81
	v_max_f32_e32 v28, v28, v28
	v_lshrrev_b32_e32 v82, 16, v29
	v_lshrrev_b32_e32 v83, 16, v30
	v_min_f16_e32 v29, v31, v29
	v_min3_f16 v31, v81, v82, v83
	v_min3_f16 v29, v29, v30, v31
	v_cvt_f32_f16_e32 v29, v29
	v_min_f32_e32 v30, v28, v29
	v_lshlrev_b64 v[28:29], 1, v[32:33]
	v_cvt_f16_f32_e32 v30, v30
	v_add_co_u32 v28, vcc_lo, v24, v28
	v_add_co_ci_u32_e64 v29, null, v25, v29, vcc_lo
	flat_store_short v[28:29], v30
	s_or_b32 exec_lo, exec_lo, s12
	s_and_b32 s17, s1, s8
	s_and_saveexec_b32 s12, s17
	s_cbranch_execz .LBB224_221
.LBB224_231:
	v_cmp_ne_u32_e32 vcc_lo, 1, v48
	s_cbranch_vccnz .LBB224_233
; %bb.232:
	v_lshlrev_b64 v[28:29], 1, v[34:35]
	v_add_co_u32 v28, vcc_lo, v26, v28
	v_add_co_ci_u32_e64 v29, null, v27, v29, vcc_lo
	flat_load_ushort v28, v[28:29]
	s_waitcnt vmcnt(0) lgkmcnt(0)
	v_mul_f16_e32 v28, s24, v28
	v_cvt_f32_f16_e32 v28, v28
	s_branch .LBB224_234
.LBB224_233:
	v_mov_b32_e32 v28, 0
.LBB224_234:
	v_pk_add_f16 v29, v18, v20
	v_pk_add_f16 v30, v19, v21
	v_max_f16_e32 v31, v80, v80
	v_lshrrev_b32_e32 v80, 16, v80
	v_max_f32_e32 v28, v28, v28
	v_lshrrev_b32_e32 v81, 16, v29
	v_lshrrev_b32_e32 v82, 16, v30
	v_min_f16_e32 v29, v31, v29
	v_min3_f16 v31, v80, v81, v82
	v_min3_f16 v29, v29, v30, v31
	v_cvt_f32_f16_e32 v29, v29
	v_min_f32_e32 v30, v28, v29
	v_lshlrev_b64 v[28:29], 1, v[34:35]
	v_cvt_f16_f32_e32 v30, v30
	v_add_co_u32 v28, vcc_lo, v24, v28
	v_add_co_ci_u32_e64 v29, null, v25, v29, vcc_lo
	flat_store_short v[28:29], v30
	s_or_b32 exec_lo, exec_lo, s12
	s_and_b32 s17, s2, s8
	s_and_saveexec_b32 s12, s17
	s_cbranch_execz .LBB224_222
.LBB224_235:
	v_cmp_ne_u32_e32 vcc_lo, 1, v48
	s_cbranch_vccnz .LBB224_237
; %bb.236:
	v_lshlrev_b64 v[28:29], 1, v[36:37]
	v_add_co_u32 v28, vcc_lo, v26, v28
	v_add_co_ci_u32_e64 v29, null, v27, v29, vcc_lo
	flat_load_ushort v28, v[28:29]
	s_waitcnt vmcnt(0) lgkmcnt(0)
	v_mul_f16_e32 v28, s24, v28
	v_cvt_f32_f16_e32 v28, v28
	s_branch .LBB224_238
.LBB224_237:
	v_mov_b32_e32 v28, 0
.LBB224_238:
	v_pk_add_f16 v29, v12, v20
	v_pk_add_f16 v30, v13, v21
	v_max_f16_e32 v31, v79, v79
	v_lshrrev_b32_e32 v79, 16, v79
	v_max_f32_e32 v28, v28, v28
	v_lshrrev_b32_e32 v80, 16, v29
	v_lshrrev_b32_e32 v81, 16, v30
	v_min_f16_e32 v29, v31, v29
	v_min3_f16 v31, v79, v80, v81
	v_min3_f16 v29, v29, v30, v31
	v_cvt_f32_f16_e32 v29, v29
	v_min_f32_e32 v30, v28, v29
	v_lshlrev_b64 v[28:29], 1, v[36:37]
	v_cvt_f16_f32_e32 v30, v30
	v_add_co_u32 v28, vcc_lo, v24, v28
	v_add_co_ci_u32_e64 v29, null, v25, v29, vcc_lo
	flat_store_short v[28:29], v30
	s_or_b32 exec_lo, exec_lo, s12
	s_and_b32 s17, s3, s8
	s_and_saveexec_b32 s12, s17
	s_cbranch_execz .LBB224_223
.LBB224_239:
	v_cmp_ne_u32_e32 vcc_lo, 1, v48
	s_cbranch_vccnz .LBB224_241
; %bb.240:
	v_lshlrev_b64 v[28:29], 1, v[38:39]
	v_add_co_u32 v28, vcc_lo, v26, v28
	v_add_co_ci_u32_e64 v29, null, v27, v29, vcc_lo
	flat_load_ushort v28, v[28:29]
	s_waitcnt vmcnt(0) lgkmcnt(0)
	v_mul_f16_e32 v28, s24, v28
	v_cvt_f32_f16_e32 v28, v28
	s_branch .LBB224_242
.LBB224_241:
	v_mov_b32_e32 v28, 0
.LBB224_242:
	v_pk_add_f16 v29, v14, v20
	v_pk_add_f16 v30, v15, v21
	v_max_f16_e32 v31, v78, v78
	v_lshrrev_b32_e32 v78, 16, v78
	v_max_f32_e32 v28, v28, v28
	v_lshrrev_b32_e32 v79, 16, v29
	v_lshrrev_b32_e32 v80, 16, v30
	v_min_f16_e32 v29, v31, v29
	v_min3_f16 v31, v78, v79, v80
	v_min3_f16 v29, v29, v30, v31
	v_cvt_f32_f16_e32 v29, v29
	v_min_f32_e32 v30, v28, v29
	v_lshlrev_b64 v[28:29], 1, v[38:39]
	v_cvt_f16_f32_e32 v30, v30
	v_add_co_u32 v28, vcc_lo, v24, v28
	v_add_co_ci_u32_e64 v29, null, v25, v29, vcc_lo
	flat_store_short v[28:29], v30
	s_or_b32 exec_lo, exec_lo, s12
	s_and_b32 s17, s4, s8
	s_and_saveexec_b32 s12, s17
	s_cbranch_execz .LBB224_224
.LBB224_243:
	v_cmp_ne_u32_e32 vcc_lo, 1, v48
	s_cbranch_vccnz .LBB224_245
; %bb.244:
	v_lshlrev_b64 v[28:29], 1, v[40:41]
	v_add_co_u32 v28, vcc_lo, v26, v28
	v_add_co_ci_u32_e64 v29, null, v27, v29, vcc_lo
	flat_load_ushort v28, v[28:29]
	s_waitcnt vmcnt(0) lgkmcnt(0)
	v_mul_f16_e32 v28, s24, v28
	v_cvt_f32_f16_e32 v28, v28
	s_branch .LBB224_246
.LBB224_245:
	v_mov_b32_e32 v28, 0
.LBB224_246:
	v_pk_add_f16 v29, v8, v20
	v_pk_add_f16 v30, v9, v21
	v_max_f16_e32 v31, v77, v77
	v_lshrrev_b32_e32 v77, 16, v77
	v_max_f32_e32 v28, v28, v28
	v_lshrrev_b32_e32 v78, 16, v29
	v_lshrrev_b32_e32 v79, 16, v30
	v_min_f16_e32 v29, v31, v29
	v_min3_f16 v31, v77, v78, v79
	v_min3_f16 v29, v29, v30, v31
	v_cvt_f32_f16_e32 v29, v29
	v_min_f32_e32 v30, v28, v29
	v_lshlrev_b64 v[28:29], 1, v[40:41]
	v_cvt_f16_f32_e32 v30, v30
	v_add_co_u32 v28, vcc_lo, v24, v28
	v_add_co_ci_u32_e64 v29, null, v25, v29, vcc_lo
	flat_store_short v[28:29], v30
	s_or_b32 exec_lo, exec_lo, s12
	s_and_b32 s17, s5, s8
	s_and_saveexec_b32 s12, s17
	s_cbranch_execz .LBB224_225
.LBB224_247:
	v_cmp_ne_u32_e32 vcc_lo, 1, v48
	s_cbranch_vccnz .LBB224_249
; %bb.248:
	v_lshlrev_b64 v[28:29], 1, v[42:43]
	v_add_co_u32 v28, vcc_lo, v26, v28
	v_add_co_ci_u32_e64 v29, null, v27, v29, vcc_lo
	flat_load_ushort v28, v[28:29]
	s_waitcnt vmcnt(0) lgkmcnt(0)
	v_mul_f16_e32 v28, s24, v28
	v_cvt_f32_f16_e32 v28, v28
	s_branch .LBB224_250
.LBB224_249:
	v_mov_b32_e32 v28, 0
.LBB224_250:
	v_pk_add_f16 v29, v10, v20
	v_pk_add_f16 v30, v11, v21
	v_max_f16_e32 v31, v76, v76
	v_lshrrev_b32_e32 v76, 16, v76
	v_max_f32_e32 v28, v28, v28
	v_lshrrev_b32_e32 v77, 16, v29
	v_lshrrev_b32_e32 v78, 16, v30
	v_min_f16_e32 v29, v31, v29
	v_min3_f16 v31, v76, v77, v78
	v_min3_f16 v29, v29, v30, v31
	v_cvt_f32_f16_e32 v29, v29
	v_min_f32_e32 v30, v28, v29
	v_lshlrev_b64 v[28:29], 1, v[42:43]
	v_cvt_f16_f32_e32 v30, v30
	v_add_co_u32 v28, vcc_lo, v24, v28
	v_add_co_ci_u32_e64 v29, null, v25, v29, vcc_lo
	flat_store_short v[28:29], v30
	s_or_b32 exec_lo, exec_lo, s12
	s_and_b32 s17, s6, s8
	s_and_saveexec_b32 s12, s17
	s_cbranch_execz .LBB224_226
.LBB224_251:
	v_cmp_ne_u32_e32 vcc_lo, 1, v48
	s_cbranch_vccnz .LBB224_253
; %bb.252:
	v_lshlrev_b64 v[28:29], 1, v[44:45]
	v_add_co_u32 v28, vcc_lo, v26, v28
	v_add_co_ci_u32_e64 v29, null, v27, v29, vcc_lo
	flat_load_ushort v28, v[28:29]
	s_waitcnt vmcnt(0) lgkmcnt(0)
	v_mul_f16_e32 v28, s24, v28
	v_cvt_f32_f16_e32 v28, v28
	s_branch .LBB224_254
.LBB224_253:
	v_mov_b32_e32 v28, 0
.LBB224_254:
	v_pk_add_f16 v29, v0, v20
	v_pk_add_f16 v30, v1, v21
	v_max_f16_e32 v31, v75, v75
	v_lshrrev_b32_e32 v75, 16, v75
	v_max_f32_e32 v28, v28, v28
	v_lshrrev_b32_e32 v76, 16, v29
	v_lshrrev_b32_e32 v77, 16, v30
	v_min_f16_e32 v29, v31, v29
	v_min3_f16 v31, v75, v76, v77
	v_min3_f16 v29, v29, v30, v31
	v_cvt_f32_f16_e32 v29, v29
	v_min_f32_e32 v30, v28, v29
	v_lshlrev_b64 v[28:29], 1, v[44:45]
	v_cvt_f16_f32_e32 v30, v30
	v_add_co_u32 v28, vcc_lo, v24, v28
	v_add_co_ci_u32_e64 v29, null, v25, v29, vcc_lo
	flat_store_short v[28:29], v30
	s_or_b32 exec_lo, exec_lo, s12
	s_and_b32 s12, s7, s8
	s_and_saveexec_b32 s8, s12
	s_cbranch_execz .LBB224_259
.LBB224_255:
	v_cmp_ne_u32_e32 vcc_lo, 1, v48
	s_cbranch_vccnz .LBB224_257
; %bb.256:
	v_lshlrev_b64 v[28:29], 1, v[46:47]
	v_add_co_u32 v26, vcc_lo, v26, v28
	v_add_co_ci_u32_e64 v27, null, v27, v29, vcc_lo
	flat_load_ushort v26, v[26:27]
	s_waitcnt vmcnt(0) lgkmcnt(0)
	v_mul_f16_e32 v26, s24, v26
	v_cvt_f32_f16_e32 v26, v26
	s_branch .LBB224_258
.LBB224_257:
	v_mov_b32_e32 v26, 0
.LBB224_258:
	v_pk_add_f16 v20, v2, v20
	v_pk_add_f16 v21, v3, v21
	v_max_f16_e32 v27, v74, v74
	v_lshrrev_b32_e32 v28, 16, v74
	v_lshrrev_b32_e32 v29, 16, v20
	;; [unrolled: 1-line block ×3, first 2 shown]
	v_min_f16_e32 v20, v27, v20
	v_min3_f16 v27, v28, v29, v30
	v_min3_f16 v20, v20, v21, v27
	v_max_f32_e32 v21, v26, v26
	v_cvt_f32_f16_e32 v20, v20
	v_min_f32_e32 v26, v21, v20
	v_lshlrev_b64 v[20:21], 1, v[46:47]
	v_cvt_f16_f32_e32 v26, v26
	v_add_co_u32 v20, vcc_lo, v24, v20
	v_add_co_ci_u32_e64 v21, null, v25, v21, vcc_lo
	flat_store_short v[20:21], v26
.LBB224_259:
	s_or_b32 exec_lo, exec_lo, s8
	v_add_nc_u32_e32 v26, 0xa0, v49
	v_mad_i64_i32 v[20:21], null, v26, s14, 0
	v_mad_i64_i32 v[24:25], null, v26, s9, 0
	v_cmp_gt_i32_e64 s8, s13, v26
	v_lshlrev_b64 v[20:21], 1, v[20:21]
	s_and_b32 s17, s0, s8
	v_lshlrev_b64 v[26:27], 1, v[24:25]
	v_add_co_u32 v24, vcc_lo, s10, v20
	v_add_co_ci_u32_e64 v25, null, s11, v21, vcc_lo
	v_add_co_u32 v20, vcc_lo, s15, v26
	v_add_co_ci_u32_e64 v21, null, s16, v27, vcc_lo
	s_and_saveexec_b32 s12, s17
	s_cbranch_execnz .LBB224_267
; %bb.260:
	s_or_b32 exec_lo, exec_lo, s12
	s_and_b32 s17, s1, s8
	s_and_saveexec_b32 s12, s17
	s_cbranch_execnz .LBB224_271
.LBB224_261:
	s_or_b32 exec_lo, exec_lo, s12
	s_and_b32 s17, s2, s8
	s_and_saveexec_b32 s12, s17
	s_cbranch_execnz .LBB224_275
.LBB224_262:
	s_or_b32 exec_lo, exec_lo, s12
	s_and_b32 s17, s3, s8
	s_and_saveexec_b32 s12, s17
	s_cbranch_execnz .LBB224_279
.LBB224_263:
	s_or_b32 exec_lo, exec_lo, s12
	s_and_b32 s17, s4, s8
	s_and_saveexec_b32 s12, s17
	s_cbranch_execnz .LBB224_283
.LBB224_264:
	s_or_b32 exec_lo, exec_lo, s12
	s_and_b32 s17, s5, s8
	s_and_saveexec_b32 s12, s17
	s_cbranch_execnz .LBB224_287
.LBB224_265:
	s_or_b32 exec_lo, exec_lo, s12
	s_and_b32 s17, s6, s8
	s_and_saveexec_b32 s12, s17
	s_cbranch_execnz .LBB224_291
.LBB224_266:
	s_or_b32 exec_lo, exec_lo, s12
	s_and_b32 s12, s7, s8
	s_and_saveexec_b32 s8, s12
	s_cbranch_execnz .LBB224_295
	s_branch .LBB224_299
.LBB224_267:
	v_cmp_ne_u32_e32 vcc_lo, 1, v48
	s_cbranch_vccnz .LBB224_269
; %bb.268:
	v_lshlrev_b64 v[26:27], 1, v[32:33]
	v_add_co_u32 v26, vcc_lo, v24, v26
	v_add_co_ci_u32_e64 v27, null, v25, v27, vcc_lo
	flat_load_ushort v26, v[26:27]
	s_waitcnt vmcnt(0) lgkmcnt(0)
	v_mul_f16_e32 v26, s24, v26
	v_cvt_f32_f16_e32 v26, v26
	s_branch .LBB224_270
.LBB224_269:
	v_mov_b32_e32 v26, 0
.LBB224_270:
	v_pk_add_f16 v27, v16, v22
	v_pk_add_f16 v28, v17, v23
	v_max_f16_e32 v29, v73, v73
	v_lshrrev_b32_e32 v30, 16, v73
	v_max_f32_e32 v26, v26, v26
	v_lshrrev_b32_e32 v31, 16, v27
	v_lshrrev_b32_e32 v73, 16, v28
	v_min_f16_e32 v27, v29, v27
	v_min3_f16 v29, v30, v31, v73
	v_min3_f16 v27, v27, v28, v29
	v_cvt_f32_f16_e32 v27, v27
	v_min_f32_e32 v28, v26, v27
	v_lshlrev_b64 v[26:27], 1, v[32:33]
	v_cvt_f16_f32_e32 v28, v28
	v_add_co_u32 v26, vcc_lo, v20, v26
	v_add_co_ci_u32_e64 v27, null, v21, v27, vcc_lo
	flat_store_short v[26:27], v28
	s_or_b32 exec_lo, exec_lo, s12
	s_and_b32 s17, s1, s8
	s_and_saveexec_b32 s12, s17
	s_cbranch_execz .LBB224_261
.LBB224_271:
	v_cmp_ne_u32_e32 vcc_lo, 1, v48
	s_cbranch_vccnz .LBB224_273
; %bb.272:
	v_lshlrev_b64 v[26:27], 1, v[34:35]
	v_add_co_u32 v26, vcc_lo, v24, v26
	v_add_co_ci_u32_e64 v27, null, v25, v27, vcc_lo
	flat_load_ushort v26, v[26:27]
	s_waitcnt vmcnt(0) lgkmcnt(0)
	v_mul_f16_e32 v26, s24, v26
	v_cvt_f32_f16_e32 v26, v26
	s_branch .LBB224_274
.LBB224_273:
	v_mov_b32_e32 v26, 0
.LBB224_274:
	v_pk_add_f16 v27, v18, v22
	v_pk_add_f16 v28, v19, v23
	v_max_f16_e32 v29, v72, v72
	v_lshrrev_b32_e32 v30, 16, v72
	v_max_f32_e32 v26, v26, v26
	v_lshrrev_b32_e32 v31, 16, v27
	v_lshrrev_b32_e32 v72, 16, v28
	v_min_f16_e32 v27, v29, v27
	v_min3_f16 v29, v30, v31, v72
	v_min3_f16 v27, v27, v28, v29
	v_cvt_f32_f16_e32 v27, v27
	v_min_f32_e32 v28, v26, v27
	v_lshlrev_b64 v[26:27], 1, v[34:35]
	v_cvt_f16_f32_e32 v28, v28
	v_add_co_u32 v26, vcc_lo, v20, v26
	v_add_co_ci_u32_e64 v27, null, v21, v27, vcc_lo
	flat_store_short v[26:27], v28
	s_or_b32 exec_lo, exec_lo, s12
	s_and_b32 s17, s2, s8
	s_and_saveexec_b32 s12, s17
	s_cbranch_execz .LBB224_262
.LBB224_275:
	v_cmp_ne_u32_e32 vcc_lo, 1, v48
	s_cbranch_vccnz .LBB224_277
; %bb.276:
	v_lshlrev_b64 v[26:27], 1, v[36:37]
	v_add_co_u32 v26, vcc_lo, v24, v26
	v_add_co_ci_u32_e64 v27, null, v25, v27, vcc_lo
	flat_load_ushort v26, v[26:27]
	s_waitcnt vmcnt(0) lgkmcnt(0)
	v_mul_f16_e32 v26, s24, v26
	v_cvt_f32_f16_e32 v26, v26
	s_branch .LBB224_278
.LBB224_277:
	v_mov_b32_e32 v26, 0
.LBB224_278:
	v_pk_add_f16 v27, v12, v22
	v_pk_add_f16 v28, v13, v23
	v_max_f16_e32 v29, v71, v71
	v_lshrrev_b32_e32 v30, 16, v71
	v_max_f32_e32 v26, v26, v26
	v_lshrrev_b32_e32 v31, 16, v27
	v_lshrrev_b32_e32 v71, 16, v28
	v_min_f16_e32 v27, v29, v27
	v_min3_f16 v29, v30, v31, v71
	v_min3_f16 v27, v27, v28, v29
	v_cvt_f32_f16_e32 v27, v27
	v_min_f32_e32 v28, v26, v27
	v_lshlrev_b64 v[26:27], 1, v[36:37]
	v_cvt_f16_f32_e32 v28, v28
	v_add_co_u32 v26, vcc_lo, v20, v26
	v_add_co_ci_u32_e64 v27, null, v21, v27, vcc_lo
	flat_store_short v[26:27], v28
	s_or_b32 exec_lo, exec_lo, s12
	s_and_b32 s17, s3, s8
	s_and_saveexec_b32 s12, s17
	s_cbranch_execz .LBB224_263
.LBB224_279:
	v_cmp_ne_u32_e32 vcc_lo, 1, v48
	s_cbranch_vccnz .LBB224_281
; %bb.280:
	v_lshlrev_b64 v[26:27], 1, v[38:39]
	v_add_co_u32 v26, vcc_lo, v24, v26
	v_add_co_ci_u32_e64 v27, null, v25, v27, vcc_lo
	flat_load_ushort v26, v[26:27]
	s_waitcnt vmcnt(0) lgkmcnt(0)
	v_mul_f16_e32 v26, s24, v26
	v_cvt_f32_f16_e32 v26, v26
	s_branch .LBB224_282
.LBB224_281:
	v_mov_b32_e32 v26, 0
.LBB224_282:
	v_pk_add_f16 v27, v14, v22
	v_pk_add_f16 v28, v15, v23
	v_max_f16_e32 v29, v70, v70
	v_lshrrev_b32_e32 v30, 16, v70
	v_max_f32_e32 v26, v26, v26
	v_lshrrev_b32_e32 v31, 16, v27
	v_lshrrev_b32_e32 v70, 16, v28
	v_min_f16_e32 v27, v29, v27
	v_min3_f16 v29, v30, v31, v70
	v_min3_f16 v27, v27, v28, v29
	v_cvt_f32_f16_e32 v27, v27
	v_min_f32_e32 v28, v26, v27
	v_lshlrev_b64 v[26:27], 1, v[38:39]
	v_cvt_f16_f32_e32 v28, v28
	v_add_co_u32 v26, vcc_lo, v20, v26
	v_add_co_ci_u32_e64 v27, null, v21, v27, vcc_lo
	flat_store_short v[26:27], v28
	s_or_b32 exec_lo, exec_lo, s12
	s_and_b32 s17, s4, s8
	s_and_saveexec_b32 s12, s17
	s_cbranch_execz .LBB224_264
.LBB224_283:
	v_cmp_ne_u32_e32 vcc_lo, 1, v48
	s_cbranch_vccnz .LBB224_285
; %bb.284:
	v_lshlrev_b64 v[26:27], 1, v[40:41]
	v_add_co_u32 v26, vcc_lo, v24, v26
	v_add_co_ci_u32_e64 v27, null, v25, v27, vcc_lo
	flat_load_ushort v26, v[26:27]
	s_waitcnt vmcnt(0) lgkmcnt(0)
	v_mul_f16_e32 v26, s24, v26
	v_cvt_f32_f16_e32 v26, v26
	s_branch .LBB224_286
.LBB224_285:
	v_mov_b32_e32 v26, 0
.LBB224_286:
	v_pk_add_f16 v27, v8, v22
	v_pk_add_f16 v28, v9, v23
	v_max_f16_e32 v29, v69, v69
	v_lshrrev_b32_e32 v30, 16, v69
	v_max_f32_e32 v26, v26, v26
	v_lshrrev_b32_e32 v31, 16, v27
	v_lshrrev_b32_e32 v69, 16, v28
	v_min_f16_e32 v27, v29, v27
	v_min3_f16 v29, v30, v31, v69
	v_min3_f16 v27, v27, v28, v29
	v_cvt_f32_f16_e32 v27, v27
	v_min_f32_e32 v28, v26, v27
	v_lshlrev_b64 v[26:27], 1, v[40:41]
	v_cvt_f16_f32_e32 v28, v28
	v_add_co_u32 v26, vcc_lo, v20, v26
	v_add_co_ci_u32_e64 v27, null, v21, v27, vcc_lo
	flat_store_short v[26:27], v28
	s_or_b32 exec_lo, exec_lo, s12
	s_and_b32 s17, s5, s8
	s_and_saveexec_b32 s12, s17
	s_cbranch_execz .LBB224_265
.LBB224_287:
	v_cmp_ne_u32_e32 vcc_lo, 1, v48
	s_cbranch_vccnz .LBB224_289
; %bb.288:
	v_lshlrev_b64 v[26:27], 1, v[42:43]
	v_add_co_u32 v26, vcc_lo, v24, v26
	v_add_co_ci_u32_e64 v27, null, v25, v27, vcc_lo
	flat_load_ushort v26, v[26:27]
	s_waitcnt vmcnt(0) lgkmcnt(0)
	v_mul_f16_e32 v26, s24, v26
	v_cvt_f32_f16_e32 v26, v26
	s_branch .LBB224_290
.LBB224_289:
	v_mov_b32_e32 v26, 0
.LBB224_290:
	v_pk_add_f16 v27, v10, v22
	v_pk_add_f16 v28, v11, v23
	v_max_f16_e32 v29, v68, v68
	v_lshrrev_b32_e32 v30, 16, v68
	v_max_f32_e32 v26, v26, v26
	v_lshrrev_b32_e32 v31, 16, v27
	v_lshrrev_b32_e32 v68, 16, v28
	v_min_f16_e32 v27, v29, v27
	v_min3_f16 v29, v30, v31, v68
	v_min3_f16 v27, v27, v28, v29
	v_cvt_f32_f16_e32 v27, v27
	v_min_f32_e32 v28, v26, v27
	v_lshlrev_b64 v[26:27], 1, v[42:43]
	v_cvt_f16_f32_e32 v28, v28
	v_add_co_u32 v26, vcc_lo, v20, v26
	v_add_co_ci_u32_e64 v27, null, v21, v27, vcc_lo
	flat_store_short v[26:27], v28
	s_or_b32 exec_lo, exec_lo, s12
	s_and_b32 s17, s6, s8
	s_and_saveexec_b32 s12, s17
	s_cbranch_execz .LBB224_266
.LBB224_291:
	v_cmp_ne_u32_e32 vcc_lo, 1, v48
	s_cbranch_vccnz .LBB224_293
; %bb.292:
	v_lshlrev_b64 v[26:27], 1, v[44:45]
	v_add_co_u32 v26, vcc_lo, v24, v26
	v_add_co_ci_u32_e64 v27, null, v25, v27, vcc_lo
	flat_load_ushort v26, v[26:27]
	s_waitcnt vmcnt(0) lgkmcnt(0)
	v_mul_f16_e32 v26, s24, v26
	v_cvt_f32_f16_e32 v26, v26
	s_branch .LBB224_294
.LBB224_293:
	v_mov_b32_e32 v26, 0
.LBB224_294:
	v_pk_add_f16 v27, v0, v22
	v_pk_add_f16 v28, v1, v23
	v_max_f16_e32 v29, v67, v67
	v_lshrrev_b32_e32 v30, 16, v67
	v_max_f32_e32 v26, v26, v26
	v_lshrrev_b32_e32 v31, 16, v27
	v_lshrrev_b32_e32 v67, 16, v28
	v_min_f16_e32 v27, v29, v27
	v_min3_f16 v29, v30, v31, v67
	v_min3_f16 v27, v27, v28, v29
	v_cvt_f32_f16_e32 v27, v27
	v_min_f32_e32 v28, v26, v27
	v_lshlrev_b64 v[26:27], 1, v[44:45]
	v_cvt_f16_f32_e32 v28, v28
	v_add_co_u32 v26, vcc_lo, v20, v26
	v_add_co_ci_u32_e64 v27, null, v21, v27, vcc_lo
	flat_store_short v[26:27], v28
	s_or_b32 exec_lo, exec_lo, s12
	s_and_b32 s12, s7, s8
	s_and_saveexec_b32 s8, s12
	s_cbranch_execz .LBB224_299
.LBB224_295:
	v_cmp_ne_u32_e32 vcc_lo, 1, v48
	s_cbranch_vccnz .LBB224_297
; %bb.296:
	v_lshlrev_b64 v[26:27], 1, v[46:47]
	v_add_co_u32 v24, vcc_lo, v24, v26
	v_add_co_ci_u32_e64 v25, null, v25, v27, vcc_lo
	flat_load_ushort v24, v[24:25]
	s_waitcnt vmcnt(0) lgkmcnt(0)
	v_mul_f16_e32 v24, s24, v24
	v_cvt_f32_f16_e32 v24, v24
	s_branch .LBB224_298
.LBB224_297:
	v_mov_b32_e32 v24, 0
.LBB224_298:
	v_pk_add_f16 v22, v2, v22
	v_pk_add_f16 v23, v3, v23
	v_max_f16_e32 v25, v66, v66
	v_lshrrev_b32_e32 v26, 16, v66
	v_lshrrev_b32_e32 v27, 16, v22
	;; [unrolled: 1-line block ×3, first 2 shown]
	v_min_f16_e32 v22, v25, v22
	v_min3_f16 v25, v26, v27, v28
	v_min3_f16 v22, v22, v23, v25
	v_max_f32_e32 v23, v24, v24
	v_cvt_f32_f16_e32 v22, v22
	v_min_f32_e32 v24, v23, v22
	v_lshlrev_b64 v[22:23], 1, v[46:47]
	v_cvt_f16_f32_e32 v24, v24
	v_add_co_u32 v20, vcc_lo, v20, v22
	v_add_co_ci_u32_e64 v21, null, v21, v23, vcc_lo
	flat_store_short v[20:21], v24
.LBB224_299:
	s_or_b32 exec_lo, exec_lo, s8
	v_add_nc_u32_e32 v24, 0xc0, v49
	v_mad_i64_i32 v[20:21], null, v24, s14, 0
	v_mad_i64_i32 v[22:23], null, v24, s9, 0
	v_cmp_gt_i32_e64 s8, s13, v24
	v_lshlrev_b64 v[20:21], 1, v[20:21]
	s_and_b32 s17, s0, s8
	v_lshlrev_b64 v[24:25], 1, v[22:23]
	v_add_co_u32 v22, vcc_lo, s10, v20
	v_add_co_ci_u32_e64 v23, null, s11, v21, vcc_lo
	v_add_co_u32 v20, vcc_lo, s15, v24
	v_add_co_ci_u32_e64 v21, null, s16, v25, vcc_lo
	s_and_saveexec_b32 s12, s17
	s_cbranch_execnz .LBB224_307
; %bb.300:
	s_or_b32 exec_lo, exec_lo, s12
	s_and_b32 s17, s1, s8
	s_and_saveexec_b32 s12, s17
	s_cbranch_execnz .LBB224_311
.LBB224_301:
	s_or_b32 exec_lo, exec_lo, s12
	s_and_b32 s17, s2, s8
	s_and_saveexec_b32 s12, s17
	s_cbranch_execnz .LBB224_315
.LBB224_302:
	s_or_b32 exec_lo, exec_lo, s12
	s_and_b32 s17, s3, s8
	s_and_saveexec_b32 s12, s17
	s_cbranch_execnz .LBB224_319
.LBB224_303:
	s_or_b32 exec_lo, exec_lo, s12
	s_and_b32 s17, s4, s8
	s_and_saveexec_b32 s12, s17
	s_cbranch_execnz .LBB224_323
.LBB224_304:
	s_or_b32 exec_lo, exec_lo, s12
	s_and_b32 s17, s5, s8
	s_and_saveexec_b32 s12, s17
	s_cbranch_execnz .LBB224_327
.LBB224_305:
	s_or_b32 exec_lo, exec_lo, s12
	s_and_b32 s17, s6, s8
	s_and_saveexec_b32 s12, s17
	s_cbranch_execnz .LBB224_331
.LBB224_306:
	s_or_b32 exec_lo, exec_lo, s12
	s_and_b32 s12, s7, s8
	s_and_saveexec_b32 s8, s12
	s_cbranch_execnz .LBB224_335
	s_branch .LBB224_339
.LBB224_307:
	v_cmp_ne_u32_e32 vcc_lo, 1, v48
	s_cbranch_vccnz .LBB224_309
; %bb.308:
	v_lshlrev_b64 v[24:25], 1, v[32:33]
	v_add_co_u32 v24, vcc_lo, v22, v24
	v_add_co_ci_u32_e64 v25, null, v23, v25, vcc_lo
	flat_load_ushort v24, v[24:25]
	s_waitcnt vmcnt(0) lgkmcnt(0)
	v_mul_f16_e32 v24, s24, v24
	v_cvt_f32_f16_e32 v24, v24
	s_branch .LBB224_310
.LBB224_309:
	v_mov_b32_e32 v24, 0
.LBB224_310:
	v_pk_add_f16 v25, v16, v4
	v_pk_add_f16 v26, v17, v5
	v_max_f16_e32 v27, v65, v65
	v_lshrrev_b32_e32 v28, 16, v65
	v_max_f32_e32 v24, v24, v24
	v_lshrrev_b32_e32 v29, 16, v25
	v_lshrrev_b32_e32 v30, 16, v26
	v_min_f16_e32 v25, v27, v25
	v_min3_f16 v27, v28, v29, v30
	v_min3_f16 v25, v25, v26, v27
	v_cvt_f32_f16_e32 v25, v25
	v_min_f32_e32 v26, v24, v25
	v_lshlrev_b64 v[24:25], 1, v[32:33]
	v_cvt_f16_f32_e32 v26, v26
	v_add_co_u32 v24, vcc_lo, v20, v24
	v_add_co_ci_u32_e64 v25, null, v21, v25, vcc_lo
	flat_store_short v[24:25], v26
	s_or_b32 exec_lo, exec_lo, s12
	s_and_b32 s17, s1, s8
	s_and_saveexec_b32 s12, s17
	s_cbranch_execz .LBB224_301
.LBB224_311:
	v_cmp_ne_u32_e32 vcc_lo, 1, v48
	s_cbranch_vccnz .LBB224_313
; %bb.312:
	v_lshlrev_b64 v[24:25], 1, v[34:35]
	v_add_co_u32 v24, vcc_lo, v22, v24
	v_add_co_ci_u32_e64 v25, null, v23, v25, vcc_lo
	flat_load_ushort v24, v[24:25]
	s_waitcnt vmcnt(0) lgkmcnt(0)
	v_mul_f16_e32 v24, s24, v24
	v_cvt_f32_f16_e32 v24, v24
	s_branch .LBB224_314
.LBB224_313:
	v_mov_b32_e32 v24, 0
.LBB224_314:
	v_pk_add_f16 v25, v18, v4
	v_pk_add_f16 v26, v19, v5
	v_max_f16_e32 v27, v64, v64
	v_lshrrev_b32_e32 v28, 16, v64
	v_max_f32_e32 v24, v24, v24
	v_lshrrev_b32_e32 v29, 16, v25
	v_lshrrev_b32_e32 v30, 16, v26
	v_min_f16_e32 v25, v27, v25
	v_min3_f16 v27, v28, v29, v30
	v_min3_f16 v25, v25, v26, v27
	v_cvt_f32_f16_e32 v25, v25
	v_min_f32_e32 v26, v24, v25
	v_lshlrev_b64 v[24:25], 1, v[34:35]
	v_cvt_f16_f32_e32 v26, v26
	v_add_co_u32 v24, vcc_lo, v20, v24
	v_add_co_ci_u32_e64 v25, null, v21, v25, vcc_lo
	flat_store_short v[24:25], v26
	s_or_b32 exec_lo, exec_lo, s12
	s_and_b32 s17, s2, s8
	s_and_saveexec_b32 s12, s17
	s_cbranch_execz .LBB224_302
.LBB224_315:
	v_cmp_ne_u32_e32 vcc_lo, 1, v48
	s_cbranch_vccnz .LBB224_317
; %bb.316:
	v_lshlrev_b64 v[24:25], 1, v[36:37]
	v_add_co_u32 v24, vcc_lo, v22, v24
	v_add_co_ci_u32_e64 v25, null, v23, v25, vcc_lo
	flat_load_ushort v24, v[24:25]
	s_waitcnt vmcnt(0) lgkmcnt(0)
	v_mul_f16_e32 v24, s24, v24
	v_cvt_f32_f16_e32 v24, v24
	s_branch .LBB224_318
.LBB224_317:
	v_mov_b32_e32 v24, 0
.LBB224_318:
	v_pk_add_f16 v25, v12, v4
	v_pk_add_f16 v26, v13, v5
	v_max_f16_e32 v27, v63, v63
	v_lshrrev_b32_e32 v28, 16, v63
	v_max_f32_e32 v24, v24, v24
	v_lshrrev_b32_e32 v29, 16, v25
	v_lshrrev_b32_e32 v30, 16, v26
	v_min_f16_e32 v25, v27, v25
	v_min3_f16 v27, v28, v29, v30
	v_min3_f16 v25, v25, v26, v27
	v_cvt_f32_f16_e32 v25, v25
	v_min_f32_e32 v26, v24, v25
	v_lshlrev_b64 v[24:25], 1, v[36:37]
	v_cvt_f16_f32_e32 v26, v26
	v_add_co_u32 v24, vcc_lo, v20, v24
	v_add_co_ci_u32_e64 v25, null, v21, v25, vcc_lo
	flat_store_short v[24:25], v26
	s_or_b32 exec_lo, exec_lo, s12
	s_and_b32 s17, s3, s8
	s_and_saveexec_b32 s12, s17
	s_cbranch_execz .LBB224_303
.LBB224_319:
	v_cmp_ne_u32_e32 vcc_lo, 1, v48
	s_cbranch_vccnz .LBB224_321
; %bb.320:
	v_lshlrev_b64 v[24:25], 1, v[38:39]
	v_add_co_u32 v24, vcc_lo, v22, v24
	v_add_co_ci_u32_e64 v25, null, v23, v25, vcc_lo
	flat_load_ushort v24, v[24:25]
	s_waitcnt vmcnt(0) lgkmcnt(0)
	v_mul_f16_e32 v24, s24, v24
	v_cvt_f32_f16_e32 v24, v24
	s_branch .LBB224_322
.LBB224_321:
	v_mov_b32_e32 v24, 0
.LBB224_322:
	v_pk_add_f16 v25, v14, v4
	v_pk_add_f16 v26, v15, v5
	v_max_f16_e32 v27, v62, v62
	v_lshrrev_b32_e32 v28, 16, v62
	v_max_f32_e32 v24, v24, v24
	v_lshrrev_b32_e32 v29, 16, v25
	v_lshrrev_b32_e32 v30, 16, v26
	v_min_f16_e32 v25, v27, v25
	v_min3_f16 v27, v28, v29, v30
	v_min3_f16 v25, v25, v26, v27
	v_cvt_f32_f16_e32 v25, v25
	v_min_f32_e32 v26, v24, v25
	v_lshlrev_b64 v[24:25], 1, v[38:39]
	v_cvt_f16_f32_e32 v26, v26
	v_add_co_u32 v24, vcc_lo, v20, v24
	v_add_co_ci_u32_e64 v25, null, v21, v25, vcc_lo
	flat_store_short v[24:25], v26
	s_or_b32 exec_lo, exec_lo, s12
	s_and_b32 s17, s4, s8
	s_and_saveexec_b32 s12, s17
	s_cbranch_execz .LBB224_304
.LBB224_323:
	v_cmp_ne_u32_e32 vcc_lo, 1, v48
	s_cbranch_vccnz .LBB224_325
; %bb.324:
	v_lshlrev_b64 v[24:25], 1, v[40:41]
	v_add_co_u32 v24, vcc_lo, v22, v24
	v_add_co_ci_u32_e64 v25, null, v23, v25, vcc_lo
	flat_load_ushort v24, v[24:25]
	s_waitcnt vmcnt(0) lgkmcnt(0)
	v_mul_f16_e32 v24, s24, v24
	v_cvt_f32_f16_e32 v24, v24
	s_branch .LBB224_326
.LBB224_325:
	v_mov_b32_e32 v24, 0
.LBB224_326:
	v_pk_add_f16 v25, v8, v4
	v_pk_add_f16 v26, v9, v5
	v_max_f16_e32 v27, v61, v61
	v_lshrrev_b32_e32 v28, 16, v61
	v_max_f32_e32 v24, v24, v24
	v_lshrrev_b32_e32 v29, 16, v25
	v_lshrrev_b32_e32 v30, 16, v26
	v_min_f16_e32 v25, v27, v25
	v_min3_f16 v27, v28, v29, v30
	v_min3_f16 v25, v25, v26, v27
	v_cvt_f32_f16_e32 v25, v25
	v_min_f32_e32 v26, v24, v25
	v_lshlrev_b64 v[24:25], 1, v[40:41]
	v_cvt_f16_f32_e32 v26, v26
	v_add_co_u32 v24, vcc_lo, v20, v24
	v_add_co_ci_u32_e64 v25, null, v21, v25, vcc_lo
	flat_store_short v[24:25], v26
	s_or_b32 exec_lo, exec_lo, s12
	s_and_b32 s17, s5, s8
	s_and_saveexec_b32 s12, s17
	s_cbranch_execz .LBB224_305
.LBB224_327:
	v_cmp_ne_u32_e32 vcc_lo, 1, v48
	s_cbranch_vccnz .LBB224_329
; %bb.328:
	v_lshlrev_b64 v[24:25], 1, v[42:43]
	v_add_co_u32 v24, vcc_lo, v22, v24
	v_add_co_ci_u32_e64 v25, null, v23, v25, vcc_lo
	flat_load_ushort v24, v[24:25]
	s_waitcnt vmcnt(0) lgkmcnt(0)
	v_mul_f16_e32 v24, s24, v24
	v_cvt_f32_f16_e32 v24, v24
	s_branch .LBB224_330
.LBB224_329:
	v_mov_b32_e32 v24, 0
.LBB224_330:
	v_pk_add_f16 v25, v10, v4
	v_pk_add_f16 v26, v11, v5
	v_max_f16_e32 v27, v60, v60
	v_lshrrev_b32_e32 v28, 16, v60
	v_max_f32_e32 v24, v24, v24
	v_lshrrev_b32_e32 v29, 16, v25
	v_lshrrev_b32_e32 v30, 16, v26
	v_min_f16_e32 v25, v27, v25
	v_min3_f16 v27, v28, v29, v30
	v_min3_f16 v25, v25, v26, v27
	v_cvt_f32_f16_e32 v25, v25
	v_min_f32_e32 v26, v24, v25
	v_lshlrev_b64 v[24:25], 1, v[42:43]
	v_cvt_f16_f32_e32 v26, v26
	v_add_co_u32 v24, vcc_lo, v20, v24
	v_add_co_ci_u32_e64 v25, null, v21, v25, vcc_lo
	flat_store_short v[24:25], v26
	s_or_b32 exec_lo, exec_lo, s12
	s_and_b32 s17, s6, s8
	s_and_saveexec_b32 s12, s17
	s_cbranch_execz .LBB224_306
.LBB224_331:
	v_cmp_ne_u32_e32 vcc_lo, 1, v48
	s_cbranch_vccnz .LBB224_333
; %bb.332:
	v_lshlrev_b64 v[24:25], 1, v[44:45]
	v_add_co_u32 v24, vcc_lo, v22, v24
	v_add_co_ci_u32_e64 v25, null, v23, v25, vcc_lo
	flat_load_ushort v24, v[24:25]
	s_waitcnt vmcnt(0) lgkmcnt(0)
	v_mul_f16_e32 v24, s24, v24
	v_cvt_f32_f16_e32 v24, v24
	s_branch .LBB224_334
.LBB224_333:
	v_mov_b32_e32 v24, 0
.LBB224_334:
	v_pk_add_f16 v25, v0, v4
	v_pk_add_f16 v26, v1, v5
	v_max_f16_e32 v27, v59, v59
	v_lshrrev_b32_e32 v28, 16, v59
	v_max_f32_e32 v24, v24, v24
	v_lshrrev_b32_e32 v29, 16, v25
	v_lshrrev_b32_e32 v30, 16, v26
	v_min_f16_e32 v25, v27, v25
	v_min3_f16 v27, v28, v29, v30
	v_min3_f16 v25, v25, v26, v27
	v_cvt_f32_f16_e32 v25, v25
	v_min_f32_e32 v26, v24, v25
	v_lshlrev_b64 v[24:25], 1, v[44:45]
	v_cvt_f16_f32_e32 v26, v26
	v_add_co_u32 v24, vcc_lo, v20, v24
	v_add_co_ci_u32_e64 v25, null, v21, v25, vcc_lo
	flat_store_short v[24:25], v26
	s_or_b32 exec_lo, exec_lo, s12
	s_and_b32 s12, s7, s8
	s_and_saveexec_b32 s8, s12
	s_cbranch_execz .LBB224_339
.LBB224_335:
	v_cmp_ne_u32_e32 vcc_lo, 1, v48
	s_cbranch_vccnz .LBB224_337
; %bb.336:
	v_lshlrev_b64 v[24:25], 1, v[46:47]
	v_add_co_u32 v22, vcc_lo, v22, v24
	v_add_co_ci_u32_e64 v23, null, v23, v25, vcc_lo
	flat_load_ushort v22, v[22:23]
	s_waitcnt vmcnt(0) lgkmcnt(0)
	v_mul_f16_e32 v22, s24, v22
	v_cvt_f32_f16_e32 v22, v22
	s_branch .LBB224_338
.LBB224_337:
	v_mov_b32_e32 v22, 0
.LBB224_338:
	v_pk_add_f16 v4, v2, v4
	v_pk_add_f16 v5, v3, v5
	v_max_f16_e32 v23, v58, v58
	v_lshrrev_b32_e32 v24, 16, v58
	v_lshrrev_b32_e32 v25, 16, v4
	;; [unrolled: 1-line block ×3, first 2 shown]
	v_min_f16_e32 v4, v23, v4
	v_min3_f16 v23, v24, v25, v26
	v_min3_f16 v4, v4, v5, v23
	v_max_f32_e32 v5, v22, v22
	v_cvt_f32_f16_e32 v4, v4
	v_min_f32_e32 v22, v5, v4
	v_lshlrev_b64 v[4:5], 1, v[46:47]
	v_cvt_f16_f32_e32 v22, v22
	v_add_co_u32 v4, vcc_lo, v20, v4
	v_add_co_ci_u32_e64 v5, null, v21, v5, vcc_lo
	flat_store_short v[4:5], v22
.LBB224_339:
	s_or_b32 exec_lo, exec_lo, s8
	v_add_nc_u32_e32 v22, 0xe0, v49
	v_mad_i64_i32 v[4:5], null, v22, s14, 0
	v_mad_i64_i32 v[20:21], null, v22, s9, 0
	v_cmp_gt_i32_e64 s8, s13, v22
	v_lshlrev_b64 v[4:5], 1, v[4:5]
	s_and_b32 s9, s0, s8
	v_lshlrev_b64 v[20:21], 1, v[20:21]
	v_add_co_u32 v22, vcc_lo, s10, v4
	v_add_co_ci_u32_e64 v23, null, s11, v5, vcc_lo
	v_add_co_u32 v20, vcc_lo, s15, v20
	v_add_co_ci_u32_e64 v21, null, s16, v21, vcc_lo
	s_and_saveexec_b32 s0, s9
	s_cbranch_execnz .LBB224_348
; %bb.340:
	s_or_b32 exec_lo, exec_lo, s0
	s_and_b32 s1, s1, s8
	s_and_saveexec_b32 s0, s1
	s_cbranch_execnz .LBB224_352
.LBB224_341:
	s_or_b32 exec_lo, exec_lo, s0
	s_and_b32 s1, s2, s8
	s_and_saveexec_b32 s0, s1
	s_cbranch_execnz .LBB224_356
.LBB224_342:
	s_or_b32 exec_lo, exec_lo, s0
	s_and_b32 s1, s3, s8
	s_and_saveexec_b32 s0, s1
	s_cbranch_execnz .LBB224_360
.LBB224_343:
	s_or_b32 exec_lo, exec_lo, s0
	s_and_b32 s1, s4, s8
	s_and_saveexec_b32 s0, s1
	s_cbranch_execnz .LBB224_364
.LBB224_344:
	s_or_b32 exec_lo, exec_lo, s0
	s_and_b32 s1, s5, s8
	s_and_saveexec_b32 s0, s1
	s_cbranch_execnz .LBB224_368
.LBB224_345:
	s_or_b32 exec_lo, exec_lo, s0
	s_and_b32 s1, s6, s8
	s_and_saveexec_b32 s0, s1
	s_cbranch_execnz .LBB224_372
.LBB224_346:
	s_or_b32 exec_lo, exec_lo, s0
	s_and_b32 s0, s7, s8
	s_and_saveexec_b32 s1, s0
	s_cbranch_execnz .LBB224_376
.LBB224_347:
	s_endpgm
.LBB224_348:
	v_cmp_ne_u32_e32 vcc_lo, 1, v48
	v_lshlrev_b64 v[4:5], 1, v[32:33]
	s_cbranch_vccnz .LBB224_350
; %bb.349:
	v_add_co_u32 v24, vcc_lo, v22, v4
	v_add_co_ci_u32_e64 v25, null, v23, v5, vcc_lo
	flat_load_ushort v24, v[24:25]
	s_waitcnt vmcnt(0) lgkmcnt(0)
	v_mul_f16_e32 v24, s24, v24
	v_cvt_f32_f16_e32 v24, v24
	s_branch .LBB224_351
.LBB224_350:
	v_mov_b32_e32 v24, 0
.LBB224_351:
	v_pk_add_f16 v16, v16, v6
	v_pk_add_f16 v17, v17, v7
	v_max_f16_e32 v25, v57, v57
	v_lshrrev_b32_e32 v26, 16, v57
	v_add_co_u32 v4, vcc_lo, v20, v4
	v_lshrrev_b32_e32 v27, 16, v16
	v_lshrrev_b32_e32 v28, 16, v17
	v_min_f16_e32 v16, v25, v16
	v_add_co_ci_u32_e64 v5, null, v21, v5, vcc_lo
	v_min3_f16 v25, v26, v27, v28
	v_min3_f16 v16, v16, v17, v25
	v_max_f32_e32 v17, v24, v24
	v_cvt_f32_f16_e32 v16, v16
	v_min_f32_e32 v16, v17, v16
	v_cvt_f16_f32_e32 v16, v16
	flat_store_short v[4:5], v16
	s_or_b32 exec_lo, exec_lo, s0
	s_and_b32 s1, s1, s8
	s_and_saveexec_b32 s0, s1
	s_cbranch_execz .LBB224_341
.LBB224_352:
	v_cmp_ne_u32_e32 vcc_lo, 1, v48
	v_lshlrev_b64 v[4:5], 1, v[34:35]
	s_cbranch_vccnz .LBB224_354
; %bb.353:
	v_add_co_u32 v16, vcc_lo, v22, v4
	v_add_co_ci_u32_e64 v17, null, v23, v5, vcc_lo
	flat_load_ushort v16, v[16:17]
	s_waitcnt vmcnt(0) lgkmcnt(0)
	v_mul_f16_e32 v16, s24, v16
	v_cvt_f32_f16_e32 v16, v16
	s_branch .LBB224_355
.LBB224_354:
	v_mov_b32_e32 v16, 0
.LBB224_355:
	v_pk_add_f16 v17, v18, v6
	v_pk_add_f16 v18, v19, v7
	v_max_f16_e32 v19, v56, v56
	v_lshrrev_b32_e32 v24, 16, v56
	v_max_f32_e32 v16, v16, v16
	v_lshrrev_b32_e32 v25, 16, v17
	v_lshrrev_b32_e32 v26, 16, v18
	v_min_f16_e32 v17, v19, v17
	v_add_co_u32 v4, vcc_lo, v20, v4
	v_add_co_ci_u32_e64 v5, null, v21, v5, vcc_lo
	v_min3_f16 v19, v24, v25, v26
	v_min3_f16 v17, v17, v18, v19
	v_cvt_f32_f16_e32 v17, v17
	v_min_f32_e32 v16, v16, v17
	v_cvt_f16_f32_e32 v16, v16
	flat_store_short v[4:5], v16
	s_or_b32 exec_lo, exec_lo, s0
	s_and_b32 s1, s2, s8
	s_and_saveexec_b32 s0, s1
	s_cbranch_execz .LBB224_342
.LBB224_356:
	v_cmp_ne_u32_e32 vcc_lo, 1, v48
	v_lshlrev_b64 v[4:5], 1, v[36:37]
	s_cbranch_vccnz .LBB224_358
; %bb.357:
	v_add_co_u32 v16, vcc_lo, v22, v4
	v_add_co_ci_u32_e64 v17, null, v23, v5, vcc_lo
	flat_load_ushort v16, v[16:17]
	s_waitcnt vmcnt(0) lgkmcnt(0)
	v_mul_f16_e32 v16, s24, v16
	v_cvt_f32_f16_e32 v16, v16
	s_branch .LBB224_359
.LBB224_358:
	v_mov_b32_e32 v16, 0
.LBB224_359:
	v_pk_add_f16 v12, v12, v6
	v_pk_add_f16 v13, v13, v7
	v_max_f16_e32 v17, v55, v55
	v_lshrrev_b32_e32 v18, 16, v55
	v_add_co_u32 v4, vcc_lo, v20, v4
	v_lshrrev_b32_e32 v19, 16, v12
	v_lshrrev_b32_e32 v24, 16, v13
	v_min_f16_e32 v12, v17, v12
	v_add_co_ci_u32_e64 v5, null, v21, v5, vcc_lo
	v_min3_f16 v17, v18, v19, v24
	v_min3_f16 v12, v12, v13, v17
	v_max_f32_e32 v13, v16, v16
	v_cvt_f32_f16_e32 v12, v12
	v_min_f32_e32 v12, v13, v12
	v_cvt_f16_f32_e32 v12, v12
	flat_store_short v[4:5], v12
	s_or_b32 exec_lo, exec_lo, s0
	s_and_b32 s1, s3, s8
	s_and_saveexec_b32 s0, s1
	s_cbranch_execz .LBB224_343
.LBB224_360:
	v_cmp_ne_u32_e32 vcc_lo, 1, v48
	v_lshlrev_b64 v[4:5], 1, v[38:39]
	s_cbranch_vccnz .LBB224_362
; %bb.361:
	v_add_co_u32 v12, vcc_lo, v22, v4
	v_add_co_ci_u32_e64 v13, null, v23, v5, vcc_lo
	flat_load_ushort v12, v[12:13]
	s_waitcnt vmcnt(0) lgkmcnt(0)
	v_mul_f16_e32 v12, s24, v12
	v_cvt_f32_f16_e32 v12, v12
	s_branch .LBB224_363
.LBB224_362:
	v_mov_b32_e32 v12, 0
.LBB224_363:
	v_pk_add_f16 v13, v14, v6
	v_pk_add_f16 v14, v15, v7
	v_max_f16_e32 v15, v54, v54
	v_lshrrev_b32_e32 v16, 16, v54
	v_max_f32_e32 v12, v12, v12
	v_lshrrev_b32_e32 v17, 16, v13
	v_lshrrev_b32_e32 v18, 16, v14
	v_min_f16_e32 v13, v15, v13
	v_add_co_u32 v4, vcc_lo, v20, v4
	v_add_co_ci_u32_e64 v5, null, v21, v5, vcc_lo
	v_min3_f16 v15, v16, v17, v18
	v_min3_f16 v13, v13, v14, v15
	v_cvt_f32_f16_e32 v13, v13
	v_min_f32_e32 v12, v12, v13
	v_cvt_f16_f32_e32 v12, v12
	flat_store_short v[4:5], v12
	s_or_b32 exec_lo, exec_lo, s0
	s_and_b32 s1, s4, s8
	s_and_saveexec_b32 s0, s1
	s_cbranch_execz .LBB224_344
.LBB224_364:
	v_cmp_ne_u32_e32 vcc_lo, 1, v48
	v_lshlrev_b64 v[4:5], 1, v[40:41]
	s_cbranch_vccnz .LBB224_366
; %bb.365:
	v_add_co_u32 v12, vcc_lo, v22, v4
	v_add_co_ci_u32_e64 v13, null, v23, v5, vcc_lo
	flat_load_ushort v12, v[12:13]
	s_waitcnt vmcnt(0) lgkmcnt(0)
	v_mul_f16_e32 v12, s24, v12
	v_cvt_f32_f16_e32 v12, v12
	s_branch .LBB224_367
.LBB224_366:
	v_mov_b32_e32 v12, 0
.LBB224_367:
	v_pk_add_f16 v8, v8, v6
	v_pk_add_f16 v9, v9, v7
	v_max_f16_e32 v13, v53, v53
	v_lshrrev_b32_e32 v14, 16, v53
	v_add_co_u32 v4, vcc_lo, v20, v4
	v_lshrrev_b32_e32 v15, 16, v8
	v_lshrrev_b32_e32 v16, 16, v9
	v_min_f16_e32 v8, v13, v8
	v_add_co_ci_u32_e64 v5, null, v21, v5, vcc_lo
	v_min3_f16 v13, v14, v15, v16
	v_min3_f16 v8, v8, v9, v13
	v_max_f32_e32 v9, v12, v12
	v_cvt_f32_f16_e32 v8, v8
	v_min_f32_e32 v8, v9, v8
	v_cvt_f16_f32_e32 v8, v8
	flat_store_short v[4:5], v8
	s_or_b32 exec_lo, exec_lo, s0
	s_and_b32 s1, s5, s8
	s_and_saveexec_b32 s0, s1
	s_cbranch_execz .LBB224_345
.LBB224_368:
	v_cmp_ne_u32_e32 vcc_lo, 1, v48
	v_lshlrev_b64 v[4:5], 1, v[42:43]
	s_cbranch_vccnz .LBB224_370
; %bb.369:
	v_add_co_u32 v8, vcc_lo, v22, v4
	v_add_co_ci_u32_e64 v9, null, v23, v5, vcc_lo
	flat_load_ushort v8, v[8:9]
	s_waitcnt vmcnt(0) lgkmcnt(0)
	v_mul_f16_e32 v8, s24, v8
	v_cvt_f32_f16_e32 v8, v8
	s_branch .LBB224_371
.LBB224_370:
	v_mov_b32_e32 v8, 0
.LBB224_371:
	v_pk_add_f16 v9, v10, v6
	v_pk_add_f16 v10, v11, v7
	v_max_f16_e32 v11, v52, v52
	v_lshrrev_b32_e32 v12, 16, v52
	v_max_f32_e32 v8, v8, v8
	v_lshrrev_b32_e32 v13, 16, v9
	v_lshrrev_b32_e32 v14, 16, v10
	v_min_f16_e32 v9, v11, v9
	v_add_co_u32 v4, vcc_lo, v20, v4
	v_add_co_ci_u32_e64 v5, null, v21, v5, vcc_lo
	v_min3_f16 v11, v12, v13, v14
	v_min3_f16 v9, v9, v10, v11
	v_cvt_f32_f16_e32 v9, v9
	v_min_f32_e32 v8, v8, v9
	v_cvt_f16_f32_e32 v8, v8
	flat_store_short v[4:5], v8
	s_or_b32 exec_lo, exec_lo, s0
	s_and_b32 s1, s6, s8
	s_and_saveexec_b32 s0, s1
	s_cbranch_execz .LBB224_346
.LBB224_372:
	v_cmp_ne_u32_e32 vcc_lo, 1, v48
	v_lshlrev_b64 v[4:5], 1, v[44:45]
	s_cbranch_vccnz .LBB224_374
; %bb.373:
	v_add_co_u32 v8, vcc_lo, v22, v4
	v_add_co_ci_u32_e64 v9, null, v23, v5, vcc_lo
	flat_load_ushort v8, v[8:9]
	s_waitcnt vmcnt(0) lgkmcnt(0)
	v_mul_f16_e32 v8, s24, v8
	v_cvt_f32_f16_e32 v8, v8
	s_branch .LBB224_375
.LBB224_374:
	v_mov_b32_e32 v8, 0
.LBB224_375:
	v_pk_add_f16 v0, v0, v6
	v_pk_add_f16 v1, v1, v7
	v_max_f16_e32 v9, v51, v51
	v_lshrrev_b32_e32 v10, 16, v51
	v_lshrrev_b32_e32 v11, 16, v0
	;; [unrolled: 1-line block ×3, first 2 shown]
	v_min_f16_e32 v0, v9, v0
	v_min3_f16 v9, v10, v11, v12
	v_min3_f16 v0, v0, v1, v9
	v_max_f32_e32 v1, v8, v8
	v_cvt_f32_f16_e32 v0, v0
	v_min_f32_e32 v0, v1, v0
	v_cvt_f16_f32_e32 v8, v0
	v_add_co_u32 v0, vcc_lo, v20, v4
	v_add_co_ci_u32_e64 v1, null, v21, v5, vcc_lo
	flat_store_short v[0:1], v8
	s_or_b32 exec_lo, exec_lo, s0
	s_and_b32 s0, s7, s8
	s_and_saveexec_b32 s1, s0
	s_cbranch_execz .LBB224_347
.LBB224_376:
	v_cmp_ne_u32_e32 vcc_lo, 1, v48
	v_lshlrev_b64 v[0:1], 1, v[46:47]
	s_cbranch_vccnz .LBB224_378
; %bb.377:
	v_add_co_u32 v4, vcc_lo, v22, v0
	v_add_co_ci_u32_e64 v5, null, v23, v1, vcc_lo
	flat_load_ushort v4, v[4:5]
	s_waitcnt vmcnt(0) lgkmcnt(0)
	v_mul_f16_e32 v4, s24, v4
	v_cvt_f32_f16_e32 v4, v4
	s_branch .LBB224_379
.LBB224_378:
	v_mov_b32_e32 v4, 0
.LBB224_379:
	v_pk_add_f16 v2, v2, v6
	v_pk_add_f16 v3, v3, v7
	v_max_f16_e32 v5, v50, v50
	v_lshrrev_b32_e32 v6, 16, v50
	v_add_co_u32 v0, vcc_lo, v20, v0
	v_lshrrev_b32_e32 v7, 16, v2
	v_lshrrev_b32_e32 v8, 16, v3
	v_min_f16_e32 v2, v5, v2
	v_add_co_ci_u32_e64 v1, null, v21, v1, vcc_lo
	v_min3_f16 v5, v6, v7, v8
	v_min3_f16 v2, v2, v3, v5
	v_max_f32_e32 v3, v4, v4
	v_cvt_f32_f16_e32 v2, v2
	v_min_f32_e32 v2, v3, v2
	v_cvt_f16_f32_e32 v2, v2
	flat_store_short v[0:1], v2
	s_endpgm
	.section	.rodata,"a",@progbits
	.p2align	6, 0x0
	.amdhsa_kernel _ZN12_GLOBAL__N_120geam_min_plus_kernelIDF16_Dv2_DF16_S1_Li8ELi32ELi64ELi256ELi4ELi64ELi4ELi64ELi4ELc78ELc84ELb0ELb1ELb1EDF16_KPKDF16_KPDF16_EEviiiT16_PT17_ilS9_ilS7_S9_ilPT18_ili26rocblas_geam_ex_operation_
		.amdhsa_group_segment_fixed_size 5120
		.amdhsa_private_segment_fixed_size 0
		.amdhsa_kernarg_size 128
		.amdhsa_user_sgpr_count 6
		.amdhsa_user_sgpr_private_segment_buffer 1
		.amdhsa_user_sgpr_dispatch_ptr 0
		.amdhsa_user_sgpr_queue_ptr 0
		.amdhsa_user_sgpr_kernarg_segment_ptr 1
		.amdhsa_user_sgpr_dispatch_id 0
		.amdhsa_user_sgpr_flat_scratch_init 0
		.amdhsa_user_sgpr_private_segment_size 0
		.amdhsa_wavefront_size32 1
		.amdhsa_uses_dynamic_stack 0
		.amdhsa_system_sgpr_private_segment_wavefront_offset 0
		.amdhsa_system_sgpr_workgroup_id_x 1
		.amdhsa_system_sgpr_workgroup_id_y 0
		.amdhsa_system_sgpr_workgroup_id_z 1
		.amdhsa_system_sgpr_workgroup_info 0
		.amdhsa_system_vgpr_workitem_id 1
		.amdhsa_next_free_vgpr 172
		.amdhsa_next_free_sgpr 31
		.amdhsa_reserve_vcc 1
		.amdhsa_reserve_flat_scratch 0
		.amdhsa_float_round_mode_32 0
		.amdhsa_float_round_mode_16_64 0
		.amdhsa_float_denorm_mode_32 3
		.amdhsa_float_denorm_mode_16_64 3
		.amdhsa_dx10_clamp 1
		.amdhsa_ieee_mode 1
		.amdhsa_fp16_overflow 0
		.amdhsa_workgroup_processor_mode 1
		.amdhsa_memory_ordered 1
		.amdhsa_forward_progress 1
		.amdhsa_shared_vgpr_count 0
		.amdhsa_exception_fp_ieee_invalid_op 0
		.amdhsa_exception_fp_denorm_src 0
		.amdhsa_exception_fp_ieee_div_zero 0
		.amdhsa_exception_fp_ieee_overflow 0
		.amdhsa_exception_fp_ieee_underflow 0
		.amdhsa_exception_fp_ieee_inexact 0
		.amdhsa_exception_int_div_zero 0
	.end_amdhsa_kernel
	.section	.text._ZN12_GLOBAL__N_120geam_min_plus_kernelIDF16_Dv2_DF16_S1_Li8ELi32ELi64ELi256ELi4ELi64ELi4ELi64ELi4ELc78ELc84ELb0ELb1ELb1EDF16_KPKDF16_KPDF16_EEviiiT16_PT17_ilS9_ilS7_S9_ilPT18_ili26rocblas_geam_ex_operation_,"axG",@progbits,_ZN12_GLOBAL__N_120geam_min_plus_kernelIDF16_Dv2_DF16_S1_Li8ELi32ELi64ELi256ELi4ELi64ELi4ELi64ELi4ELc78ELc84ELb0ELb1ELb1EDF16_KPKDF16_KPDF16_EEviiiT16_PT17_ilS9_ilS7_S9_ilPT18_ili26rocblas_geam_ex_operation_,comdat
.Lfunc_end224:
	.size	_ZN12_GLOBAL__N_120geam_min_plus_kernelIDF16_Dv2_DF16_S1_Li8ELi32ELi64ELi256ELi4ELi64ELi4ELi64ELi4ELc78ELc84ELb0ELb1ELb1EDF16_KPKDF16_KPDF16_EEviiiT16_PT17_ilS9_ilS7_S9_ilPT18_ili26rocblas_geam_ex_operation_, .Lfunc_end224-_ZN12_GLOBAL__N_120geam_min_plus_kernelIDF16_Dv2_DF16_S1_Li8ELi32ELi64ELi256ELi4ELi64ELi4ELi64ELi4ELc78ELc84ELb0ELb1ELb1EDF16_KPKDF16_KPDF16_EEviiiT16_PT17_ilS9_ilS7_S9_ilPT18_ili26rocblas_geam_ex_operation_
                                        ; -- End function
	.set _ZN12_GLOBAL__N_120geam_min_plus_kernelIDF16_Dv2_DF16_S1_Li8ELi32ELi64ELi256ELi4ELi64ELi4ELi64ELi4ELc78ELc84ELb0ELb1ELb1EDF16_KPKDF16_KPDF16_EEviiiT16_PT17_ilS9_ilS7_S9_ilPT18_ili26rocblas_geam_ex_operation_.num_vgpr, 172
	.set _ZN12_GLOBAL__N_120geam_min_plus_kernelIDF16_Dv2_DF16_S1_Li8ELi32ELi64ELi256ELi4ELi64ELi4ELi64ELi4ELc78ELc84ELb0ELb1ELb1EDF16_KPKDF16_KPDF16_EEviiiT16_PT17_ilS9_ilS7_S9_ilPT18_ili26rocblas_geam_ex_operation_.num_agpr, 0
	.set _ZN12_GLOBAL__N_120geam_min_plus_kernelIDF16_Dv2_DF16_S1_Li8ELi32ELi64ELi256ELi4ELi64ELi4ELi64ELi4ELc78ELc84ELb0ELb1ELb1EDF16_KPKDF16_KPDF16_EEviiiT16_PT17_ilS9_ilS7_S9_ilPT18_ili26rocblas_geam_ex_operation_.numbered_sgpr, 31
	.set _ZN12_GLOBAL__N_120geam_min_plus_kernelIDF16_Dv2_DF16_S1_Li8ELi32ELi64ELi256ELi4ELi64ELi4ELi64ELi4ELc78ELc84ELb0ELb1ELb1EDF16_KPKDF16_KPDF16_EEviiiT16_PT17_ilS9_ilS7_S9_ilPT18_ili26rocblas_geam_ex_operation_.num_named_barrier, 0
	.set _ZN12_GLOBAL__N_120geam_min_plus_kernelIDF16_Dv2_DF16_S1_Li8ELi32ELi64ELi256ELi4ELi64ELi4ELi64ELi4ELc78ELc84ELb0ELb1ELb1EDF16_KPKDF16_KPDF16_EEviiiT16_PT17_ilS9_ilS7_S9_ilPT18_ili26rocblas_geam_ex_operation_.private_seg_size, 0
	.set _ZN12_GLOBAL__N_120geam_min_plus_kernelIDF16_Dv2_DF16_S1_Li8ELi32ELi64ELi256ELi4ELi64ELi4ELi64ELi4ELc78ELc84ELb0ELb1ELb1EDF16_KPKDF16_KPDF16_EEviiiT16_PT17_ilS9_ilS7_S9_ilPT18_ili26rocblas_geam_ex_operation_.uses_vcc, 1
	.set _ZN12_GLOBAL__N_120geam_min_plus_kernelIDF16_Dv2_DF16_S1_Li8ELi32ELi64ELi256ELi4ELi64ELi4ELi64ELi4ELc78ELc84ELb0ELb1ELb1EDF16_KPKDF16_KPDF16_EEviiiT16_PT17_ilS9_ilS7_S9_ilPT18_ili26rocblas_geam_ex_operation_.uses_flat_scratch, 0
	.set _ZN12_GLOBAL__N_120geam_min_plus_kernelIDF16_Dv2_DF16_S1_Li8ELi32ELi64ELi256ELi4ELi64ELi4ELi64ELi4ELc78ELc84ELb0ELb1ELb1EDF16_KPKDF16_KPDF16_EEviiiT16_PT17_ilS9_ilS7_S9_ilPT18_ili26rocblas_geam_ex_operation_.has_dyn_sized_stack, 0
	.set _ZN12_GLOBAL__N_120geam_min_plus_kernelIDF16_Dv2_DF16_S1_Li8ELi32ELi64ELi256ELi4ELi64ELi4ELi64ELi4ELc78ELc84ELb0ELb1ELb1EDF16_KPKDF16_KPDF16_EEviiiT16_PT17_ilS9_ilS7_S9_ilPT18_ili26rocblas_geam_ex_operation_.has_recursion, 0
	.set _ZN12_GLOBAL__N_120geam_min_plus_kernelIDF16_Dv2_DF16_S1_Li8ELi32ELi64ELi256ELi4ELi64ELi4ELi64ELi4ELc78ELc84ELb0ELb1ELb1EDF16_KPKDF16_KPDF16_EEviiiT16_PT17_ilS9_ilS7_S9_ilPT18_ili26rocblas_geam_ex_operation_.has_indirect_call, 0
	.section	.AMDGPU.csdata,"",@progbits
; Kernel info:
; codeLenInByte = 23344
; TotalNumSgprs: 33
; NumVgprs: 172
; ScratchSize: 0
; MemoryBound: 0
; FloatMode: 240
; IeeeMode: 1
; LDSByteSize: 5120 bytes/workgroup (compile time only)
; SGPRBlocks: 0
; VGPRBlocks: 21
; NumSGPRsForWavesPerEU: 33
; NumVGPRsForWavesPerEU: 172
; Occupancy: 5
; WaveLimiterHint : 1
; COMPUTE_PGM_RSRC2:SCRATCH_EN: 0
; COMPUTE_PGM_RSRC2:USER_SGPR: 6
; COMPUTE_PGM_RSRC2:TRAP_HANDLER: 0
; COMPUTE_PGM_RSRC2:TGID_X_EN: 1
; COMPUTE_PGM_RSRC2:TGID_Y_EN: 0
; COMPUTE_PGM_RSRC2:TGID_Z_EN: 1
; COMPUTE_PGM_RSRC2:TIDIG_COMP_CNT: 1
	.section	.text._ZN12_GLOBAL__N_120geam_min_plus_kernelIDF16_Dv2_DF16_S1_Li8ELi32ELi64ELi256ELi4ELi4ELi64ELi64ELi4ELc84ELc84ELb0ELb0ELb1EPKDF16_KS3_KPDF16_EEviiiT16_PT17_ilS9_ilS7_S9_ilPT18_ili26rocblas_geam_ex_operation_,"axG",@progbits,_ZN12_GLOBAL__N_120geam_min_plus_kernelIDF16_Dv2_DF16_S1_Li8ELi32ELi64ELi256ELi4ELi4ELi64ELi64ELi4ELc84ELc84ELb0ELb0ELb1EPKDF16_KS3_KPDF16_EEviiiT16_PT17_ilS9_ilS7_S9_ilPT18_ili26rocblas_geam_ex_operation_,comdat
	.globl	_ZN12_GLOBAL__N_120geam_min_plus_kernelIDF16_Dv2_DF16_S1_Li8ELi32ELi64ELi256ELi4ELi4ELi64ELi64ELi4ELc84ELc84ELb0ELb0ELb1EPKDF16_KS3_KPDF16_EEviiiT16_PT17_ilS9_ilS7_S9_ilPT18_ili26rocblas_geam_ex_operation_ ; -- Begin function _ZN12_GLOBAL__N_120geam_min_plus_kernelIDF16_Dv2_DF16_S1_Li8ELi32ELi64ELi256ELi4ELi4ELi64ELi64ELi4ELc84ELc84ELb0ELb0ELb1EPKDF16_KS3_KPDF16_EEviiiT16_PT17_ilS9_ilS7_S9_ilPT18_ili26rocblas_geam_ex_operation_
	.p2align	8
	.type	_ZN12_GLOBAL__N_120geam_min_plus_kernelIDF16_Dv2_DF16_S1_Li8ELi32ELi64ELi256ELi4ELi4ELi64ELi64ELi4ELc84ELc84ELb0ELb0ELb1EPKDF16_KS3_KPDF16_EEviiiT16_PT17_ilS9_ilS7_S9_ilPT18_ili26rocblas_geam_ex_operation_,@function
_ZN12_GLOBAL__N_120geam_min_plus_kernelIDF16_Dv2_DF16_S1_Li8ELi32ELi64ELi256ELi4ELi4ELi64ELi64ELi4ELc84ELc84ELb0ELb0ELb1EPKDF16_KS3_KPDF16_EEviiiT16_PT17_ilS9_ilS7_S9_ilPT18_ili26rocblas_geam_ex_operation_: ; @_ZN12_GLOBAL__N_120geam_min_plus_kernelIDF16_Dv2_DF16_S1_Li8ELi32ELi64ELi256ELi4ELi4ELi64ELi64ELi4ELc84ELc84ELb0ELb0ELb1EPKDF16_KS3_KPDF16_EEviiiT16_PT17_ilS9_ilS7_S9_ilPT18_ili26rocblas_geam_ex_operation_
; %bb.0:
	s_clause 0x1
	s_load_dwordx4 s[0:3], s[4:5], 0x10
	s_load_dwordx4 s[8:11], s[4:5], 0x28
	s_mov_b32 s18, s7
	s_mov_b32 s19, 0
	v_mov_b32_e32 v2, 0
	s_lshl_b64 s[16:17], s[18:19], 1
	s_waitcnt lgkmcnt(0)
	s_add_u32 s0, s0, s16
	s_addc_u32 s1, s1, s17
	global_load_ushort v47, v2, s[0:1]
	s_clause 0x1
	s_load_dwordx4 s[12:15], s[4:5], 0x40
	s_load_dwordx2 s[20:21], s[4:5], 0x50
	s_waitcnt lgkmcnt(0)
	s_add_u32 s22, s14, s16
	s_addc_u32 s23, s15, s17
	s_mov_b64 s[14:15], 0
	s_mov_b64 s[16:17], 0
	s_waitcnt vmcnt(0)
	v_cmp_eq_f16_e32 vcc_lo, 0, v47
	v_cmp_neq_f16_e64 s0, 0, v47
	s_and_b32 s1, exec_lo, vcc_lo
	s_mov_b32 vcc_lo, s1
	s_cbranch_vccnz .LBB225_2
; %bb.1:
	s_lshl_b64 s[16:17], s[18:19], 3
	s_add_u32 s2, s2, s16
	s_addc_u32 s3, s3, s17
	s_lshl_b64 s[8:9], s[8:9], 1
	s_load_dwordx2 s[2:3], s[2:3], 0x0
	s_waitcnt lgkmcnt(0)
	s_add_u32 s16, s2, s8
	s_addc_u32 s17, s3, s9
.LBB225_2:
	global_load_ushort v48, v2, s[22:23]
	v_cndmask_b32_e64 v2, 0, 1, s0
	s_andn2_b32 vcc_lo, exec_lo, s0
	v_cmp_ne_u32_e64 s2, 1, v2
	s_cbranch_vccnz .LBB225_4
; %bb.3:
	s_lshl_b64 s[8:9], s[18:19], 3
	s_add_u32 s8, s10, s8
	s_addc_u32 s9, s11, s9
	s_lshl_b64 s[10:11], s[12:13], 1
	s_load_dwordx2 s[8:9], s[8:9], 0x0
	s_waitcnt lgkmcnt(0)
	s_add_u32 s14, s8, s10
	s_addc_u32 s15, s9, s11
.LBB225_4:
	s_load_dwordx4 s[8:11], s[4:5], 0x60
	s_waitcnt vmcnt(0)
	v_cmp_eq_f16_e32 vcc_lo, 0, v48
	s_and_b32 s0, exec_lo, vcc_lo
	s_mov_b32 vcc_lo, s0
	s_cbranch_vccnz .LBB225_6
; %bb.5:
	s_lshl_b64 s[12:13], s[18:19], 3
	s_add_u32 s12, s20, s12
	s_addc_u32 s13, s21, s13
	s_waitcnt lgkmcnt(0)
	s_lshl_b64 s[8:9], s[8:9], 1
	s_load_dwordx2 s[12:13], s[12:13], 0x0
	s_waitcnt lgkmcnt(0)
	s_add_u32 s8, s12, s8
	s_addc_u32 s9, s13, s9
	s_branch .LBB225_7
.LBB225_6:
	s_waitcnt lgkmcnt(0)
	s_mov_b64 s[8:9], 0
.LBB225_7:
	s_clause 0x1
	s_load_dword s3, s[4:5], 0x0
	s_load_dword s7, s[4:5], 0x20
	s_lshl_b64 s[12:13], s[18:19], 3
	v_and_b32_e32 v3, 3, v0
	s_add_u32 s10, s10, s12
	s_addc_u32 s11, s11, s13
	v_mov_b32_e32 v8, 0
	v_mov_b32_e32 v11, 0
	v_lshlrev_b32_e32 v4, 1, v3
	s_waitcnt lgkmcnt(0)
	s_add_i32 s3, s3, -1
	s_ashr_i32 s12, s3, 31
	s_lshr_b32 s12, s12, 26
	s_add_i32 s3, s3, s12
	s_ashr_i32 s3, s3, 6
	s_add_i32 s12, s3, 1
	s_not_b32 s3, s3
	v_cvt_f32_u32_e32 v2, s12
	v_rcp_iflag_f32_e32 v2, v2
	v_mul_f32_e32 v2, 0x4f7ffffe, v2
	v_cvt_u32_f32_e32 v2, v2
	v_readfirstlane_b32 s13, v2
	v_lshl_add_u32 v2, v1, 3, v0
	s_mul_i32 s3, s3, s13
	v_lshrrev_b32_e32 v6, 2, v2
	s_mul_hi_u32 s3, s13, s3
	s_add_i32 s13, s13, s3
	s_mul_hi_u32 s3, s6, s13
	s_mul_i32 s13, s3, s12
	s_add_i32 s18, s3, 1
	s_sub_i32 s13, s6, s13
	s_sub_i32 s19, s13, s12
	s_cmp_ge_u32 s13, s12
	s_cselect_b32 s3, s18, s3
	s_cselect_b32 s13, s19, s13
	s_add_i32 s18, s3, 1
	s_cmp_ge_u32 s13, s12
	s_cselect_b32 s13, s18, s3
	s_and_b32 vcc_lo, exec_lo, s2
	s_mul_i32 s19, s13, s12
	s_sub_i32 s3, s6, s19
	s_lshl_b32 s3, s3, 6
	v_add_nc_u32_e32 v10, s3, v6
	s_cbranch_vccnz .LBB225_9
; %bb.8:
	v_mad_i64_i32 v[11:12], null, v10, s7, 0
	v_lshlrev_b64 v[11:12], 1, v[11:12]
	v_add_co_u32 v3, vcc_lo, s16, v11
	v_add_co_ci_u32_e64 v5, null, s17, v12, vcc_lo
	v_add_co_u32 v11, vcc_lo, v3, v4
	v_add_co_ci_u32_e64 v12, null, 0, v5, vcc_lo
	flat_load_ushort v3, v[11:12]
	s_waitcnt vmcnt(0) lgkmcnt(0)
	v_mul_f16_e32 v11, v47, v3
.LBB225_9:
	s_load_dword s12, s[4:5], 0x38
	v_lshrrev_b32_e32 v5, 6, v2
	v_and_b32_e32 v7, 63, v2
	s_lshl_b32 s18, s13, 8
	v_or_b32_e32 v2, s18, v7
	v_ashrrev_i32_e32 v3, 31, v2
	s_waitcnt lgkmcnt(0)
	v_mad_i64_i32 v[12:13], null, s12, v5, 0
	v_lshlrev_b64 v[12:13], 1, v[12:13]
	v_add_co_u32 v12, vcc_lo, s14, v12
	v_add_co_ci_u32_e64 v13, null, s15, v13, vcc_lo
	s_and_b32 vcc_lo, exec_lo, s2
	s_cbranch_vccnz .LBB225_11
; %bb.10:
	v_lshlrev_b64 v[8:9], 1, v[2:3]
	v_add_co_u32 v8, vcc_lo, v12, v8
	v_add_co_ci_u32_e64 v9, null, v13, v9, vcc_lo
	s_clause 0x1
	flat_load_ushort v14, v[8:9]
	flat_load_ushort v8, v[8:9] offset:128
	s_waitcnt vmcnt(1) lgkmcnt(1)
	v_mul_f16_e32 v9, v47, v14
	s_waitcnt vmcnt(0) lgkmcnt(0)
	v_mul_f16_e32 v8, v47, v8
	v_pack_b32_f16 v9, v9, 0
	s_branch .LBB225_12
.LBB225_11:
	v_mov_b32_e32 v9, 0
.LBB225_12:
	v_mov_b32_e32 v14, 0
	v_perm_b32 v35, v8, v9, 0x5040100
	s_ashr_i32 s13, s12, 31
	s_mov_b32 vcc_lo, s1
	s_cbranch_vccz .LBB225_14
; %bb.13:
	v_and_b32_e32 v36, 0xffff0000, v14
	v_mov_b32_e32 v9, 0
	v_mov_b32_e32 v8, 0
	s_cbranch_execz .LBB225_15
	s_branch .LBB225_16
.LBB225_14:
	v_mov_b32_e32 v9, 0
	v_mov_b32_e32 v8, 0
.LBB225_15:
	v_lshlrev_b64 v[15:16], 1, v[2:3]
	v_add_co_u32 v12, vcc_lo, v12, v15
	v_add_co_ci_u32_e64 v13, null, v13, v16, vcc_lo
	s_clause 0x1
	flat_load_ushort v8, v[12:13] offset:256
	flat_load_ushort v12, v[12:13] offset:384
	s_waitcnt vmcnt(1) lgkmcnt(1)
	v_mul_f16_e32 v8, v47, v8
	v_bfi_b32 v36, 0xffff, v8, v14
	s_waitcnt vmcnt(0) lgkmcnt(0)
	v_mul_f16_e32 v8, v47, v12
.LBB225_16:
	s_and_b32 vcc_lo, exec_lo, s2
	s_cbranch_vccnz .LBB225_18
; %bb.17:
	v_mad_i64_i32 v[9:10], null, v10, s7, 0
	v_lshlrev_b64 v[9:10], 1, v[9:10]
	v_add_co_u32 v9, vcc_lo, s16, v9
	v_add_co_ci_u32_e64 v10, null, s17, v10, vcc_lo
	v_add_co_u32 v9, vcc_lo, v9, v4
	v_add_co_ci_u32_e64 v10, null, 0, v10, vcc_lo
	flat_load_ushort v9, v[9:10] offset:8
	s_waitcnt vmcnt(0) lgkmcnt(0)
	v_mul_f16_e32 v9, v47, v9
.LBB225_18:
	v_add_nc_u32_e32 v10, 4, v5
	v_mad_i64_i32 v[12:13], null, s12, v10, 0
	v_lshlrev_b64 v[12:13], 1, v[12:13]
	v_add_co_u32 v12, vcc_lo, s14, v12
	v_add_co_ci_u32_e64 v13, null, s15, v13, vcc_lo
	s_and_b32 vcc_lo, exec_lo, s2
	s_cbranch_vccnz .LBB225_21
; %bb.19:
	v_lshlrev_b64 v[14:15], 1, v[2:3]
	v_add_co_u32 v14, vcc_lo, v12, v14
	v_add_co_ci_u32_e64 v15, null, v13, v15, vcc_lo
	s_clause 0x1
	flat_load_ushort v10, v[14:15]
	flat_load_ushort v14, v[14:15] offset:128
	s_waitcnt vmcnt(1) lgkmcnt(1)
	v_mul_f16_e32 v15, v47, v10
	s_waitcnt vmcnt(0) lgkmcnt(0)
	v_mul_f16_e32 v10, v47, v14
	v_pack_b32_f16 v15, v15, 0
	v_mov_b32_e32 v14, 0
	v_perm_b32 v43, v10, v15, 0x5040100
	s_mov_b32 vcc_lo, s1
	s_cbranch_vccz .LBB225_22
.LBB225_20:
	v_and_b32_e32 v44, 0xffff0000, v14
	v_mov_b32_e32 v10, 0
	s_cbranch_execz .LBB225_23
	s_branch .LBB225_24
.LBB225_21:
	v_mov_b32_e32 v15, 0
	v_mov_b32_e32 v10, 0
	;; [unrolled: 1-line block ×3, first 2 shown]
	v_perm_b32 v43, v10, v15, 0x5040100
	s_mov_b32 vcc_lo, s1
	s_cbranch_vccnz .LBB225_20
.LBB225_22:
	v_mov_b32_e32 v10, 0
.LBB225_23:
	v_lshlrev_b64 v[2:3], 1, v[2:3]
	v_add_co_u32 v2, vcc_lo, v12, v2
	v_add_co_ci_u32_e64 v3, null, v13, v3, vcc_lo
	s_clause 0x1
	flat_load_ushort v10, v[2:3] offset:256
	flat_load_ushort v2, v[2:3] offset:384
	s_waitcnt vmcnt(1) lgkmcnt(1)
	v_mul_f16_e32 v3, v47, v10
	s_waitcnt vmcnt(0) lgkmcnt(0)
	v_mul_f16_e32 v10, v47, v2
	v_bfi_b32 v44, 0xffff, v3, v14
.LBB225_24:
	v_lshlrev_b32_e32 v3, 3, v7
	v_lshlrev_b32_e32 v88, 3, v0
	v_lshl_or_b32 v2, v6, 3, v4
	v_lshlrev_b32_e32 v89, 3, v1
	s_load_dwordx2 s[10:11], s[10:11], 0x0
	v_lshl_add_u32 v86, v5, 1, v3
	v_add_nc_u32_e32 v3, 0x1000, v88
	ds_write_b16 v2, v11 offset:4096
	s_load_dword s20, s[4:5], 0x8
	ds_write_b16 v86, v35
	ds_write_b16_d16_hi v86, v35 offset:512
	ds_write_b16 v86, v36 offset:1024
	ds_write_b16 v86, v8 offset:1536
	s_waitcnt lgkmcnt(0)
	s_barrier
	buffer_gl0_inv
	ds_read2_b64 v[11:14], v3 offset1:8
	ds_read2_b64 v[15:18], v89 offset1:32
	ds_read2_b64 v[19:22], v3 offset0:16 offset1:24
	ds_read2_b64 v[23:26], v3 offset0:32 offset1:40
	;; [unrolled: 1-line block ×4, first 2 shown]
	s_cmp_lt_i32 s20, 9
	s_waitcnt lgkmcnt(4)
	v_pk_add_f16 v3, v11, v15
	v_pk_add_f16 v37, v13, v15
	s_waitcnt lgkmcnt(3)
	v_pk_add_f16 v38, v19, v15
	v_pk_add_f16 v39, v21, v15
	;; [unrolled: 3-line block ×4, first 2 shown]
	v_pk_add_f16 v46, v11, v17
	v_pk_add_f16 v49, v13, v17
	;; [unrolled: 1-line block ×24, first 2 shown]
	s_waitcnt lgkmcnt(0)
	v_pk_add_f16 v72, v11, v31
	v_pk_add_f16 v73, v13, v31
	;; [unrolled: 1-line block ×13, first 2 shown]
	ds_read2_b64 v[15:18], v89 offset0:128 offset1:160
	v_pk_add_f16 v85, v25, v33
	v_pk_add_f16 v114, v27, v33
	;; [unrolled: 1-line block ×19, first 2 shown]
	ds_read2_b64 v[31:34], v89 offset0:192 offset1:224
	v_pk_min_f16 v3, 0x7c00, v3 op_sel_hi:[0,1]
	s_waitcnt lgkmcnt(1)
	v_pk_add_f16 v128, v11, v15
	v_pk_add_f16 v129, v13, v15
	v_pk_add_f16 v130, v19, v15
	v_pk_add_f16 v131, v21, v15
	v_pk_min_f16 v123, v3, v56
	v_pk_min_f16 v3, 0x7c00, v40 op_sel_hi:[0,1]
	v_pk_add_f16 v132, v23, v15
	v_pk_add_f16 v133, v25, v15
	v_pk_add_f16 v134, v27, v15
	v_pk_add_f16 v15, v29, v15
	v_pk_min_f16 v111, v3, v60
	v_pk_min_f16 v3, 0x7c00, v42 op_sel_hi:[0,1]
	;; [unrolled: 6-line block ×3, first 2 shown]
	v_pk_add_f16 v139, v23, v17
	v_pk_add_f16 v140, v25, v17
	;; [unrolled: 1-line block ×20, first 2 shown]
	s_waitcnt lgkmcnt(0)
	v_pk_add_f16 v156, v11, v31
	v_pk_add_f16 v157, v13, v31
	;; [unrolled: 1-line block ×32, first 2 shown]
	v_pk_min_f16 v34, 0x7c00, v37 op_sel_hi:[0,1]
	v_pk_min_f16 v37, 0x7c00, v38 op_sel_hi:[0,1]
	;; [unrolled: 1-line block ×3, first 2 shown]
	v_pk_min_f16 v105, v3, v66
	v_pk_min_f16 v3, 0x7c00, v54 op_sel_hi:[0,1]
	v_pk_min_f16 v120, v34, v57
	v_pk_min_f16 v113, v37, v58
	;; [unrolled: 1-line block ×3, first 2 shown]
	v_pk_min_f16 v38, 0x7c00, v46 op_sel_hi:[0,1]
	v_pk_min_f16 v101, v3, v70
	v_pk_min_f16 v3, 0x7c00, v72 op_sel_hi:[0,1]
	v_pk_min_f16 v34, 0x7c00, v41 op_sel_hi:[0,1]
	;; [unrolled: 1-line block ×3, first 2 shown]
	v_pk_min_f16 v107, v38, v64
	v_pk_min_f16 v38, 0x7c00, v53 op_sel_hi:[0,1]
	v_pk_min_f16 v99, v3, v87
	v_pk_min_f16 v3, 0x7c00, v76 op_sel_hi:[0,1]
	;; [unrolled: 2-line block ×6, first 2 shown]
	v_pk_min_f16 v97, v38, v91
	v_pk_min_f16 v106, v34, v65
	;; [unrolled: 1-line block ×3, first 2 shown]
	v_pk_min_f16 v3, 0x7c00, v82 op_sel_hi:[0,1]
	v_pk_min_f16 v34, 0x7c00, v51 op_sel_hi:[0,1]
	v_pk_min_f16 v103, v37, v68
	v_pk_min_f16 v37, 0x7c00, v73 op_sel_hi:[0,1]
	v_pk_min_f16 v15, 0x7c00, v15 op_sel_hi:[0,1]
	v_pk_min_f16 v87, v3, v121
	v_pk_min_f16 v3, 0x7c00, v114 op_sel_hi:[0,1]
	v_pk_min_f16 v104, v34, v67
	;; [unrolled: 2-line block ×8, first 2 shown]
	v_pk_min_f16 v34, 0x7c00, v77 op_sel_hi:[0,1]
	v_pk_min_f16 v38, 0x7c00, v79 op_sel_hi:[0,1]
	v_pk_min_f16 v71, v15, v150
	v_pk_min_f16 v76, v3, v146
	v_pk_min_f16 v3, 0x7c00, v135 op_sel_hi:[0,1]
	v_pk_min_f16 v94, v34, v94
	v_pk_min_f16 v34, 0x7c00, v81 op_sel_hi:[0,1]
	v_pk_min_f16 v15, 0x7c00, v140 op_sel_hi:[0,1]
	v_pk_min_f16 v93, v37, v116
	v_pk_min_f16 v72, v3, v149
	v_pk_min_f16 v3, 0x7c00, v139 op_sel_hi:[0,1]
	v_pk_min_f16 v90, v34, v119
	v_pk_min_f16 v34, 0x7c00, v85 op_sel_hi:[0,1]
	;; [unrolled: 2-line block ×4, first 2 shown]
	v_pk_min_f16 v38, 0x7c00, v84 op_sel_hi:[0,1]
	v_pk_min_f16 v83, v34, v125
	v_pk_min_f16 v34, 0x7c00, v115 op_sel_hi:[0,1]
	v_pk_min_f16 v16, 0x7c00, v137 op_sel_hi:[0,1]
	v_pk_min_f16 v66, v3, v155
	v_pk_min_f16 v3, 0x7c00, v160 op_sel_hi:[0,1]
	v_pk_min_f16 v67, v15, v154
	v_pk_min_f16 v15, 0x7c00, v157 op_sel_hi:[0,1]
	v_pk_min_f16 v85, v37, v122
	v_pk_min_f16 v84, v38, v124
	v_pk_min_f16 v62, v3, v162
	v_pk_min_f16 v3, 0x7c00, v168 op_sel_hi:[0,1]
	v_pk_min_f16 v37, 0x7c00, v128 op_sel_hi:[0,1]
	;; [unrolled: 1-line block ×3, first 2 shown]
	v_pk_min_f16 v81, v34, v127
	v_pk_min_f16 v34, 0x7c00, v131 op_sel_hi:[0,1]
	v_pk_min_f16 v70, v16, v151
	v_pk_min_f16 v16, 0x7c00, v17 op_sel_hi:[0,1]
	v_pk_min_f16 v17, 0x7c00, v156 op_sel_hi:[0,1]
	v_pk_min_f16 v63, v15, v159
	v_pk_min_f16 v15, 0x7c00, v161 op_sel_hi:[0,1]
	v_pk_min_f16 v58, v3, v33
	v_pk_min_f16 v3, 0x7c00, v11 op_sel_hi:[0,1]
	v_pk_min_f16 v11, 0x7c00, v13 op_sel_hi:[0,1]
	;; [unrolled: 1-line block ×3, first 2 shown]
	v_pk_min_f16 v80, v37, v142
	v_pk_min_f16 v79, v38, v143
	v_pk_min_f16 v37, 0x7c00, v133 op_sel_hi:[0,1]
	v_pk_min_f16 v38, 0x7c00, v134 op_sel_hi:[0,1]
	v_pk_min_f16 v77, v34, v145
	v_pk_min_f16 v34, 0x7c00, v138 op_sel_hi:[0,1]
	v_pk_min_f16 v65, v16, v18
	v_pk_min_f16 v64, v17, v158
	v_pk_min_f16 v16, 0x7c00, v164 op_sel_hi:[0,1]
	v_pk_min_f16 v17, 0x7c00, v165 op_sel_hi:[0,1]
	v_pk_min_f16 v61, v15, v163
	v_pk_min_f16 v15, 0x7c00, v31 op_sel_hi:[0,1]
	v_pk_min_f16 v56, v3, v12
	v_pk_min_f16 v55, v11, v14
	;; [unrolled: 1-line block ×3, first 2 shown]
	v_pk_min_f16 v3, 0x7c00, v21 op_sel_hi:[0,1]
	v_pk_min_f16 v11, 0x7c00, v23 op_sel_hi:[0,1]
	;; [unrolled: 1-line block ×5, first 2 shown]
	v_pk_min_f16 v75, v37, v147
	v_pk_min_f16 v74, v38, v148
	;; [unrolled: 1-line block ×11, first 2 shown]
	ds_write_b16 v2, v9 offset:4608
	ds_write_b16 v86, v43 offset:2048
	ds_write_b16_d16_hi v86, v43 offset:2560
	ds_write_b16 v86, v44 offset:3072
	ds_write_b16 v86, v10 offset:3584
	s_waitcnt lgkmcnt(0)
	s_barrier
	buffer_gl0_inv
	s_cbranch_scc1 .LBB225_47
; %bb.25:
	v_lshl_add_u32 v3, s6, 6, v6
	s_lshl_b32 s6, s19, 6
	v_add_nc_u32_e32 v114, 0x1000, v2
	v_add_nc_u32_e32 v116, 0x1200, v2
	;; [unrolled: 1-line block ×3, first 2 shown]
	v_subrev_nc_u32_e32 v3, s6, v3
	v_perm_b32 v36, v8, v36, 0x5040100
	v_add_nc_u32_e32 v8, 8, v5
	v_add_nc_u32_e32 v5, 12, v5
	v_ashrrev_i32_e32 v7, 31, v6
	v_mad_i64_i32 v[2:3], null, s7, v3, 0
	v_perm_b32 v44, v10, v44, 0x5040100
	v_mad_i64_i32 v[8:9], null, v8, s12, 0
	v_or_b32_e32 v115, 0x1000, v88
	v_or_b32_e32 v117, 0x800, v86
	v_lshl_add_u32 v118, v0, 3, 0x1200
	v_lshlrev_b64 v[2:3], 1, v[2:3]
	v_lshl_or_b32 v119, v1, 3, 0x800
	s_lshl_b64 s[6:7], s[12:13], 4
	v_lshlrev_b64 v[39:40], 1, v[8:9]
	v_add_co_u32 v4, vcc_lo, v2, v4
	v_add_co_ci_u32_e64 v10, null, 0, v3, vcc_lo
	v_mad_i64_i32 v[2:3], null, v5, s12, 0
	v_add_co_u32 v11, vcc_lo, s16, v4
	v_lshlrev_b64 v[4:5], 1, v[6:7]
	v_add_co_ci_u32_e64 v10, null, s17, v10, vcc_lo
	v_add_co_u32 v37, vcc_lo, v11, 16
	v_lshlrev_b64 v[41:42], 1, v[2:3]
	v_add_co_ci_u32_e64 v38, null, 0, v10, vcc_lo
	v_add_co_u32 v121, vcc_lo, s14, v4
	v_add_co_ci_u32_e64 v122, null, s15, v5, vcc_lo
	s_add_i32 s14, s20, -8
	s_mov_b32 s12, 0
	v_mov_b32_e32 v14, 0
	s_and_b32 vcc_lo, exec_lo, s2
	s_cbranch_vccz .LBB225_27
	s_branch .LBB225_28
.LBB225_26:                             ;   in Loop: Header=BB225_28 Depth=1
	v_mov_b32_e32 v43, v45
	v_mov_b32_e32 v14, 0
	s_and_b32 vcc_lo, exec_lo, s2
	s_cbranch_vccnz .LBB225_28
.LBB225_27:
	flat_load_ushort v2, v[37:38]
	s_waitcnt vmcnt(0) lgkmcnt(0)
	v_mul_f16_e32 v14, v47, v2
.LBB225_28:                             ; =>This Inner Loop Header: Depth=1
	s_mov_b32 s13, -1
	s_mov_b32 vcc_lo, s1
                                        ; implicit-def: $vgpr2_vgpr3
	s_cbranch_vccz .LBB225_32
; %bb.29:                               ;   in Loop: Header=BB225_28 Depth=1
	v_and_b32_e32 v2, 0xffff0000, v35
	v_mov_b32_e32 v3, v36
	v_mov_b32_e32 v4, 0
	s_cbranch_execz .LBB225_33
.LBB225_30:                             ;   in Loop: Header=BB225_28 Depth=1
	v_perm_b32 v35, v4, v2, 0x5040100
	s_mov_b32 s13, -1
	s_mov_b32 vcc_lo, s1
	s_cbranch_vccz .LBB225_34
.LBB225_31:                             ;   in Loop: Header=BB225_28 Depth=1
	v_and_b32_e32 v36, 0xffff0000, v3
	v_mov_b32_e32 v124, 0
	v_mov_b32_e32 v127, 0
	s_cbranch_execz .LBB225_35
	s_branch .LBB225_36
.LBB225_32:                             ;   in Loop: Header=BB225_28 Depth=1
	v_mov_b32_e32 v4, 0
	s_andn2_b32 vcc_lo, exec_lo, s13
	s_cbranch_vccnz .LBB225_30
.LBB225_33:                             ;   in Loop: Header=BB225_28 Depth=1
	v_add_co_u32 v2, vcc_lo, v121, v39
	v_add_co_ci_u32_e64 v3, null, v122, v40, vcc_lo
	s_clause 0x1
	flat_load_ushort v4, v[2:3]
	flat_load_ushort v2, v[2:3] offset:128
	s_waitcnt vmcnt(1) lgkmcnt(1)
	v_mul_f16_e32 v3, v47, v4
	s_waitcnt vmcnt(0) lgkmcnt(0)
	v_mul_f16_e32 v4, v47, v2
	v_bfi_b32 v35, 0xffff, v3, v35
	v_mov_b32_e32 v2, v35
	v_mov_b32_e32 v3, v36
	v_perm_b32 v35, v4, v2, 0x5040100
	s_mov_b32 s13, -1
	s_mov_b32 vcc_lo, s1
	s_cbranch_vccnz .LBB225_31
.LBB225_34:                             ;   in Loop: Header=BB225_28 Depth=1
	v_mov_b32_e32 v124, 0
	v_mov_b32_e32 v127, 0
	s_andn2_b32 vcc_lo, exec_lo, s13
	s_cbranch_vccnz .LBB225_36
.LBB225_35:                             ;   in Loop: Header=BB225_28 Depth=1
	v_add_co_u32 v4, vcc_lo, v121, v39
	v_add_co_ci_u32_e64 v5, null, v122, v40, vcc_lo
	s_clause 0x1
	flat_load_ushort v2, v[4:5] offset:256
	flat_load_ushort v4, v[4:5] offset:384
	s_waitcnt vmcnt(1) lgkmcnt(1)
	v_mul_f16_e32 v2, v47, v2
	s_waitcnt vmcnt(0) lgkmcnt(0)
	v_mul_f16_e32 v127, v47, v4
	v_bfi_b32 v36, 0xffff, v2, v3
.LBB225_36:                             ;   in Loop: Header=BB225_28 Depth=1
	ds_read2_b64 v[19:22], v118 offset1:8
	ds_read2_b64 v[2:5], v118 offset0:16 offset1:24
	ds_read2_b64 v[6:9], v118 offset0:32 offset1:40
	;; [unrolled: 1-line block ×3, first 2 shown]
	ds_read2_b64 v[31:34], v119 offset1:32
	ds_read2_b64 v[27:30], v119 offset0:64 offset1:96
	ds_read2_b64 v[23:26], v119 offset0:128 offset1:160
	ds_read2_b64 v[15:18], v119 offset0:192 offset1:224
	s_and_b32 vcc_lo, exec_lo, s2
	ds_write_b16 v114, v14
	ds_write_b16 v86, v35
	ds_write_b16_d16_hi v86, v35 offset:512
	ds_write_b16 v86, v36 offset:1024
	ds_write_b16 v86, v127 offset:1536
	s_waitcnt lgkmcnt(0)
	s_barrier
	buffer_gl0_inv
	s_cbranch_vccnz .LBB225_38
; %bb.37:                               ;   in Loop: Header=BB225_28 Depth=1
	flat_load_ushort v14, v[37:38] offset:8
	s_waitcnt vmcnt(0) lgkmcnt(0)
	v_mul_f16_e32 v124, v47, v14
.LBB225_38:                             ;   in Loop: Header=BB225_28 Depth=1
	s_mov_b32 s13, -1
	s_mov_b32 vcc_lo, s1
                                        ; implicit-def: $vgpr45_vgpr46
	s_cbranch_vccz .LBB225_40
; %bb.39:                               ;   in Loop: Header=BB225_28 Depth=1
	v_and_b32_e32 v45, 0xffff0000, v43
	v_mov_b32_e32 v46, v44
	v_mov_b32_e32 v14, 0
	s_cbranch_execnz .LBB225_42
	s_branch .LBB225_41
.LBB225_40:                             ;   in Loop: Header=BB225_28 Depth=1
	v_mov_b32_e32 v14, 0
	s_andn2_b32 vcc_lo, exec_lo, s13
	s_cbranch_vccnz .LBB225_42
.LBB225_41:                             ;   in Loop: Header=BB225_28 Depth=1
	v_add_co_u32 v45, vcc_lo, v121, v41
	v_add_co_ci_u32_e64 v46, null, v122, v42, vcc_lo
	s_clause 0x1
	flat_load_ushort v14, v[45:46]
	flat_load_ushort v45, v[45:46] offset:128
	s_waitcnt vmcnt(1) lgkmcnt(1)
	v_mul_f16_e32 v14, v47, v14
	v_bfi_b32 v43, 0xffff, v14, v43
	s_waitcnt vmcnt(0) lgkmcnt(0)
	v_mul_f16_e32 v14, v47, v45
	v_mov_b32_e32 v46, v44
	v_mov_b32_e32 v45, v43
.LBB225_42:                             ;   in Loop: Header=BB225_28 Depth=1
	v_perm_b32 v45, v14, v45, 0x5040100
	s_mov_b32 s13, -1
	s_mov_b32 vcc_lo, s1
                                        ; implicit-def: $vgpr125
	s_cbranch_vccz .LBB225_44
; %bb.43:                               ;   in Loop: Header=BB225_28 Depth=1
	v_and_b32_e32 v125, 0xffff0000, v46
	v_mov_b32_e32 v126, 0
	s_cbranch_execz .LBB225_45
	s_branch .LBB225_46
.LBB225_44:                             ;   in Loop: Header=BB225_28 Depth=1
	v_mov_b32_e32 v126, 0
	s_andn2_b32 vcc_lo, exec_lo, s13
	s_cbranch_vccnz .LBB225_46
.LBB225_45:                             ;   in Loop: Header=BB225_28 Depth=1
	v_add_co_u32 v43, vcc_lo, v121, v41
	v_add_co_ci_u32_e64 v44, null, v122, v42, vcc_lo
	s_clause 0x1
	flat_load_ushort v14, v[43:44] offset:256
	flat_load_ushort v43, v[43:44] offset:384
	s_waitcnt vmcnt(1) lgkmcnt(1)
	v_mul_f16_e32 v14, v47, v14
	s_waitcnt vmcnt(0) lgkmcnt(0)
	v_mul_f16_e32 v126, v47, v43
	v_bfi_b32 v125, 0xffff, v14, v46
.LBB225_46:                             ;   in Loop: Header=BB225_28 Depth=1
	v_pk_add_f16 v14, v19, v31
	v_pk_max_f16 v43, v123, v123
	v_pk_add_f16 v44, v21, v31
	v_pk_max_f16 v46, v120, v120
	v_pk_add_f16 v120, v2, v31
	v_pk_max_f16 v112, v112, v112
	v_pk_min_f16 v14, v43, v14
	v_pk_max_f16 v43, v113, v113
	v_pk_add_f16 v113, v4, v31
	v_pk_add_f16 v123, v6, v31
	v_pk_max_f16 v111, v111, v111
	v_pk_add_f16 v128, v8, v31
	v_pk_min_f16 v44, v46, v44
	v_pk_min_f16 v43, v43, v120
	;; [unrolled: 1-line block ×3, first 2 shown]
	v_pk_add_f16 v112, v10, v31
	v_pk_max_f16 v109, v109, v109
	v_pk_add_f16 v31, v12, v31
	v_pk_max_f16 v108, v108, v108
	;; [unrolled: 2-line block ×4, first 2 shown]
	v_pk_min_f16 v111, v111, v123
	v_pk_add_f16 v123, v2, v33
	v_pk_min_f16 v109, v109, v112
	v_pk_min_f16 v31, v108, v31
	;; [unrolled: 1-line block ×4, first 2 shown]
	v_pk_add_f16 v108, v4, v33
	v_pk_max_f16 v104, v104, v104
	v_pk_add_f16 v112, v6, v33
	v_pk_add_f16 v113, v8, v33
	;; [unrolled: 1-line block ×4, first 2 shown]
	v_pk_max_f16 v100, v100, v100
	v_pk_max_f16 v103, v103, v103
	;; [unrolled: 1-line block ×4, first 2 shown]
	v_pk_min_f16 v104, v104, v108
	v_pk_min_f16 v33, v100, v33
	v_pk_add_f16 v100, v19, v27
	v_pk_max_f16 v99, v99, v99
	v_pk_add_f16 v108, v21, v27
	v_pk_max_f16 v98, v98, v98
	v_pk_min_f16 v103, v103, v112
	v_pk_min_f16 v102, v102, v113
	;; [unrolled: 1-line block ×3, first 2 shown]
	v_pk_add_f16 v112, v2, v27
	v_pk_max_f16 v97, v97, v97
	v_pk_add_f16 v113, v4, v27
	v_pk_max_f16 v96, v96, v96
	v_pk_add_f16 v120, v6, v27
	v_pk_min_f16 v99, v99, v100
	v_pk_min_f16 v98, v98, v108
	v_pk_add_f16 v100, v8, v27
	v_pk_max_f16 v94, v94, v94
	v_pk_add_f16 v108, v10, v27
	v_pk_add_f16 v27, v12, v27
	v_pk_max_f16 v92, v92, v92
	v_pk_min_f16 v97, v97, v112
	v_pk_min_f16 v96, v96, v113
	v_pk_max_f16 v93, v93, v93
	v_pk_add_f16 v112, v19, v29
	v_pk_max_f16 v91, v91, v91
	v_pk_add_f16 v113, v21, v29
	v_pk_max_f16 v90, v90, v90
	v_pk_min_f16 v94, v94, v100
	v_pk_min_f16 v27, v92, v27
	v_pk_add_f16 v92, v2, v29
	v_pk_max_f16 v87, v87, v87
	v_pk_add_f16 v100, v4, v29
	v_pk_max_f16 v85, v85, v85
	v_pk_min_f16 v93, v93, v108
	v_pk_min_f16 v91, v91, v112
	;; [unrolled: 1-line block ×3, first 2 shown]
	v_pk_add_f16 v108, v6, v29
	v_pk_max_f16 v84, v84, v84
	v_pk_add_f16 v112, v8, v29
	v_pk_max_f16 v83, v83, v83
	v_pk_add_f16 v113, v10, v29
	v_pk_min_f16 v87, v87, v92
	v_pk_min_f16 v85, v85, v100
	v_pk_add_f16 v29, v12, v29
	v_pk_max_f16 v81, v81, v81
	v_pk_add_f16 v92, v19, v23
	v_pk_max_f16 v80, v80, v80
	;; [unrolled: 2-line block ×3, first 2 shown]
	v_pk_min_f16 v84, v84, v108
	v_pk_min_f16 v83, v83, v112
	v_pk_add_f16 v108, v2, v23
	v_pk_max_f16 v78, v78, v78
	v_pk_add_f16 v112, v4, v23
	v_pk_min_f16 v29, v81, v29
	v_pk_min_f16 v80, v80, v92
	;; [unrolled: 1-line block ×3, first 2 shown]
	v_pk_add_f16 v81, v6, v23
	v_pk_add_f16 v92, v8, v23
	;; [unrolled: 1-line block ×4, first 2 shown]
	v_pk_max_f16 v73, v73, v73
	v_pk_min_f16 v78, v78, v108
	v_pk_max_f16 v76, v76, v76
	v_pk_max_f16 v75, v75, v75
	v_pk_max_f16 v74, v74, v74
	v_pk_add_f16 v108, v19, v25
	v_pk_max_f16 v72, v72, v72
	v_pk_min_f16 v23, v73, v23
	v_pk_add_f16 v73, v21, v25
	v_pk_max_f16 v71, v71, v71
	v_pk_min_f16 v76, v76, v81
	v_pk_min_f16 v75, v75, v92
	;; [unrolled: 1-line block ×4, first 2 shown]
	v_pk_add_f16 v81, v2, v25
	v_pk_max_f16 v70, v70, v70
	v_pk_add_f16 v92, v4, v25
	v_pk_add_f16 v100, v6, v25
	;; [unrolled: 1-line block ×3, first 2 shown]
	v_pk_min_f16 v71, v71, v73
	v_pk_add_f16 v73, v10, v25
	v_pk_add_f16 v25, v12, v25
	v_pk_max_f16 v65, v65, v65
	v_pk_max_f16 v69, v69, v69
	v_pk_min_f16 v70, v70, v81
	v_pk_add_f16 v81, v19, v15
	v_pk_max_f16 v64, v64, v64
	v_pk_min_f16 v25, v65, v25
	v_pk_add_f16 v65, v4, v15
	v_pk_max_f16 v61, v61, v61
	v_pk_add_f16 v4, v4, v17
	v_pk_max_f16 v53, v53, v53
	v_pk_max_f16 v68, v68, v68
	v_pk_min_f16 v69, v69, v92
	v_pk_max_f16 v66, v66, v66
	v_pk_add_f16 v92, v21, v15
	v_pk_max_f16 v63, v63, v63
	v_pk_min_f16 v64, v64, v81
	v_pk_add_f16 v81, v8, v15
	v_pk_min_f16 v61, v61, v65
	v_pk_min_f16 v65, v53, v4
	v_pk_add_f16 v4, v8, v17
	v_pk_max_f16 v8, v51, v51
	v_pk_min_f16 v68, v68, v100
	v_pk_add_f16 v100, v2, v15
	v_pk_max_f16 v62, v62, v62
	v_pk_min_f16 v66, v66, v73
	v_pk_min_f16 v63, v63, v92
	v_pk_add_f16 v73, v6, v15
	v_pk_max_f16 v60, v60, v60
	v_pk_add_f16 v92, v10, v15
	v_pk_add_f16 v10, v10, v17
	v_pk_max_f16 v50, v50, v50
	v_pk_min_f16 v8, v8, v4
	v_pk_add_f16 v4, v22, v32
	v_pk_max_f16 v77, v77, v77
	v_pk_max_f16 v67, v67, v67
	v_pk_min_f16 v62, v62, v100
	v_pk_min_f16 v60, v60, v73
	;; [unrolled: 1-line block ×3, first 2 shown]
	v_pk_add_f16 v10, v3, v32
	v_pk_min_f16 v100, v44, v4
	v_pk_add_f16 v4, v5, v32
	v_pk_min_f16 v77, v77, v112
	v_pk_min_f16 v67, v67, v108
	;; [unrolled: 1-line block ×3, first 2 shown]
	v_pk_add_f16 v10, v11, v32
	v_pk_min_f16 v112, v46, v4
	v_pk_add_f16 v4, v13, v32
	v_pk_max_f16 v59, v59, v59
	v_pk_add_f16 v15, v12, v15
	v_pk_min_f16 v109, v109, v10
	v_pk_add_f16 v10, v20, v34
	v_pk_min_f16 v131, v31, v4
	v_pk_add_f16 v4, v5, v34
	v_pk_add_f16 v19, v19, v17
	;; [unrolled: 1-line block ×3, first 2 shown]
	v_pk_min_f16 v107, v107, v10
	v_pk_add_f16 v10, v7, v34
	v_pk_min_f16 v104, v104, v4
	v_pk_add_f16 v4, v9, v34
	v_pk_add_f16 v2, v2, v17
	;; [unrolled: 1-line block ×4, first 2 shown]
	v_pk_max_f16 v17, v49, v49
	v_pk_min_f16 v103, v103, v10
	v_pk_add_f16 v10, v20, v28
	v_pk_min_f16 v102, v102, v4
	v_pk_add_f16 v4, v22, v28
	v_pk_min_f16 v59, v59, v81
	v_pk_min_f16 v81, v17, v12
	v_pk_add_f16 v12, v7, v32
	v_pk_min_f16 v99, v99, v10
	v_pk_add_f16 v10, v3, v28
	;; [unrolled: 2-line block ×3, first 2 shown]
	v_pk_max_f16 v110, v110, v110
	v_pk_max_f16 v58, v58, v58
	v_pk_add_f16 v49, v20, v32
	v_pk_min_f16 v111, v111, v12
	v_pk_add_f16 v12, v22, v34
	v_pk_min_f16 v97, v97, v10
	;; [unrolled: 2-line block ×4, first 2 shown]
	v_pk_max_f16 v105, v105, v105
	v_pk_min_f16 v58, v58, v92
	v_pk_min_f16 v92, v14, v49
	v_pk_add_f16 v14, v9, v32
	v_pk_min_f16 v106, v106, v12
	v_pk_add_f16 v12, v11, v34
	;; [unrolled: 2-line block ×4, first 2 shown]
	v_pk_min_f16 v105, v105, v123
	v_pk_min_f16 v110, v110, v14
	v_pk_add_f16 v14, v3, v34
	v_pk_min_f16 v101, v101, v12
	v_pk_add_f16 v12, v5, v28
	;; [unrolled: 2-line block ×4, first 2 shown]
	v_pk_max_f16 v95, v95, v95
	v_pk_min_f16 v105, v105, v14
	v_pk_add_f16 v14, v13, v34
	v_pk_min_f16 v96, v96, v12
	v_pk_add_f16 v12, v20, v30
	;; [unrolled: 2-line block ×4, first 2 shown]
	v_pk_min_f16 v95, v95, v120
	v_pk_min_f16 v132, v33, v14
	v_pk_add_f16 v14, v7, v28
	v_pk_min_f16 v91, v91, v12
	v_pk_add_f16 v12, v9, v30
	;; [unrolled: 2-line block ×4, first 2 shown]
	v_pk_max_f16 v82, v82, v82
	v_pk_max_f16 v54, v54, v54
	v_pk_min_f16 v95, v95, v14
	v_pk_add_f16 v14, v22, v30
	v_pk_min_f16 v83, v83, v12
	v_pk_add_f16 v12, v3, v24
	;; [unrolled: 2-line block ×4, first 2 shown]
	v_pk_min_f16 v82, v82, v113
	v_pk_max_f16 v57, v57, v57
	v_pk_max_f16 v56, v56, v56
	v_pk_min_f16 v2, v54, v2
	v_pk_min_f16 v90, v90, v14
	v_pk_add_f16 v14, v11, v30
	v_pk_min_f16 v78, v78, v12
	v_pk_add_f16 v12, v13, v24
	v_pk_min_f16 v74, v74, v10
	v_pk_add_f16 v10, v3, v26
	v_pk_min_f16 v54, v71, v4
	v_pk_add_f16 v4, v5, v26
	v_pk_min_f16 v15, v57, v15
	v_pk_max_f16 v52, v52, v52
	v_pk_min_f16 v19, v56, v19
	v_pk_min_f16 v82, v82, v14
	v_pk_add_f16 v14, v5, v24
	v_pk_min_f16 v57, v23, v12
	v_pk_add_f16 v12, v7, v26
	;; [unrolled: 2-line block ×4, first 2 shown]
	v_pk_max_f16 v55, v55, v55
	v_pk_min_f16 v6, v52, v6
	v_pk_min_f16 v77, v77, v14
	v_pk_add_f16 v14, v20, v26
	v_pk_min_f16 v52, v68, v12
	v_pk_min_f16 v50, v66, v10
	v_pk_add_f16 v10, v20, v16
	v_pk_add_f16 v12, v22, v16
	v_pk_min_f16 v49, v25, v4
	v_pk_add_f16 v4, v5, v16
	v_pk_min_f16 v21, v55, v21
	v_pk_min_f16 v55, v72, v14
	v_pk_add_f16 v14, v9, v26
	v_pk_min_f16 v46, v64, v10
	v_pk_min_f16 v44, v63, v12
	v_pk_add_f16 v10, v7, v16
	v_pk_min_f16 v30, v61, v4
	v_pk_add_f16 v4, v9, v16
	v_pk_add_f16 v12, v11, v16
	v_pk_min_f16 v51, v67, v14
	v_pk_add_f16 v14, v3, v16
	v_pk_min_f16 v31, v60, v10
	;; [unrolled: 2-line block ×3, first 2 shown]
	v_pk_min_f16 v27, v58, v12
	v_pk_add_f16 v4, v22, v18
	ds_read2_b64 v[23:26], v115 offset1:8
	ds_read2_b64 v[58:61], v89 offset1:32
	v_pk_min_f16 v43, v62, v14
	v_pk_add_f16 v14, v13, v16
	v_pk_min_f16 v10, v19, v10
	v_pk_min_f16 v34, v21, v4
	ds_read2_b64 v[19:22], v115 offset0:16 offset1:24
	v_pk_add_f16 v3, v3, v18
	v_pk_min_f16 v12, v15, v14
	ds_read2_b64 v[14:17], v115 offset0:32 offset1:40
	v_pk_add_f16 v28, v5, v18
	v_pk_max_f16 v92, v92, v92
	v_pk_min_f16 v33, v2, v3
	ds_read2_b64 v[2:5], v115 offset0:48 offset1:56
	v_pk_add_f16 v11, v11, v18
	v_pk_add_f16 v62, v13, v18
	v_pk_min_f16 v32, v65, v28
	v_pk_add_f16 v7, v7, v18
	v_pk_add_f16 v9, v9, v18
	v_pk_min_f16 v13, v73, v11
	v_pk_min_f16 v11, v81, v62
	s_waitcnt lgkmcnt(3)
	v_pk_add_f16 v66, v23, v58
	v_pk_add_f16 v67, v25, v58
	;; [unrolled: 1-line block ×5, first 2 shown]
	s_waitcnt lgkmcnt(2)
	v_pk_add_f16 v68, v19, v58
	v_pk_min_f16 v66, v92, v66
	v_pk_max_f16 v92, v108, v108
	s_waitcnt lgkmcnt(1)
	v_pk_add_f16 v71, v16, v58
	v_pk_add_f16 v150, v17, v59
	;; [unrolled: 1-line block ×4, first 2 shown]
	v_pk_min_f16 v68, v92, v68
	v_pk_max_f16 v92, v110, v110
	s_waitcnt lgkmcnt(0)
	v_pk_add_f16 v72, v2, v58
	v_pk_add_f16 v58, v4, v58
	;; [unrolled: 1-line block ×4, first 2 shown]
	v_pk_min_f16 v71, v92, v71
	v_pk_add_f16 v149, v15, v59
	v_pk_add_f16 v151, v3, v59
	;; [unrolled: 1-line block ×3, first 2 shown]
	v_pk_max_f16 v92, v107, v107
	v_pk_min_f16 v110, v71, v150
	v_pk_max_f16 v71, v131, v131
	v_pk_add_f16 v81, v25, v60
	v_pk_add_f16 v152, v24, v61
	v_pk_min_f16 v73, v92, v73
	v_pk_add_f16 v135, v19, v60
	v_pk_min_f16 v58, v71, v58
	v_pk_add_f16 v136, v21, v60
	ds_read2_b64 v[62:65], v89 offset0:64 offset1:96
	v_pk_min_f16 v107, v73, v152
	v_pk_max_f16 v73, v105, v105
	v_pk_min_f16 v108, v58, v59
	v_pk_max_f16 v58, v106, v106
	v_pk_add_f16 v154, v20, v61
	v_pk_add_f16 v155, v22, v61
	v_pk_min_f16 v73, v73, v135
	v_pk_add_f16 v137, v14, v60
	v_pk_min_f16 v58, v58, v81
	v_pk_max_f16 v81, v104, v104
	v_pk_add_f16 v138, v16, v60
	v_pk_min_f16 v105, v73, v154
	v_pk_max_f16 v73, v103, v103
	v_pk_add_f16 v139, v2, v60
	v_pk_min_f16 v81, v81, v136
	v_pk_add_f16 v156, v15, v61
	v_pk_add_f16 v157, v17, v61
	v_pk_min_f16 v73, v73, v137
	v_pk_max_f16 v92, v101, v101
	v_pk_min_f16 v104, v81, v155
	v_pk_max_f16 v81, v102, v102
	v_pk_min_f16 v28, v6, v7
	v_pk_min_f16 v18, v8, v9
	v_perm_b32 v36, v127, v36, 0x5040100
	ds_read2_b64 v[127:130], v89 offset0:128 offset1:160
	ds_read2_b64 v[6:9], v89 offset0:192 offset1:224
	v_pk_min_f16 v81, v81, v138
	v_pk_add_f16 v60, v4, v60
	v_pk_add_f16 v158, v3, v61
	v_pk_max_f16 v100, v100, v100
	v_pk_min_f16 v123, v66, v113
	v_pk_min_f16 v113, v68, v147
	v_pk_max_f16 v68, v111, v111
	v_pk_min_f16 v103, v73, v156
	v_pk_min_f16 v73, v92, v139
	;; [unrolled: 1-line block ×3, first 2 shown]
	v_pk_max_f16 v81, v132, v132
	s_waitcnt lgkmcnt(2)
	v_pk_add_f16 v140, v23, v62
	v_pk_add_f16 v142, v19, v62
	;; [unrolled: 1-line block ×4, first 2 shown]
	v_pk_min_f16 v67, v100, v67
	v_pk_min_f16 v68, v68, v70
	;; [unrolled: 1-line block ×3, first 2 shown]
	v_pk_max_f16 v73, v99, v99
	v_pk_min_f16 v60, v81, v60
	v_pk_max_f16 v92, v97, v97
	v_pk_add_f16 v141, v25, v62
	v_pk_min_f16 v120, v67, v120
	v_pk_max_f16 v67, v112, v112
	v_pk_min_f16 v111, v68, v149
	v_pk_max_f16 v68, v109, v109
	v_pk_max_f16 v81, v98, v98
	v_pk_min_f16 v73, v73, v140
	v_pk_add_f16 v97, v24, v63
	v_pk_min_f16 v92, v92, v142
	v_pk_min_f16 v100, v60, v61
	v_pk_add_f16 v60, v20, v63
	v_pk_add_f16 v144, v14, v62
	v_pk_min_f16 v67, v67, v69
	v_pk_min_f16 v68, v68, v72
	;; [unrolled: 1-line block ×3, first 2 shown]
	v_pk_add_f16 v98, v26, v63
	v_pk_min_f16 v99, v73, v97
	v_pk_min_f16 v97, v92, v60
	v_pk_max_f16 v60, v95, v95
	v_pk_add_f16 v143, v21, v62
	v_pk_add_f16 v145, v16, v62
	;; [unrolled: 1-line block ×12, first 2 shown]
	s_waitcnt lgkmcnt(1)
	v_pk_add_f16 v147, v23, v127
	v_pk_add_f16 v69, v25, v127
	;; [unrolled: 1-line block ×3, first 2 shown]
	v_pk_min_f16 v112, v67, v148
	v_pk_add_f16 v67, v21, v127
	v_pk_add_f16 v148, v14, v127
	;; [unrolled: 1-line block ×6, first 2 shown]
	v_pk_min_f16 v109, v68, v151
	v_pk_add_f16 v68, v25, v129
	v_pk_add_f16 v127, v19, v129
	;; [unrolled: 1-line block ×6, first 2 shown]
	v_pk_min_f16 v106, v58, v153
	v_pk_add_f16 v58, v4, v129
	s_waitcnt lgkmcnt(0)
	v_pk_add_f16 v129, v23, v6
	v_pk_add_f16 v136, v25, v6
	;; [unrolled: 1-line block ×12, first 2 shown]
	v_pk_max_f16 v61, v96, v96
	v_pk_min_f16 v98, v81, v98
	v_pk_add_f16 v14, v14, v8
	v_pk_add_f16 v16, v16, v8
	;; [unrolled: 1-line block ×3, first 2 shown]
	v_pk_max_f16 v81, v93, v93
	v_pk_min_f16 v60, v60, v144
	v_pk_add_f16 v93, v15, v63
	v_pk_add_f16 v4, v4, v8
	v_pk_max_f16 v8, v133, v133
	v_pk_min_f16 v61, v61, v143
	v_pk_add_f16 v92, v22, v63
	v_pk_min_f16 v95, v60, v93
	v_pk_add_f16 v60, v5, v63
	v_pk_min_f16 v8, v8, v62
	v_pk_min_f16 v81, v81, v146
	v_pk_min_f16 v96, v61, v92
	v_pk_add_f16 v61, v3, v63
	v_pk_max_f16 v62, v90, v90
	v_pk_min_f16 v92, v8, v60
	v_pk_max_f16 v8, v85, v85
	v_pk_add_f16 v60, v22, v65
	v_pk_min_f16 v93, v81, v61
	v_pk_add_f16 v81, v26, v65
	v_pk_min_f16 v62, v62, v160
	v_pk_min_f16 v8, v8, v162
	v_pk_max_f16 v73, v94, v94
	v_pk_add_f16 v94, v17, v63
	v_pk_max_f16 v61, v91, v91
	v_pk_min_f16 v90, v62, v81
	v_pk_max_f16 v62, v83, v83
	v_pk_min_f16 v85, v8, v60
	;; [unrolled: 2-line block ×3, first 2 shown]
	v_pk_add_f16 v81, v17, v65
	v_pk_min_f16 v62, v62, v66
	v_pk_add_f16 v60, v5, v65
	v_pk_min_f16 v8, v8, v64
	v_pk_min_f16 v94, v73, v94
	v_pk_max_f16 v73, v87, v87
	v_pk_min_f16 v83, v62, v81
	v_pk_add_f16 v63, v24, v65
	v_pk_min_f16 v81, v8, v60
	v_pk_max_f16 v8, v77, v77
	v_pk_min_f16 v61, v61, v159
	v_pk_add_f16 v87, v20, v65
	v_pk_min_f16 v73, v73, v161
	v_pk_add_f16 v60, v22, v128
	v_pk_min_f16 v8, v8, v67
	v_pk_min_f16 v91, v61, v63
	v_pk_max_f16 v61, v84, v84
	v_pk_min_f16 v87, v73, v87
	v_pk_max_f16 v73, v82, v82
	v_pk_min_f16 v77, v8, v60
	v_pk_max_f16 v8, v57, v57
	v_pk_add_f16 v63, v15, v65
	v_pk_min_f16 v61, v61, v163
	v_pk_add_f16 v66, v3, v65
	v_pk_min_f16 v73, v73, v164
	;; [unrolled: 2-line block ×3, first 2 shown]
	v_pk_min_f16 v84, v61, v63
	v_pk_max_f16 v61, v80, v80
	v_pk_min_f16 v82, v73, v66
	v_pk_max_f16 v62, v79, v79
	v_pk_min_f16 v73, v8, v57
	v_pk_max_f16 v8, v53, v53
	v_pk_add_f16 v63, v24, v128
	v_pk_min_f16 v61, v61, v147
	v_pk_add_f16 v65, v26, v128
	v_pk_min_f16 v62, v62, v69
	;; [unrolled: 2-line block ×3, first 2 shown]
	v_pk_max_f16 v64, v78, v78
	v_pk_min_f16 v80, v61, v63
	v_pk_min_f16 v79, v62, v65
	v_pk_max_f16 v61, v76, v76
	v_pk_max_f16 v62, v75, v75
	v_pk_min_f16 v69, v8, v53
	v_pk_max_f16 v8, v49, v49
	v_pk_add_f16 v66, v20, v128
	v_pk_min_f16 v64, v64, v70
	v_pk_add_f16 v63, v15, v128
	v_pk_min_f16 v61, v61, v148
	;; [unrolled: 2-line block ×3, first 2 shown]
	v_pk_max_f16 v55, v55, v55
	v_pk_max_f16 v54, v54, v54
	;; [unrolled: 1-line block ×3, first 2 shown]
	v_pk_add_f16 v49, v5, v130
	v_pk_min_f16 v8, v8, v58
	v_pk_min_f16 v78, v64, v66
	v_pk_max_f16 v64, v74, v74
	v_pk_min_f16 v76, v61, v63
	v_pk_min_f16 v75, v62, v65
	v_pk_add_f16 v60, v24, v130
	v_pk_min_f16 v55, v55, v71
	v_pk_add_f16 v61, v26, v130
	;; [unrolled: 2-line block ×3, first 2 shown]
	v_pk_min_f16 v56, v56, v127
	v_pk_max_f16 v52, v52, v52
	v_pk_max_f16 v51, v51, v51
	v_pk_max_f16 v50, v50, v50
	v_pk_min_f16 v65, v8, v49
	v_pk_max_f16 v8, v30, v30
	v_pk_add_f16 v66, v3, v128
	v_pk_min_f16 v64, v64, v131
	v_pk_min_f16 v72, v55, v60
	;; [unrolled: 1-line block ×4, first 2 shown]
	v_pk_add_f16 v54, v15, v130
	v_pk_min_f16 v52, v52, v150
	v_pk_add_f16 v55, v17, v130
	v_pk_min_f16 v51, v51, v151
	;; [unrolled: 2-line block ×3, first 2 shown]
	v_pk_max_f16 v46, v46, v46
	v_pk_max_f16 v44, v44, v44
	;; [unrolled: 1-line block ×3, first 2 shown]
	v_pk_add_f16 v30, v22, v7
	v_pk_min_f16 v8, v8, v137
	v_pk_min_f16 v74, v64, v66
	;; [unrolled: 1-line block ×5, first 2 shown]
	v_pk_add_f16 v50, v24, v7
	v_pk_min_f16 v46, v46, v129
	v_pk_add_f16 v51, v26, v7
	v_pk_min_f16 v44, v44, v136
	;; [unrolled: 2-line block ×3, first 2 shown]
	v_pk_min_f16 v61, v8, v30
	v_pk_max_f16 v8, v12, v12
	v_pk_max_f16 v10, v10, v10
	v_pk_min_f16 v64, v46, v50
	v_pk_min_f16 v63, v44, v51
	;; [unrolled: 1-line block ×3, first 2 shown]
	v_pk_add_f16 v43, v15, v7
	v_pk_add_f16 v44, v17, v7
	;; [unrolled: 1-line block ×4, first 2 shown]
	v_pk_min_f16 v6, v8, v6
	v_pk_max_f16 v8, v34, v34
	v_pk_add_f16 v12, v24, v9
	v_pk_min_f16 v10, v10, v23
	v_pk_max_f16 v31, v31, v31
	v_pk_max_f16 v29, v29, v29
	;; [unrolled: 1-line block ×4, first 2 shown]
	v_pk_add_f16 v23, v26, v9
	v_pk_min_f16 v8, v8, v25
	v_pk_min_f16 v57, v6, v7
	;; [unrolled: 1-line block ×3, first 2 shown]
	v_pk_max_f16 v6, v32, v32
	v_pk_max_f16 v7, v28, v28
	;; [unrolled: 1-line block ×5, first 2 shown]
	v_pk_min_f16 v31, v31, v138
	v_pk_min_f16 v29, v29, v153
	;; [unrolled: 1-line block ×3, first 2 shown]
	v_pk_add_f16 v20, v20, v9
	v_pk_min_f16 v19, v24, v19
	v_pk_min_f16 v55, v8, v23
	v_pk_add_f16 v8, v22, v9
	v_pk_min_f16 v6, v6, v21
	v_pk_add_f16 v10, v15, v9
	;; [unrolled: 2-line block ×5, first 2 shown]
	v_pk_min_f16 v4, v11, v4
	v_add_co_u32 v37, vcc_lo, v37, 16
	v_add_co_ci_u32_e64 v38, null, 0, v38, vcc_lo
	v_add_co_u32 v121, vcc_lo, v121, s6
	v_pk_min_f16 v60, v31, v43
	v_pk_min_f16 v59, v29, v44
	;; [unrolled: 1-line block ×9, first 2 shown]
	v_perm_b32 v44, v126, v125, 0x5040100
	v_add_co_ci_u32_e64 v122, null, s7, v122, vcc_lo
	s_add_i32 s12, s12, 8
	ds_write_b16 v116, v124
	ds_write_b16 v117, v45
	ds_write_b16_d16_hi v117, v45 offset:512
	ds_write_b16 v117, v125 offset:1024
	ds_write_b16 v117, v126 offset:1536
	s_cmp_ge_i32 s12, s14
	s_waitcnt lgkmcnt(0)
	s_barrier
	buffer_gl0_inv
	s_cbranch_scc0 .LBB225_26
.LBB225_47:
	s_load_dword s6, s[4:5], 0x58
	v_add_nc_u32_e32 v86, s18, v1
	ds_read_b64 v[30:31], v88 offset:4608
	ds_read_b64 v[46:47], v89 offset:2048
	v_add_nc_u32_e32 v44, s3, v0
	v_cmp_neq_f16_e64 s2, 0, v48
	v_mov_b32_e32 v34, 0
	v_ashrrev_i32_e32 v45, 31, v44
	s_and_b32 vcc_lo, exec_lo, s2
	v_lshlrev_b64 v[28:29], 1, v[44:45]
	s_waitcnt lgkmcnt(0)
	v_mad_i64_i32 v[1:2], null, v86, s6, 0
	v_lshlrev_b64 v[0:1], 1, v[1:2]
	v_add_co_u32 v114, s1, s8, v0
	v_add_co_ci_u32_e64 v115, null, s9, v1, s1
	v_mov_b32_e32 v0, 0
	s_cbranch_vccz .LBB225_49
; %bb.48:
	v_add_co_u32 v0, vcc_lo, v114, v28
	v_add_co_ci_u32_e64 v1, null, v115, v29, vcc_lo
	flat_load_ushort v0, v[0:1]
	s_waitcnt vmcnt(0) lgkmcnt(0)
	v_mul_f16_e32 v0, v48, v0
	v_cvt_f32_f16_e32 v0, v0
.LBB225_49:
	s_clause 0x1
	s_load_dword s3, s[4:5], 0x70
	s_load_dwordx2 s[4:5], s[4:5], 0x78
	v_pk_add_f16 v2, v30, v46
	v_pk_add_f16 v13, v31, v47
	v_max_f16_e32 v3, v123, v123
	v_lshrrev_b32_e32 v4, 16, v123
	v_add_nc_u32_e32 v1, 0x1000, v88
	v_lshrrev_b32_e32 v5, 16, v2
	v_lshrrev_b32_e32 v6, 16, v13
	v_add_nc_u32_e32 v12, 0x800, v89
	v_min_f16_e32 v14, v3, v2
	ds_read_b64 v[24:25], v88 offset:5056
	ds_read_b64 v[26:27], v89 offset:3840
	v_min3_f16 v15, v4, v5, v6
	v_max_f32_e32 v37, v0, v0
	ds_read2_b64 v[8:11], v1 offset0:72 offset1:80
	ds_read2_b64 v[4:7], v1 offset0:88 offset1:96
	;; [unrolled: 1-line block ×3, first 2 shown]
	v_min3_f16 v33, v14, v13, v15
	ds_read2_b64 v[20:23], v12 offset0:32 offset1:64
	ds_read2_b64 v[16:19], v12 offset0:96 offset1:128
	;; [unrolled: 1-line block ×3, first 2 shown]
	s_waitcnt lgkmcnt(0)
	v_mad_i64_i32 v[35:36], null, v86, s3, 0
	v_add_nc_u32_e32 v32, 8, v44
	s_lshl_b64 s[4:5], s[4:5], 1
	v_cvt_f32_f16_e32 v39, v33
	s_add_u32 s4, s10, s4
	s_addc_u32 s5, s11, s5
	v_ashrrev_i32_e32 v33, 31, v32
	v_lshlrev_b64 v[35:36], 1, v[35:36]
	v_cndmask_b32_e64 v38, 0, 1, s2
	v_min_f32_e32 v37, v37, v39
	v_lshlrev_b64 v[32:33], 1, v[32:33]
	v_cmp_ne_u32_e64 s1, 1, v38
	v_add_co_u32 v88, vcc_lo, s4, v35
	v_add_co_ci_u32_e64 v89, null, s5, v36, vcc_lo
	v_cvt_f16_f32_e32 v37, v37
	v_add_co_u32 v35, vcc_lo, v88, v28
	v_add_co_ci_u32_e64 v36, null, v89, v29, vcc_lo
	s_andn2_b32 vcc_lo, exec_lo, s2
	flat_store_short v[35:36], v37
	s_cbranch_vccnz .LBB225_51
; %bb.50:
	v_add_co_u32 v34, vcc_lo, v114, v32
	v_add_co_ci_u32_e64 v35, null, v115, v33, vcc_lo
	flat_load_ushort v34, v[34:35]
	s_waitcnt vmcnt(0) lgkmcnt(0)
	v_mul_f16_e32 v34, v48, v34
	v_cvt_f32_f16_e32 v34, v34
.LBB225_51:
	v_pk_add_f16 v35, v8, v46
	v_pk_add_f16 v36, v9, v47
	v_max_f16_e32 v37, v120, v120
	v_lshrrev_b32_e32 v38, 16, v120
	v_max_f32_e32 v34, v34, v34
	v_lshrrev_b32_e32 v39, 16, v35
	v_lshrrev_b32_e32 v40, 16, v36
	v_min_f16_e32 v35, v37, v35
	v_min3_f16 v37, v38, v39, v40
	v_add_co_u32 v39, vcc_lo, v88, v32
	v_add_co_ci_u32_e64 v40, null, v89, v33, vcc_lo
	v_min3_f16 v36, v35, v36, v37
	v_add_nc_u32_e32 v35, 16, v44
	v_mov_b32_e32 v38, 0
	s_and_b32 vcc_lo, exec_lo, s1
	v_cvt_f32_f16_e32 v37, v36
	v_ashrrev_i32_e32 v36, 31, v35
	v_min_f32_e32 v34, v34, v37
	v_cvt_f16_f32_e32 v37, v34
	v_lshlrev_b64 v[34:35], 1, v[35:36]
	v_mov_b32_e32 v36, 0
	flat_store_short v[39:40], v37
	s_cbranch_vccnz .LBB225_53
; %bb.52:
	v_add_co_u32 v36, vcc_lo, v114, v34
	v_add_co_ci_u32_e64 v37, null, v115, v35, vcc_lo
	flat_load_ushort v36, v[36:37]
	s_waitcnt vmcnt(0) lgkmcnt(0)
	v_mul_f16_e32 v36, v48, v36
	v_cvt_f32_f16_e32 v36, v36
.LBB225_53:
	v_pk_add_f16 v37, v10, v46
	v_pk_add_f16 v39, v11, v47
	v_max_f16_e32 v40, v113, v113
	v_lshrrev_b32_e32 v41, 16, v113
	v_max_f32_e32 v36, v36, v36
	v_lshrrev_b32_e32 v42, 16, v37
	v_lshrrev_b32_e32 v43, 16, v39
	v_min_f16_e32 v37, v40, v37
	v_min3_f16 v40, v41, v42, v43
	v_add_co_u32 v41, vcc_lo, v88, v34
	v_add_co_ci_u32_e64 v42, null, v89, v35, vcc_lo
	v_min3_f16 v37, v37, v39, v40
	v_add_nc_u32_e32 v39, 24, v44
	s_and_b32 vcc_lo, exec_lo, s1
	v_cvt_f32_f16_e32 v37, v37
	v_ashrrev_i32_e32 v40, 31, v39
	v_min_f32_e32 v36, v36, v37
	v_cvt_f16_f32_e32 v43, v36
	v_lshlrev_b64 v[36:37], 1, v[39:40]
	flat_store_short v[41:42], v43
	s_cbranch_vccnz .LBB225_55
; %bb.54:
	v_add_co_u32 v38, vcc_lo, v114, v36
	v_add_co_ci_u32_e64 v39, null, v115, v37, vcc_lo
	flat_load_ushort v38, v[38:39]
	s_waitcnt vmcnt(0) lgkmcnt(0)
	v_mul_f16_e32 v38, v48, v38
	v_cvt_f32_f16_e32 v38, v38
.LBB225_55:
	v_pk_add_f16 v39, v4, v46
	v_pk_add_f16 v40, v5, v47
	v_max_f16_e32 v41, v112, v112
	v_lshrrev_b32_e32 v42, 16, v112
	v_max_f32_e32 v38, v38, v38
	v_lshrrev_b32_e32 v43, 16, v39
	v_lshrrev_b32_e32 v45, 16, v40
	v_min_f16_e32 v39, v41, v39
	v_add_co_u32 v112, vcc_lo, v88, v36
	v_add_co_ci_u32_e64 v113, null, v89, v37, vcc_lo
	v_min3_f16 v41, v42, v43, v45
	s_and_b32 vcc_lo, exec_lo, s1
	v_min3_f16 v40, v39, v40, v41
	v_add_nc_u32_e32 v39, 32, v44
	v_cvt_f32_f16_e32 v41, v40
	v_ashrrev_i32_e32 v40, 31, v39
	v_min_f32_e32 v41, v38, v41
	v_lshlrev_b64 v[42:43], 1, v[39:40]
	v_mov_b32_e32 v38, 0
	v_mov_b32_e32 v39, 0
	v_cvt_f16_f32_e32 v41, v41
	flat_store_short v[112:113], v41
	s_cbranch_vccnz .LBB225_57
; %bb.56:
	v_add_co_u32 v39, vcc_lo, v114, v42
	v_add_co_ci_u32_e64 v40, null, v115, v43, vcc_lo
	flat_load_ushort v39, v[39:40]
	s_waitcnt vmcnt(0) lgkmcnt(0)
	v_mul_f16_e32 v39, v48, v39
	v_cvt_f32_f16_e32 v39, v39
.LBB225_57:
	v_pk_add_f16 v40, v6, v46
	v_pk_add_f16 v41, v7, v47
	v_max_f16_e32 v45, v111, v111
	v_lshrrev_b32_e32 v111, 16, v111
	v_max_f32_e32 v39, v39, v39
	v_lshrrev_b32_e32 v112, 16, v40
	v_lshrrev_b32_e32 v113, 16, v41
	v_min_f16_e32 v40, v45, v40
	v_min3_f16 v45, v111, v112, v113
	v_add_co_u32 v111, vcc_lo, v88, v42
	v_add_co_ci_u32_e64 v112, null, v89, v43, vcc_lo
	v_min3_f16 v41, v40, v41, v45
	v_add_nc_u32_e32 v40, 40, v44
	s_and_b32 vcc_lo, exec_lo, s1
	v_cvt_f32_f16_e32 v45, v41
	v_ashrrev_i32_e32 v41, 31, v40
	v_min_f32_e32 v39, v39, v45
	v_lshlrev_b64 v[40:41], 1, v[40:41]
	v_cvt_f16_f32_e32 v39, v39
	flat_store_short v[111:112], v39
	s_cbranch_vccnz .LBB225_59
; %bb.58:
	v_add_co_u32 v38, vcc_lo, v114, v40
	v_add_co_ci_u32_e64 v39, null, v115, v41, vcc_lo
	flat_load_ushort v38, v[38:39]
	s_waitcnt vmcnt(0) lgkmcnt(0)
	v_mul_f16_e32 v38, v48, v38
	v_cvt_f32_f16_e32 v38, v38
.LBB225_59:
	v_pk_add_f16 v39, v0, v46
	v_pk_add_f16 v45, v1, v47
	v_max_f16_e32 v111, v110, v110
	v_lshrrev_b32_e32 v110, 16, v110
	v_max_f32_e32 v38, v38, v38
	v_lshrrev_b32_e32 v112, 16, v39
	v_lshrrev_b32_e32 v113, 16, v45
	v_min_f16_e32 v39, v111, v39
	v_add_nc_u32_e32 v111, 48, v44
	v_add_co_u32 v116, vcc_lo, v88, v40
	v_min3_f16 v110, v110, v112, v113
	v_add_co_ci_u32_e64 v117, null, v89, v41, vcc_lo
	v_ashrrev_i32_e32 v112, 31, v111
	s_and_b32 vcc_lo, exec_lo, s1
	v_min3_f16 v39, v39, v45, v110
	v_mov_b32_e32 v110, 0
	v_mov_b32_e32 v45, 0
	v_cvt_f32_f16_e32 v39, v39
	v_min_f32_e32 v38, v38, v39
	v_cvt_f16_f32_e32 v113, v38
	v_lshlrev_b64 v[38:39], 1, v[111:112]
	flat_store_short v[116:117], v113
	s_cbranch_vccnz .LBB225_61
; %bb.60:
	v_add_co_u32 v111, vcc_lo, v114, v38
	v_add_co_ci_u32_e64 v112, null, v115, v39, vcc_lo
	flat_load_ushort v45, v[111:112]
	s_waitcnt vmcnt(0) lgkmcnt(0)
	v_mul_f16_e32 v45, v48, v45
	v_cvt_f32_f16_e32 v45, v45
.LBB225_61:
	v_pk_add_f16 v111, v2, v46
	v_pk_add_f16 v112, v3, v47
	v_max_f16_e32 v113, v109, v109
	v_lshrrev_b32_e32 v109, 16, v109
	v_add_nc_u32_e32 v44, 56, v44
	v_lshrrev_b32_e32 v116, 16, v111
	v_lshrrev_b32_e32 v117, 16, v112
	v_min_f16_e32 v111, v113, v111
	v_min3_f16 v109, v109, v116, v117
	v_min3_f16 v109, v111, v112, v109
	v_max_f32_e32 v111, v45, v45
	v_ashrrev_i32_e32 v45, 31, v44
	v_cvt_f32_f16_e32 v109, v109
	v_lshlrev_b64 v[44:45], 1, v[44:45]
	v_min_f32_e32 v109, v111, v109
	v_add_co_u32 v111, vcc_lo, v88, v38
	v_add_co_ci_u32_e64 v112, null, v89, v39, vcc_lo
	v_cvt_f16_f32_e32 v109, v109
	s_and_b32 vcc_lo, exec_lo, s1
	flat_store_short v[111:112], v109
	s_cbranch_vccnz .LBB225_63
; %bb.62:
	v_add_co_u32 v109, vcc_lo, v114, v44
	v_add_co_ci_u32_e64 v110, null, v115, v45, vcc_lo
	flat_load_ushort v109, v[109:110]
	s_waitcnt vmcnt(0) lgkmcnt(0)
	v_mul_f16_e32 v109, v48, v109
	v_cvt_f32_f16_e32 v110, v109
.LBB225_63:
	v_pk_add_f16 v46, v24, v46
	v_pk_add_f16 v111, v25, v47
	v_max_f16_e32 v47, v108, v108
	v_lshrrev_b32_e32 v108, 16, v108
	v_add_nc_u32_e32 v109, 32, v86
	v_lshrrev_b32_e32 v112, 16, v46
	v_lshrrev_b32_e32 v113, 16, v111
	v_min_f16_e32 v114, v47, v46
	v_mad_i64_i32 v[46:47], null, v109, s6, 0
	v_min3_f16 v108, v108, v112, v113
	v_max_f32_e32 v112, v110, v110
	v_add_co_u32 v110, vcc_lo, v88, v44
	v_min3_f16 v108, v114, v111, v108
	v_lshlrev_b64 v[46:47], 1, v[46:47]
	v_add_co_ci_u32_e64 v111, null, v89, v45, vcc_lo
	v_cvt_f32_f16_e32 v108, v108
	v_add_co_u32 v46, vcc_lo, s8, v46
	v_add_co_ci_u32_e64 v47, null, s9, v47, vcc_lo
	v_min_f32_e32 v88, v112, v108
	v_mov_b32_e32 v108, 0
	s_and_b32 vcc_lo, exec_lo, s1
	v_cvt_f16_f32_e32 v89, v88
	v_mov_b32_e32 v88, 0
	flat_store_short v[110:111], v89
	s_cbranch_vccnz .LBB225_65
; %bb.64:
	v_add_co_u32 v88, vcc_lo, v46, v28
	v_add_co_ci_u32_e64 v89, null, v47, v29, vcc_lo
	flat_load_ushort v88, v[88:89]
	s_waitcnt vmcnt(0) lgkmcnt(0)
	v_mul_f16_e32 v88, v48, v88
	v_cvt_f32_f16_e32 v88, v88
.LBB225_65:
	v_pk_add_f16 v89, v30, v20
	v_pk_add_f16 v111, v31, v21
	v_max_f16_e32 v110, v107, v107
	v_lshrrev_b32_e32 v107, 16, v107
	v_lshrrev_b32_e32 v112, 16, v89
	;; [unrolled: 1-line block ×3, first 2 shown]
	v_min_f16_e32 v89, v110, v89
	v_mad_i64_i32 v[109:110], null, v109, s3, 0
	v_min3_f16 v107, v107, v112, v113
	v_min3_f16 v89, v89, v111, v107
	v_max_f32_e32 v107, v88, v88
	v_cvt_f32_f16_e32 v111, v89
	v_lshlrev_b64 v[88:89], 1, v[109:110]
	v_min_f32_e32 v107, v107, v111
	v_add_co_u32 v88, vcc_lo, s4, v88
	v_add_co_ci_u32_e64 v89, null, s5, v89, vcc_lo
	v_cvt_f16_f32_e32 v107, v107
	v_add_co_u32 v109, vcc_lo, v88, v28
	v_add_co_ci_u32_e64 v110, null, v89, v29, vcc_lo
	s_and_b32 vcc_lo, exec_lo, s1
	flat_store_short v[109:110], v107
	s_cbranch_vccnz .LBB225_67
; %bb.66:
	v_add_co_u32 v107, vcc_lo, v46, v32
	v_add_co_ci_u32_e64 v108, null, v47, v33, vcc_lo
	flat_load_ushort v107, v[107:108]
	s_waitcnt vmcnt(0) lgkmcnt(0)
	v_mul_f16_e32 v107, v48, v107
	v_cvt_f32_f16_e32 v108, v107
.LBB225_67:
	v_pk_add_f16 v107, v8, v20
	v_pk_add_f16 v109, v9, v21
	v_max_f16_e32 v110, v106, v106
	v_lshrrev_b32_e32 v106, 16, v106
	v_lshrrev_b32_e32 v111, 16, v107
	v_lshrrev_b32_e32 v112, 16, v109
	v_min_f16_e32 v107, v110, v107
	v_min3_f16 v106, v106, v111, v112
	v_min3_f16 v106, v107, v109, v106
	v_max_f32_e32 v107, v108, v108
	v_add_co_u32 v108, vcc_lo, v88, v32
	v_add_co_ci_u32_e64 v109, null, v89, v33, vcc_lo
	v_cvt_f32_f16_e32 v106, v106
	s_and_b32 vcc_lo, exec_lo, s1
	v_min_f32_e32 v106, v107, v106
	v_mov_b32_e32 v107, 0
	v_cvt_f16_f32_e32 v110, v106
	v_mov_b32_e32 v106, 0
	flat_store_short v[108:109], v110
	s_cbranch_vccnz .LBB225_69
; %bb.68:
	v_add_co_u32 v107, vcc_lo, v46, v34
	v_add_co_ci_u32_e64 v108, null, v47, v35, vcc_lo
	flat_load_ushort v107, v[107:108]
	s_waitcnt vmcnt(0) lgkmcnt(0)
	v_mul_f16_e32 v107, v48, v107
	v_cvt_f32_f16_e32 v107, v107
.LBB225_69:
	v_pk_add_f16 v108, v10, v20
	v_pk_add_f16 v109, v11, v21
	v_max_f16_e32 v110, v105, v105
	v_lshrrev_b32_e32 v105, 16, v105
	v_max_f32_e32 v107, v107, v107
	v_lshrrev_b32_e32 v111, 16, v108
	v_lshrrev_b32_e32 v112, 16, v109
	v_min_f16_e32 v108, v110, v108
	v_min3_f16 v105, v105, v111, v112
	v_min3_f16 v105, v108, v109, v105
	v_cvt_f32_f16_e32 v105, v105
	v_min_f32_e32 v105, v107, v105
	v_add_co_u32 v107, vcc_lo, v88, v34
	v_add_co_ci_u32_e64 v108, null, v89, v35, vcc_lo
	v_cvt_f16_f32_e32 v105, v105
	s_and_b32 vcc_lo, exec_lo, s1
	flat_store_short v[107:108], v105
	s_cbranch_vccnz .LBB225_71
; %bb.70:
	v_add_co_u32 v105, vcc_lo, v46, v36
	v_add_co_ci_u32_e64 v106, null, v47, v37, vcc_lo
	flat_load_ushort v105, v[105:106]
	s_waitcnt vmcnt(0) lgkmcnt(0)
	v_mul_f16_e32 v105, v48, v105
	v_cvt_f32_f16_e32 v106, v105
.LBB225_71:
	v_pk_add_f16 v105, v4, v20
	v_pk_add_f16 v107, v5, v21
	v_max_f16_e32 v108, v104, v104
	v_lshrrev_b32_e32 v104, 16, v104
	v_lshrrev_b32_e32 v109, 16, v105
	v_lshrrev_b32_e32 v110, 16, v107
	v_min_f16_e32 v105, v108, v105
	v_min3_f16 v104, v104, v109, v110
	v_min3_f16 v104, v105, v107, v104
	v_max_f32_e32 v105, v106, v106
	v_add_co_u32 v106, vcc_lo, v88, v36
	v_add_co_ci_u32_e64 v107, null, v89, v37, vcc_lo
	v_cvt_f32_f16_e32 v104, v104
	s_and_b32 vcc_lo, exec_lo, s1
	v_min_f32_e32 v104, v105, v104
	v_mov_b32_e32 v105, 0
	v_cvt_f16_f32_e32 v108, v104
	v_mov_b32_e32 v104, 0
	flat_store_short v[106:107], v108
	s_cbranch_vccnz .LBB225_73
; %bb.72:
	v_add_co_u32 v105, vcc_lo, v46, v42
	v_add_co_ci_u32_e64 v106, null, v47, v43, vcc_lo
	flat_load_ushort v105, v[105:106]
	s_waitcnt vmcnt(0) lgkmcnt(0)
	v_mul_f16_e32 v105, v48, v105
	v_cvt_f32_f16_e32 v105, v105
.LBB225_73:
	v_pk_add_f16 v106, v6, v20
	v_pk_add_f16 v107, v7, v21
	v_max_f16_e32 v108, v103, v103
	v_lshrrev_b32_e32 v103, 16, v103
	v_max_f32_e32 v105, v105, v105
	v_lshrrev_b32_e32 v109, 16, v106
	v_lshrrev_b32_e32 v110, 16, v107
	v_min_f16_e32 v106, v108, v106
	v_min3_f16 v103, v103, v109, v110
	v_min3_f16 v103, v106, v107, v103
	v_cvt_f32_f16_e32 v103, v103
	v_min_f32_e32 v103, v105, v103
	v_add_co_u32 v105, vcc_lo, v88, v42
	v_add_co_ci_u32_e64 v106, null, v89, v43, vcc_lo
	v_cvt_f16_f32_e32 v103, v103
	;; [unrolled: 54-line block ×3, first 2 shown]
	s_and_b32 vcc_lo, exec_lo, s1
	flat_store_short v[103:104], v101
	s_cbranch_vccnz .LBB225_79
; %bb.78:
	v_add_co_u32 v46, vcc_lo, v46, v44
	v_add_co_ci_u32_e64 v47, null, v47, v45, vcc_lo
	flat_load_ushort v46, v[46:47]
	s_waitcnt vmcnt(0) lgkmcnt(0)
	v_mul_f16_e32 v46, v48, v46
	v_cvt_f32_f16_e32 v102, v46
.LBB225_79:
	v_pk_add_f16 v20, v24, v20
	v_pk_add_f16 v47, v25, v21
	v_max_f16_e32 v21, v100, v100
	v_lshrrev_b32_e32 v100, 16, v100
	v_add_nc_u32_e32 v46, 64, v86
	v_lshrrev_b32_e32 v101, 16, v20
	v_lshrrev_b32_e32 v103, 16, v47
	v_min_f16_e32 v104, v21, v20
	v_max_f32_e32 v102, v102, v102
	v_mad_i64_i32 v[20:21], null, v46, s6, 0
	v_min3_f16 v100, v100, v101, v103
	v_min3_f16 v47, v104, v47, v100
	v_lshlrev_b64 v[20:21], 1, v[20:21]
	v_add_co_u32 v100, vcc_lo, v88, v44
	v_add_co_ci_u32_e64 v101, null, v89, v45, vcc_lo
	v_cvt_f32_f16_e32 v47, v47
	v_add_co_u32 v20, vcc_lo, s8, v20
	v_add_co_ci_u32_e64 v21, null, s9, v21, vcc_lo
	v_min_f32_e32 v47, v102, v47
	v_mov_b32_e32 v88, 0
	s_and_b32 vcc_lo, exec_lo, s1
	v_cvt_f16_f32_e32 v89, v47
	v_mov_b32_e32 v47, 0
	flat_store_short v[100:101], v89
	s_cbranch_vccnz .LBB225_81
; %bb.80:
	v_add_co_u32 v100, vcc_lo, v20, v28
	v_add_co_ci_u32_e64 v101, null, v21, v29, vcc_lo
	flat_load_ushort v47, v[100:101]
	s_waitcnt vmcnt(0) lgkmcnt(0)
	v_mul_f16_e32 v47, v48, v47
	v_cvt_f32_f16_e32 v47, v47
.LBB225_81:
	v_pk_add_f16 v89, v30, v22
	v_pk_add_f16 v101, v31, v23
	v_max_f16_e32 v100, v99, v99
	v_lshrrev_b32_e32 v99, 16, v99
	v_lshrrev_b32_e32 v102, 16, v89
	;; [unrolled: 1-line block ×3, first 2 shown]
	v_min_f16_e32 v89, v100, v89
	v_min3_f16 v102, v99, v102, v103
	v_mad_i64_i32 v[99:100], null, v46, s3, 0
	v_min3_f16 v46, v89, v101, v102
	v_max_f32_e32 v89, v47, v47
	v_cvt_f32_f16_e32 v101, v46
	v_lshlrev_b64 v[46:47], 1, v[99:100]
	v_min_f32_e32 v89, v89, v101
	v_add_co_u32 v46, vcc_lo, s4, v46
	v_add_co_ci_u32_e64 v47, null, s5, v47, vcc_lo
	v_cvt_f16_f32_e32 v89, v89
	v_add_co_u32 v99, vcc_lo, v46, v28
	v_add_co_ci_u32_e64 v100, null, v47, v29, vcc_lo
	s_and_b32 vcc_lo, exec_lo, s1
	flat_store_short v[99:100], v89
	s_cbranch_vccnz .LBB225_83
; %bb.82:
	v_add_co_u32 v88, vcc_lo, v20, v32
	v_add_co_ci_u32_e64 v89, null, v21, v33, vcc_lo
	flat_load_ushort v88, v[88:89]
	s_waitcnt vmcnt(0) lgkmcnt(0)
	v_mul_f16_e32 v88, v48, v88
	v_cvt_f32_f16_e32 v88, v88
.LBB225_83:
	v_pk_add_f16 v89, v8, v22
	v_pk_add_f16 v99, v9, v23
	v_max_f16_e32 v100, v98, v98
	v_lshrrev_b32_e32 v98, 16, v98
	v_max_f32_e32 v88, v88, v88
	v_lshrrev_b32_e32 v101, 16, v89
	v_lshrrev_b32_e32 v102, 16, v99
	v_min_f16_e32 v89, v100, v89
	v_min3_f16 v98, v98, v101, v102
	v_min3_f16 v89, v89, v99, v98
	v_add_co_u32 v98, vcc_lo, v46, v32
	v_add_co_ci_u32_e64 v99, null, v47, v33, vcc_lo
	v_cvt_f32_f16_e32 v89, v89
	s_and_b32 vcc_lo, exec_lo, s1
	v_min_f32_e32 v88, v88, v89
	v_mov_b32_e32 v89, 0
	v_cvt_f16_f32_e32 v100, v88
	v_mov_b32_e32 v88, 0
	flat_store_short v[98:99], v100
	s_cbranch_vccnz .LBB225_85
; %bb.84:
	v_add_co_u32 v98, vcc_lo, v20, v34
	v_add_co_ci_u32_e64 v99, null, v21, v35, vcc_lo
	flat_load_ushort v89, v[98:99]
	s_waitcnt vmcnt(0) lgkmcnt(0)
	v_mul_f16_e32 v89, v48, v89
	v_cvt_f32_f16_e32 v89, v89
.LBB225_85:
	v_pk_add_f16 v98, v10, v22
	v_pk_add_f16 v99, v11, v23
	v_max_f16_e32 v100, v97, v97
	v_lshrrev_b32_e32 v97, 16, v97
	v_max_f32_e32 v89, v89, v89
	v_lshrrev_b32_e32 v101, 16, v98
	v_lshrrev_b32_e32 v102, 16, v99
	v_min_f16_e32 v98, v100, v98
	v_min3_f16 v97, v97, v101, v102
	v_min3_f16 v97, v98, v99, v97
	v_cvt_f32_f16_e32 v97, v97
	v_min_f32_e32 v89, v89, v97
	v_add_co_u32 v97, vcc_lo, v46, v34
	v_add_co_ci_u32_e64 v98, null, v47, v35, vcc_lo
	v_cvt_f16_f32_e32 v89, v89
	s_and_b32 vcc_lo, exec_lo, s1
	flat_store_short v[97:98], v89
	s_cbranch_vccnz .LBB225_87
; %bb.86:
	v_add_co_u32 v88, vcc_lo, v20, v36
	v_add_co_ci_u32_e64 v89, null, v21, v37, vcc_lo
	flat_load_ushort v88, v[88:89]
	s_waitcnt vmcnt(0) lgkmcnt(0)
	v_mul_f16_e32 v88, v48, v88
	v_cvt_f32_f16_e32 v88, v88
.LBB225_87:
	v_pk_add_f16 v89, v4, v22
	v_pk_add_f16 v97, v5, v23
	v_max_f16_e32 v98, v96, v96
	v_lshrrev_b32_e32 v96, 16, v96
	v_max_f32_e32 v88, v88, v88
	v_lshrrev_b32_e32 v99, 16, v89
	v_lshrrev_b32_e32 v100, 16, v97
	v_min_f16_e32 v89, v98, v89
	v_min3_f16 v96, v96, v99, v100
	v_min3_f16 v89, v89, v97, v96
	v_add_co_u32 v96, vcc_lo, v46, v36
	v_add_co_ci_u32_e64 v97, null, v47, v37, vcc_lo
	v_cvt_f32_f16_e32 v89, v89
	s_and_b32 vcc_lo, exec_lo, s1
	v_min_f32_e32 v88, v88, v89
	v_mov_b32_e32 v89, 0
	v_cvt_f16_f32_e32 v98, v88
	v_mov_b32_e32 v88, 0
	flat_store_short v[96:97], v98
	s_cbranch_vccnz .LBB225_89
; %bb.88:
	v_add_co_u32 v96, vcc_lo, v20, v42
	v_add_co_ci_u32_e64 v97, null, v21, v43, vcc_lo
	flat_load_ushort v89, v[96:97]
	s_waitcnt vmcnt(0) lgkmcnt(0)
	v_mul_f16_e32 v89, v48, v89
	v_cvt_f32_f16_e32 v89, v89
.LBB225_89:
	v_pk_add_f16 v96, v6, v22
	v_pk_add_f16 v97, v7, v23
	v_max_f16_e32 v98, v95, v95
	v_lshrrev_b32_e32 v95, 16, v95
	v_max_f32_e32 v89, v89, v89
	v_lshrrev_b32_e32 v99, 16, v96
	v_lshrrev_b32_e32 v100, 16, v97
	v_min_f16_e32 v96, v98, v96
	v_min3_f16 v95, v95, v99, v100
	v_min3_f16 v95, v96, v97, v95
	v_cvt_f32_f16_e32 v95, v95
	v_min_f32_e32 v89, v89, v95
	v_add_co_u32 v95, vcc_lo, v46, v42
	v_add_co_ci_u32_e64 v96, null, v47, v43, vcc_lo
	v_cvt_f16_f32_e32 v89, v89
	;; [unrolled: 54-line block ×3, first 2 shown]
	s_and_b32 vcc_lo, exec_lo, s1
	flat_store_short v[93:94], v89
	s_cbranch_vccnz .LBB225_95
; %bb.94:
	v_add_co_u32 v20, vcc_lo, v20, v44
	v_add_co_ci_u32_e64 v21, null, v21, v45, vcc_lo
	flat_load_ushort v20, v[20:21]
	s_waitcnt vmcnt(0) lgkmcnt(0)
	v_mul_f16_e32 v20, v48, v20
	v_cvt_f32_f16_e32 v88, v20
.LBB225_95:
	v_pk_add_f16 v20, v24, v22
	v_pk_add_f16 v23, v25, v23
	v_max_f16_e32 v21, v92, v92
	v_lshrrev_b32_e32 v89, 16, v92
	v_add_nc_u32_e32 v22, 0x60, v86
	v_lshrrev_b32_e32 v92, 16, v20
	v_lshrrev_b32_e32 v93, 16, v23
	v_min_f16_e32 v94, v21, v20
	v_mad_i64_i32 v[20:21], null, v22, s6, 0
	v_min3_f16 v89, v89, v92, v93
	v_max_f32_e32 v92, v88, v88
	v_add_co_u32 v88, vcc_lo, v46, v44
	v_mov_b32_e32 v46, 0
	v_min3_f16 v23, v94, v23, v89
	v_lshlrev_b64 v[20:21], 1, v[20:21]
	v_add_co_ci_u32_e64 v89, null, v47, v45, vcc_lo
	v_cvt_f32_f16_e32 v23, v23
	v_add_co_u32 v20, vcc_lo, s8, v20
	v_add_co_ci_u32_e64 v21, null, s9, v21, vcc_lo
	v_min_f32_e32 v23, v92, v23
	s_and_b32 vcc_lo, exec_lo, s1
	v_cvt_f16_f32_e32 v47, v23
	v_mov_b32_e32 v23, 0
	flat_store_short v[88:89], v47
	s_cbranch_vccnz .LBB225_97
; %bb.96:
	v_add_co_u32 v88, vcc_lo, v20, v28
	v_add_co_ci_u32_e64 v89, null, v21, v29, vcc_lo
	flat_load_ushort v23, v[88:89]
	s_waitcnt vmcnt(0) lgkmcnt(0)
	v_mul_f16_e32 v23, v48, v23
	v_cvt_f32_f16_e32 v23, v23
.LBB225_97:
	v_pk_add_f16 v47, v30, v16
	v_pk_add_f16 v92, v31, v17
	v_max_f16_e32 v88, v91, v91
	v_lshrrev_b32_e32 v89, 16, v91
	v_lshrrev_b32_e32 v91, 16, v47
	;; [unrolled: 1-line block ×3, first 2 shown]
	v_min_f16_e32 v47, v88, v47
	v_min3_f16 v91, v89, v91, v93
	v_mad_i64_i32 v[88:89], null, v22, s3, 0
	v_min3_f16 v22, v47, v92, v91
	v_max_f32_e32 v47, v23, v23
	v_cvt_f32_f16_e32 v91, v22
	v_lshlrev_b64 v[22:23], 1, v[88:89]
	v_min_f32_e32 v47, v47, v91
	v_add_co_u32 v22, vcc_lo, s4, v22
	v_add_co_ci_u32_e64 v23, null, s5, v23, vcc_lo
	v_cvt_f16_f32_e32 v47, v47
	v_add_co_u32 v88, vcc_lo, v22, v28
	v_add_co_ci_u32_e64 v89, null, v23, v29, vcc_lo
	s_and_b32 vcc_lo, exec_lo, s1
	flat_store_short v[88:89], v47
	s_cbranch_vccnz .LBB225_99
; %bb.98:
	v_add_co_u32 v46, vcc_lo, v20, v32
	v_add_co_ci_u32_e64 v47, null, v21, v33, vcc_lo
	flat_load_ushort v46, v[46:47]
	s_waitcnt vmcnt(0) lgkmcnt(0)
	v_mul_f16_e32 v46, v48, v46
	v_cvt_f32_f16_e32 v46, v46
.LBB225_99:
	v_pk_add_f16 v47, v8, v16
	v_pk_add_f16 v88, v9, v17
	v_max_f16_e32 v89, v90, v90
	v_lshrrev_b32_e32 v90, 16, v90
	v_max_f32_e32 v46, v46, v46
	v_lshrrev_b32_e32 v91, 16, v47
	v_lshrrev_b32_e32 v92, 16, v88
	v_min_f16_e32 v47, v89, v47
	v_min3_f16 v89, v90, v91, v92
	v_min3_f16 v47, v47, v88, v89
	v_add_co_u32 v88, vcc_lo, v22, v32
	v_add_co_ci_u32_e64 v89, null, v23, v33, vcc_lo
	v_cvt_f32_f16_e32 v47, v47
	s_and_b32 vcc_lo, exec_lo, s1
	v_min_f32_e32 v46, v46, v47
	v_mov_b32_e32 v47, 0
	v_cvt_f16_f32_e32 v90, v46
	v_mov_b32_e32 v46, 0
	flat_store_short v[88:89], v90
	s_cbranch_vccnz .LBB225_101
; %bb.100:
	v_add_co_u32 v88, vcc_lo, v20, v34
	v_add_co_ci_u32_e64 v89, null, v21, v35, vcc_lo
	flat_load_ushort v47, v[88:89]
	s_waitcnt vmcnt(0) lgkmcnt(0)
	v_mul_f16_e32 v47, v48, v47
	v_cvt_f32_f16_e32 v47, v47
.LBB225_101:
	v_pk_add_f16 v88, v10, v16
	v_pk_add_f16 v89, v11, v17
	v_max_f16_e32 v90, v87, v87
	v_lshrrev_b32_e32 v87, 16, v87
	v_max_f32_e32 v47, v47, v47
	v_lshrrev_b32_e32 v91, 16, v88
	v_lshrrev_b32_e32 v92, 16, v89
	v_min_f16_e32 v88, v90, v88
	v_min3_f16 v87, v87, v91, v92
	v_min3_f16 v87, v88, v89, v87
	v_cvt_f32_f16_e32 v87, v87
	v_min_f32_e32 v47, v47, v87
	v_add_co_u32 v87, vcc_lo, v22, v34
	v_add_co_ci_u32_e64 v88, null, v23, v35, vcc_lo
	v_cvt_f16_f32_e32 v47, v47
	s_and_b32 vcc_lo, exec_lo, s1
	flat_store_short v[87:88], v47
	s_cbranch_vccnz .LBB225_103
; %bb.102:
	v_add_co_u32 v46, vcc_lo, v20, v36
	v_add_co_ci_u32_e64 v47, null, v21, v37, vcc_lo
	flat_load_ushort v46, v[46:47]
	s_waitcnt vmcnt(0) lgkmcnt(0)
	v_mul_f16_e32 v46, v48, v46
	v_cvt_f32_f16_e32 v46, v46
.LBB225_103:
	v_pk_add_f16 v47, v4, v16
	v_pk_add_f16 v87, v5, v17
	v_max_f16_e32 v88, v85, v85
	v_lshrrev_b32_e32 v85, 16, v85
	v_max_f32_e32 v46, v46, v46
	v_lshrrev_b32_e32 v89, 16, v47
	v_lshrrev_b32_e32 v90, 16, v87
	v_min_f16_e32 v47, v88, v47
	v_min3_f16 v85, v85, v89, v90
	v_min3_f16 v47, v47, v87, v85
	v_add_co_u32 v87, vcc_lo, v22, v36
	v_add_co_ci_u32_e64 v88, null, v23, v37, vcc_lo
	v_cvt_f32_f16_e32 v47, v47
	s_and_b32 vcc_lo, exec_lo, s1
	v_min_f32_e32 v46, v46, v47
	v_mov_b32_e32 v47, 0
	v_cvt_f16_f32_e32 v85, v46
	v_mov_b32_e32 v46, 0
	flat_store_short v[87:88], v85
	s_cbranch_vccnz .LBB225_105
; %bb.104:
	v_add_co_u32 v87, vcc_lo, v20, v42
	v_add_co_ci_u32_e64 v88, null, v21, v43, vcc_lo
	flat_load_ushort v47, v[87:88]
	s_waitcnt vmcnt(0) lgkmcnt(0)
	v_mul_f16_e32 v47, v48, v47
	v_cvt_f32_f16_e32 v47, v47
.LBB225_105:
	v_pk_add_f16 v85, v6, v16
	v_pk_add_f16 v87, v7, v17
	v_max_f16_e32 v88, v84, v84
	v_lshrrev_b32_e32 v84, 16, v84
	v_max_f32_e32 v47, v47, v47
	v_lshrrev_b32_e32 v89, 16, v85
	v_lshrrev_b32_e32 v90, 16, v87
	v_min_f16_e32 v85, v88, v85
	v_min3_f16 v84, v84, v89, v90
	v_min3_f16 v84, v85, v87, v84
	v_cvt_f32_f16_e32 v84, v84
	v_min_f32_e32 v47, v47, v84
	v_add_co_u32 v84, vcc_lo, v22, v42
	v_add_co_ci_u32_e64 v85, null, v23, v43, vcc_lo
	v_cvt_f16_f32_e32 v47, v47
	;; [unrolled: 54-line block ×3, first 2 shown]
	s_and_b32 vcc_lo, exec_lo, s1
	flat_store_short v[82:83], v47
	s_cbranch_vccnz .LBB225_111
; %bb.110:
	v_add_co_u32 v20, vcc_lo, v20, v44
	v_add_co_ci_u32_e64 v21, null, v21, v45, vcc_lo
	flat_load_ushort v20, v[20:21]
	s_waitcnt vmcnt(0) lgkmcnt(0)
	v_mul_f16_e32 v20, v48, v20
	v_cvt_f32_f16_e32 v46, v20
.LBB225_111:
	v_pk_add_f16 v16, v24, v16
	v_pk_add_f16 v21, v25, v17
	v_max_f16_e32 v17, v81, v81
	v_lshrrev_b32_e32 v47, 16, v81
	v_add_nc_u32_e32 v20, 0x80, v86
	v_lshrrev_b32_e32 v81, 16, v16
	v_lshrrev_b32_e32 v82, 16, v21
	v_min_f16_e32 v83, v17, v16
	v_mad_i64_i32 v[16:17], null, v20, s6, 0
	v_min3_f16 v47, v47, v81, v82
	v_max_f32_e32 v81, v46, v46
	v_add_co_u32 v46, vcc_lo, v22, v44
	v_mov_b32_e32 v22, 0
	v_min3_f16 v21, v83, v21, v47
	v_lshlrev_b64 v[16:17], 1, v[16:17]
	v_add_co_ci_u32_e64 v47, null, v23, v45, vcc_lo
	v_cvt_f32_f16_e32 v21, v21
	v_add_co_u32 v16, vcc_lo, s8, v16
	v_add_co_ci_u32_e64 v17, null, s9, v17, vcc_lo
	v_min_f32_e32 v21, v81, v21
	s_and_b32 vcc_lo, exec_lo, s1
	v_cvt_f16_f32_e32 v23, v21
	v_mov_b32_e32 v21, 0
	flat_store_short v[46:47], v23
	s_cbranch_vccnz .LBB225_113
; %bb.112:
	v_add_co_u32 v46, vcc_lo, v16, v28
	v_add_co_ci_u32_e64 v47, null, v17, v29, vcc_lo
	flat_load_ushort v21, v[46:47]
	s_waitcnt vmcnt(0) lgkmcnt(0)
	v_mul_f16_e32 v21, v48, v21
	v_cvt_f32_f16_e32 v21, v21
.LBB225_113:
	v_pk_add_f16 v23, v30, v18
	v_pk_add_f16 v81, v31, v19
	v_max_f16_e32 v46, v80, v80
	v_lshrrev_b32_e32 v47, 16, v80
	v_lshrrev_b32_e32 v80, 16, v23
	;; [unrolled: 1-line block ×3, first 2 shown]
	v_min_f16_e32 v23, v46, v23
	v_min3_f16 v80, v47, v80, v82
	v_mad_i64_i32 v[46:47], null, v20, s3, 0
	v_min3_f16 v20, v23, v81, v80
	v_max_f32_e32 v23, v21, v21
	v_cvt_f32_f16_e32 v80, v20
	v_lshlrev_b64 v[20:21], 1, v[46:47]
	v_min_f32_e32 v23, v23, v80
	v_add_co_u32 v20, vcc_lo, s4, v20
	v_add_co_ci_u32_e64 v21, null, s5, v21, vcc_lo
	v_cvt_f16_f32_e32 v23, v23
	v_add_co_u32 v46, vcc_lo, v20, v28
	v_add_co_ci_u32_e64 v47, null, v21, v29, vcc_lo
	s_and_b32 vcc_lo, exec_lo, s1
	flat_store_short v[46:47], v23
	s_cbranch_vccnz .LBB225_115
; %bb.114:
	v_add_co_u32 v22, vcc_lo, v16, v32
	v_add_co_ci_u32_e64 v23, null, v17, v33, vcc_lo
	flat_load_ushort v22, v[22:23]
	s_waitcnt vmcnt(0) lgkmcnt(0)
	v_mul_f16_e32 v22, v48, v22
	v_cvt_f32_f16_e32 v22, v22
.LBB225_115:
	v_pk_add_f16 v23, v8, v18
	v_pk_add_f16 v46, v9, v19
	v_max_f16_e32 v47, v79, v79
	v_lshrrev_b32_e32 v79, 16, v79
	v_max_f32_e32 v22, v22, v22
	v_lshrrev_b32_e32 v80, 16, v23
	v_lshrrev_b32_e32 v81, 16, v46
	v_min_f16_e32 v23, v47, v23
	v_min3_f16 v47, v79, v80, v81
	v_min3_f16 v23, v23, v46, v47
	v_add_co_u32 v46, vcc_lo, v20, v32
	v_add_co_ci_u32_e64 v47, null, v21, v33, vcc_lo
	v_cvt_f32_f16_e32 v23, v23
	s_and_b32 vcc_lo, exec_lo, s1
	v_min_f32_e32 v22, v22, v23
	v_mov_b32_e32 v23, 0
	v_cvt_f16_f32_e32 v79, v22
	v_mov_b32_e32 v22, 0
	flat_store_short v[46:47], v79
	s_cbranch_vccnz .LBB225_117
; %bb.116:
	v_add_co_u32 v46, vcc_lo, v16, v34
	v_add_co_ci_u32_e64 v47, null, v17, v35, vcc_lo
	flat_load_ushort v23, v[46:47]
	s_waitcnt vmcnt(0) lgkmcnt(0)
	v_mul_f16_e32 v23, v48, v23
	v_cvt_f32_f16_e32 v23, v23
.LBB225_117:
	v_pk_add_f16 v46, v10, v18
	v_pk_add_f16 v47, v11, v19
	v_max_f16_e32 v79, v78, v78
	v_lshrrev_b32_e32 v78, 16, v78
	v_max_f32_e32 v23, v23, v23
	v_lshrrev_b32_e32 v80, 16, v46
	v_lshrrev_b32_e32 v81, 16, v47
	v_min_f16_e32 v46, v79, v46
	v_min3_f16 v78, v78, v80, v81
	v_min3_f16 v46, v46, v47, v78
	v_cvt_f32_f16_e32 v46, v46
	v_min_f32_e32 v23, v23, v46
	v_add_co_u32 v46, vcc_lo, v20, v34
	v_add_co_ci_u32_e64 v47, null, v21, v35, vcc_lo
	v_cvt_f16_f32_e32 v23, v23
	s_and_b32 vcc_lo, exec_lo, s1
	flat_store_short v[46:47], v23
	s_cbranch_vccnz .LBB225_119
; %bb.118:
	v_add_co_u32 v22, vcc_lo, v16, v36
	v_add_co_ci_u32_e64 v23, null, v17, v37, vcc_lo
	flat_load_ushort v22, v[22:23]
	s_waitcnt vmcnt(0) lgkmcnt(0)
	v_mul_f16_e32 v22, v48, v22
	v_cvt_f32_f16_e32 v22, v22
.LBB225_119:
	v_pk_add_f16 v23, v4, v18
	v_pk_add_f16 v46, v5, v19
	v_max_f16_e32 v47, v77, v77
	v_lshrrev_b32_e32 v77, 16, v77
	v_max_f32_e32 v22, v22, v22
	v_lshrrev_b32_e32 v78, 16, v23
	v_lshrrev_b32_e32 v79, 16, v46
	v_min_f16_e32 v23, v47, v23
	v_min3_f16 v47, v77, v78, v79
	v_min3_f16 v23, v23, v46, v47
	v_add_co_u32 v46, vcc_lo, v20, v36
	v_add_co_ci_u32_e64 v47, null, v21, v37, vcc_lo
	v_cvt_f32_f16_e32 v23, v23
	s_and_b32 vcc_lo, exec_lo, s1
	v_min_f32_e32 v22, v22, v23
	v_mov_b32_e32 v23, 0
	v_cvt_f16_f32_e32 v77, v22
	v_mov_b32_e32 v22, 0
	flat_store_short v[46:47], v77
	s_cbranch_vccnz .LBB225_121
; %bb.120:
	v_add_co_u32 v46, vcc_lo, v16, v42
	v_add_co_ci_u32_e64 v47, null, v17, v43, vcc_lo
	flat_load_ushort v23, v[46:47]
	s_waitcnt vmcnt(0) lgkmcnt(0)
	v_mul_f16_e32 v23, v48, v23
	v_cvt_f32_f16_e32 v23, v23
.LBB225_121:
	v_pk_add_f16 v46, v6, v18
	v_pk_add_f16 v47, v7, v19
	v_max_f16_e32 v77, v76, v76
	v_lshrrev_b32_e32 v76, 16, v76
	v_max_f32_e32 v23, v23, v23
	v_lshrrev_b32_e32 v78, 16, v46
	v_lshrrev_b32_e32 v79, 16, v47
	v_min_f16_e32 v46, v77, v46
	v_min3_f16 v76, v76, v78, v79
	v_min3_f16 v46, v46, v47, v76
	v_cvt_f32_f16_e32 v46, v46
	v_min_f32_e32 v23, v23, v46
	v_add_co_u32 v46, vcc_lo, v20, v42
	v_add_co_ci_u32_e64 v47, null, v21, v43, vcc_lo
	v_cvt_f16_f32_e32 v23, v23
	;; [unrolled: 54-line block ×3, first 2 shown]
	s_and_b32 vcc_lo, exec_lo, s1
	flat_store_short v[46:47], v23
	s_cbranch_vccnz .LBB225_127
; %bb.126:
	v_add_co_u32 v16, vcc_lo, v16, v44
	v_add_co_ci_u32_e64 v17, null, v17, v45, vcc_lo
	flat_load_ushort v16, v[16:17]
	s_waitcnt vmcnt(0) lgkmcnt(0)
	v_mul_f16_e32 v16, v48, v16
	v_cvt_f32_f16_e32 v22, v16
.LBB225_127:
	v_pk_add_f16 v16, v24, v18
	v_pk_add_f16 v19, v25, v19
	v_max_f16_e32 v17, v73, v73
	v_lshrrev_b32_e32 v23, 16, v73
	v_add_nc_u32_e32 v18, 0xa0, v86
	v_lshrrev_b32_e32 v46, 16, v16
	v_lshrrev_b32_e32 v47, 16, v19
	v_min_f16_e32 v73, v17, v16
	v_mad_i64_i32 v[16:17], null, v18, s6, 0
	v_min3_f16 v23, v23, v46, v47
	v_max_f32_e32 v46, v22, v22
	v_add_co_u32 v22, vcc_lo, v20, v44
	v_mov_b32_e32 v20, 0
	v_min3_f16 v19, v73, v19, v23
	v_lshlrev_b64 v[16:17], 1, v[16:17]
	v_add_co_ci_u32_e64 v23, null, v21, v45, vcc_lo
	v_cvt_f32_f16_e32 v19, v19
	v_add_co_u32 v16, vcc_lo, s8, v16
	v_add_co_ci_u32_e64 v17, null, s9, v17, vcc_lo
	v_min_f32_e32 v19, v46, v19
	s_and_b32 vcc_lo, exec_lo, s1
	v_cvt_f16_f32_e32 v21, v19
	v_mov_b32_e32 v19, 0
	flat_store_short v[22:23], v21
	s_cbranch_vccnz .LBB225_129
; %bb.128:
	v_add_co_u32 v21, vcc_lo, v16, v28
	v_add_co_ci_u32_e64 v22, null, v17, v29, vcc_lo
	flat_load_ushort v19, v[21:22]
	s_waitcnt vmcnt(0) lgkmcnt(0)
	v_mul_f16_e32 v19, v48, v19
	v_cvt_f32_f16_e32 v19, v19
.LBB225_129:
	v_pk_add_f16 v21, v30, v12
	v_pk_add_f16 v23, v31, v13
	v_max_f16_e32 v22, v72, v72
	v_lshrrev_b32_e32 v46, 16, v72
	v_lshrrev_b32_e32 v47, 16, v21
	;; [unrolled: 1-line block ×3, first 2 shown]
	v_min_f16_e32 v73, v22, v21
	v_mad_i64_i32 v[21:22], null, v18, s3, 0
	v_min3_f16 v46, v46, v47, v72
	v_min3_f16 v18, v73, v23, v46
	v_max_f32_e32 v23, v19, v19
	v_cvt_f32_f16_e32 v46, v18
	v_lshlrev_b64 v[18:19], 1, v[21:22]
	v_min_f32_e32 v21, v23, v46
	v_add_co_u32 v18, vcc_lo, s4, v18
	v_add_co_ci_u32_e64 v19, null, s5, v19, vcc_lo
	v_cvt_f16_f32_e32 v23, v21
	v_add_co_u32 v21, vcc_lo, v18, v28
	v_add_co_ci_u32_e64 v22, null, v19, v29, vcc_lo
	s_and_b32 vcc_lo, exec_lo, s1
	flat_store_short v[21:22], v23
	s_cbranch_vccnz .LBB225_131
; %bb.130:
	v_add_co_u32 v20, vcc_lo, v16, v32
	v_add_co_ci_u32_e64 v21, null, v17, v33, vcc_lo
	flat_load_ushort v20, v[20:21]
	s_waitcnt vmcnt(0) lgkmcnt(0)
	v_mul_f16_e32 v20, v48, v20
	v_cvt_f32_f16_e32 v20, v20
.LBB225_131:
	v_pk_add_f16 v21, v8, v12
	v_pk_add_f16 v22, v9, v13
	v_max_f16_e32 v23, v71, v71
	v_lshrrev_b32_e32 v46, 16, v71
	v_max_f32_e32 v20, v20, v20
	v_lshrrev_b32_e32 v47, 16, v21
	v_lshrrev_b32_e32 v71, 16, v22
	v_min_f16_e32 v21, v23, v21
	v_min3_f16 v23, v46, v47, v71
	v_min3_f16 v21, v21, v22, v23
	v_add_co_u32 v22, vcc_lo, v18, v32
	v_add_co_ci_u32_e64 v23, null, v19, v33, vcc_lo
	v_cvt_f32_f16_e32 v21, v21
	s_and_b32 vcc_lo, exec_lo, s1
	v_min_f32_e32 v20, v20, v21
	v_mov_b32_e32 v21, 0
	v_cvt_f16_f32_e32 v46, v20
	v_mov_b32_e32 v20, 0
	flat_store_short v[22:23], v46
	s_cbranch_vccnz .LBB225_133
; %bb.132:
	v_add_co_u32 v21, vcc_lo, v16, v34
	v_add_co_ci_u32_e64 v22, null, v17, v35, vcc_lo
	flat_load_ushort v21, v[21:22]
	s_waitcnt vmcnt(0) lgkmcnt(0)
	v_mul_f16_e32 v21, v48, v21
	v_cvt_f32_f16_e32 v21, v21
.LBB225_133:
	v_pk_add_f16 v22, v10, v12
	v_pk_add_f16 v23, v11, v13
	v_max_f16_e32 v46, v70, v70
	v_lshrrev_b32_e32 v47, 16, v70
	v_max_f32_e32 v21, v21, v21
	v_lshrrev_b32_e32 v70, 16, v22
	v_lshrrev_b32_e32 v71, 16, v23
	v_min_f16_e32 v22, v46, v22
	v_min3_f16 v46, v47, v70, v71
	v_min3_f16 v22, v22, v23, v46
	v_cvt_f32_f16_e32 v22, v22
	v_min_f32_e32 v21, v21, v22
	v_cvt_f16_f32_e32 v23, v21
	v_add_co_u32 v21, vcc_lo, v18, v34
	v_add_co_ci_u32_e64 v22, null, v19, v35, vcc_lo
	s_and_b32 vcc_lo, exec_lo, s1
	flat_store_short v[21:22], v23
	s_cbranch_vccnz .LBB225_135
; %bb.134:
	v_add_co_u32 v20, vcc_lo, v16, v36
	v_add_co_ci_u32_e64 v21, null, v17, v37, vcc_lo
	flat_load_ushort v20, v[20:21]
	s_waitcnt vmcnt(0) lgkmcnt(0)
	v_mul_f16_e32 v20, v48, v20
	v_cvt_f32_f16_e32 v20, v20
.LBB225_135:
	v_pk_add_f16 v21, v4, v12
	v_pk_add_f16 v22, v5, v13
	v_max_f16_e32 v23, v69, v69
	v_lshrrev_b32_e32 v46, 16, v69
	v_max_f32_e32 v20, v20, v20
	v_lshrrev_b32_e32 v47, 16, v21
	v_lshrrev_b32_e32 v69, 16, v22
	v_min_f16_e32 v21, v23, v21
	v_min3_f16 v23, v46, v47, v69
	v_min3_f16 v21, v21, v22, v23
	v_add_co_u32 v22, vcc_lo, v18, v36
	v_add_co_ci_u32_e64 v23, null, v19, v37, vcc_lo
	v_cvt_f32_f16_e32 v21, v21
	s_and_b32 vcc_lo, exec_lo, s1
	v_min_f32_e32 v20, v20, v21
	v_mov_b32_e32 v21, 0
	v_cvt_f16_f32_e32 v46, v20
	v_mov_b32_e32 v20, 0
	flat_store_short v[22:23], v46
	s_cbranch_vccnz .LBB225_137
; %bb.136:
	v_add_co_u32 v21, vcc_lo, v16, v42
	v_add_co_ci_u32_e64 v22, null, v17, v43, vcc_lo
	flat_load_ushort v21, v[21:22]
	s_waitcnt vmcnt(0) lgkmcnt(0)
	v_mul_f16_e32 v21, v48, v21
	v_cvt_f32_f16_e32 v21, v21
.LBB225_137:
	v_pk_add_f16 v22, v6, v12
	v_pk_add_f16 v23, v7, v13
	v_max_f16_e32 v46, v68, v68
	v_lshrrev_b32_e32 v47, 16, v68
	v_max_f32_e32 v21, v21, v21
	v_lshrrev_b32_e32 v68, 16, v22
	v_lshrrev_b32_e32 v69, 16, v23
	v_min_f16_e32 v22, v46, v22
	v_min3_f16 v46, v47, v68, v69
	v_min3_f16 v22, v22, v23, v46
	v_cvt_f32_f16_e32 v22, v22
	v_min_f32_e32 v21, v21, v22
	;; [unrolled: 54-line block ×3, first 2 shown]
	v_cvt_f16_f32_e32 v23, v21
	v_add_co_u32 v21, vcc_lo, v18, v38
	v_add_co_ci_u32_e64 v22, null, v19, v39, vcc_lo
	s_and_b32 vcc_lo, exec_lo, s1
	flat_store_short v[21:22], v23
	s_cbranch_vccnz .LBB225_143
; %bb.142:
	v_add_co_u32 v16, vcc_lo, v16, v44
	v_add_co_ci_u32_e64 v17, null, v17, v45, vcc_lo
	flat_load_ushort v16, v[16:17]
	s_waitcnt vmcnt(0) lgkmcnt(0)
	v_mul_f16_e32 v16, v48, v16
	v_cvt_f32_f16_e32 v20, v16
.LBB225_143:
	v_pk_add_f16 v12, v24, v12
	v_pk_add_f16 v17, v25, v13
	v_max_f16_e32 v13, v65, v65
	v_lshrrev_b32_e32 v21, 16, v65
	v_add_nc_u32_e32 v16, 0xc0, v86
	v_lshrrev_b32_e32 v22, 16, v12
	v_lshrrev_b32_e32 v23, 16, v17
	v_min_f16_e32 v46, v13, v12
	v_mad_i64_i32 v[12:13], null, v16, s6, 0
	v_min3_f16 v21, v21, v22, v23
	v_max_f32_e32 v22, v20, v20
	v_add_co_u32 v20, vcc_lo, v18, v44
	v_mov_b32_e32 v18, 0
	v_min3_f16 v17, v46, v17, v21
	v_lshlrev_b64 v[12:13], 1, v[12:13]
	v_add_co_ci_u32_e64 v21, null, v19, v45, vcc_lo
	v_cvt_f32_f16_e32 v17, v17
	v_add_co_u32 v12, vcc_lo, s8, v12
	v_add_co_ci_u32_e64 v13, null, s9, v13, vcc_lo
	v_min_f32_e32 v17, v22, v17
	s_and_b32 vcc_lo, exec_lo, s1
	v_cvt_f16_f32_e32 v19, v17
	v_mov_b32_e32 v17, 0
	flat_store_short v[20:21], v19
	s_cbranch_vccnz .LBB225_145
; %bb.144:
	v_add_co_u32 v19, vcc_lo, v12, v28
	v_add_co_ci_u32_e64 v20, null, v13, v29, vcc_lo
	flat_load_ushort v17, v[19:20]
	s_waitcnt vmcnt(0) lgkmcnt(0)
	v_mul_f16_e32 v17, v48, v17
	v_cvt_f32_f16_e32 v17, v17
.LBB225_145:
	v_pk_add_f16 v19, v30, v14
	v_pk_add_f16 v21, v31, v15
	v_max_f16_e32 v20, v64, v64
	v_lshrrev_b32_e32 v22, 16, v64
	v_lshrrev_b32_e32 v23, 16, v19
	;; [unrolled: 1-line block ×3, first 2 shown]
	v_min_f16_e32 v47, v20, v19
	v_mad_i64_i32 v[19:20], null, v16, s3, 0
	v_min3_f16 v22, v22, v23, v46
	v_min3_f16 v16, v47, v21, v22
	v_max_f32_e32 v21, v17, v17
	v_cvt_f32_f16_e32 v22, v16
	v_lshlrev_b64 v[16:17], 1, v[19:20]
	v_min_f32_e32 v19, v21, v22
	v_add_co_u32 v16, vcc_lo, s4, v16
	v_add_co_ci_u32_e64 v17, null, s5, v17, vcc_lo
	v_cvt_f16_f32_e32 v21, v19
	v_add_co_u32 v19, vcc_lo, v16, v28
	v_add_co_ci_u32_e64 v20, null, v17, v29, vcc_lo
	s_and_b32 vcc_lo, exec_lo, s1
	flat_store_short v[19:20], v21
	s_cbranch_vccnz .LBB225_147
; %bb.146:
	v_add_co_u32 v18, vcc_lo, v12, v32
	v_add_co_ci_u32_e64 v19, null, v13, v33, vcc_lo
	flat_load_ushort v18, v[18:19]
	s_waitcnt vmcnt(0) lgkmcnt(0)
	v_mul_f16_e32 v18, v48, v18
	v_cvt_f32_f16_e32 v18, v18
.LBB225_147:
	v_pk_add_f16 v19, v8, v14
	v_pk_add_f16 v20, v9, v15
	v_max_f16_e32 v21, v63, v63
	v_lshrrev_b32_e32 v22, 16, v63
	v_max_f32_e32 v18, v18, v18
	v_lshrrev_b32_e32 v23, 16, v19
	v_lshrrev_b32_e32 v46, 16, v20
	v_min_f16_e32 v19, v21, v19
	v_min3_f16 v21, v22, v23, v46
	v_min3_f16 v19, v19, v20, v21
	v_add_co_u32 v20, vcc_lo, v16, v32
	v_add_co_ci_u32_e64 v21, null, v17, v33, vcc_lo
	v_cvt_f32_f16_e32 v19, v19
	s_and_b32 vcc_lo, exec_lo, s1
	v_min_f32_e32 v18, v18, v19
	v_mov_b32_e32 v19, 0
	v_cvt_f16_f32_e32 v22, v18
	v_mov_b32_e32 v18, 0
	flat_store_short v[20:21], v22
	s_cbranch_vccnz .LBB225_149
; %bb.148:
	v_add_co_u32 v19, vcc_lo, v12, v34
	v_add_co_ci_u32_e64 v20, null, v13, v35, vcc_lo
	flat_load_ushort v19, v[19:20]
	s_waitcnt vmcnt(0) lgkmcnt(0)
	v_mul_f16_e32 v19, v48, v19
	v_cvt_f32_f16_e32 v19, v19
.LBB225_149:
	v_pk_add_f16 v20, v10, v14
	v_pk_add_f16 v21, v11, v15
	v_max_f16_e32 v22, v62, v62
	v_lshrrev_b32_e32 v23, 16, v62
	v_max_f32_e32 v19, v19, v19
	v_lshrrev_b32_e32 v46, 16, v20
	v_lshrrev_b32_e32 v47, 16, v21
	v_min_f16_e32 v20, v22, v20
	v_min3_f16 v22, v23, v46, v47
	v_min3_f16 v20, v20, v21, v22
	v_cvt_f32_f16_e32 v20, v20
	v_min_f32_e32 v19, v19, v20
	v_cvt_f16_f32_e32 v21, v19
	v_add_co_u32 v19, vcc_lo, v16, v34
	v_add_co_ci_u32_e64 v20, null, v17, v35, vcc_lo
	s_and_b32 vcc_lo, exec_lo, s1
	flat_store_short v[19:20], v21
	s_cbranch_vccnz .LBB225_151
; %bb.150:
	v_add_co_u32 v18, vcc_lo, v12, v36
	v_add_co_ci_u32_e64 v19, null, v13, v37, vcc_lo
	flat_load_ushort v18, v[18:19]
	s_waitcnt vmcnt(0) lgkmcnt(0)
	v_mul_f16_e32 v18, v48, v18
	v_cvt_f32_f16_e32 v18, v18
.LBB225_151:
	v_pk_add_f16 v19, v4, v14
	v_pk_add_f16 v20, v5, v15
	v_max_f16_e32 v21, v61, v61
	v_lshrrev_b32_e32 v22, 16, v61
	v_max_f32_e32 v18, v18, v18
	v_lshrrev_b32_e32 v23, 16, v19
	v_lshrrev_b32_e32 v46, 16, v20
	v_min_f16_e32 v19, v21, v19
	v_min3_f16 v21, v22, v23, v46
	v_min3_f16 v19, v19, v20, v21
	v_add_co_u32 v20, vcc_lo, v16, v36
	v_add_co_ci_u32_e64 v21, null, v17, v37, vcc_lo
	v_cvt_f32_f16_e32 v19, v19
	s_and_b32 vcc_lo, exec_lo, s1
	v_min_f32_e32 v18, v18, v19
	v_mov_b32_e32 v19, 0
	v_cvt_f16_f32_e32 v22, v18
	v_mov_b32_e32 v18, 0
	flat_store_short v[20:21], v22
	s_cbranch_vccnz .LBB225_153
; %bb.152:
	v_add_co_u32 v19, vcc_lo, v12, v42
	v_add_co_ci_u32_e64 v20, null, v13, v43, vcc_lo
	flat_load_ushort v19, v[19:20]
	s_waitcnt vmcnt(0) lgkmcnt(0)
	v_mul_f16_e32 v19, v48, v19
	v_cvt_f32_f16_e32 v19, v19
.LBB225_153:
	v_pk_add_f16 v20, v6, v14
	v_pk_add_f16 v21, v7, v15
	v_max_f16_e32 v22, v60, v60
	v_lshrrev_b32_e32 v23, 16, v60
	v_max_f32_e32 v19, v19, v19
	v_lshrrev_b32_e32 v46, 16, v20
	v_lshrrev_b32_e32 v47, 16, v21
	v_min_f16_e32 v20, v22, v20
	v_min3_f16 v22, v23, v46, v47
	v_min3_f16 v20, v20, v21, v22
	v_cvt_f32_f16_e32 v20, v20
	v_min_f32_e32 v19, v19, v20
	;; [unrolled: 54-line block ×3, first 2 shown]
	v_cvt_f16_f32_e32 v21, v19
	v_add_co_u32 v19, vcc_lo, v16, v38
	v_add_co_ci_u32_e64 v20, null, v17, v39, vcc_lo
	s_and_b32 vcc_lo, exec_lo, s1
	flat_store_short v[19:20], v21
	s_cbranch_vccnz .LBB225_159
; %bb.158:
	v_add_co_u32 v12, vcc_lo, v12, v44
	v_add_co_ci_u32_e64 v13, null, v13, v45, vcc_lo
	flat_load_ushort v12, v[12:13]
	s_waitcnt vmcnt(0) lgkmcnt(0)
	v_mul_f16_e32 v12, v48, v12
	v_cvt_f32_f16_e32 v18, v12
.LBB225_159:
	v_pk_add_f16 v12, v24, v14
	v_pk_add_f16 v15, v25, v15
	v_max_f16_e32 v13, v57, v57
	v_lshrrev_b32_e32 v19, 16, v57
	v_add_nc_u32_e32 v14, 0xe0, v86
	v_lshrrev_b32_e32 v20, 16, v12
	v_lshrrev_b32_e32 v21, 16, v15
	v_min_f16_e32 v22, v13, v12
	v_mad_i64_i32 v[12:13], null, v14, s6, 0
	v_min3_f16 v19, v19, v20, v21
	v_max_f32_e32 v20, v18, v18
	v_add_co_u32 v18, vcc_lo, v16, v44
	v_mov_b32_e32 v16, 0
	v_min3_f16 v15, v22, v15, v19
	v_lshlrev_b64 v[12:13], 1, v[12:13]
	v_add_co_ci_u32_e64 v19, null, v17, v45, vcc_lo
	v_cvt_f32_f16_e32 v15, v15
	v_add_co_u32 v12, vcc_lo, s8, v12
	v_add_co_ci_u32_e64 v13, null, s9, v13, vcc_lo
	v_min_f32_e32 v15, v20, v15
	s_and_b32 vcc_lo, exec_lo, s1
	v_cvt_f16_f32_e32 v17, v15
	v_mov_b32_e32 v15, 0
	flat_store_short v[18:19], v17
	s_cbranch_vccnz .LBB225_161
; %bb.160:
	v_add_co_u32 v17, vcc_lo, v12, v28
	v_add_co_ci_u32_e64 v18, null, v13, v29, vcc_lo
	flat_load_ushort v15, v[17:18]
	s_waitcnt vmcnt(0) lgkmcnt(0)
	v_mul_f16_e32 v15, v48, v15
	v_cvt_f32_f16_e32 v15, v15
.LBB225_161:
	v_pk_add_f16 v17, v30, v26
	v_pk_add_f16 v19, v31, v27
	v_max_f16_e32 v18, v56, v56
	v_lshrrev_b32_e32 v20, 16, v56
	v_lshrrev_b32_e32 v21, 16, v17
	;; [unrolled: 1-line block ×3, first 2 shown]
	v_min_f16_e32 v23, v18, v17
	v_mad_i64_i32 v[17:18], null, v14, s3, 0
	v_min3_f16 v20, v20, v21, v22
	v_min3_f16 v14, v23, v19, v20
	v_max_f32_e32 v19, v15, v15
	v_cvt_f32_f16_e32 v20, v14
	v_lshlrev_b64 v[14:15], 1, v[17:18]
	v_min_f32_e32 v17, v19, v20
	v_add_co_u32 v14, vcc_lo, s4, v14
	v_add_co_ci_u32_e64 v15, null, s5, v15, vcc_lo
	v_cvt_f16_f32_e32 v19, v17
	v_add_co_u32 v17, vcc_lo, v14, v28
	v_add_co_ci_u32_e64 v18, null, v15, v29, vcc_lo
	s_and_b32 vcc_lo, exec_lo, s1
	flat_store_short v[17:18], v19
	s_cbranch_vccnz .LBB225_163
; %bb.162:
	v_add_co_u32 v16, vcc_lo, v12, v32
	v_add_co_ci_u32_e64 v17, null, v13, v33, vcc_lo
	flat_load_ushort v16, v[16:17]
	s_waitcnt vmcnt(0) lgkmcnt(0)
	v_mul_f16_e32 v16, v48, v16
	v_cvt_f32_f16_e32 v16, v16
.LBB225_163:
	v_pk_add_f16 v8, v8, v26
	v_pk_add_f16 v9, v9, v27
	v_max_f16_e32 v17, v55, v55
	v_lshrrev_b32_e32 v18, 16, v55
	v_lshrrev_b32_e32 v19, 16, v8
	;; [unrolled: 1-line block ×3, first 2 shown]
	v_min_f16_e32 v8, v17, v8
	v_min3_f16 v17, v18, v19, v20
	v_min3_f16 v8, v8, v9, v17
	v_max_f32_e32 v9, v16, v16
	v_add_co_u32 v16, vcc_lo, v14, v32
	v_add_co_ci_u32_e64 v17, null, v15, v33, vcc_lo
	v_cvt_f32_f16_e32 v8, v8
	s_and_b32 vcc_lo, exec_lo, s1
	v_min_f32_e32 v8, v9, v8
	v_mov_b32_e32 v9, 0
	v_cvt_f16_f32_e32 v18, v8
	v_mov_b32_e32 v8, 0
	flat_store_short v[16:17], v18
	s_cbranch_vccnz .LBB225_165
; %bb.164:
	v_add_co_u32 v16, vcc_lo, v12, v34
	v_add_co_ci_u32_e64 v17, null, v13, v35, vcc_lo
	flat_load_ushort v9, v[16:17]
	s_waitcnt vmcnt(0) lgkmcnt(0)
	v_mul_f16_e32 v9, v48, v9
	v_cvt_f32_f16_e32 v9, v9
.LBB225_165:
	v_pk_add_f16 v10, v10, v26
	v_pk_add_f16 v11, v11, v27
	v_max_f16_e32 v16, v54, v54
	v_lshrrev_b32_e32 v17, 16, v54
	v_max_f32_e32 v9, v9, v9
	v_lshrrev_b32_e32 v18, 16, v10
	v_lshrrev_b32_e32 v19, 16, v11
	v_min_f16_e32 v10, v16, v10
	v_min3_f16 v16, v17, v18, v19
	v_min3_f16 v10, v10, v11, v16
	v_cvt_f32_f16_e32 v10, v10
	v_min_f32_e32 v9, v9, v10
	v_cvt_f16_f32_e32 v11, v9
	v_add_co_u32 v9, vcc_lo, v14, v34
	v_add_co_ci_u32_e64 v10, null, v15, v35, vcc_lo
	s_and_b32 vcc_lo, exec_lo, s1
	flat_store_short v[9:10], v11
	s_cbranch_vccnz .LBB225_167
; %bb.166:
	v_add_co_u32 v8, vcc_lo, v12, v36
	v_add_co_ci_u32_e64 v9, null, v13, v37, vcc_lo
	flat_load_ushort v8, v[8:9]
	s_waitcnt vmcnt(0) lgkmcnt(0)
	v_mul_f16_e32 v8, v48, v8
	v_cvt_f32_f16_e32 v8, v8
.LBB225_167:
	v_pk_add_f16 v4, v4, v26
	v_pk_add_f16 v5, v5, v27
	v_max_f16_e32 v9, v53, v53
	v_lshrrev_b32_e32 v10, 16, v53
	v_lshrrev_b32_e32 v11, 16, v4
	;; [unrolled: 1-line block ×3, first 2 shown]
	v_min_f16_e32 v4, v9, v4
	v_min3_f16 v9, v10, v11, v16
	v_min3_f16 v4, v4, v5, v9
	v_max_f32_e32 v5, v8, v8
	v_add_co_u32 v8, vcc_lo, v14, v36
	v_add_co_ci_u32_e64 v9, null, v15, v37, vcc_lo
	v_cvt_f32_f16_e32 v4, v4
	s_and_b32 vcc_lo, exec_lo, s1
	v_min_f32_e32 v4, v5, v4
	v_mov_b32_e32 v5, 0
	v_cvt_f16_f32_e32 v10, v4
	v_mov_b32_e32 v4, 0
	flat_store_short v[8:9], v10
	s_cbranch_vccnz .LBB225_169
; %bb.168:
	v_add_co_u32 v8, vcc_lo, v12, v42
	v_add_co_ci_u32_e64 v9, null, v13, v43, vcc_lo
	flat_load_ushort v5, v[8:9]
	s_waitcnt vmcnt(0) lgkmcnt(0)
	v_mul_f16_e32 v5, v48, v5
	v_cvt_f32_f16_e32 v5, v5
.LBB225_169:
	v_pk_add_f16 v6, v6, v26
	v_pk_add_f16 v7, v7, v27
	v_max_f16_e32 v8, v52, v52
	v_lshrrev_b32_e32 v9, 16, v52
	v_max_f32_e32 v5, v5, v5
	v_lshrrev_b32_e32 v10, 16, v6
	v_lshrrev_b32_e32 v11, 16, v7
	v_min_f16_e32 v6, v8, v6
	v_min3_f16 v8, v9, v10, v11
	v_min3_f16 v6, v6, v7, v8
	v_cvt_f32_f16_e32 v6, v6
	v_min_f32_e32 v5, v5, v6
	v_cvt_f16_f32_e32 v7, v5
	v_add_co_u32 v5, vcc_lo, v14, v42
	v_add_co_ci_u32_e64 v6, null, v15, v43, vcc_lo
	s_and_b32 vcc_lo, exec_lo, s1
	flat_store_short v[5:6], v7
	s_cbranch_vccnz .LBB225_171
; %bb.170:
	v_add_co_u32 v4, vcc_lo, v12, v40
	v_add_co_ci_u32_e64 v5, null, v13, v41, vcc_lo
	flat_load_ushort v4, v[4:5]
	s_waitcnt vmcnt(0) lgkmcnt(0)
	v_mul_f16_e32 v4, v48, v4
	v_cvt_f32_f16_e32 v4, v4
.LBB225_171:
	v_pk_add_f16 v0, v0, v26
	v_pk_add_f16 v1, v1, v27
	v_max_f16_e32 v5, v51, v51
	v_lshrrev_b32_e32 v6, 16, v51
	v_pk_add_f16 v3, v3, v27
	v_lshrrev_b32_e32 v7, 16, v0
	v_lshrrev_b32_e32 v8, 16, v1
	v_min_f16_e32 v0, v5, v0
	s_mov_b32 s1, -1
	v_min3_f16 v5, v6, v7, v8
	v_lshrrev_b32_e32 v6, 16, v50
	v_lshrrev_b32_e32 v8, 16, v3
	v_min3_f16 v0, v0, v1, v5
	v_pk_add_f16 v5, v2, v26
	v_max_f32_e32 v1, v4, v4
	v_max_f16_e32 v4, v50, v50
	v_cvt_f32_f16_e32 v0, v0
	v_lshrrev_b32_e32 v7, 16, v5
	v_min_f16_e32 v4, v4, v5
	v_min_f32_e32 v0, v1, v0
	v_min3_f16 v5, v6, v7, v8
	v_add_co_u32 v1, vcc_lo, v14, v40
	v_add_co_ci_u32_e64 v2, null, v15, v41, vcc_lo
	v_cvt_f16_f32_e32 v6, v0
	v_min3_f16 v0, v4, v3, v5
	s_mov_b32 vcc_lo, s0
	flat_store_short v[1:2], v6
	s_cbranch_vccz .LBB225_173
; %bb.172:
	v_cvt_f32_f16_e32 v1, v0
	s_mov_b32 s1, 0
	v_min_f32_e32 v1, 0, v1
	v_cvt_f16_f32_e32 v3, v1
	v_add_co_u32 v1, vcc_lo, v14, v38
	v_add_co_ci_u32_e64 v2, null, v15, v39, vcc_lo
	flat_store_short v[1:2], v3
.LBB225_173:
	v_mov_b32_e32 v1, 0
	s_andn2_b32 vcc_lo, exec_lo, s1
	s_cbranch_vccnz .LBB225_175
; %bb.174:
	v_add_co_u32 v1, vcc_lo, v12, v38
	v_add_co_ci_u32_e64 v2, null, v13, v39, vcc_lo
	flat_load_ushort v1, v[1:2]
	v_max_f16_e32 v2, v0, v0
	v_add_co_u32 v0, vcc_lo, v14, v38
	s_waitcnt vmcnt(0) lgkmcnt(0)
	v_mul_f16_e32 v3, v48, v1
	v_add_co_ci_u32_e64 v1, null, v15, v39, vcc_lo
	v_min_f16_e32 v4, v3, v2
	v_add_co_u32 v2, vcc_lo, v12, v44
	v_add_co_ci_u32_e64 v3, null, v13, v45, vcc_lo
	flat_store_short v[0:1], v4
	flat_load_ushort v0, v[2:3]
	s_waitcnt vmcnt(0) lgkmcnt(0)
	v_mul_f16_e32 v0, v48, v0
	v_cvt_f32_f16_e32 v1, v0
.LBB225_175:
	v_pk_add_f16 v0, v24, v26
	v_pk_add_f16 v2, v25, v27
	v_max_f16_e32 v3, v49, v49
	v_lshrrev_b32_e32 v4, 16, v49
	v_max_f32_e32 v1, v1, v1
	v_lshrrev_b32_e32 v5, 16, v0
	v_lshrrev_b32_e32 v6, 16, v2
	v_min_f16_e32 v0, v3, v0
	v_min3_f16 v3, v4, v5, v6
	v_min3_f16 v0, v0, v2, v3
	v_cvt_f32_f16_e32 v0, v0
	v_min_f32_e32 v0, v1, v0
	v_cvt_f16_f32_e32 v2, v0
	v_add_co_u32 v0, vcc_lo, v14, v44
	v_add_co_ci_u32_e64 v1, null, v15, v45, vcc_lo
	flat_store_short v[0:1], v2
	s_endpgm
	.section	.rodata,"a",@progbits
	.p2align	6, 0x0
	.amdhsa_kernel _ZN12_GLOBAL__N_120geam_min_plus_kernelIDF16_Dv2_DF16_S1_Li8ELi32ELi64ELi256ELi4ELi4ELi64ELi64ELi4ELc84ELc84ELb0ELb0ELb1EPKDF16_KS3_KPDF16_EEviiiT16_PT17_ilS9_ilS7_S9_ilPT18_ili26rocblas_geam_ex_operation_
		.amdhsa_group_segment_fixed_size 5120
		.amdhsa_private_segment_fixed_size 0
		.amdhsa_kernarg_size 136
		.amdhsa_user_sgpr_count 6
		.amdhsa_user_sgpr_private_segment_buffer 1
		.amdhsa_user_sgpr_dispatch_ptr 0
		.amdhsa_user_sgpr_queue_ptr 0
		.amdhsa_user_sgpr_kernarg_segment_ptr 1
		.amdhsa_user_sgpr_dispatch_id 0
		.amdhsa_user_sgpr_flat_scratch_init 0
		.amdhsa_user_sgpr_private_segment_size 0
		.amdhsa_wavefront_size32 1
		.amdhsa_uses_dynamic_stack 0
		.amdhsa_system_sgpr_private_segment_wavefront_offset 0
		.amdhsa_system_sgpr_workgroup_id_x 1
		.amdhsa_system_sgpr_workgroup_id_y 0
		.amdhsa_system_sgpr_workgroup_id_z 1
		.amdhsa_system_sgpr_workgroup_info 0
		.amdhsa_system_vgpr_workitem_id 1
		.amdhsa_next_free_vgpr 169
		.amdhsa_next_free_sgpr 24
		.amdhsa_reserve_vcc 1
		.amdhsa_reserve_flat_scratch 1
		.amdhsa_float_round_mode_32 0
		.amdhsa_float_round_mode_16_64 0
		.amdhsa_float_denorm_mode_32 3
		.amdhsa_float_denorm_mode_16_64 3
		.amdhsa_dx10_clamp 1
		.amdhsa_ieee_mode 1
		.amdhsa_fp16_overflow 0
		.amdhsa_workgroup_processor_mode 1
		.amdhsa_memory_ordered 1
		.amdhsa_forward_progress 1
		.amdhsa_shared_vgpr_count 0
		.amdhsa_exception_fp_ieee_invalid_op 0
		.amdhsa_exception_fp_denorm_src 0
		.amdhsa_exception_fp_ieee_div_zero 0
		.amdhsa_exception_fp_ieee_overflow 0
		.amdhsa_exception_fp_ieee_underflow 0
		.amdhsa_exception_fp_ieee_inexact 0
		.amdhsa_exception_int_div_zero 0
	.end_amdhsa_kernel
	.section	.text._ZN12_GLOBAL__N_120geam_min_plus_kernelIDF16_Dv2_DF16_S1_Li8ELi32ELi64ELi256ELi4ELi4ELi64ELi64ELi4ELc84ELc84ELb0ELb0ELb1EPKDF16_KS3_KPDF16_EEviiiT16_PT17_ilS9_ilS7_S9_ilPT18_ili26rocblas_geam_ex_operation_,"axG",@progbits,_ZN12_GLOBAL__N_120geam_min_plus_kernelIDF16_Dv2_DF16_S1_Li8ELi32ELi64ELi256ELi4ELi4ELi64ELi64ELi4ELc84ELc84ELb0ELb0ELb1EPKDF16_KS3_KPDF16_EEviiiT16_PT17_ilS9_ilS7_S9_ilPT18_ili26rocblas_geam_ex_operation_,comdat
.Lfunc_end225:
	.size	_ZN12_GLOBAL__N_120geam_min_plus_kernelIDF16_Dv2_DF16_S1_Li8ELi32ELi64ELi256ELi4ELi4ELi64ELi64ELi4ELc84ELc84ELb0ELb0ELb1EPKDF16_KS3_KPDF16_EEviiiT16_PT17_ilS9_ilS7_S9_ilPT18_ili26rocblas_geam_ex_operation_, .Lfunc_end225-_ZN12_GLOBAL__N_120geam_min_plus_kernelIDF16_Dv2_DF16_S1_Li8ELi32ELi64ELi256ELi4ELi4ELi64ELi64ELi4ELc84ELc84ELb0ELb0ELb1EPKDF16_KS3_KPDF16_EEviiiT16_PT17_ilS9_ilS7_S9_ilPT18_ili26rocblas_geam_ex_operation_
                                        ; -- End function
	.set _ZN12_GLOBAL__N_120geam_min_plus_kernelIDF16_Dv2_DF16_S1_Li8ELi32ELi64ELi256ELi4ELi4ELi64ELi64ELi4ELc84ELc84ELb0ELb0ELb1EPKDF16_KS3_KPDF16_EEviiiT16_PT17_ilS9_ilS7_S9_ilPT18_ili26rocblas_geam_ex_operation_.num_vgpr, 169
	.set _ZN12_GLOBAL__N_120geam_min_plus_kernelIDF16_Dv2_DF16_S1_Li8ELi32ELi64ELi256ELi4ELi4ELi64ELi64ELi4ELc84ELc84ELb0ELb0ELb1EPKDF16_KS3_KPDF16_EEviiiT16_PT17_ilS9_ilS7_S9_ilPT18_ili26rocblas_geam_ex_operation_.num_agpr, 0
	.set _ZN12_GLOBAL__N_120geam_min_plus_kernelIDF16_Dv2_DF16_S1_Li8ELi32ELi64ELi256ELi4ELi4ELi64ELi64ELi4ELc84ELc84ELb0ELb0ELb1EPKDF16_KS3_KPDF16_EEviiiT16_PT17_ilS9_ilS7_S9_ilPT18_ili26rocblas_geam_ex_operation_.numbered_sgpr, 24
	.set _ZN12_GLOBAL__N_120geam_min_plus_kernelIDF16_Dv2_DF16_S1_Li8ELi32ELi64ELi256ELi4ELi4ELi64ELi64ELi4ELc84ELc84ELb0ELb0ELb1EPKDF16_KS3_KPDF16_EEviiiT16_PT17_ilS9_ilS7_S9_ilPT18_ili26rocblas_geam_ex_operation_.num_named_barrier, 0
	.set _ZN12_GLOBAL__N_120geam_min_plus_kernelIDF16_Dv2_DF16_S1_Li8ELi32ELi64ELi256ELi4ELi4ELi64ELi64ELi4ELc84ELc84ELb0ELb0ELb1EPKDF16_KS3_KPDF16_EEviiiT16_PT17_ilS9_ilS7_S9_ilPT18_ili26rocblas_geam_ex_operation_.private_seg_size, 0
	.set _ZN12_GLOBAL__N_120geam_min_plus_kernelIDF16_Dv2_DF16_S1_Li8ELi32ELi64ELi256ELi4ELi4ELi64ELi64ELi4ELc84ELc84ELb0ELb0ELb1EPKDF16_KS3_KPDF16_EEviiiT16_PT17_ilS9_ilS7_S9_ilPT18_ili26rocblas_geam_ex_operation_.uses_vcc, 1
	.set _ZN12_GLOBAL__N_120geam_min_plus_kernelIDF16_Dv2_DF16_S1_Li8ELi32ELi64ELi256ELi4ELi4ELi64ELi64ELi4ELc84ELc84ELb0ELb0ELb1EPKDF16_KS3_KPDF16_EEviiiT16_PT17_ilS9_ilS7_S9_ilPT18_ili26rocblas_geam_ex_operation_.uses_flat_scratch, 1
	.set _ZN12_GLOBAL__N_120geam_min_plus_kernelIDF16_Dv2_DF16_S1_Li8ELi32ELi64ELi256ELi4ELi4ELi64ELi64ELi4ELc84ELc84ELb0ELb0ELb1EPKDF16_KS3_KPDF16_EEviiiT16_PT17_ilS9_ilS7_S9_ilPT18_ili26rocblas_geam_ex_operation_.has_dyn_sized_stack, 0
	.set _ZN12_GLOBAL__N_120geam_min_plus_kernelIDF16_Dv2_DF16_S1_Li8ELi32ELi64ELi256ELi4ELi4ELi64ELi64ELi4ELc84ELc84ELb0ELb0ELb1EPKDF16_KS3_KPDF16_EEviiiT16_PT17_ilS9_ilS7_S9_ilPT18_ili26rocblas_geam_ex_operation_.has_recursion, 0
	.set _ZN12_GLOBAL__N_120geam_min_plus_kernelIDF16_Dv2_DF16_S1_Li8ELi32ELi64ELi256ELi4ELi4ELi64ELi64ELi4ELc84ELc84ELb0ELb0ELb1EPKDF16_KS3_KPDF16_EEviiiT16_PT17_ilS9_ilS7_S9_ilPT18_ili26rocblas_geam_ex_operation_.has_indirect_call, 0
	.section	.AMDGPU.csdata,"",@progbits
; Kernel info:
; codeLenInByte = 19884
; TotalNumSgprs: 26
; NumVgprs: 169
; ScratchSize: 0
; MemoryBound: 0
; FloatMode: 240
; IeeeMode: 1
; LDSByteSize: 5120 bytes/workgroup (compile time only)
; SGPRBlocks: 0
; VGPRBlocks: 21
; NumSGPRsForWavesPerEU: 26
; NumVGPRsForWavesPerEU: 169
; Occupancy: 5
; WaveLimiterHint : 1
; COMPUTE_PGM_RSRC2:SCRATCH_EN: 0
; COMPUTE_PGM_RSRC2:USER_SGPR: 6
; COMPUTE_PGM_RSRC2:TRAP_HANDLER: 0
; COMPUTE_PGM_RSRC2:TGID_X_EN: 1
; COMPUTE_PGM_RSRC2:TGID_Y_EN: 0
; COMPUTE_PGM_RSRC2:TGID_Z_EN: 1
; COMPUTE_PGM_RSRC2:TIDIG_COMP_CNT: 1
	.section	.text._ZN12_GLOBAL__N_120geam_min_plus_kernelIDF16_Dv2_DF16_S1_Li8ELi32ELi64ELi256ELi4ELi4ELi64ELi64ELi4ELc84ELc84ELb1ELb0ELb1EDF16_KPKDF16_KPDF16_EEviiiT16_PT17_ilS9_ilS7_S9_ilPT18_ili26rocblas_geam_ex_operation_,"axG",@progbits,_ZN12_GLOBAL__N_120geam_min_plus_kernelIDF16_Dv2_DF16_S1_Li8ELi32ELi64ELi256ELi4ELi4ELi64ELi64ELi4ELc84ELc84ELb1ELb0ELb1EDF16_KPKDF16_KPDF16_EEviiiT16_PT17_ilS9_ilS7_S9_ilPT18_ili26rocblas_geam_ex_operation_,comdat
	.globl	_ZN12_GLOBAL__N_120geam_min_plus_kernelIDF16_Dv2_DF16_S1_Li8ELi32ELi64ELi256ELi4ELi4ELi64ELi64ELi4ELc84ELc84ELb1ELb0ELb1EDF16_KPKDF16_KPDF16_EEviiiT16_PT17_ilS9_ilS7_S9_ilPT18_ili26rocblas_geam_ex_operation_ ; -- Begin function _ZN12_GLOBAL__N_120geam_min_plus_kernelIDF16_Dv2_DF16_S1_Li8ELi32ELi64ELi256ELi4ELi4ELi64ELi64ELi4ELc84ELc84ELb1ELb0ELb1EDF16_KPKDF16_KPDF16_EEviiiT16_PT17_ilS9_ilS7_S9_ilPT18_ili26rocblas_geam_ex_operation_
	.p2align	8
	.type	_ZN12_GLOBAL__N_120geam_min_plus_kernelIDF16_Dv2_DF16_S1_Li8ELi32ELi64ELi256ELi4ELi4ELi64ELi64ELi4ELc84ELc84ELb1ELb0ELb1EDF16_KPKDF16_KPDF16_EEviiiT16_PT17_ilS9_ilS7_S9_ilPT18_ili26rocblas_geam_ex_operation_,@function
_ZN12_GLOBAL__N_120geam_min_plus_kernelIDF16_Dv2_DF16_S1_Li8ELi32ELi64ELi256ELi4ELi4ELi64ELi64ELi4ELc84ELc84ELb1ELb0ELb1EDF16_KPKDF16_KPDF16_EEviiiT16_PT17_ilS9_ilS7_S9_ilPT18_ili26rocblas_geam_ex_operation_: ; @_ZN12_GLOBAL__N_120geam_min_plus_kernelIDF16_Dv2_DF16_S1_Li8ELi32ELi64ELi256ELi4ELi4ELi64ELi64ELi4ELc84ELc84ELb1ELb0ELb1EDF16_KPKDF16_KPDF16_EEviiiT16_PT17_ilS9_ilS7_S9_ilPT18_ili26rocblas_geam_ex_operation_
; %bb.0:
	s_mov_b64 s[26:27], s[2:3]
	s_mov_b64 s[24:25], s[0:1]
	s_clause 0x1
	s_load_dwordx2 s[14:15], s[4:5], 0x8
	s_load_dwordx4 s[0:3], s[4:5], 0x20
	s_add_u32 s24, s24, s8
	s_mov_b32 s8, s7
	s_addc_u32 s25, s25, 0
	s_mov_b32 s9, 0
	s_waitcnt lgkmcnt(0)
	v_cmp_eq_f16_e64 s7, s15, 0
	s_and_b32 vcc_lo, exec_lo, s7
	s_cbranch_vccnz .LBB226_3
; %bb.1:
	s_load_dwordx2 s[10:11], s[4:5], 0x10
	s_lshl_b64 s[12:13], s[8:9], 3
	s_waitcnt lgkmcnt(0)
	s_add_u32 s10, s10, s12
	s_addc_u32 s11, s11, s13
	s_lshl_b64 s[0:1], s[0:1], 1
	s_load_dwordx2 s[10:11], s[10:11], 0x0
	s_waitcnt lgkmcnt(0)
	s_add_u32 s16, s10, s0
	s_addc_u32 s17, s11, s1
	s_andn2_b32 vcc_lo, exec_lo, s7
	s_cbranch_vccnz .LBB226_4
.LBB226_2:
	s_mov_b32 s21, 0
	s_mov_b32 s20, s8
	;; [unrolled: 1-line block ×3, first 2 shown]
	s_mov_b64 s[12:13], 0
	s_andn2_b32 vcc_lo, exec_lo, s0
	s_mov_b64 s[18:19], 0
	s_cbranch_vccz .LBB226_5
	s_branch .LBB226_6
.LBB226_3:
	s_mov_b64 s[16:17], 0
	s_andn2_b32 vcc_lo, exec_lo, s7
	s_cbranch_vccz .LBB226_2
.LBB226_4:
	s_mov_b64 s[20:21], s[8:9]
	s_mov_b64 s[12:13], 0
	;; [unrolled: 1-line block ×3, first 2 shown]
.LBB226_5:
	s_lshl_b64 s[0:1], s[8:9], 3
	s_load_dwordx2 s[8:9], s[4:5], 0x38
	s_add_u32 s0, s2, s0
	s_addc_u32 s1, s3, s1
	s_load_dwordx2 s[0:1], s[0:1], 0x0
	s_waitcnt lgkmcnt(0)
	s_lshl_b64 s[2:3], s[8:9], 1
	s_add_u32 s18, s0, s2
	s_addc_u32 s19, s1, s3
.LBB226_6:
	s_clause 0x1
	s_load_dword s15, s[4:5], 0x40
	s_load_dwordx4 s[8:11], s[4:5], 0x58
	s_waitcnt lgkmcnt(0)
	v_cmp_eq_f16_e64 s0, s15, 0
	s_and_b32 s0, exec_lo, s0
	s_mov_b32 vcc_lo, s0
	s_cbranch_vccnz .LBB226_8
; %bb.7:
	s_load_dwordx2 s[2:3], s[4:5], 0x48
	s_lshl_b64 s[12:13], s[20:21], 3
	s_waitcnt lgkmcnt(0)
	s_add_u32 s2, s2, s12
	s_addc_u32 s3, s3, s13
	s_lshl_b64 s[8:9], s[8:9], 1
	s_load_dwordx2 s[2:3], s[2:3], 0x0
	s_waitcnt lgkmcnt(0)
	s_add_u32 s12, s2, s8
	s_addc_u32 s13, s3, s9
.LBB226_8:
	s_load_dword s1, s[4:5], 0x0
	s_lshl_b64 s[2:3], s[20:21], 3
	s_clause 0x1
	s_load_dword s7, s[4:5], 0x18
	s_load_dword s8, s[4:5], 0x30
	s_add_u32 s2, s10, s2
	s_addc_u32 s3, s11, s3
	v_lshlrev_b32_e32 v185, 3, v1
	v_and_b32_e32 v5, 3, v0
	v_lshlrev_b32_e32 v119, 3, v0
	v_add_nc_u32_e32 v4, v185, v0
	v_lshlrev_b32_e32 v118, 1, v5
	v_add_nc_u32_e32 v24, 0x1000, v119
	v_lshrrev_b32_e32 v13, 2, v4
	v_lshrrev_b32_e32 v6, 6, v4
	v_and_b32_e32 v14, 63, v4
	v_lshl_or_b32 v128, v13, 3, v118
	s_waitcnt lgkmcnt(0)
	s_add_i32 s1, s1, -1
	v_mad_i64_i32 v[9:10], null, s8, v6, 0
	s_ashr_i32 s9, s1, 31
	v_add_nc_u32_e32 v8, 4, v6
	s_lshr_b32 s9, s9, 26
	s_add_i32 s1, s1, s9
	s_ashr_i32 s1, s1, 6
	v_lshlrev_b64 v[9:10], 1, v[9:10]
	s_add_i32 s9, s1, 1
	s_not_b32 s1, s1
	v_cvt_f32_u32_e32 v2, s9
	v_mad_i64_i32 v[11:12], null, s8, v8, 0
	v_add_co_u32 v16, vcc_lo, s18, v9
	v_rcp_iflag_f32_e32 v2, v2
	v_add_co_ci_u32_e64 v9, null, s19, v10, vcc_lo
	v_mul_f32_e32 v2, 0x4f7ffffe, v2
	v_cvt_u32_f32_e32 v2, v2
	v_readfirstlane_b32 s10, v2
	s_mul_i32 s1, s1, s10
	s_mul_hi_u32 s1, s10, s1
	s_add_i32 s10, s10, s1
	s_mul_hi_u32 s1, s6, s10
	s_mul_i32 s10, s1, s9
	s_add_i32 s11, s1, 1
	s_sub_i32 s10, s6, s10
	s_sub_i32 s20, s10, s9
	s_cmp_ge_u32 s10, s9
	s_cselect_b32 s1, s11, s1
	s_cselect_b32 s10, s20, s10
	s_add_i32 s11, s1, 1
	s_cmp_ge_u32 s10, s9
	s_cselect_b32 s10, s11, s1
	s_mul_i32 s1, s10, s9
	s_lshl_b32 s10, s10, 8
	s_sub_i32 s1, s6, s1
	v_or_b32_e32 v7, s10, v14
	s_lshl_b32 s1, s1, 6
	s_cmp_lt_i32 s14, 9
	v_add_nc_u32_e32 v3, s1, v13
	v_ashrrev_i32_e32 v8, 31, v7
	v_mad_i64_i32 v[3:4], null, v3, s7, 0
	v_lshlrev_b64 v[2:3], 1, v[3:4]
	v_lshlrev_b64 v[4:5], 1, v[7:8]
	v_add_co_u32 v10, vcc_lo, s16, v2
	v_add_co_ci_u32_e64 v15, null, s17, v3, vcc_lo
	v_add_co_u32 v7, vcc_lo, v16, v4
	v_add_co_ci_u32_e64 v8, null, v9, v5, vcc_lo
	;; [unrolled: 2-line block ×3, first 2 shown]
	s_clause 0x3
	flat_load_ushort v15, v[7:8]
	flat_load_ushort v16, v[7:8] offset:128
	flat_load_ushort v17, v[7:8] offset:256
	;; [unrolled: 1-line block ×3, first 2 shown]
	flat_load_ushort v19, v[9:10]
	v_lshlrev_b64 v[7:8], 1, v[11:12]
	v_add_co_u32 v7, vcc_lo, s18, v7
	v_add_co_ci_u32_e64 v8, null, s19, v8, vcc_lo
	v_add_co_u32 v7, vcc_lo, v7, v4
	v_add_co_ci_u32_e64 v8, null, v8, v5, vcc_lo
	flat_load_ushort v41, v[9:10] offset:8
	s_clause 0x3
	flat_load_ushort v43, v[7:8]
	flat_load_ushort v44, v[7:8] offset:128
	flat_load_ushort v45, v[7:8] offset:256
	;; [unrolled: 1-line block ×3, first 2 shown]
	v_lshlrev_b32_e32 v8, 3, v14
	s_load_dwordx2 s[2:3], s[2:3], 0x0
	v_lshl_add_u32 v87, v6, 1, v8
	s_waitcnt vmcnt(9) lgkmcnt(0)
	ds_write_b16 v87, v15
	s_waitcnt vmcnt(8)
	ds_write_b16 v87, v16 offset:512
	s_waitcnt vmcnt(7)
	ds_write_b16 v87, v17 offset:1024
	;; [unrolled: 2-line block ×4, first 2 shown]
	s_waitcnt vmcnt(0) lgkmcnt(0)
	s_barrier
	buffer_gl0_inv
	ds_read2_b64 v[8:11], v24 offset1:8
	ds_read2_b64 v[12:15], v185 offset1:32
	ds_read2_b64 v[16:19], v24 offset0:16 offset1:24
	ds_read2_b64 v[20:23], v24 offset0:32 offset1:40
	;; [unrolled: 1-line block ×6, first 2 shown]
	ds_write_b16 v128, v41 offset:4608
	ds_write_b16 v87, v43 offset:2048
	;; [unrolled: 1-line block ×4, first 2 shown]
	s_waitcnt lgkmcnt(10)
	v_pk_add_f16 v41, v8, v12
	v_pk_add_f16 v43, v10, v12
	s_waitcnt lgkmcnt(9)
	v_pk_add_f16 v44, v16, v12
	v_pk_add_f16 v45, v18, v12
	;; [unrolled: 3-line block ×4, first 2 shown]
	v_pk_add_f16 v49, v8, v14
	v_pk_add_f16 v50, v10, v14
	v_pk_add_f16 v51, v16, v14
	v_pk_add_f16 v52, v18, v14
	v_pk_add_f16 v53, v20, v14
	v_pk_add_f16 v54, v22, v14
	v_pk_add_f16 v55, v24, v14
	v_pk_add_f16 v14, v26, v14
	s_waitcnt lgkmcnt(6)
	v_pk_add_f16 v70, v8, v28
	v_pk_add_f16 v71, v10, v28
	v_pk_add_f16 v72, v16, v28
	v_pk_add_f16 v73, v18, v28
	v_pk_add_f16 v74, v20, v28
	v_pk_add_f16 v75, v22, v28
	v_pk_add_f16 v76, v24, v28
	v_pk_add_f16 v28, v26, v28
	v_pk_add_f16 v77, v8, v30
	v_pk_add_f16 v78, v10, v30
	v_pk_add_f16 v79, v16, v30
	v_pk_add_f16 v80, v18, v30
	v_pk_add_f16 v81, v20, v30
	v_pk_add_f16 v82, v22, v30
	v_pk_add_f16 v83, v24, v30
	v_pk_add_f16 v30, v26, v30
	s_waitcnt lgkmcnt(5)
	v_pk_add_f16 v90, v8, v32
	v_pk_add_f16 v91, v10, v32
	v_pk_add_f16 v92, v16, v32
	v_pk_add_f16 v93, v18, v32
	v_pk_add_f16 v94, v20, v32
	v_pk_add_f16 v95, v22, v32
	v_pk_add_f16 v96, v24, v32
	v_pk_add_f16 v32, v26, v32
	;; [unrolled: 17-line block ×3, first 2 shown]
	v_pk_add_f16 v108, v20, v36
	v_pk_add_f16 v109, v22, v36
	;; [unrolled: 1-line block ×72, first 2 shown]
	v_pk_min_f16 v39, 0x7c00, v41 op_sel_hi:[0,1]
	v_pk_min_f16 v41, 0x7c00, v43 op_sel_hi:[0,1]
	;; [unrolled: 1-line block ×64, first 2 shown]
	v_pk_min_f16 v39, v39, v56
	v_pk_min_f16 v90, v41, v57
	;; [unrolled: 1-line block ×64, first 2 shown]
	buffer_store_dword v87, off, s[24:27], 0 offset:116 ; 4-byte Folded Spill
	ds_write_b16 v87, v7 offset:3584
	s_waitcnt lgkmcnt(0)
	s_waitcnt_vscnt null, 0x0
	s_barrier
	buffer_gl0_inv
	s_cbranch_scc1 .LBB226_12
; %bb.9:
	buffer_store_dword v1, off, s[24:27], 0 offset:164 ; 4-byte Folded Spill
	v_add_nc_u32_e32 v1, 0x1000, v128
	v_add_co_u32 v113, vcc_lo, s18, v4
	v_add_co_ci_u32_e64 v114, null, s19, v5, vcc_lo
	buffer_store_dword v1, off, s[24:27], 0 offset:120 ; 4-byte Folded Spill
	buffer_store_dword v119, off, s[24:27], 0 offset:168 ; 4-byte Folded Spill
	buffer_load_dword v7, off, s[24:27], 0 offset:116 ; 4-byte Folded Reload
	v_or_b32_e32 v1, 0x1000, v119
	v_mov_b32_e32 v140, v39
	v_mov_b32_e32 v132, v82
	v_mov_b32_e32 v135, v83
	v_mov_b32_e32 v136, v57
	buffer_store_dword v1, off, s[24:27], 0 offset:124 ; 4-byte Folded Spill
	v_add_nc_u32_e32 v1, 0x1200, v128
	v_mov_b32_e32 v137, v43
	v_mov_b32_e32 v138, v41
	v_mov_b32_e32 v139, v90
	s_ashr_i32 s9, s8, 31
	buffer_store_dword v1, off, s[24:27], 0 offset:128 ; 4-byte Folded Spill
	v_add_nc_u32_e32 v1, 12, v6
	s_add_i32 s11, s14, -8
	s_lshl_b64 s[6:7], s[8:9], 4
	s_waitcnt vmcnt(0)
	v_or_b32_e32 v7, 0x800, v7
	buffer_store_dword v7, off, s[24:27], 0 offset:132 ; 4-byte Folded Spill
	buffer_store_dword v0, off, s[24:27], 0 offset:160 ; 4-byte Folded Spill
	v_lshl_add_u32 v0, v0, 3, 0x1200
	v_mad_i64_i32 v[7:8], null, v1, s8, 0
	v_add_nc_u32_e32 v1, 8, v6
	buffer_store_dword v0, off, s[24:27], 0 offset:136 ; 4-byte Folded Spill
	v_or_b32_e32 v0, 0x800, v185
	v_mad_i64_i32 v[4:5], null, v1, s8, 0
	s_mov_b32 s8, 0
	buffer_store_dword v0, off, s[24:27], 0 offset:140 ; 4-byte Folded Spill
	v_add_co_u32 v0, vcc_lo, v2, v118
	v_add_co_ci_u32_e64 v1, null, 0, v3, vcc_lo
	v_lshlrev_b64 v[2:3], 1, v[7:8]
	v_add_co_u32 v0, vcc_lo, s16, v0
	v_add_co_ci_u32_e64 v1, null, s17, v1, vcc_lo
	buffer_store_dword v2, off, s[24:27], 0 offset:144 ; 4-byte Folded Spill
	buffer_store_dword v3, off, s[24:27], 0 offset:148 ; 4-byte Folded Spill
	v_add_co_u32 v38, vcc_lo, v0, 16
	v_lshlrev_b64 v[2:3], 1, v[4:5]
	v_add_co_ci_u32_e64 v39, null, 0, v1, vcc_lo
	buffer_store_dword v2, off, s[24:27], 0 offset:152 ; 4-byte Folded Spill
	buffer_store_dword v3, off, s[24:27], 0 offset:156 ; 4-byte Folded Spill
.LBB226_10:                             ; =>This Inner Loop Header: Depth=1
	buffer_store_dword v74, off, s[24:27], 0 offset:64 ; 4-byte Folded Spill
	buffer_store_dword v61, off, s[24:27], 0 offset:60 ; 4-byte Folded Spill
	;; [unrolled: 1-line block ×3, first 2 shown]
	flat_load_ushort v0, v[38:39]
	s_clause 0x1
	buffer_load_dword v1, off, s[24:27], 0 offset:152
	buffer_load_dword v2, off, s[24:27], 0 offset:156
	v_mov_b32_e32 v87, v254
	v_mov_b32_e32 v131, v251
	;; [unrolled: 1-line block ×21, first 2 shown]
	s_add_i32 s8, s8, 8
	s_cmp_ge_i32 s8, s11
	s_waitcnt vmcnt(1)
	v_add_co_u32 v5, vcc_lo, v113, v1
	s_waitcnt vmcnt(0)
	v_add_co_ci_u32_e64 v6, null, v114, v2, vcc_lo
	s_clause 0x3
	flat_load_ushort v2, v[5:6]
	flat_load_ushort v3, v[5:6] offset:128
	flat_load_ushort v4, v[5:6] offset:256
	;; [unrolled: 1-line block ×3, first 2 shown]
	buffer_load_dword v1, off, s[24:27], 0 offset:136 ; 4-byte Folded Reload
	s_waitcnt vmcnt(0)
	ds_read2_b64 v[6:9], v1 offset1:8
	ds_read2_b64 v[10:13], v1 offset0:16 offset1:24
	ds_read2_b64 v[14:17], v1 offset0:32 offset1:40
	;; [unrolled: 1-line block ×3, first 2 shown]
	buffer_load_dword v1, off, s[24:27], 0 offset:140 ; 4-byte Folded Reload
	s_waitcnt vmcnt(0)
	ds_read2_b64 v[22:25], v1 offset1:32
	ds_read2_b64 v[26:29], v1 offset0:64 offset1:96
	ds_read2_b64 v[30:33], v1 offset0:128 offset1:160
	;; [unrolled: 1-line block ×3, first 2 shown]
	s_waitcnt lgkmcnt(3)
	v_pk_add_f16 v111, v6, v22
	v_pk_add_f16 v46, v8, v22
	;; [unrolled: 1-line block ×8, first 2 shown]
	s_waitcnt lgkmcnt(1)
	v_pk_add_f16 v22, v20, v32
	v_pk_add_f16 v241, v6, v24
	v_pk_add_f16 v213, v6, v26
	v_pk_add_f16 v190, v6, v28
	v_pk_add_f16 v169, v6, v30
	v_pk_add_f16 v151, v6, v32
	buffer_store_dword v22, off, s[24:27], 0 offset:108 ; 4-byte Folded Spill
	s_waitcnt lgkmcnt(0)
	v_pk_add_f16 v22, v6, v34
	v_pk_add_f16 v6, v6, v36
	;; [unrolled: 1-line block ×5, first 2 shown]
	buffer_store_dword v22, off, s[24:27], 0 offset:96 ; 4-byte Folded Spill
	buffer_store_dword v6, off, s[24:27], 0 offset:56 ; 4-byte Folded Spill
	v_pk_add_f16 v6, v8, v36
	v_pk_add_f16 v22, v8, v34
	v_pk_add_f16 v231, v14, v24
	v_pk_add_f16 v228, v16, v24
	v_pk_add_f16 v225, v18, v24
	buffer_store_dword v6, off, s[24:27], 0 offset:48 ; 4-byte Folded Spill
	v_pk_add_f16 v6, v10, v36
	buffer_store_dword v22, off, s[24:27], 0 offset:92 ; 4-byte Folded Spill
	v_pk_add_f16 v22, v10, v34
	v_pk_add_f16 v222, v20, v24
	v_pk_add_f16 v210, v8, v26
	buffer_store_dword v6, off, s[24:27], 0 offset:44 ; 4-byte Folded Spill
	v_pk_add_f16 v6, v12, v36
	buffer_store_dword v22, off, s[24:27], 0 offset:88 ; 4-byte Folded Spill
	v_pk_add_f16 v22, v12, v34
	v_pk_add_f16 v207, v10, v26
	v_pk_add_f16 v204, v12, v26
	;; [unrolled: 6-line block ×7, first 2 shown]
	buffer_store_dword v6, off, s[24:27], 0 offset:112 ; 4-byte Folded Spill
	v_pk_add_f16 v6, v17, v37
	v_pk_add_f16 v167, v8, v30
	v_pk_add_f16 v165, v10, v30
	v_pk_add_f16 v163, v12, v30
	v_pk_add_f16 v158, v14, v30
	buffer_store_dword v6, off, s[24:27], 0 offset:104 ; 4-byte Folded Spill
	v_pk_add_f16 v6, v19, v37
	v_pk_add_f16 v154, v16, v30
	v_pk_add_f16 v153, v18, v30
	v_pk_add_f16 v152, v20, v30
	v_pk_add_f16 v150, v8, v32
	;; [unrolled: 6-line block ×3, first 2 shown]
	buffer_store_dword v6, off, s[24:27], 0 offset:24 ; 4-byte Folded Spill
	buffer_load_dword v6, off, s[24:27], 0 offset:120 ; 4-byte Folded Reload
	v_pk_add_f16 v141, v18, v32
	v_pk_add_f16 v61, v7, v23
	;; [unrolled: 1-line block ×61, first 2 shown]
	s_waitcnt vmcnt(0)
	ds_write_b16 v6, v0
	buffer_load_dword v0, off, s[24:27], 0 offset:116 ; 4-byte Folded Reload
	s_waitcnt vmcnt(0)
	ds_write_b16 v0, v2
	ds_write_b16 v0, v3 offset:512
	ds_write_b16 v0, v4 offset:1024
	;; [unrolled: 1-line block ×3, first 2 shown]
	s_waitcnt lgkmcnt(0)
	s_waitcnt_vscnt null, 0x0
	s_barrier
	buffer_gl0_inv
	flat_load_ushort v0, v[38:39] offset:8
	s_waitcnt vmcnt(0) lgkmcnt(0)
	buffer_store_dword v0, off, s[24:27], 0 ; 4-byte Folded Spill
	s_clause 0x1
	buffer_load_dword v2, off, s[24:27], 0 offset:144
	buffer_load_dword v3, off, s[24:27], 0 offset:148
	s_waitcnt vmcnt(1)
	v_add_co_u32 v2, vcc_lo, v113, v2
	s_waitcnt vmcnt(0)
	v_add_co_ci_u32_e64 v3, null, v114, v3, vcc_lo
	v_add_co_u32 v113, vcc_lo, v113, s6
	v_add_co_ci_u32_e64 v114, null, s7, v114, vcc_lo
	flat_load_ushort v0, v[2:3]
	v_add_co_u32 v38, vcc_lo, v38, 16
	v_add_co_ci_u32_e64 v39, null, 0, v39, vcc_lo
	s_waitcnt vmcnt(0) lgkmcnt(0)
	buffer_store_dword v0, off, s[24:27], 0 offset:4 ; 4-byte Folded Spill
	flat_load_ushort v0, v[2:3] offset:128
	s_waitcnt vmcnt(0) lgkmcnt(0)
	buffer_store_dword v0, off, s[24:27], 0 offset:8 ; 4-byte Folded Spill
	flat_load_ushort v0, v[2:3] offset:256
	;; [unrolled: 3-line block ×3, first 2 shown]
	s_waitcnt vmcnt(0) lgkmcnt(0)
	buffer_store_dword v0, off, s[24:27], 0 offset:16 ; 4-byte Folded Spill
	buffer_load_dword v0, off, s[24:27], 0 offset:124 ; 4-byte Folded Reload
	s_waitcnt vmcnt(0)
	ds_read2_b64 v[18:21], v0 offset1:8
	ds_read2_b64 v[14:17], v0 offset0:16 offset1:24
	ds_read2_b64 v[10:13], v0 offset0:32 offset1:40
	;; [unrolled: 1-line block ×3, first 2 shown]
	ds_read2_b64 v[30:33], v185 offset1:32
	ds_read2_b64 v[26:29], v185 offset0:64 offset1:96
	ds_read2_b64 v[22:25], v185 offset0:128 offset1:160
	;; [unrolled: 1-line block ×3, first 2 shown]
	s_waitcnt lgkmcnt(3)
	v_pk_add_f16 v62, v18, v30
	v_pk_add_f16 v63, v20, v30
	v_pk_add_f16 v64, v14, v30
	v_pk_add_f16 v65, v16, v30
	v_pk_add_f16 v66, v10, v30
	v_pk_add_f16 v67, v12, v30
	v_pk_add_f16 v68, v2, v30
	v_pk_add_f16 v69, v4, v30
	v_pk_add_f16 v70, v18, v32
	v_pk_add_f16 v71, v20, v32
	v_pk_add_f16 v72, v14, v32
	v_pk_add_f16 v73, v16, v32
	v_pk_add_f16 v74, v10, v32
	v_pk_add_f16 v75, v12, v32
	v_pk_add_f16 v115, v2, v32
	v_pk_add_f16 v116, v4, v32
	s_waitcnt lgkmcnt(2)
	v_pk_add_f16 v59, v18, v26
	v_pk_add_f16 v57, v20, v26
	v_pk_add_f16 v55, v14, v26
	v_pk_add_f16 v53, v16, v26
	v_pk_add_f16 v51, v10, v26
	v_pk_add_f16 v49, v12, v26
	v_pk_add_f16 v37, v2, v26
	v_pk_add_f16 v35, v4, v26
	v_pk_add_f16 v112, v18, v28
	v_pk_add_f16 v45, v20, v28
	v_pk_add_f16 v0, v14, v28
	v_pk_add_f16 v255, v16, v28
	v_pk_add_f16 v252, v10, v28
	v_pk_add_f16 v249, v12, v28
	v_pk_add_f16 v246, v2, v28
	v_pk_add_f16 v244, v4, v28
	;; [unrolled: 17-line block ×4, first 2 shown]
	v_pk_max_f16 v8, v140, v140
	v_pk_add_f16 v4, v19, v31
	v_pk_min_f16 v8, v8, v111
	v_pk_min_f16 v8, v8, v61
	v_pk_min_f16 v8, v8, v62
	v_pk_min_f16 v140, v8, v4
	v_pk_max_f16 v8, v139, v139
	v_pk_add_f16 v4, v21, v31
	v_pk_min_f16 v8, v8, v46
	v_pk_min_f16 v8, v8, v60
	v_pk_min_f16 v8, v8, v63
	v_pk_min_f16 v139, v8, v4
	;; [unrolled: 6-line block ×26, first 2 shown]
	v_pk_max_f16 v4, v104, v104
	v_pk_add_f16 v1, v15, v29
	v_pk_min_f16 v4, v4, v183
	v_pk_min_f16 v4, v4, v216
	v_pk_min_f16 v0, v4, v0
	buffer_load_dword v4, off, s[24:27], 0 offset:108 ; 4-byte Folded Reload
	v_pk_min_f16 v104, v0, v1
	v_pk_max_f16 v1, v125, v125
	v_pk_add_f16 v0, v17, v29
	v_pk_min_f16 v1, v1, v181
	v_pk_min_f16 v1, v1, v214
	v_pk_min_f16 v1, v1, v255
	v_pk_min_f16 v198, v1, v0
	v_pk_max_f16 v1, v103, v103
	v_pk_add_f16 v0, v11, v29
	v_pk_min_f16 v1, v1, v179
	v_pk_min_f16 v1, v1, v211
	v_pk_min_f16 v1, v1, v252
	v_pk_min_f16 v103, v1, v0
	v_pk_max_f16 v1, v124, v124
	v_pk_add_f16 v0, v13, v29
	v_pk_min_f16 v1, v1, v177
	v_pk_min_f16 v1, v1, v208
	v_pk_min_f16 v1, v1, v249
	v_pk_min_f16 v192, v1, v0
	v_pk_max_f16 v1, v102, v102
	v_pk_add_f16 v0, v3, v29
	v_pk_min_f16 v1, v1, v175
	v_pk_min_f16 v1, v1, v205
	v_pk_min_f16 v1, v1, v246
	v_pk_min_f16 v102, v1, v0
	v_pk_max_f16 v1, v101, v101
	v_pk_add_f16 v0, v5, v29
	v_pk_min_f16 v1, v1, v173
	v_pk_min_f16 v1, v1, v202
	v_pk_min_f16 v1, v1, v244
	v_pk_min_f16 v101, v1, v0
	v_pk_max_f16 v1, v123, v123
	v_pk_add_f16 v0, v19, v23
	v_pk_min_f16 v1, v1, v169
	v_pk_min_f16 v1, v1, v199
	v_pk_min_f16 v1, v1, v236
	v_pk_min_f16 v183, v1, v0
	v_pk_max_f16 v1, v100, v100
	v_pk_add_f16 v0, v21, v23
	v_pk_min_f16 v1, v1, v167
	v_pk_min_f16 v1, v1, v196
	v_pk_min_f16 v1, v1, v233
	v_pk_min_f16 v100, v1, v0
	v_pk_max_f16 v1, v99, v99
	v_pk_add_f16 v0, v15, v23
	v_pk_min_f16 v1, v1, v165
	v_pk_min_f16 v1, v1, v193
	v_pk_min_f16 v1, v1, v230
	v_pk_min_f16 v99, v1, v0
	v_pk_max_f16 v1, v122, v122
	v_pk_add_f16 v0, v17, v23
	v_pk_min_f16 v1, v1, v163
	v_pk_min_f16 v1, v1, v191
	v_pk_min_f16 v1, v1, v227
	v_pk_min_f16 v177, v1, v0
	v_pk_max_f16 v1, v98, v98
	v_pk_add_f16 v0, v11, v23
	v_pk_min_f16 v1, v1, v158
	v_pk_min_f16 v1, v1, v188
	v_pk_min_f16 v1, v1, v224
	v_pk_min_f16 v98, v1, v0
	v_pk_max_f16 v1, v97, v97
	v_pk_add_f16 v0, v13, v23
	v_pk_min_f16 v1, v1, v154
	v_pk_min_f16 v1, v1, v184
	v_pk_min_f16 v1, v1, v221
	v_pk_min_f16 v97, v1, v0
	v_pk_max_f16 v1, v96, v96
	v_pk_add_f16 v0, v3, v23
	v_pk_min_f16 v1, v1, v153
	v_pk_min_f16 v1, v1, v182
	v_pk_min_f16 v1, v1, v219
	v_pk_min_f16 v96, v1, v0
	v_pk_max_f16 v1, v95, v95
	v_pk_add_f16 v0, v5, v23
	v_pk_min_f16 v1, v1, v152
	v_pk_min_f16 v1, v1, v180
	v_pk_min_f16 v1, v1, v217
	v_pk_min_f16 v95, v1, v0
	v_pk_max_f16 v1, v94, v94
	v_pk_add_f16 v0, v19, v25
	v_pk_min_f16 v1, v1, v151
	v_pk_min_f16 v1, v1, v178
	v_pk_min_f16 v1, v1, v215
	v_pk_min_f16 v94, v1, v0
	v_pk_max_f16 v1, v93, v93
	v_pk_add_f16 v0, v21, v25
	v_pk_min_f16 v1, v1, v150
	v_pk_min_f16 v1, v1, v176
	v_pk_min_f16 v1, v1, v212
	v_pk_min_f16 v93, v1, v0
	v_pk_max_f16 v1, v149, v149
	v_pk_add_f16 v0, v15, v25
	v_pk_min_f16 v1, v1, v92
	v_pk_min_f16 v1, v1, v174
	v_pk_min_f16 v1, v1, v209
	v_pk_min_f16 v149, v1, v0
	v_pk_max_f16 v1, v147, v147
	v_pk_add_f16 v0, v17, v25
	v_pk_min_f16 v1, v1, v91
	v_pk_min_f16 v1, v1, v172
	v_pk_min_f16 v1, v1, v206
	v_pk_min_f16 v147, v1, v0
	v_pk_max_f16 v1, v90, v90
	v_pk_add_f16 v0, v11, v25
	v_pk_min_f16 v1, v1, v145
	v_pk_min_f16 v1, v1, v171
	v_pk_min_f16 v1, v1, v203
	v_pk_min_f16 v116, v1, v0
	v_pk_max_f16 v1, v89, v89
	v_pk_add_f16 v0, v13, v25
	v_pk_min_f16 v1, v1, v143
	v_pk_min_f16 v1, v1, v170
	v_pk_min_f16 v1, v1, v200
	v_pk_min_f16 v89, v1, v0
	v_pk_max_f16 v1, v88, v88
	v_pk_add_f16 v0, v3, v25
	v_pk_min_f16 v1, v1, v141
	v_pk_min_f16 v1, v1, v168
	v_pk_min_f16 v1, v1, v197
	v_pk_min_f16 v88, v1, v0
	v_pk_max_f16 v1, v121, v121
	v_pk_add_f16 v0, v5, v25
	s_waitcnt vmcnt(0)
	v_pk_min_f16 v1, v1, v4
	buffer_load_dword v4, off, s[24:27], 0 offset:96 ; 4-byte Folded Reload
	v_pk_min_f16 v1, v1, v166
	v_pk_min_f16 v1, v1, v194
	v_pk_min_f16 v121, v1, v0
	v_pk_max_f16 v1, v86, v86
	v_pk_add_f16 v0, v19, v7
	s_waitcnt vmcnt(0)
	v_pk_min_f16 v1, v1, v4
	buffer_load_dword v4, off, s[24:27], 0 offset:92 ; 4-byte Folded Reload
	v_pk_min_f16 v1, v1, v164
	v_pk_min_f16 v1, v1, v189
	;; [unrolled: 8-line block ×13, first 2 shown]
	v_pk_min_f16 v76, v1, v0
	buffer_load_dword v1, off, s[24:27], 0 offset:60 ; 4-byte Folded Reload
	v_pk_add_f16 v0, v11, v9
	s_waitcnt vmcnt(0)
	v_pk_max_f16 v1, v1, v1
	v_pk_min_f16 v1, v1, v4
	buffer_load_dword v4, off, s[24:27], 0 offset:112 ; 4-byte Folded Reload
	s_waitcnt vmcnt(0)
	v_pk_min_f16 v1, v1, v4
	buffer_load_dword v4, off, s[24:27], 0 offset:32 ; 4-byte Folded Reload
	v_pk_min_f16 v1, v1, v14
	v_pk_min_f16 v61, v1, v0
	buffer_load_dword v1, off, s[24:27], 0 offset:52 ; 4-byte Folded Reload
	v_pk_add_f16 v0, v13, v9
	s_waitcnt vmcnt(0)
	v_pk_max_f16 v1, v1, v1
	v_pk_min_f16 v1, v1, v4
	buffer_load_dword v4, off, s[24:27], 0 offset:104 ; 4-byte Folded Reload
	s_waitcnt vmcnt(0)
	v_pk_min_f16 v1, v1, v4
	v_pk_min_f16 v1, v1, v10
	v_pk_min_f16 v60, v1, v0
	v_pk_add_f16 v0, v3, v9
	buffer_load_dword v3, off, s[24:27], 0 offset:28 ; 4-byte Folded Reload
	v_pk_max_f16 v1, v117, v117
	s_waitcnt vmcnt(0)
	v_pk_min_f16 v1, v1, v3
	buffer_load_dword v3, off, s[24:27], 0 offset:100 ; 4-byte Folded Reload
	s_waitcnt vmcnt(0)
	v_pk_min_f16 v1, v1, v3
	v_pk_add_f16 v3, v5, v9
	v_pk_min_f16 v1, v1, v6
	v_pk_min_f16 v117, v1, v0
	s_clause 0x1
	buffer_load_dword v0, off, s[24:27], 0 offset:64
	buffer_load_dword v1, off, s[24:27], 0 offset:20
	s_waitcnt vmcnt(1)
	v_pk_max_f16 v0, v0, v0
	s_waitcnt vmcnt(0)
	v_pk_min_f16 v0, v0, v1
	buffer_load_dword v1, off, s[24:27], 0 offset:24 ; 4-byte Folded Reload
	s_waitcnt vmcnt(0)
	v_pk_min_f16 v0, v0, v1
	v_pk_min_f16 v0, v0, v2
	;; [unrolled: 1-line block ×3, first 2 shown]
	s_clause 0x1
	buffer_load_dword v0, off, s[24:27], 0 offset:128
	buffer_load_dword v1, off, s[24:27], 0
	s_waitcnt vmcnt(0)
	ds_write_b16 v0, v1
	s_clause 0x1
	buffer_load_dword v0, off, s[24:27], 0 offset:132
	buffer_load_dword v1, off, s[24:27], 0 offset:4
	s_waitcnt vmcnt(0)
	ds_write_b16 v0, v1
	buffer_load_dword v1, off, s[24:27], 0 offset:8 ; 4-byte Folded Reload
	s_waitcnt vmcnt(0)
	ds_write_b16 v0, v1 offset:512
	buffer_load_dword v1, off, s[24:27], 0 offset:12 ; 4-byte Folded Reload
	s_waitcnt vmcnt(0)
	ds_write_b16 v0, v1 offset:1024
	;; [unrolled: 3-line block ×3, first 2 shown]
	s_waitcnt lgkmcnt(0)
	s_waitcnt_vscnt null, 0x0
	s_barrier
	buffer_gl0_inv
	s_cbranch_scc0 .LBB226_10
; %bb.11:
	s_clause 0x2
	buffer_load_dword v0, off, s[24:27], 0 offset:160
	buffer_load_dword v1, off, s[24:27], 0 offset:164
	;; [unrolled: 1-line block ×3, first 2 shown]
	v_mov_b32_e32 v82, v132
	v_mov_b32_e32 v83, v135
	;; [unrolled: 1-line block ×7, first 2 shown]
.LBB226_12:
	s_load_dword s6, s[4:5], 0x50
	s_waitcnt vmcnt(1)
	v_add_nc_u32_e32 v111, s10, v1
	s_waitcnt vmcnt(0)
	ds_read_b64 v[30:31], v119 offset:4608
	ds_read_b64 v[46:47], v185 offset:2048
	v_add_nc_u32_e32 v44, s1, v0
	v_cmp_neq_f16_e64 s8, s15, 0
	v_mov_b32_e32 v34, 0
	v_ashrrev_i32_e32 v45, 31, v44
	s_and_b32 vcc_lo, exec_lo, s8
	v_lshlrev_b64 v[28:29], 1, v[44:45]
	s_waitcnt lgkmcnt(0)
	v_mad_i64_i32 v[1:2], null, v111, s6, 0
	v_lshlrev_b64 v[0:1], 1, v[1:2]
	v_add_co_u32 v48, s1, s12, v0
	v_add_co_ci_u32_e64 v49, null, s13, v1, s1
	v_mov_b32_e32 v0, 0
	s_cbranch_vccz .LBB226_14
; %bb.13:
	v_add_co_u32 v0, vcc_lo, v48, v28
	v_add_co_ci_u32_e64 v1, null, v49, v29, vcc_lo
	flat_load_ushort v0, v[0:1]
	s_waitcnt vmcnt(0) lgkmcnt(0)
	v_mul_f16_e32 v0, s15, v0
	v_cvt_f32_f16_e32 v0, v0
.LBB226_14:
	s_clause 0x1
	s_load_dword s7, s[4:5], 0x68
	s_load_dwordx2 s[4:5], s[4:5], 0x70
	v_pk_add_f16 v2, v30, v46
	v_pk_add_f16 v13, v31, v47
	v_max_f16_e32 v3, v39, v39
	v_lshrrev_b32_e32 v4, 16, v39
	v_add_nc_u32_e32 v1, 0x1000, v119
	v_lshrrev_b32_e32 v5, 16, v2
	v_lshrrev_b32_e32 v6, 16, v13
	v_add_nc_u32_e32 v12, 0x800, v185
	v_min_f16_e32 v14, v3, v2
	ds_read_b64 v[24:25], v119 offset:5056
	ds_read_b64 v[26:27], v185 offset:3840
	v_min3_f16 v15, v4, v5, v6
	v_max_f32_e32 v37, v0, v0
	ds_read2_b64 v[8:11], v1 offset0:72 offset1:80
	ds_read2_b64 v[4:7], v1 offset0:88 offset1:96
	;; [unrolled: 1-line block ×3, first 2 shown]
	v_min3_f16 v33, v14, v13, v15
	ds_read2_b64 v[20:23], v12 offset0:32 offset1:64
	ds_read2_b64 v[16:19], v12 offset0:96 offset1:128
	;; [unrolled: 1-line block ×3, first 2 shown]
	s_waitcnt lgkmcnt(0)
	v_mad_i64_i32 v[35:36], null, v111, s7, 0
	v_add_nc_u32_e32 v32, 8, v44
	s_lshl_b64 s[4:5], s[4:5], 1
	v_cvt_f32_f16_e32 v39, v33
	s_add_u32 s2, s2, s4
	s_addc_u32 s3, s3, s5
	v_ashrrev_i32_e32 v33, 31, v32
	v_lshlrev_b64 v[35:36], 1, v[35:36]
	v_cndmask_b32_e64 v38, 0, 1, s8
	v_min_f32_e32 v37, v37, v39
	v_lshlrev_b64 v[32:33], 1, v[32:33]
	v_cmp_ne_u32_e64 s1, 1, v38
	v_add_co_u32 v50, vcc_lo, s2, v35
	v_add_co_ci_u32_e64 v51, null, s3, v36, vcc_lo
	v_cvt_f16_f32_e32 v37, v37
	v_add_co_u32 v35, vcc_lo, v50, v28
	v_add_co_ci_u32_e64 v36, null, v51, v29, vcc_lo
	s_andn2_b32 vcc_lo, exec_lo, s8
	flat_store_short v[35:36], v37
	s_cbranch_vccnz .LBB226_16
; %bb.15:
	v_add_co_u32 v34, vcc_lo, v48, v32
	v_add_co_ci_u32_e64 v35, null, v49, v33, vcc_lo
	flat_load_ushort v34, v[34:35]
	s_waitcnt vmcnt(0) lgkmcnt(0)
	v_mul_f16_e32 v34, s15, v34
	v_cvt_f32_f16_e32 v34, v34
.LBB226_16:
	v_pk_add_f16 v35, v8, v46
	v_pk_add_f16 v36, v9, v47
	v_max_f16_e32 v37, v90, v90
	v_lshrrev_b32_e32 v38, 16, v90
	v_max_f32_e32 v34, v34, v34
	v_lshrrev_b32_e32 v39, 16, v35
	v_lshrrev_b32_e32 v40, 16, v36
	v_min_f16_e32 v35, v37, v35
	v_min3_f16 v37, v38, v39, v40
	v_add_co_u32 v39, vcc_lo, v50, v32
	v_add_co_ci_u32_e64 v40, null, v51, v33, vcc_lo
	v_min3_f16 v36, v35, v36, v37
	v_add_nc_u32_e32 v35, 16, v44
	v_mov_b32_e32 v38, 0
	s_and_b32 vcc_lo, exec_lo, s1
	v_cvt_f32_f16_e32 v37, v36
	v_ashrrev_i32_e32 v36, 31, v35
	v_min_f32_e32 v34, v34, v37
	v_cvt_f16_f32_e32 v37, v34
	v_lshlrev_b64 v[34:35], 1, v[35:36]
	v_mov_b32_e32 v36, 0
	flat_store_short v[39:40], v37
	s_cbranch_vccnz .LBB226_18
; %bb.17:
	v_add_co_u32 v36, vcc_lo, v48, v34
	v_add_co_ci_u32_e64 v37, null, v49, v35, vcc_lo
	flat_load_ushort v36, v[36:37]
	s_waitcnt vmcnt(0) lgkmcnt(0)
	v_mul_f16_e32 v36, s15, v36
	v_cvt_f32_f16_e32 v36, v36
.LBB226_18:
	v_pk_add_f16 v37, v10, v46
	v_pk_add_f16 v39, v11, v47
	v_max_f16_e32 v40, v41, v41
	v_lshrrev_b32_e32 v41, 16, v41
	v_max_f32_e32 v36, v36, v36
	v_lshrrev_b32_e32 v42, 16, v37
	v_lshrrev_b32_e32 v45, 16, v39
	v_min_f16_e32 v37, v40, v37
	v_min3_f16 v40, v41, v42, v45
	v_add_co_u32 v41, vcc_lo, v50, v34
	v_add_co_ci_u32_e64 v42, null, v51, v35, vcc_lo
	v_min3_f16 v37, v37, v39, v40
	v_add_nc_u32_e32 v39, 24, v44
	s_and_b32 vcc_lo, exec_lo, s1
	v_cvt_f32_f16_e32 v37, v37
	v_ashrrev_i32_e32 v40, 31, v39
	v_min_f32_e32 v36, v36, v37
	v_cvt_f16_f32_e32 v45, v36
	v_lshlrev_b64 v[36:37], 1, v[39:40]
	flat_store_short v[41:42], v45
	s_cbranch_vccnz .LBB226_20
; %bb.19:
	v_add_co_u32 v38, vcc_lo, v48, v36
	v_add_co_ci_u32_e64 v39, null, v49, v37, vcc_lo
	flat_load_ushort v38, v[38:39]
	s_waitcnt vmcnt(0) lgkmcnt(0)
	v_mul_f16_e32 v38, s15, v38
	v_cvt_f32_f16_e32 v38, v38
.LBB226_20:
	v_pk_add_f16 v39, v4, v46
	v_pk_add_f16 v40, v5, v47
	v_max_f16_e32 v41, v43, v43
	v_lshrrev_b32_e32 v42, 16, v43
	v_max_f32_e32 v38, v38, v38
	v_lshrrev_b32_e32 v43, 16, v39
	v_lshrrev_b32_e32 v45, 16, v40
	v_min_f16_e32 v39, v41, v39
	v_add_co_u32 v52, vcc_lo, v50, v36
	v_add_co_ci_u32_e64 v53, null, v51, v37, vcc_lo
	v_min3_f16 v41, v42, v43, v45
	s_and_b32 vcc_lo, exec_lo, s1
	v_min3_f16 v40, v39, v40, v41
	v_add_nc_u32_e32 v39, 32, v44
	v_cvt_f32_f16_e32 v41, v40
	v_ashrrev_i32_e32 v40, 31, v39
	v_min_f32_e32 v41, v38, v41
	v_lshlrev_b64 v[42:43], 1, v[39:40]
	v_mov_b32_e32 v38, 0
	v_mov_b32_e32 v39, 0
	v_cvt_f16_f32_e32 v41, v41
	flat_store_short v[52:53], v41
	s_cbranch_vccnz .LBB226_22
; %bb.21:
	v_add_co_u32 v39, vcc_lo, v48, v42
	v_add_co_ci_u32_e64 v40, null, v49, v43, vcc_lo
	flat_load_ushort v39, v[39:40]
	s_waitcnt vmcnt(0) lgkmcnt(0)
	v_mul_f16_e32 v39, s15, v39
	v_cvt_f32_f16_e32 v39, v39
.LBB226_22:
	v_pk_add_f16 v40, v6, v46
	v_pk_add_f16 v41, v7, v47
	v_max_f16_e32 v45, v57, v57
	v_lshrrev_b32_e32 v52, 16, v57
	v_max_f32_e32 v39, v39, v39
	v_lshrrev_b32_e32 v53, 16, v40
	v_lshrrev_b32_e32 v54, 16, v41
	v_min_f16_e32 v40, v45, v40
	v_min3_f16 v45, v52, v53, v54
	v_add_co_u32 v52, vcc_lo, v50, v42
	v_add_co_ci_u32_e64 v53, null, v51, v43, vcc_lo
	v_min3_f16 v41, v40, v41, v45
	v_add_nc_u32_e32 v40, 40, v44
	s_and_b32 vcc_lo, exec_lo, s1
	v_cvt_f32_f16_e32 v45, v41
	v_ashrrev_i32_e32 v41, 31, v40
	v_min_f32_e32 v39, v39, v45
	v_lshlrev_b64 v[40:41], 1, v[40:41]
	v_cvt_f16_f32_e32 v39, v39
	flat_store_short v[52:53], v39
	s_cbranch_vccnz .LBB226_24
; %bb.23:
	v_add_co_u32 v38, vcc_lo, v48, v40
	v_add_co_ci_u32_e64 v39, null, v49, v41, vcc_lo
	flat_load_ushort v38, v[38:39]
	s_waitcnt vmcnt(0) lgkmcnt(0)
	v_mul_f16_e32 v38, s15, v38
	v_cvt_f32_f16_e32 v38, v38
.LBB226_24:
	v_pk_add_f16 v39, v0, v46
	v_pk_add_f16 v45, v1, v47
	v_max_f16_e32 v52, v56, v56
	v_lshrrev_b32_e32 v53, 16, v56
	v_max_f32_e32 v38, v38, v38
	v_lshrrev_b32_e32 v54, 16, v39
	v_lshrrev_b32_e32 v55, 16, v45
	v_min_f16_e32 v39, v52, v39
	v_min3_f16 v52, v53, v54, v55
	v_add_nc_u32_e32 v53, 48, v44
	v_add_co_u32 v55, vcc_lo, v50, v40
	v_add_co_ci_u32_e64 v56, null, v51, v41, vcc_lo
	v_min3_f16 v39, v39, v45, v52
	v_ashrrev_i32_e32 v54, 31, v53
	v_mov_b32_e32 v52, 0
	v_mov_b32_e32 v45, 0
	s_and_b32 vcc_lo, exec_lo, s1
	v_cvt_f32_f16_e32 v39, v39
	v_min_f32_e32 v38, v38, v39
	v_cvt_f16_f32_e32 v57, v38
	v_lshlrev_b64 v[38:39], 1, v[53:54]
	flat_store_short v[55:56], v57
	s_cbranch_vccnz .LBB226_26
; %bb.25:
	v_add_co_u32 v53, vcc_lo, v48, v38
	v_add_co_ci_u32_e64 v54, null, v49, v39, vcc_lo
	flat_load_ushort v45, v[53:54]
	s_waitcnt vmcnt(0) lgkmcnt(0)
	v_mul_f16_e32 v45, s15, v45
	v_cvt_f32_f16_e32 v45, v45
.LBB226_26:
	v_pk_add_f16 v53, v2, v46
	v_pk_add_f16 v54, v3, v47
	v_max_f16_e32 v55, v58, v58
	v_lshrrev_b32_e32 v56, 16, v58
	v_add_nc_u32_e32 v44, 56, v44
	v_lshrrev_b32_e32 v57, 16, v53
	v_lshrrev_b32_e32 v58, 16, v54
	v_min_f16_e32 v53, v55, v53
	v_min3_f16 v55, v56, v57, v58
	v_min3_f16 v53, v53, v54, v55
	v_max_f32_e32 v54, v45, v45
	v_ashrrev_i32_e32 v45, 31, v44
	v_cvt_f32_f16_e32 v53, v53
	v_lshlrev_b64 v[44:45], 1, v[44:45]
	v_min_f32_e32 v55, v54, v53
	v_add_co_u32 v53, vcc_lo, v50, v38
	v_add_co_ci_u32_e64 v54, null, v51, v39, vcc_lo
	v_cvt_f16_f32_e32 v55, v55
	s_and_b32 vcc_lo, exec_lo, s1
	flat_store_short v[53:54], v55
	s_cbranch_vccnz .LBB226_28
; %bb.27:
	v_add_co_u32 v48, vcc_lo, v48, v44
	v_add_co_ci_u32_e64 v49, null, v49, v45, vcc_lo
	flat_load_ushort v48, v[48:49]
	s_waitcnt vmcnt(0) lgkmcnt(0)
	v_mul_f16_e32 v48, s15, v48
	v_cvt_f32_f16_e32 v52, v48
.LBB226_28:
	v_pk_add_f16 v46, v24, v46
	v_pk_add_f16 v49, v25, v47
	v_max_f16_e32 v47, v83, v83
	v_lshrrev_b32_e32 v53, 16, v83
	v_add_nc_u32_e32 v48, 32, v111
	v_lshrrev_b32_e32 v54, 16, v46
	v_lshrrev_b32_e32 v55, 16, v49
	v_min_f16_e32 v56, v47, v46
	v_mad_i64_i32 v[46:47], null, v48, s6, 0
	v_min3_f16 v53, v53, v54, v55
	v_max_f32_e32 v54, v52, v52
	v_add_co_u32 v52, vcc_lo, v50, v44
	v_mov_b32_e32 v50, 0
	v_min3_f16 v49, v56, v49, v53
	v_lshlrev_b64 v[46:47], 1, v[46:47]
	v_add_co_ci_u32_e64 v53, null, v51, v45, vcc_lo
	v_cvt_f32_f16_e32 v49, v49
	v_add_co_u32 v46, vcc_lo, s12, v46
	v_add_co_ci_u32_e64 v47, null, s13, v47, vcc_lo
	v_min_f32_e32 v49, v54, v49
	s_and_b32 vcc_lo, exec_lo, s1
	v_cvt_f16_f32_e32 v51, v49
	v_mov_b32_e32 v49, 0
	flat_store_short v[52:53], v51
	s_cbranch_vccnz .LBB226_30
; %bb.29:
	v_add_co_u32 v51, vcc_lo, v46, v28
	v_add_co_ci_u32_e64 v52, null, v47, v29, vcc_lo
	flat_load_ushort v49, v[51:52]
	s_waitcnt vmcnt(0) lgkmcnt(0)
	v_mul_f16_e32 v49, s15, v49
	v_cvt_f32_f16_e32 v49, v49
.LBB226_30:
	v_pk_add_f16 v51, v30, v20
	v_pk_add_f16 v53, v31, v21
	v_max_f16_e32 v52, v82, v82
	v_lshrrev_b32_e32 v54, 16, v82
	v_lshrrev_b32_e32 v55, 16, v51
	;; [unrolled: 1-line block ×3, first 2 shown]
	v_min_f16_e32 v57, v52, v51
	v_mad_i64_i32 v[51:52], null, v48, s7, 0
	v_min3_f16 v54, v54, v55, v56
	v_min3_f16 v48, v57, v53, v54
	v_max_f32_e32 v53, v49, v49
	v_cvt_f32_f16_e32 v54, v48
	v_lshlrev_b64 v[48:49], 1, v[51:52]
	v_min_f32_e32 v51, v53, v54
	v_add_co_u32 v48, vcc_lo, s2, v48
	v_add_co_ci_u32_e64 v49, null, s3, v49, vcc_lo
	v_cvt_f16_f32_e32 v53, v51
	v_add_co_u32 v51, vcc_lo, v48, v28
	v_add_co_ci_u32_e64 v52, null, v49, v29, vcc_lo
	s_and_b32 vcc_lo, exec_lo, s1
	flat_store_short v[51:52], v53
	s_cbranch_vccnz .LBB226_32
; %bb.31:
	v_add_co_u32 v50, vcc_lo, v46, v32
	v_add_co_ci_u32_e64 v51, null, v47, v33, vcc_lo
	flat_load_ushort v50, v[50:51]
	s_waitcnt vmcnt(0) lgkmcnt(0)
	v_mul_f16_e32 v50, s15, v50
	v_cvt_f32_f16_e32 v50, v50
.LBB226_32:
	v_pk_add_f16 v51, v8, v20
	v_pk_add_f16 v52, v9, v21
	v_max_f16_e32 v53, v254, v254
	v_lshrrev_b32_e32 v54, 16, v254
	v_max_f32_e32 v50, v50, v50
	v_lshrrev_b32_e32 v55, 16, v51
	v_lshrrev_b32_e32 v56, 16, v52
	v_min_f16_e32 v51, v53, v51
	v_min3_f16 v53, v54, v55, v56
	v_min3_f16 v51, v51, v52, v53
	v_add_co_u32 v52, vcc_lo, v48, v32
	v_add_co_ci_u32_e64 v53, null, v49, v33, vcc_lo
	v_cvt_f32_f16_e32 v51, v51
	s_and_b32 vcc_lo, exec_lo, s1
	v_min_f32_e32 v50, v50, v51
	v_mov_b32_e32 v51, 0
	v_cvt_f16_f32_e32 v54, v50
	v_mov_b32_e32 v50, 0
	flat_store_short v[52:53], v54
	s_cbranch_vccnz .LBB226_34
; %bb.33:
	v_add_co_u32 v51, vcc_lo, v46, v34
	v_add_co_ci_u32_e64 v52, null, v47, v35, vcc_lo
	flat_load_ushort v51, v[51:52]
	s_waitcnt vmcnt(0) lgkmcnt(0)
	v_mul_f16_e32 v51, s15, v51
	v_cvt_f32_f16_e32 v51, v51
.LBB226_34:
	v_pk_add_f16 v52, v10, v20
	v_pk_add_f16 v53, v11, v21
	v_max_f16_e32 v54, v251, v251
	v_lshrrev_b32_e32 v55, 16, v251
	v_max_f32_e32 v51, v51, v51
	v_lshrrev_b32_e32 v56, 16, v52
	v_lshrrev_b32_e32 v57, 16, v53
	v_min_f16_e32 v52, v54, v52
	v_min3_f16 v54, v55, v56, v57
	v_min3_f16 v52, v52, v53, v54
	v_cvt_f32_f16_e32 v52, v52
	v_min_f32_e32 v51, v51, v52
	v_cvt_f16_f32_e32 v53, v51
	v_add_co_u32 v51, vcc_lo, v48, v34
	v_add_co_ci_u32_e64 v52, null, v49, v35, vcc_lo
	s_and_b32 vcc_lo, exec_lo, s1
	flat_store_short v[51:52], v53
	s_cbranch_vccnz .LBB226_36
; %bb.35:
	v_add_co_u32 v50, vcc_lo, v46, v36
	v_add_co_ci_u32_e64 v51, null, v47, v37, vcc_lo
	flat_load_ushort v50, v[50:51]
	s_waitcnt vmcnt(0) lgkmcnt(0)
	v_mul_f16_e32 v50, s15, v50
	v_cvt_f32_f16_e32 v50, v50
.LBB226_36:
	v_pk_add_f16 v51, v4, v20
	v_pk_add_f16 v52, v5, v21
	v_max_f16_e32 v53, v248, v248
	v_lshrrev_b32_e32 v54, 16, v248
	v_max_f32_e32 v50, v50, v50
	v_lshrrev_b32_e32 v55, 16, v51
	v_lshrrev_b32_e32 v56, 16, v52
	v_min_f16_e32 v51, v53, v51
	v_min3_f16 v53, v54, v55, v56
	v_min3_f16 v51, v51, v52, v53
	v_add_co_u32 v52, vcc_lo, v48, v36
	v_add_co_ci_u32_e64 v53, null, v49, v37, vcc_lo
	v_cvt_f32_f16_e32 v51, v51
	s_and_b32 vcc_lo, exec_lo, s1
	v_min_f32_e32 v50, v50, v51
	v_mov_b32_e32 v51, 0
	v_cvt_f16_f32_e32 v54, v50
	v_mov_b32_e32 v50, 0
	flat_store_short v[52:53], v54
	s_cbranch_vccnz .LBB226_38
; %bb.37:
	v_add_co_u32 v51, vcc_lo, v46, v42
	v_add_co_ci_u32_e64 v52, null, v47, v43, vcc_lo
	flat_load_ushort v51, v[51:52]
	s_waitcnt vmcnt(0) lgkmcnt(0)
	v_mul_f16_e32 v51, s15, v51
	v_cvt_f32_f16_e32 v51, v51
.LBB226_38:
	v_pk_add_f16 v52, v6, v20
	v_pk_add_f16 v53, v7, v21
	v_max_f16_e32 v54, v245, v245
	v_lshrrev_b32_e32 v55, 16, v245
	v_max_f32_e32 v51, v51, v51
	v_lshrrev_b32_e32 v56, 16, v52
	v_lshrrev_b32_e32 v57, 16, v53
	v_min_f16_e32 v52, v54, v52
	v_min3_f16 v54, v55, v56, v57
	v_min3_f16 v52, v52, v53, v54
	v_cvt_f32_f16_e32 v52, v52
	v_min_f32_e32 v51, v51, v52
	;; [unrolled: 54-line block ×3, first 2 shown]
	v_cvt_f16_f32_e32 v53, v51
	v_add_co_u32 v51, vcc_lo, v48, v38
	v_add_co_ci_u32_e64 v52, null, v49, v39, vcc_lo
	s_and_b32 vcc_lo, exec_lo, s1
	flat_store_short v[51:52], v53
	s_cbranch_vccnz .LBB226_44
; %bb.43:
	v_add_co_u32 v46, vcc_lo, v46, v44
	v_add_co_ci_u32_e64 v47, null, v47, v45, vcc_lo
	flat_load_ushort v46, v[46:47]
	s_waitcnt vmcnt(0) lgkmcnt(0)
	v_mul_f16_e32 v46, s15, v46
	v_cvt_f32_f16_e32 v50, v46
.LBB226_44:
	v_pk_add_f16 v20, v24, v20
	v_pk_add_f16 v47, v25, v21
	v_max_f16_e32 v21, v109, v109
	v_lshrrev_b32_e32 v51, 16, v109
	v_add_nc_u32_e32 v46, 64, v111
	v_lshrrev_b32_e32 v52, 16, v20
	v_lshrrev_b32_e32 v53, 16, v47
	v_min_f16_e32 v54, v21, v20
	v_mad_i64_i32 v[20:21], null, v46, s6, 0
	v_min3_f16 v51, v51, v52, v53
	v_max_f32_e32 v52, v50, v50
	v_add_co_u32 v50, vcc_lo, v48, v44
	v_mov_b32_e32 v48, 0
	v_min3_f16 v47, v54, v47, v51
	v_lshlrev_b64 v[20:21], 1, v[20:21]
	v_add_co_ci_u32_e64 v51, null, v49, v45, vcc_lo
	v_cvt_f32_f16_e32 v47, v47
	v_add_co_u32 v20, vcc_lo, s12, v20
	v_add_co_ci_u32_e64 v21, null, s13, v21, vcc_lo
	v_min_f32_e32 v47, v52, v47
	s_and_b32 vcc_lo, exec_lo, s1
	v_cvt_f16_f32_e32 v49, v47
	v_mov_b32_e32 v47, 0
	flat_store_short v[50:51], v49
	s_cbranch_vccnz .LBB226_46
; %bb.45:
	v_add_co_u32 v49, vcc_lo, v20, v28
	v_add_co_ci_u32_e64 v50, null, v21, v29, vcc_lo
	flat_load_ushort v47, v[49:50]
	s_waitcnt vmcnt(0) lgkmcnt(0)
	v_mul_f16_e32 v47, s15, v47
	v_cvt_f32_f16_e32 v47, v47
.LBB226_46:
	v_pk_add_f16 v49, v30, v22
	v_pk_add_f16 v51, v31, v23
	v_max_f16_e32 v50, v237, v237
	v_lshrrev_b32_e32 v52, 16, v237
	v_lshrrev_b32_e32 v53, 16, v49
	;; [unrolled: 1-line block ×3, first 2 shown]
	v_min_f16_e32 v55, v50, v49
	v_mad_i64_i32 v[49:50], null, v46, s7, 0
	v_min3_f16 v52, v52, v53, v54
	v_min3_f16 v46, v55, v51, v52
	v_max_f32_e32 v51, v47, v47
	v_cvt_f32_f16_e32 v52, v46
	v_lshlrev_b64 v[46:47], 1, v[49:50]
	v_min_f32_e32 v49, v51, v52
	v_add_co_u32 v46, vcc_lo, s2, v46
	v_add_co_ci_u32_e64 v47, null, s3, v47, vcc_lo
	v_cvt_f16_f32_e32 v51, v49
	v_add_co_u32 v49, vcc_lo, v46, v28
	v_add_co_ci_u32_e64 v50, null, v47, v29, vcc_lo
	s_and_b32 vcc_lo, exec_lo, s1
	flat_store_short v[49:50], v51
	s_cbranch_vccnz .LBB226_48
; %bb.47:
	v_add_co_u32 v48, vcc_lo, v20, v32
	v_add_co_ci_u32_e64 v49, null, v21, v33, vcc_lo
	flat_load_ushort v48, v[48:49]
	s_waitcnt vmcnt(0) lgkmcnt(0)
	v_mul_f16_e32 v48, s15, v48
	v_cvt_f32_f16_e32 v48, v48
.LBB226_48:
	v_pk_add_f16 v49, v8, v22
	v_pk_add_f16 v50, v9, v23
	v_max_f16_e32 v51, v234, v234
	v_lshrrev_b32_e32 v52, 16, v234
	v_max_f32_e32 v48, v48, v48
	v_lshrrev_b32_e32 v53, 16, v49
	v_lshrrev_b32_e32 v54, 16, v50
	v_min_f16_e32 v49, v51, v49
	v_min3_f16 v51, v52, v53, v54
	v_min3_f16 v49, v49, v50, v51
	v_add_co_u32 v50, vcc_lo, v46, v32
	v_add_co_ci_u32_e64 v51, null, v47, v33, vcc_lo
	v_cvt_f32_f16_e32 v49, v49
	s_and_b32 vcc_lo, exec_lo, s1
	v_min_f32_e32 v48, v48, v49
	v_mov_b32_e32 v49, 0
	v_cvt_f16_f32_e32 v52, v48
	v_mov_b32_e32 v48, 0
	flat_store_short v[50:51], v52
	s_cbranch_vccnz .LBB226_50
; %bb.49:
	v_add_co_u32 v49, vcc_lo, v20, v34
	v_add_co_ci_u32_e64 v50, null, v21, v35, vcc_lo
	flat_load_ushort v49, v[49:50]
	s_waitcnt vmcnt(0) lgkmcnt(0)
	v_mul_f16_e32 v49, s15, v49
	v_cvt_f32_f16_e32 v49, v49
.LBB226_50:
	v_pk_add_f16 v50, v10, v22
	v_pk_add_f16 v51, v11, v23
	v_max_f16_e32 v52, v231, v231
	v_lshrrev_b32_e32 v53, 16, v231
	v_max_f32_e32 v49, v49, v49
	v_lshrrev_b32_e32 v54, 16, v50
	v_lshrrev_b32_e32 v55, 16, v51
	v_min_f16_e32 v50, v52, v50
	v_min3_f16 v52, v53, v54, v55
	v_min3_f16 v50, v50, v51, v52
	v_cvt_f32_f16_e32 v50, v50
	v_min_f32_e32 v49, v49, v50
	v_cvt_f16_f32_e32 v51, v49
	v_add_co_u32 v49, vcc_lo, v46, v34
	v_add_co_ci_u32_e64 v50, null, v47, v35, vcc_lo
	s_and_b32 vcc_lo, exec_lo, s1
	flat_store_short v[49:50], v51
	s_cbranch_vccnz .LBB226_52
; %bb.51:
	v_add_co_u32 v48, vcc_lo, v20, v36
	v_add_co_ci_u32_e64 v49, null, v21, v37, vcc_lo
	flat_load_ushort v48, v[48:49]
	s_waitcnt vmcnt(0) lgkmcnt(0)
	v_mul_f16_e32 v48, s15, v48
	v_cvt_f32_f16_e32 v48, v48
.LBB226_52:
	v_pk_add_f16 v49, v4, v22
	v_pk_add_f16 v50, v5, v23
	v_max_f16_e32 v51, v228, v228
	v_lshrrev_b32_e32 v52, 16, v228
	v_max_f32_e32 v48, v48, v48
	v_lshrrev_b32_e32 v53, 16, v49
	v_lshrrev_b32_e32 v54, 16, v50
	v_min_f16_e32 v49, v51, v49
	v_min3_f16 v51, v52, v53, v54
	v_min3_f16 v49, v49, v50, v51
	v_add_co_u32 v50, vcc_lo, v46, v36
	v_add_co_ci_u32_e64 v51, null, v47, v37, vcc_lo
	v_cvt_f32_f16_e32 v49, v49
	s_and_b32 vcc_lo, exec_lo, s1
	v_min_f32_e32 v48, v48, v49
	v_mov_b32_e32 v49, 0
	v_cvt_f16_f32_e32 v52, v48
	v_mov_b32_e32 v48, 0
	flat_store_short v[50:51], v52
	s_cbranch_vccnz .LBB226_54
; %bb.53:
	v_add_co_u32 v49, vcc_lo, v20, v42
	v_add_co_ci_u32_e64 v50, null, v21, v43, vcc_lo
	flat_load_ushort v49, v[49:50]
	s_waitcnt vmcnt(0) lgkmcnt(0)
	v_mul_f16_e32 v49, s15, v49
	v_cvt_f32_f16_e32 v49, v49
.LBB226_54:
	v_pk_add_f16 v50, v6, v22
	v_pk_add_f16 v51, v7, v23
	v_max_f16_e32 v52, v107, v107
	v_lshrrev_b32_e32 v53, 16, v107
	v_max_f32_e32 v49, v49, v49
	v_lshrrev_b32_e32 v54, 16, v50
	v_lshrrev_b32_e32 v55, 16, v51
	v_min_f16_e32 v50, v52, v50
	v_min3_f16 v52, v53, v54, v55
	v_min3_f16 v50, v50, v51, v52
	v_cvt_f32_f16_e32 v50, v50
	v_min_f32_e32 v49, v49, v50
	;; [unrolled: 54-line block ×3, first 2 shown]
	v_cvt_f16_f32_e32 v51, v49
	v_add_co_u32 v49, vcc_lo, v46, v38
	v_add_co_ci_u32_e64 v50, null, v47, v39, vcc_lo
	s_and_b32 vcc_lo, exec_lo, s1
	flat_store_short v[49:50], v51
	s_cbranch_vccnz .LBB226_60
; %bb.59:
	v_add_co_u32 v20, vcc_lo, v20, v44
	v_add_co_ci_u32_e64 v21, null, v21, v45, vcc_lo
	flat_load_ushort v20, v[20:21]
	s_waitcnt vmcnt(0) lgkmcnt(0)
	v_mul_f16_e32 v20, s15, v20
	v_cvt_f32_f16_e32 v48, v20
.LBB226_60:
	v_pk_add_f16 v20, v24, v22
	v_pk_add_f16 v23, v25, v23
	v_max_f16_e32 v21, v105, v105
	v_lshrrev_b32_e32 v49, 16, v105
	v_add_nc_u32_e32 v22, 0x60, v111
	v_lshrrev_b32_e32 v50, 16, v20
	v_lshrrev_b32_e32 v51, 16, v23
	v_min_f16_e32 v52, v21, v20
	v_mad_i64_i32 v[20:21], null, v22, s6, 0
	v_min3_f16 v49, v49, v50, v51
	v_max_f32_e32 v50, v48, v48
	v_add_co_u32 v48, vcc_lo, v46, v44
	v_mov_b32_e32 v46, 0
	v_min3_f16 v23, v52, v23, v49
	v_lshlrev_b64 v[20:21], 1, v[20:21]
	v_add_co_ci_u32_e64 v49, null, v47, v45, vcc_lo
	v_cvt_f32_f16_e32 v23, v23
	v_add_co_u32 v20, vcc_lo, s12, v20
	v_add_co_ci_u32_e64 v21, null, s13, v21, vcc_lo
	v_min_f32_e32 v23, v50, v23
	s_and_b32 vcc_lo, exec_lo, s1
	v_cvt_f16_f32_e32 v47, v23
	v_mov_b32_e32 v23, 0
	flat_store_short v[48:49], v47
	s_cbranch_vccnz .LBB226_62
; %bb.61:
	v_add_co_u32 v47, vcc_lo, v20, v28
	v_add_co_ci_u32_e64 v48, null, v21, v29, vcc_lo
	flat_load_ushort v23, v[47:48]
	s_waitcnt vmcnt(0) lgkmcnt(0)
	v_mul_f16_e32 v23, s15, v23
	v_cvt_f32_f16_e32 v23, v23
.LBB226_62:
	v_pk_add_f16 v47, v30, v16
	v_pk_add_f16 v49, v31, v17
	v_max_f16_e32 v48, v207, v207
	v_lshrrev_b32_e32 v50, 16, v207
	v_lshrrev_b32_e32 v51, 16, v47
	;; [unrolled: 1-line block ×3, first 2 shown]
	v_min_f16_e32 v53, v48, v47
	v_mad_i64_i32 v[47:48], null, v22, s7, 0
	v_min3_f16 v50, v50, v51, v52
	v_min3_f16 v22, v53, v49, v50
	v_max_f32_e32 v49, v23, v23
	v_cvt_f32_f16_e32 v50, v22
	v_lshlrev_b64 v[22:23], 1, v[47:48]
	v_min_f32_e32 v47, v49, v50
	v_add_co_u32 v22, vcc_lo, s2, v22
	v_add_co_ci_u32_e64 v23, null, s3, v23, vcc_lo
	v_cvt_f16_f32_e32 v49, v47
	v_add_co_u32 v47, vcc_lo, v22, v28
	v_add_co_ci_u32_e64 v48, null, v23, v29, vcc_lo
	s_and_b32 vcc_lo, exec_lo, s1
	flat_store_short v[47:48], v49
	s_cbranch_vccnz .LBB226_64
; %bb.63:
	v_add_co_u32 v46, vcc_lo, v20, v32
	v_add_co_ci_u32_e64 v47, null, v21, v33, vcc_lo
	flat_load_ushort v46, v[46:47]
	s_waitcnt vmcnt(0) lgkmcnt(0)
	v_mul_f16_e32 v46, s15, v46
	v_cvt_f32_f16_e32 v46, v46
.LBB226_64:
	v_pk_add_f16 v47, v8, v16
	v_pk_add_f16 v48, v9, v17
	v_max_f16_e32 v49, v204, v204
	v_lshrrev_b32_e32 v50, 16, v204
	v_max_f32_e32 v46, v46, v46
	v_lshrrev_b32_e32 v51, 16, v47
	v_lshrrev_b32_e32 v52, 16, v48
	v_min_f16_e32 v47, v49, v47
	v_min3_f16 v49, v50, v51, v52
	v_min3_f16 v47, v47, v48, v49
	v_add_co_u32 v48, vcc_lo, v22, v32
	v_add_co_ci_u32_e64 v49, null, v23, v33, vcc_lo
	v_cvt_f32_f16_e32 v47, v47
	s_and_b32 vcc_lo, exec_lo, s1
	v_min_f32_e32 v46, v46, v47
	v_mov_b32_e32 v47, 0
	v_cvt_f16_f32_e32 v50, v46
	v_mov_b32_e32 v46, 0
	flat_store_short v[48:49], v50
	s_cbranch_vccnz .LBB226_66
; %bb.65:
	v_add_co_u32 v47, vcc_lo, v20, v34
	v_add_co_ci_u32_e64 v48, null, v21, v35, vcc_lo
	flat_load_ushort v47, v[47:48]
	s_waitcnt vmcnt(0) lgkmcnt(0)
	v_mul_f16_e32 v47, s15, v47
	v_cvt_f32_f16_e32 v47, v47
.LBB226_66:
	v_pk_add_f16 v48, v10, v16
	v_pk_add_f16 v49, v11, v17
	v_max_f16_e32 v50, v104, v104
	v_lshrrev_b32_e32 v51, 16, v104
	v_max_f32_e32 v47, v47, v47
	v_lshrrev_b32_e32 v52, 16, v48
	v_lshrrev_b32_e32 v53, 16, v49
	v_min_f16_e32 v48, v50, v48
	v_min3_f16 v50, v51, v52, v53
	v_min3_f16 v48, v48, v49, v50
	v_cvt_f32_f16_e32 v48, v48
	v_min_f32_e32 v47, v47, v48
	v_cvt_f16_f32_e32 v49, v47
	v_add_co_u32 v47, vcc_lo, v22, v34
	v_add_co_ci_u32_e64 v48, null, v23, v35, vcc_lo
	s_and_b32 vcc_lo, exec_lo, s1
	flat_store_short v[47:48], v49
	s_cbranch_vccnz .LBB226_68
; %bb.67:
	v_add_co_u32 v46, vcc_lo, v20, v36
	v_add_co_ci_u32_e64 v47, null, v21, v37, vcc_lo
	flat_load_ushort v46, v[46:47]
	s_waitcnt vmcnt(0) lgkmcnt(0)
	v_mul_f16_e32 v46, s15, v46
	v_cvt_f32_f16_e32 v46, v46
.LBB226_68:
	v_pk_add_f16 v47, v4, v16
	v_pk_add_f16 v48, v5, v17
	v_max_f16_e32 v49, v198, v198
	v_lshrrev_b32_e32 v50, 16, v198
	v_max_f32_e32 v46, v46, v46
	v_lshrrev_b32_e32 v51, 16, v47
	v_lshrrev_b32_e32 v52, 16, v48
	v_min_f16_e32 v47, v49, v47
	v_min3_f16 v49, v50, v51, v52
	v_min3_f16 v47, v47, v48, v49
	v_add_co_u32 v48, vcc_lo, v22, v36
	v_add_co_ci_u32_e64 v49, null, v23, v37, vcc_lo
	v_cvt_f32_f16_e32 v47, v47
	s_and_b32 vcc_lo, exec_lo, s1
	v_min_f32_e32 v46, v46, v47
	v_mov_b32_e32 v47, 0
	v_cvt_f16_f32_e32 v50, v46
	v_mov_b32_e32 v46, 0
	flat_store_short v[48:49], v50
	s_cbranch_vccnz .LBB226_70
; %bb.69:
	v_add_co_u32 v47, vcc_lo, v20, v42
	v_add_co_ci_u32_e64 v48, null, v21, v43, vcc_lo
	flat_load_ushort v47, v[47:48]
	s_waitcnt vmcnt(0) lgkmcnt(0)
	v_mul_f16_e32 v47, s15, v47
	v_cvt_f32_f16_e32 v47, v47
.LBB226_70:
	v_pk_add_f16 v48, v6, v16
	v_pk_add_f16 v49, v7, v17
	v_max_f16_e32 v50, v103, v103
	v_lshrrev_b32_e32 v51, 16, v103
	v_max_f32_e32 v47, v47, v47
	v_lshrrev_b32_e32 v52, 16, v48
	v_lshrrev_b32_e32 v53, 16, v49
	v_min_f16_e32 v48, v50, v48
	v_min3_f16 v50, v51, v52, v53
	v_min3_f16 v48, v48, v49, v50
	v_cvt_f32_f16_e32 v48, v48
	v_min_f32_e32 v47, v47, v48
	;; [unrolled: 54-line block ×3, first 2 shown]
	v_cvt_f16_f32_e32 v49, v47
	v_add_co_u32 v47, vcc_lo, v22, v38
	v_add_co_ci_u32_e64 v48, null, v23, v39, vcc_lo
	s_and_b32 vcc_lo, exec_lo, s1
	flat_store_short v[47:48], v49
	s_cbranch_vccnz .LBB226_76
; %bb.75:
	v_add_co_u32 v20, vcc_lo, v20, v44
	v_add_co_ci_u32_e64 v21, null, v21, v45, vcc_lo
	flat_load_ushort v20, v[20:21]
	s_waitcnt vmcnt(0) lgkmcnt(0)
	v_mul_f16_e32 v20, s15, v20
	v_cvt_f32_f16_e32 v46, v20
.LBB226_76:
	v_pk_add_f16 v16, v24, v16
	v_pk_add_f16 v21, v25, v17
	v_max_f16_e32 v17, v101, v101
	v_lshrrev_b32_e32 v47, 16, v101
	v_add_nc_u32_e32 v20, 0x80, v111
	v_lshrrev_b32_e32 v48, 16, v16
	v_lshrrev_b32_e32 v49, 16, v21
	v_min_f16_e32 v50, v17, v16
	v_mad_i64_i32 v[16:17], null, v20, s6, 0
	v_min3_f16 v47, v47, v48, v49
	v_max_f32_e32 v48, v46, v46
	v_add_co_u32 v46, vcc_lo, v22, v44
	v_mov_b32_e32 v22, 0
	v_min3_f16 v21, v50, v21, v47
	v_lshlrev_b64 v[16:17], 1, v[16:17]
	v_add_co_ci_u32_e64 v47, null, v23, v45, vcc_lo
	v_cvt_f32_f16_e32 v21, v21
	v_add_co_u32 v16, vcc_lo, s12, v16
	v_add_co_ci_u32_e64 v17, null, s13, v17, vcc_lo
	v_min_f32_e32 v21, v48, v21
	s_and_b32 vcc_lo, exec_lo, s1
	v_cvt_f16_f32_e32 v23, v21
	v_mov_b32_e32 v21, 0
	flat_store_short v[46:47], v23
	s_cbranch_vccnz .LBB226_78
; %bb.77:
	v_add_co_u32 v46, vcc_lo, v16, v28
	v_add_co_ci_u32_e64 v47, null, v17, v29, vcc_lo
	flat_load_ushort v21, v[46:47]
	s_waitcnt vmcnt(0) lgkmcnt(0)
	v_mul_f16_e32 v21, s15, v21
	v_cvt_f32_f16_e32 v21, v21
.LBB226_78:
	v_pk_add_f16 v23, v30, v18
	v_pk_add_f16 v48, v31, v19
	v_max_f16_e32 v46, v183, v183
	v_lshrrev_b32_e32 v47, 16, v183
	v_lshrrev_b32_e32 v49, 16, v23
	;; [unrolled: 1-line block ×3, first 2 shown]
	v_min_f16_e32 v23, v46, v23
	v_min3_f16 v49, v47, v49, v50
	v_mad_i64_i32 v[46:47], null, v20, s7, 0
	v_min3_f16 v20, v23, v48, v49
	v_max_f32_e32 v23, v21, v21
	v_cvt_f32_f16_e32 v48, v20
	v_lshlrev_b64 v[20:21], 1, v[46:47]
	v_min_f32_e32 v23, v23, v48
	v_add_co_u32 v20, vcc_lo, s2, v20
	v_add_co_ci_u32_e64 v21, null, s3, v21, vcc_lo
	v_cvt_f16_f32_e32 v23, v23
	v_add_co_u32 v46, vcc_lo, v20, v28
	v_add_co_ci_u32_e64 v47, null, v21, v29, vcc_lo
	s_and_b32 vcc_lo, exec_lo, s1
	flat_store_short v[46:47], v23
	s_cbranch_vccnz .LBB226_80
; %bb.79:
	v_add_co_u32 v22, vcc_lo, v16, v32
	v_add_co_ci_u32_e64 v23, null, v17, v33, vcc_lo
	flat_load_ushort v22, v[22:23]
	s_waitcnt vmcnt(0) lgkmcnt(0)
	v_mul_f16_e32 v22, s15, v22
	v_cvt_f32_f16_e32 v22, v22
.LBB226_80:
	v_pk_add_f16 v23, v8, v18
	v_pk_add_f16 v46, v9, v19
	v_max_f16_e32 v47, v100, v100
	v_lshrrev_b32_e32 v48, 16, v100
	v_max_f32_e32 v22, v22, v22
	v_lshrrev_b32_e32 v49, 16, v23
	v_lshrrev_b32_e32 v50, 16, v46
	v_min_f16_e32 v23, v47, v23
	v_min3_f16 v47, v48, v49, v50
	v_min3_f16 v23, v23, v46, v47
	v_add_co_u32 v46, vcc_lo, v20, v32
	v_add_co_ci_u32_e64 v47, null, v21, v33, vcc_lo
	v_cvt_f32_f16_e32 v23, v23
	s_and_b32 vcc_lo, exec_lo, s1
	v_min_f32_e32 v22, v22, v23
	v_mov_b32_e32 v23, 0
	v_cvt_f16_f32_e32 v48, v22
	v_mov_b32_e32 v22, 0
	flat_store_short v[46:47], v48
	s_cbranch_vccnz .LBB226_82
; %bb.81:
	v_add_co_u32 v46, vcc_lo, v16, v34
	v_add_co_ci_u32_e64 v47, null, v17, v35, vcc_lo
	flat_load_ushort v23, v[46:47]
	s_waitcnt vmcnt(0) lgkmcnt(0)
	v_mul_f16_e32 v23, s15, v23
	v_cvt_f32_f16_e32 v23, v23
.LBB226_82:
	v_pk_add_f16 v46, v10, v18
	v_pk_add_f16 v47, v11, v19
	v_max_f16_e32 v48, v99, v99
	v_lshrrev_b32_e32 v49, 16, v99
	v_max_f32_e32 v23, v23, v23
	v_lshrrev_b32_e32 v50, 16, v46
	v_lshrrev_b32_e32 v51, 16, v47
	v_min_f16_e32 v46, v48, v46
	v_min3_f16 v48, v49, v50, v51
	v_min3_f16 v46, v46, v47, v48
	v_cvt_f32_f16_e32 v46, v46
	v_min_f32_e32 v23, v23, v46
	v_add_co_u32 v46, vcc_lo, v20, v34
	v_add_co_ci_u32_e64 v47, null, v21, v35, vcc_lo
	v_cvt_f16_f32_e32 v23, v23
	s_and_b32 vcc_lo, exec_lo, s1
	flat_store_short v[46:47], v23
	s_cbranch_vccnz .LBB226_84
; %bb.83:
	v_add_co_u32 v22, vcc_lo, v16, v36
	v_add_co_ci_u32_e64 v23, null, v17, v37, vcc_lo
	flat_load_ushort v22, v[22:23]
	s_waitcnt vmcnt(0) lgkmcnt(0)
	v_mul_f16_e32 v22, s15, v22
	v_cvt_f32_f16_e32 v22, v22
.LBB226_84:
	v_pk_add_f16 v23, v4, v18
	v_pk_add_f16 v46, v5, v19
	v_max_f16_e32 v47, v177, v177
	v_lshrrev_b32_e32 v48, 16, v177
	v_max_f32_e32 v22, v22, v22
	v_lshrrev_b32_e32 v49, 16, v23
	v_lshrrev_b32_e32 v50, 16, v46
	v_min_f16_e32 v23, v47, v23
	v_min3_f16 v47, v48, v49, v50
	v_min3_f16 v23, v23, v46, v47
	v_add_co_u32 v46, vcc_lo, v20, v36
	v_add_co_ci_u32_e64 v47, null, v21, v37, vcc_lo
	v_cvt_f32_f16_e32 v23, v23
	s_and_b32 vcc_lo, exec_lo, s1
	v_min_f32_e32 v22, v22, v23
	v_mov_b32_e32 v23, 0
	v_cvt_f16_f32_e32 v48, v22
	v_mov_b32_e32 v22, 0
	flat_store_short v[46:47], v48
	s_cbranch_vccnz .LBB226_86
; %bb.85:
	v_add_co_u32 v46, vcc_lo, v16, v42
	v_add_co_ci_u32_e64 v47, null, v17, v43, vcc_lo
	flat_load_ushort v23, v[46:47]
	s_waitcnt vmcnt(0) lgkmcnt(0)
	v_mul_f16_e32 v23, s15, v23
	v_cvt_f32_f16_e32 v23, v23
.LBB226_86:
	v_pk_add_f16 v46, v6, v18
	v_pk_add_f16 v47, v7, v19
	v_max_f16_e32 v48, v98, v98
	v_lshrrev_b32_e32 v49, 16, v98
	v_max_f32_e32 v23, v23, v23
	v_lshrrev_b32_e32 v50, 16, v46
	v_lshrrev_b32_e32 v51, 16, v47
	v_min_f16_e32 v46, v48, v46
	v_min3_f16 v48, v49, v50, v51
	v_min3_f16 v46, v46, v47, v48
	v_cvt_f32_f16_e32 v46, v46
	v_min_f32_e32 v23, v23, v46
	v_add_co_u32 v46, vcc_lo, v20, v42
	v_add_co_ci_u32_e64 v47, null, v21, v43, vcc_lo
	v_cvt_f16_f32_e32 v23, v23
	;; [unrolled: 54-line block ×3, first 2 shown]
	s_and_b32 vcc_lo, exec_lo, s1
	flat_store_short v[46:47], v23
	s_cbranch_vccnz .LBB226_92
; %bb.91:
	v_add_co_u32 v16, vcc_lo, v16, v44
	v_add_co_ci_u32_e64 v17, null, v17, v45, vcc_lo
	flat_load_ushort v16, v[16:17]
	s_waitcnt vmcnt(0) lgkmcnt(0)
	v_mul_f16_e32 v16, s15, v16
	v_cvt_f32_f16_e32 v22, v16
.LBB226_92:
	v_pk_add_f16 v16, v24, v18
	v_pk_add_f16 v19, v25, v19
	v_max_f16_e32 v17, v95, v95
	v_lshrrev_b32_e32 v23, 16, v95
	v_add_nc_u32_e32 v18, 0xa0, v111
	v_lshrrev_b32_e32 v46, 16, v16
	v_lshrrev_b32_e32 v47, 16, v19
	v_min_f16_e32 v48, v17, v16
	v_mad_i64_i32 v[16:17], null, v18, s6, 0
	v_min3_f16 v23, v23, v46, v47
	v_max_f32_e32 v46, v22, v22
	v_add_co_u32 v22, vcc_lo, v20, v44
	v_mov_b32_e32 v20, 0
	v_min3_f16 v19, v48, v19, v23
	v_lshlrev_b64 v[16:17], 1, v[16:17]
	v_add_co_ci_u32_e64 v23, null, v21, v45, vcc_lo
	v_cvt_f32_f16_e32 v19, v19
	v_add_co_u32 v16, vcc_lo, s12, v16
	v_add_co_ci_u32_e64 v17, null, s13, v17, vcc_lo
	v_min_f32_e32 v19, v46, v19
	s_and_b32 vcc_lo, exec_lo, s1
	v_cvt_f16_f32_e32 v21, v19
	v_mov_b32_e32 v19, 0
	flat_store_short v[22:23], v21
	s_cbranch_vccnz .LBB226_94
; %bb.93:
	v_add_co_u32 v21, vcc_lo, v16, v28
	v_add_co_ci_u32_e64 v22, null, v17, v29, vcc_lo
	flat_load_ushort v19, v[21:22]
	s_waitcnt vmcnt(0) lgkmcnt(0)
	v_mul_f16_e32 v19, s15, v19
	v_cvt_f32_f16_e32 v19, v19
.LBB226_94:
	v_pk_add_f16 v21, v30, v12
	v_pk_add_f16 v23, v31, v13
	v_max_f16_e32 v22, v94, v94
	v_lshrrev_b32_e32 v46, 16, v94
	v_lshrrev_b32_e32 v47, 16, v21
	;; [unrolled: 1-line block ×3, first 2 shown]
	v_min_f16_e32 v49, v22, v21
	v_mad_i64_i32 v[21:22], null, v18, s7, 0
	v_min3_f16 v46, v46, v47, v48
	v_min3_f16 v18, v49, v23, v46
	v_max_f32_e32 v23, v19, v19
	v_cvt_f32_f16_e32 v46, v18
	v_lshlrev_b64 v[18:19], 1, v[21:22]
	v_min_f32_e32 v21, v23, v46
	v_add_co_u32 v18, vcc_lo, s2, v18
	v_add_co_ci_u32_e64 v19, null, s3, v19, vcc_lo
	v_cvt_f16_f32_e32 v23, v21
	v_add_co_u32 v21, vcc_lo, v18, v28
	v_add_co_ci_u32_e64 v22, null, v19, v29, vcc_lo
	s_and_b32 vcc_lo, exec_lo, s1
	flat_store_short v[21:22], v23
	s_cbranch_vccnz .LBB226_96
; %bb.95:
	v_add_co_u32 v20, vcc_lo, v16, v32
	v_add_co_ci_u32_e64 v21, null, v17, v33, vcc_lo
	flat_load_ushort v20, v[20:21]
	s_waitcnt vmcnt(0) lgkmcnt(0)
	v_mul_f16_e32 v20, s15, v20
	v_cvt_f32_f16_e32 v20, v20
.LBB226_96:
	v_pk_add_f16 v21, v8, v12
	v_pk_add_f16 v22, v9, v13
	v_max_f16_e32 v23, v93, v93
	v_lshrrev_b32_e32 v46, 16, v93
	v_max_f32_e32 v20, v20, v20
	v_lshrrev_b32_e32 v47, 16, v21
	v_lshrrev_b32_e32 v48, 16, v22
	v_min_f16_e32 v21, v23, v21
	v_min3_f16 v23, v46, v47, v48
	v_min3_f16 v21, v21, v22, v23
	v_add_co_u32 v22, vcc_lo, v18, v32
	v_add_co_ci_u32_e64 v23, null, v19, v33, vcc_lo
	v_cvt_f32_f16_e32 v21, v21
	s_and_b32 vcc_lo, exec_lo, s1
	v_min_f32_e32 v20, v20, v21
	v_mov_b32_e32 v21, 0
	v_cvt_f16_f32_e32 v46, v20
	v_mov_b32_e32 v20, 0
	flat_store_short v[22:23], v46
	s_cbranch_vccnz .LBB226_98
; %bb.97:
	v_add_co_u32 v21, vcc_lo, v16, v34
	v_add_co_ci_u32_e64 v22, null, v17, v35, vcc_lo
	flat_load_ushort v21, v[21:22]
	s_waitcnt vmcnt(0) lgkmcnt(0)
	v_mul_f16_e32 v21, s15, v21
	v_cvt_f32_f16_e32 v21, v21
.LBB226_98:
	v_pk_add_f16 v22, v10, v12
	v_pk_add_f16 v23, v11, v13
	v_max_f16_e32 v46, v149, v149
	v_lshrrev_b32_e32 v47, 16, v149
	v_max_f32_e32 v21, v21, v21
	v_lshrrev_b32_e32 v48, 16, v22
	v_lshrrev_b32_e32 v49, 16, v23
	v_min_f16_e32 v22, v46, v22
	v_min3_f16 v46, v47, v48, v49
	v_min3_f16 v22, v22, v23, v46
	v_cvt_f32_f16_e32 v22, v22
	v_min_f32_e32 v21, v21, v22
	v_cvt_f16_f32_e32 v23, v21
	v_add_co_u32 v21, vcc_lo, v18, v34
	v_add_co_ci_u32_e64 v22, null, v19, v35, vcc_lo
	s_and_b32 vcc_lo, exec_lo, s1
	flat_store_short v[21:22], v23
	s_cbranch_vccnz .LBB226_100
; %bb.99:
	v_add_co_u32 v20, vcc_lo, v16, v36
	v_add_co_ci_u32_e64 v21, null, v17, v37, vcc_lo
	flat_load_ushort v20, v[20:21]
	s_waitcnt vmcnt(0) lgkmcnt(0)
	v_mul_f16_e32 v20, s15, v20
	v_cvt_f32_f16_e32 v20, v20
.LBB226_100:
	v_pk_add_f16 v21, v4, v12
	v_pk_add_f16 v22, v5, v13
	v_max_f16_e32 v23, v147, v147
	v_lshrrev_b32_e32 v46, 16, v147
	v_max_f32_e32 v20, v20, v20
	v_lshrrev_b32_e32 v47, 16, v21
	v_lshrrev_b32_e32 v48, 16, v22
	v_min_f16_e32 v21, v23, v21
	v_min3_f16 v23, v46, v47, v48
	v_min3_f16 v21, v21, v22, v23
	v_add_co_u32 v22, vcc_lo, v18, v36
	v_add_co_ci_u32_e64 v23, null, v19, v37, vcc_lo
	v_cvt_f32_f16_e32 v21, v21
	s_and_b32 vcc_lo, exec_lo, s1
	v_min_f32_e32 v20, v20, v21
	v_mov_b32_e32 v21, 0
	v_cvt_f16_f32_e32 v46, v20
	v_mov_b32_e32 v20, 0
	flat_store_short v[22:23], v46
	s_cbranch_vccnz .LBB226_102
; %bb.101:
	v_add_co_u32 v21, vcc_lo, v16, v42
	v_add_co_ci_u32_e64 v22, null, v17, v43, vcc_lo
	flat_load_ushort v21, v[21:22]
	s_waitcnt vmcnt(0) lgkmcnt(0)
	v_mul_f16_e32 v21, s15, v21
	v_cvt_f32_f16_e32 v21, v21
.LBB226_102:
	v_pk_add_f16 v22, v6, v12
	v_pk_add_f16 v23, v7, v13
	v_max_f16_e32 v46, v116, v116
	v_lshrrev_b32_e32 v47, 16, v116
	v_max_f32_e32 v21, v21, v21
	v_lshrrev_b32_e32 v48, 16, v22
	v_lshrrev_b32_e32 v49, 16, v23
	v_min_f16_e32 v22, v46, v22
	v_min3_f16 v46, v47, v48, v49
	v_min3_f16 v22, v22, v23, v46
	v_cvt_f32_f16_e32 v22, v22
	v_min_f32_e32 v21, v21, v22
	;; [unrolled: 54-line block ×3, first 2 shown]
	v_cvt_f16_f32_e32 v23, v21
	v_add_co_u32 v21, vcc_lo, v18, v38
	v_add_co_ci_u32_e64 v22, null, v19, v39, vcc_lo
	s_and_b32 vcc_lo, exec_lo, s1
	flat_store_short v[21:22], v23
	s_cbranch_vccnz .LBB226_108
; %bb.107:
	v_add_co_u32 v16, vcc_lo, v16, v44
	v_add_co_ci_u32_e64 v17, null, v17, v45, vcc_lo
	flat_load_ushort v16, v[16:17]
	s_waitcnt vmcnt(0) lgkmcnt(0)
	v_mul_f16_e32 v16, s15, v16
	v_cvt_f32_f16_e32 v20, v16
.LBB226_108:
	v_pk_add_f16 v12, v24, v12
	v_pk_add_f16 v17, v25, v13
	v_max_f16_e32 v13, v121, v121
	v_lshrrev_b32_e32 v21, 16, v121
	v_add_nc_u32_e32 v16, 0xc0, v111
	v_lshrrev_b32_e32 v22, 16, v12
	v_lshrrev_b32_e32 v23, 16, v17
	v_min_f16_e32 v46, v13, v12
	v_mad_i64_i32 v[12:13], null, v16, s6, 0
	v_min3_f16 v21, v21, v22, v23
	v_max_f32_e32 v22, v20, v20
	v_add_co_u32 v20, vcc_lo, v18, v44
	v_mov_b32_e32 v18, 0
	v_min3_f16 v17, v46, v17, v21
	v_lshlrev_b64 v[12:13], 1, v[12:13]
	v_add_co_ci_u32_e64 v21, null, v19, v45, vcc_lo
	v_cvt_f32_f16_e32 v17, v17
	v_add_co_u32 v12, vcc_lo, s12, v12
	v_add_co_ci_u32_e64 v13, null, s13, v13, vcc_lo
	v_min_f32_e32 v17, v22, v17
	s_and_b32 vcc_lo, exec_lo, s1
	v_cvt_f16_f32_e32 v19, v17
	v_mov_b32_e32 v17, 0
	flat_store_short v[20:21], v19
	s_cbranch_vccnz .LBB226_110
; %bb.109:
	v_add_co_u32 v19, vcc_lo, v12, v28
	v_add_co_ci_u32_e64 v20, null, v13, v29, vcc_lo
	flat_load_ushort v17, v[19:20]
	s_waitcnt vmcnt(0) lgkmcnt(0)
	v_mul_f16_e32 v17, s15, v17
	v_cvt_f32_f16_e32 v17, v17
.LBB226_110:
	v_pk_add_f16 v19, v30, v14
	v_pk_add_f16 v21, v31, v15
	v_max_f16_e32 v20, v86, v86
	v_lshrrev_b32_e32 v22, 16, v86
	v_lshrrev_b32_e32 v23, 16, v19
	;; [unrolled: 1-line block ×3, first 2 shown]
	v_min_f16_e32 v47, v20, v19
	v_mad_i64_i32 v[19:20], null, v16, s7, 0
	v_min3_f16 v22, v22, v23, v46
	v_min3_f16 v16, v47, v21, v22
	v_max_f32_e32 v21, v17, v17
	v_cvt_f32_f16_e32 v22, v16
	v_lshlrev_b64 v[16:17], 1, v[19:20]
	v_min_f32_e32 v19, v21, v22
	v_add_co_u32 v16, vcc_lo, s2, v16
	v_add_co_ci_u32_e64 v17, null, s3, v17, vcc_lo
	v_cvt_f16_f32_e32 v21, v19
	v_add_co_u32 v19, vcc_lo, v16, v28
	v_add_co_ci_u32_e64 v20, null, v17, v29, vcc_lo
	s_and_b32 vcc_lo, exec_lo, s1
	flat_store_short v[19:20], v21
	s_cbranch_vccnz .LBB226_112
; %bb.111:
	v_add_co_u32 v18, vcc_lo, v12, v32
	v_add_co_ci_u32_e64 v19, null, v13, v33, vcc_lo
	flat_load_ushort v18, v[18:19]
	s_waitcnt vmcnt(0) lgkmcnt(0)
	v_mul_f16_e32 v18, s15, v18
	v_cvt_f32_f16_e32 v18, v18
.LBB226_112:
	v_pk_add_f16 v19, v8, v14
	v_pk_add_f16 v20, v9, v15
	v_max_f16_e32 v21, v85, v85
	v_lshrrev_b32_e32 v22, 16, v85
	v_max_f32_e32 v18, v18, v18
	v_lshrrev_b32_e32 v23, 16, v19
	v_lshrrev_b32_e32 v46, 16, v20
	v_min_f16_e32 v19, v21, v19
	v_min3_f16 v21, v22, v23, v46
	v_min3_f16 v19, v19, v20, v21
	v_add_co_u32 v20, vcc_lo, v16, v32
	v_add_co_ci_u32_e64 v21, null, v17, v33, vcc_lo
	v_cvt_f32_f16_e32 v19, v19
	s_and_b32 vcc_lo, exec_lo, s1
	v_min_f32_e32 v18, v18, v19
	v_mov_b32_e32 v19, 0
	v_cvt_f16_f32_e32 v22, v18
	v_mov_b32_e32 v18, 0
	flat_store_short v[20:21], v22
	s_cbranch_vccnz .LBB226_114
; %bb.113:
	v_add_co_u32 v19, vcc_lo, v12, v34
	v_add_co_ci_u32_e64 v20, null, v13, v35, vcc_lo
	flat_load_ushort v19, v[19:20]
	s_waitcnt vmcnt(0) lgkmcnt(0)
	v_mul_f16_e32 v19, s15, v19
	v_cvt_f32_f16_e32 v19, v19
.LBB226_114:
	v_pk_add_f16 v20, v10, v14
	v_pk_add_f16 v21, v11, v15
	v_max_f16_e32 v22, v84, v84
	v_lshrrev_b32_e32 v23, 16, v84
	v_max_f32_e32 v19, v19, v19
	v_lshrrev_b32_e32 v46, 16, v20
	v_lshrrev_b32_e32 v47, 16, v21
	v_min_f16_e32 v20, v22, v20
	v_min3_f16 v22, v23, v46, v47
	v_min3_f16 v20, v20, v21, v22
	v_cvt_f32_f16_e32 v20, v20
	v_min_f32_e32 v19, v19, v20
	v_cvt_f16_f32_e32 v21, v19
	v_add_co_u32 v19, vcc_lo, v16, v34
	v_add_co_ci_u32_e64 v20, null, v17, v35, vcc_lo
	s_and_b32 vcc_lo, exec_lo, s1
	flat_store_short v[19:20], v21
	s_cbranch_vccnz .LBB226_116
; %bb.115:
	v_add_co_u32 v18, vcc_lo, v12, v36
	v_add_co_ci_u32_e64 v19, null, v13, v37, vcc_lo
	flat_load_ushort v18, v[18:19]
	s_waitcnt vmcnt(0) lgkmcnt(0)
	v_mul_f16_e32 v18, s15, v18
	v_cvt_f32_f16_e32 v18, v18
.LBB226_116:
	v_pk_add_f16 v19, v4, v14
	v_pk_add_f16 v20, v5, v15
	v_max_f16_e32 v21, v70, v70
	v_lshrrev_b32_e32 v22, 16, v70
	v_max_f32_e32 v18, v18, v18
	v_lshrrev_b32_e32 v23, 16, v19
	v_lshrrev_b32_e32 v46, 16, v20
	v_min_f16_e32 v19, v21, v19
	v_min3_f16 v21, v22, v23, v46
	v_min3_f16 v19, v19, v20, v21
	v_add_co_u32 v20, vcc_lo, v16, v36
	v_add_co_ci_u32_e64 v21, null, v17, v37, vcc_lo
	v_cvt_f32_f16_e32 v19, v19
	s_and_b32 vcc_lo, exec_lo, s1
	v_min_f32_e32 v18, v18, v19
	v_mov_b32_e32 v19, 0
	v_cvt_f16_f32_e32 v22, v18
	v_mov_b32_e32 v18, 0
	flat_store_short v[20:21], v22
	s_cbranch_vccnz .LBB226_118
; %bb.117:
	v_add_co_u32 v19, vcc_lo, v12, v42
	v_add_co_ci_u32_e64 v20, null, v13, v43, vcc_lo
	flat_load_ushort v19, v[19:20]
	s_waitcnt vmcnt(0) lgkmcnt(0)
	v_mul_f16_e32 v19, s15, v19
	v_cvt_f32_f16_e32 v19, v19
.LBB226_118:
	v_pk_add_f16 v20, v6, v14
	v_pk_add_f16 v21, v7, v15
	v_max_f16_e32 v22, v69, v69
	v_lshrrev_b32_e32 v23, 16, v69
	v_max_f32_e32 v19, v19, v19
	v_lshrrev_b32_e32 v46, 16, v20
	v_lshrrev_b32_e32 v47, 16, v21
	v_min_f16_e32 v20, v22, v20
	v_min3_f16 v22, v23, v46, v47
	v_min3_f16 v20, v20, v21, v22
	v_cvt_f32_f16_e32 v20, v20
	v_min_f32_e32 v19, v19, v20
	;; [unrolled: 54-line block ×3, first 2 shown]
	v_cvt_f16_f32_e32 v21, v19
	v_add_co_u32 v19, vcc_lo, v16, v38
	v_add_co_ci_u32_e64 v20, null, v17, v39, vcc_lo
	s_and_b32 vcc_lo, exec_lo, s1
	flat_store_short v[19:20], v21
	s_cbranch_vccnz .LBB226_124
; %bb.123:
	v_add_co_u32 v12, vcc_lo, v12, v44
	v_add_co_ci_u32_e64 v13, null, v13, v45, vcc_lo
	flat_load_ushort v12, v[12:13]
	s_waitcnt vmcnt(0) lgkmcnt(0)
	v_mul_f16_e32 v12, s15, v12
	v_cvt_f32_f16_e32 v18, v12
.LBB226_124:
	v_pk_add_f16 v12, v24, v14
	v_pk_add_f16 v15, v25, v15
	v_max_f16_e32 v13, v120, v120
	v_lshrrev_b32_e32 v19, 16, v120
	v_add_nc_u32_e32 v14, 0xe0, v111
	v_lshrrev_b32_e32 v20, 16, v12
	v_lshrrev_b32_e32 v21, 16, v15
	v_min_f16_e32 v22, v13, v12
	v_mad_i64_i32 v[12:13], null, v14, s6, 0
	v_min3_f16 v19, v19, v20, v21
	v_max_f32_e32 v20, v18, v18
	v_add_co_u32 v18, vcc_lo, v16, v44
	v_mov_b32_e32 v16, 0
	v_min3_f16 v15, v22, v15, v19
	v_lshlrev_b64 v[12:13], 1, v[12:13]
	v_add_co_ci_u32_e64 v19, null, v17, v45, vcc_lo
	v_cvt_f32_f16_e32 v15, v15
	v_add_co_u32 v12, vcc_lo, s12, v12
	v_add_co_ci_u32_e64 v13, null, s13, v13, vcc_lo
	v_min_f32_e32 v15, v20, v15
	s_and_b32 vcc_lo, exec_lo, s1
	v_cvt_f16_f32_e32 v17, v15
	v_mov_b32_e32 v15, 0
	flat_store_short v[18:19], v17
	s_cbranch_vccnz .LBB226_126
; %bb.125:
	v_add_co_u32 v17, vcc_lo, v12, v28
	v_add_co_ci_u32_e64 v18, null, v13, v29, vcc_lo
	flat_load_ushort v15, v[17:18]
	s_waitcnt vmcnt(0) lgkmcnt(0)
	v_mul_f16_e32 v15, s15, v15
	v_cvt_f32_f16_e32 v15, v15
.LBB226_126:
	v_pk_add_f16 v17, v30, v26
	v_pk_add_f16 v19, v31, v27
	v_max_f16_e32 v18, v79, v79
	v_lshrrev_b32_e32 v20, 16, v79
	v_lshrrev_b32_e32 v21, 16, v17
	;; [unrolled: 1-line block ×3, first 2 shown]
	v_min_f16_e32 v23, v18, v17
	v_mad_i64_i32 v[17:18], null, v14, s7, 0
	v_min3_f16 v20, v20, v21, v22
	v_min3_f16 v14, v23, v19, v20
	v_max_f32_e32 v19, v15, v15
	v_cvt_f32_f16_e32 v20, v14
	v_lshlrev_b64 v[14:15], 1, v[17:18]
	v_min_f32_e32 v17, v19, v20
	v_add_co_u32 v14, vcc_lo, s2, v14
	v_add_co_ci_u32_e64 v15, null, s3, v15, vcc_lo
	v_cvt_f16_f32_e32 v19, v17
	v_add_co_u32 v17, vcc_lo, v14, v28
	v_add_co_ci_u32_e64 v18, null, v15, v29, vcc_lo
	s_and_b32 vcc_lo, exec_lo, s1
	flat_store_short v[17:18], v19
	s_cbranch_vccnz .LBB226_128
; %bb.127:
	v_add_co_u32 v16, vcc_lo, v12, v32
	v_add_co_ci_u32_e64 v17, null, v13, v33, vcc_lo
	flat_load_ushort v16, v[16:17]
	s_waitcnt vmcnt(0) lgkmcnt(0)
	v_mul_f16_e32 v16, s15, v16
	v_cvt_f32_f16_e32 v16, v16
.LBB226_128:
	v_pk_add_f16 v8, v8, v26
	v_pk_add_f16 v9, v9, v27
	v_max_f16_e32 v17, v78, v78
	v_lshrrev_b32_e32 v18, 16, v78
	v_lshrrev_b32_e32 v19, 16, v8
	;; [unrolled: 1-line block ×3, first 2 shown]
	v_min_f16_e32 v8, v17, v8
	v_min3_f16 v17, v18, v19, v20
	v_min3_f16 v8, v8, v9, v17
	v_max_f32_e32 v9, v16, v16
	v_add_co_u32 v16, vcc_lo, v14, v32
	v_add_co_ci_u32_e64 v17, null, v15, v33, vcc_lo
	v_cvt_f32_f16_e32 v8, v8
	s_and_b32 vcc_lo, exec_lo, s1
	v_min_f32_e32 v8, v9, v8
	v_mov_b32_e32 v9, 0
	v_cvt_f16_f32_e32 v18, v8
	v_mov_b32_e32 v8, 0
	flat_store_short v[16:17], v18
	s_cbranch_vccnz .LBB226_130
; %bb.129:
	v_add_co_u32 v16, vcc_lo, v12, v34
	v_add_co_ci_u32_e64 v17, null, v13, v35, vcc_lo
	flat_load_ushort v9, v[16:17]
	s_waitcnt vmcnt(0) lgkmcnt(0)
	v_mul_f16_e32 v9, s15, v9
	v_cvt_f32_f16_e32 v9, v9
.LBB226_130:
	v_pk_add_f16 v10, v10, v26
	v_pk_add_f16 v11, v11, v27
	v_max_f16_e32 v16, v77, v77
	v_lshrrev_b32_e32 v17, 16, v77
	v_max_f32_e32 v9, v9, v9
	v_lshrrev_b32_e32 v18, 16, v10
	v_lshrrev_b32_e32 v19, 16, v11
	v_min_f16_e32 v10, v16, v10
	v_min3_f16 v16, v17, v18, v19
	v_min3_f16 v10, v10, v11, v16
	v_cvt_f32_f16_e32 v10, v10
	v_min_f32_e32 v9, v9, v10
	v_cvt_f16_f32_e32 v11, v9
	v_add_co_u32 v9, vcc_lo, v14, v34
	v_add_co_ci_u32_e64 v10, null, v15, v35, vcc_lo
	s_and_b32 vcc_lo, exec_lo, s1
	flat_store_short v[9:10], v11
	s_cbranch_vccnz .LBB226_132
; %bb.131:
	v_add_co_u32 v8, vcc_lo, v12, v36
	v_add_co_ci_u32_e64 v9, null, v13, v37, vcc_lo
	flat_load_ushort v8, v[8:9]
	s_waitcnt vmcnt(0) lgkmcnt(0)
	v_mul_f16_e32 v8, s15, v8
	v_cvt_f32_f16_e32 v8, v8
.LBB226_132:
	v_pk_add_f16 v4, v4, v26
	v_pk_add_f16 v5, v5, v27
	v_max_f16_e32 v9, v76, v76
	v_lshrrev_b32_e32 v10, 16, v76
	v_lshrrev_b32_e32 v11, 16, v4
	v_lshrrev_b32_e32 v16, 16, v5
	v_min_f16_e32 v4, v9, v4
	v_min3_f16 v9, v10, v11, v16
	v_min3_f16 v4, v4, v5, v9
	v_max_f32_e32 v5, v8, v8
	v_add_co_u32 v8, vcc_lo, v14, v36
	v_add_co_ci_u32_e64 v9, null, v15, v37, vcc_lo
	v_cvt_f32_f16_e32 v4, v4
	s_and_b32 vcc_lo, exec_lo, s1
	v_min_f32_e32 v4, v5, v4
	v_mov_b32_e32 v5, 0
	v_cvt_f16_f32_e32 v10, v4
	v_mov_b32_e32 v4, 0
	flat_store_short v[8:9], v10
	s_cbranch_vccnz .LBB226_134
; %bb.133:
	v_add_co_u32 v8, vcc_lo, v12, v42
	v_add_co_ci_u32_e64 v9, null, v13, v43, vcc_lo
	flat_load_ushort v5, v[8:9]
	s_waitcnt vmcnt(0) lgkmcnt(0)
	v_mul_f16_e32 v5, s15, v5
	v_cvt_f32_f16_e32 v5, v5
.LBB226_134:
	v_pk_add_f16 v6, v6, v26
	v_pk_add_f16 v7, v7, v27
	v_max_f16_e32 v8, v61, v61
	v_lshrrev_b32_e32 v9, 16, v61
	v_max_f32_e32 v5, v5, v5
	v_lshrrev_b32_e32 v10, 16, v6
	v_lshrrev_b32_e32 v11, 16, v7
	v_min_f16_e32 v6, v8, v6
	v_min3_f16 v8, v9, v10, v11
	v_min3_f16 v6, v6, v7, v8
	v_cvt_f32_f16_e32 v6, v6
	v_min_f32_e32 v5, v5, v6
	v_cvt_f16_f32_e32 v7, v5
	v_add_co_u32 v5, vcc_lo, v14, v42
	v_add_co_ci_u32_e64 v6, null, v15, v43, vcc_lo
	s_and_b32 vcc_lo, exec_lo, s1
	flat_store_short v[5:6], v7
	s_cbranch_vccnz .LBB226_136
; %bb.135:
	v_add_co_u32 v4, vcc_lo, v12, v40
	v_add_co_ci_u32_e64 v5, null, v13, v41, vcc_lo
	flat_load_ushort v4, v[4:5]
	s_waitcnt vmcnt(0) lgkmcnt(0)
	v_mul_f16_e32 v4, s15, v4
	v_cvt_f32_f16_e32 v4, v4
.LBB226_136:
	v_pk_add_f16 v0, v0, v26
	v_pk_add_f16 v1, v1, v27
	v_max_f16_e32 v5, v60, v60
	v_lshrrev_b32_e32 v6, 16, v60
	v_pk_add_f16 v3, v3, v27
	v_lshrrev_b32_e32 v7, 16, v0
	v_lshrrev_b32_e32 v8, 16, v1
	v_min_f16_e32 v0, v5, v0
	s_mov_b32 s1, -1
	v_min3_f16 v5, v6, v7, v8
	v_lshrrev_b32_e32 v6, 16, v117
	v_lshrrev_b32_e32 v8, 16, v3
	v_min3_f16 v0, v0, v1, v5
	v_pk_add_f16 v5, v2, v26
	v_max_f32_e32 v1, v4, v4
	v_max_f16_e32 v4, v117, v117
	v_cvt_f32_f16_e32 v0, v0
	v_lshrrev_b32_e32 v7, 16, v5
	v_min_f16_e32 v4, v4, v5
	v_min_f32_e32 v0, v1, v0
	v_min3_f16 v5, v6, v7, v8
	v_add_co_u32 v1, vcc_lo, v14, v40
	v_add_co_ci_u32_e64 v2, null, v15, v41, vcc_lo
	v_cvt_f16_f32_e32 v6, v0
	v_min3_f16 v0, v4, v3, v5
	s_mov_b32 vcc_lo, s0
	flat_store_short v[1:2], v6
	s_cbranch_vccz .LBB226_138
; %bb.137:
	v_cvt_f32_f16_e32 v1, v0
	s_mov_b32 s1, 0
	v_min_f32_e32 v1, 0, v1
	v_cvt_f16_f32_e32 v3, v1
	v_add_co_u32 v1, vcc_lo, v14, v38
	v_add_co_ci_u32_e64 v2, null, v15, v39, vcc_lo
	flat_store_short v[1:2], v3
.LBB226_138:
	v_mov_b32_e32 v1, 0
	s_andn2_b32 vcc_lo, exec_lo, s1
	s_cbranch_vccnz .LBB226_140
; %bb.139:
	v_add_co_u32 v1, vcc_lo, v12, v38
	v_add_co_ci_u32_e64 v2, null, v13, v39, vcc_lo
	flat_load_ushort v1, v[1:2]
	v_max_f16_e32 v2, v0, v0
	v_add_co_u32 v0, vcc_lo, v14, v38
	s_waitcnt vmcnt(0) lgkmcnt(0)
	v_mul_f16_e32 v3, s15, v1
	v_add_co_ci_u32_e64 v1, null, v15, v39, vcc_lo
	v_min_f16_e32 v4, v3, v2
	v_add_co_u32 v2, vcc_lo, v12, v44
	v_add_co_ci_u32_e64 v3, null, v13, v45, vcc_lo
	flat_store_short v[0:1], v4
	flat_load_ushort v0, v[2:3]
	s_waitcnt vmcnt(0) lgkmcnt(0)
	v_mul_f16_e32 v0, s15, v0
	v_cvt_f32_f16_e32 v1, v0
.LBB226_140:
	v_pk_add_f16 v0, v24, v26
	v_pk_add_f16 v2, v25, v27
	v_max_f16_e32 v3, v74, v74
	v_lshrrev_b32_e32 v4, 16, v74
	v_max_f32_e32 v1, v1, v1
	v_lshrrev_b32_e32 v5, 16, v0
	v_lshrrev_b32_e32 v6, 16, v2
	v_min_f16_e32 v0, v3, v0
	v_min3_f16 v3, v4, v5, v6
	v_min3_f16 v0, v0, v2, v3
	v_cvt_f32_f16_e32 v0, v0
	v_min_f32_e32 v0, v1, v0
	v_cvt_f16_f32_e32 v2, v0
	v_add_co_u32 v0, vcc_lo, v14, v44
	v_add_co_ci_u32_e64 v1, null, v15, v45, vcc_lo
	flat_store_short v[0:1], v2
	s_endpgm
	.section	.rodata,"a",@progbits
	.p2align	6, 0x0
	.amdhsa_kernel _ZN12_GLOBAL__N_120geam_min_plus_kernelIDF16_Dv2_DF16_S1_Li8ELi32ELi64ELi256ELi4ELi4ELi64ELi64ELi4ELc84ELc84ELb1ELb0ELb1EDF16_KPKDF16_KPDF16_EEviiiT16_PT17_ilS9_ilS7_S9_ilPT18_ili26rocblas_geam_ex_operation_
		.amdhsa_group_segment_fixed_size 5120
		.amdhsa_private_segment_fixed_size 176
		.amdhsa_kernarg_size 128
		.amdhsa_user_sgpr_count 6
		.amdhsa_user_sgpr_private_segment_buffer 1
		.amdhsa_user_sgpr_dispatch_ptr 0
		.amdhsa_user_sgpr_queue_ptr 0
		.amdhsa_user_sgpr_kernarg_segment_ptr 1
		.amdhsa_user_sgpr_dispatch_id 0
		.amdhsa_user_sgpr_flat_scratch_init 0
		.amdhsa_user_sgpr_private_segment_size 0
		.amdhsa_wavefront_size32 1
		.amdhsa_uses_dynamic_stack 0
		.amdhsa_system_sgpr_private_segment_wavefront_offset 1
		.amdhsa_system_sgpr_workgroup_id_x 1
		.amdhsa_system_sgpr_workgroup_id_y 0
		.amdhsa_system_sgpr_workgroup_id_z 1
		.amdhsa_system_sgpr_workgroup_info 0
		.amdhsa_system_vgpr_workitem_id 1
		.amdhsa_next_free_vgpr 256
		.amdhsa_next_free_sgpr 28
		.amdhsa_reserve_vcc 1
		.amdhsa_reserve_flat_scratch 1
		.amdhsa_float_round_mode_32 0
		.amdhsa_float_round_mode_16_64 0
		.amdhsa_float_denorm_mode_32 3
		.amdhsa_float_denorm_mode_16_64 3
		.amdhsa_dx10_clamp 1
		.amdhsa_ieee_mode 1
		.amdhsa_fp16_overflow 0
		.amdhsa_workgroup_processor_mode 1
		.amdhsa_memory_ordered 1
		.amdhsa_forward_progress 1
		.amdhsa_shared_vgpr_count 0
		.amdhsa_exception_fp_ieee_invalid_op 0
		.amdhsa_exception_fp_denorm_src 0
		.amdhsa_exception_fp_ieee_div_zero 0
		.amdhsa_exception_fp_ieee_overflow 0
		.amdhsa_exception_fp_ieee_underflow 0
		.amdhsa_exception_fp_ieee_inexact 0
		.amdhsa_exception_int_div_zero 0
	.end_amdhsa_kernel
	.section	.text._ZN12_GLOBAL__N_120geam_min_plus_kernelIDF16_Dv2_DF16_S1_Li8ELi32ELi64ELi256ELi4ELi4ELi64ELi64ELi4ELc84ELc84ELb1ELb0ELb1EDF16_KPKDF16_KPDF16_EEviiiT16_PT17_ilS9_ilS7_S9_ilPT18_ili26rocblas_geam_ex_operation_,"axG",@progbits,_ZN12_GLOBAL__N_120geam_min_plus_kernelIDF16_Dv2_DF16_S1_Li8ELi32ELi64ELi256ELi4ELi4ELi64ELi64ELi4ELc84ELc84ELb1ELb0ELb1EDF16_KPKDF16_KPDF16_EEviiiT16_PT17_ilS9_ilS7_S9_ilPT18_ili26rocblas_geam_ex_operation_,comdat
.Lfunc_end226:
	.size	_ZN12_GLOBAL__N_120geam_min_plus_kernelIDF16_Dv2_DF16_S1_Li8ELi32ELi64ELi256ELi4ELi4ELi64ELi64ELi4ELc84ELc84ELb1ELb0ELb1EDF16_KPKDF16_KPDF16_EEviiiT16_PT17_ilS9_ilS7_S9_ilPT18_ili26rocblas_geam_ex_operation_, .Lfunc_end226-_ZN12_GLOBAL__N_120geam_min_plus_kernelIDF16_Dv2_DF16_S1_Li8ELi32ELi64ELi256ELi4ELi4ELi64ELi64ELi4ELc84ELc84ELb1ELb0ELb1EDF16_KPKDF16_KPDF16_EEviiiT16_PT17_ilS9_ilS7_S9_ilPT18_ili26rocblas_geam_ex_operation_
                                        ; -- End function
	.set _ZN12_GLOBAL__N_120geam_min_plus_kernelIDF16_Dv2_DF16_S1_Li8ELi32ELi64ELi256ELi4ELi4ELi64ELi64ELi4ELc84ELc84ELb1ELb0ELb1EDF16_KPKDF16_KPDF16_EEviiiT16_PT17_ilS9_ilS7_S9_ilPT18_ili26rocblas_geam_ex_operation_.num_vgpr, 256
	.set _ZN12_GLOBAL__N_120geam_min_plus_kernelIDF16_Dv2_DF16_S1_Li8ELi32ELi64ELi256ELi4ELi4ELi64ELi64ELi4ELc84ELc84ELb1ELb0ELb1EDF16_KPKDF16_KPDF16_EEviiiT16_PT17_ilS9_ilS7_S9_ilPT18_ili26rocblas_geam_ex_operation_.num_agpr, 0
	.set _ZN12_GLOBAL__N_120geam_min_plus_kernelIDF16_Dv2_DF16_S1_Li8ELi32ELi64ELi256ELi4ELi4ELi64ELi64ELi4ELc84ELc84ELb1ELb0ELb1EDF16_KPKDF16_KPDF16_EEviiiT16_PT17_ilS9_ilS7_S9_ilPT18_ili26rocblas_geam_ex_operation_.numbered_sgpr, 28
	.set _ZN12_GLOBAL__N_120geam_min_plus_kernelIDF16_Dv2_DF16_S1_Li8ELi32ELi64ELi256ELi4ELi4ELi64ELi64ELi4ELc84ELc84ELb1ELb0ELb1EDF16_KPKDF16_KPDF16_EEviiiT16_PT17_ilS9_ilS7_S9_ilPT18_ili26rocblas_geam_ex_operation_.num_named_barrier, 0
	.set _ZN12_GLOBAL__N_120geam_min_plus_kernelIDF16_Dv2_DF16_S1_Li8ELi32ELi64ELi256ELi4ELi4ELi64ELi64ELi4ELc84ELc84ELb1ELb0ELb1EDF16_KPKDF16_KPDF16_EEviiiT16_PT17_ilS9_ilS7_S9_ilPT18_ili26rocblas_geam_ex_operation_.private_seg_size, 176
	.set _ZN12_GLOBAL__N_120geam_min_plus_kernelIDF16_Dv2_DF16_S1_Li8ELi32ELi64ELi256ELi4ELi4ELi64ELi64ELi4ELc84ELc84ELb1ELb0ELb1EDF16_KPKDF16_KPDF16_EEviiiT16_PT17_ilS9_ilS7_S9_ilPT18_ili26rocblas_geam_ex_operation_.uses_vcc, 1
	.set _ZN12_GLOBAL__N_120geam_min_plus_kernelIDF16_Dv2_DF16_S1_Li8ELi32ELi64ELi256ELi4ELi4ELi64ELi64ELi4ELc84ELc84ELb1ELb0ELb1EDF16_KPKDF16_KPDF16_EEviiiT16_PT17_ilS9_ilS7_S9_ilPT18_ili26rocblas_geam_ex_operation_.uses_flat_scratch, 1
	.set _ZN12_GLOBAL__N_120geam_min_plus_kernelIDF16_Dv2_DF16_S1_Li8ELi32ELi64ELi256ELi4ELi4ELi64ELi64ELi4ELc84ELc84ELb1ELb0ELb1EDF16_KPKDF16_KPDF16_EEviiiT16_PT17_ilS9_ilS7_S9_ilPT18_ili26rocblas_geam_ex_operation_.has_dyn_sized_stack, 0
	.set _ZN12_GLOBAL__N_120geam_min_plus_kernelIDF16_Dv2_DF16_S1_Li8ELi32ELi64ELi256ELi4ELi4ELi64ELi64ELi4ELc84ELc84ELb1ELb0ELb1EDF16_KPKDF16_KPDF16_EEviiiT16_PT17_ilS9_ilS7_S9_ilPT18_ili26rocblas_geam_ex_operation_.has_recursion, 0
	.set _ZN12_GLOBAL__N_120geam_min_plus_kernelIDF16_Dv2_DF16_S1_Li8ELi32ELi64ELi256ELi4ELi4ELi64ELi64ELi4ELc84ELc84ELb1ELb0ELb1EDF16_KPKDF16_KPDF16_EEviiiT16_PT17_ilS9_ilS7_S9_ilPT18_ili26rocblas_geam_ex_operation_.has_indirect_call, 0
	.section	.AMDGPU.csdata,"",@progbits
; Kernel info:
; codeLenInByte = 19448
; TotalNumSgprs: 30
; NumVgprs: 256
; ScratchSize: 176
; MemoryBound: 0
; FloatMode: 240
; IeeeMode: 1
; LDSByteSize: 5120 bytes/workgroup (compile time only)
; SGPRBlocks: 0
; VGPRBlocks: 31
; NumSGPRsForWavesPerEU: 30
; NumVGPRsForWavesPerEU: 256
; Occupancy: 4
; WaveLimiterHint : 1
; COMPUTE_PGM_RSRC2:SCRATCH_EN: 1
; COMPUTE_PGM_RSRC2:USER_SGPR: 6
; COMPUTE_PGM_RSRC2:TRAP_HANDLER: 0
; COMPUTE_PGM_RSRC2:TGID_X_EN: 1
; COMPUTE_PGM_RSRC2:TGID_Y_EN: 0
; COMPUTE_PGM_RSRC2:TGID_Z_EN: 1
; COMPUTE_PGM_RSRC2:TIDIG_COMP_CNT: 1
	.section	.text._ZN12_GLOBAL__N_120geam_min_plus_kernelIDF16_Dv2_DF16_S1_Li8ELi32ELi64ELi256ELi4ELi4ELi64ELi64ELi4ELc84ELc84ELb0ELb0ELb1EDF16_KPKDF16_KPDF16_EEviiiT16_PT17_ilS9_ilS7_S9_ilPT18_ili26rocblas_geam_ex_operation_,"axG",@progbits,_ZN12_GLOBAL__N_120geam_min_plus_kernelIDF16_Dv2_DF16_S1_Li8ELi32ELi64ELi256ELi4ELi4ELi64ELi64ELi4ELc84ELc84ELb0ELb0ELb1EDF16_KPKDF16_KPDF16_EEviiiT16_PT17_ilS9_ilS7_S9_ilPT18_ili26rocblas_geam_ex_operation_,comdat
	.globl	_ZN12_GLOBAL__N_120geam_min_plus_kernelIDF16_Dv2_DF16_S1_Li8ELi32ELi64ELi256ELi4ELi4ELi64ELi64ELi4ELc84ELc84ELb0ELb0ELb1EDF16_KPKDF16_KPDF16_EEviiiT16_PT17_ilS9_ilS7_S9_ilPT18_ili26rocblas_geam_ex_operation_ ; -- Begin function _ZN12_GLOBAL__N_120geam_min_plus_kernelIDF16_Dv2_DF16_S1_Li8ELi32ELi64ELi256ELi4ELi4ELi64ELi64ELi4ELc84ELc84ELb0ELb0ELb1EDF16_KPKDF16_KPDF16_EEviiiT16_PT17_ilS9_ilS7_S9_ilPT18_ili26rocblas_geam_ex_operation_
	.p2align	8
	.type	_ZN12_GLOBAL__N_120geam_min_plus_kernelIDF16_Dv2_DF16_S1_Li8ELi32ELi64ELi256ELi4ELi4ELi64ELi64ELi4ELc84ELc84ELb0ELb0ELb1EDF16_KPKDF16_KPDF16_EEviiiT16_PT17_ilS9_ilS7_S9_ilPT18_ili26rocblas_geam_ex_operation_,@function
_ZN12_GLOBAL__N_120geam_min_plus_kernelIDF16_Dv2_DF16_S1_Li8ELi32ELi64ELi256ELi4ELi4ELi64ELi64ELi4ELc84ELc84ELb0ELb0ELb1EDF16_KPKDF16_KPDF16_EEviiiT16_PT17_ilS9_ilS7_S9_ilPT18_ili26rocblas_geam_ex_operation_: ; @_ZN12_GLOBAL__N_120geam_min_plus_kernelIDF16_Dv2_DF16_S1_Li8ELi32ELi64ELi256ELi4ELi4ELi64ELi64ELi4ELc84ELc84ELb0ELb0ELb1EDF16_KPKDF16_KPDF16_EEviiiT16_PT17_ilS9_ilS7_S9_ilPT18_ili26rocblas_geam_ex_operation_
; %bb.0:
	s_clause 0x1
	s_load_dwordx2 s[14:15], s[4:5], 0x8
	s_load_dwordx4 s[8:11], s[4:5], 0x20
	s_mov_b32 s2, s7
	s_mov_b32 s3, 0
	s_waitcnt lgkmcnt(0)
	v_cmp_eq_f16_e64 s0, s15, 0
	s_and_b32 s1, exec_lo, s0
	s_mov_b32 vcc_lo, s1
	s_cbranch_vccnz .LBB227_3
; %bb.1:
	s_load_dwordx2 s[12:13], s[4:5], 0x10
	s_lshl_b64 s[16:17], s[2:3], 3
	s_waitcnt lgkmcnt(0)
	s_add_u32 s12, s12, s16
	s_addc_u32 s13, s13, s17
	s_lshl_b64 s[8:9], s[8:9], 1
	s_load_dwordx2 s[12:13], s[12:13], 0x0
	s_waitcnt lgkmcnt(0)
	s_add_u32 s16, s12, s8
	s_addc_u32 s17, s13, s9
	s_andn2_b32 vcc_lo, exec_lo, s0
	s_cbranch_vccnz .LBB227_4
.LBB227_2:
	s_mov_b32 s21, 0
	s_mov_b32 s20, s2
	;; [unrolled: 1-line block ×3, first 2 shown]
	s_mov_b64 s[12:13], 0
	s_andn2_b32 vcc_lo, exec_lo, s0
	s_mov_b64 s[18:19], 0
	s_cbranch_vccz .LBB227_5
	s_branch .LBB227_6
.LBB227_3:
	s_mov_b64 s[16:17], 0
	s_andn2_b32 vcc_lo, exec_lo, s0
	s_cbranch_vccz .LBB227_2
.LBB227_4:
	s_mov_b64 s[20:21], s[2:3]
	s_mov_b64 s[12:13], 0
	;; [unrolled: 1-line block ×3, first 2 shown]
.LBB227_5:
	s_lshl_b64 s[2:3], s[2:3], 3
	s_load_dwordx2 s[8:9], s[4:5], 0x38
	s_add_u32 s2, s10, s2
	s_addc_u32 s3, s11, s3
	s_load_dwordx2 s[2:3], s[2:3], 0x0
	s_waitcnt lgkmcnt(0)
	s_lshl_b64 s[8:9], s[8:9], 1
	s_add_u32 s18, s2, s8
	s_addc_u32 s19, s3, s9
.LBB227_6:
	s_clause 0x1
	s_load_dword s3, s[4:5], 0x40
	s_load_dwordx4 s[8:11], s[4:5], 0x58
	v_cmp_neq_f16_e64 s23, s15, 0
	s_waitcnt lgkmcnt(0)
	v_cmp_eq_f16_e64 s0, s3, 0
	s_and_b32 s0, exec_lo, s0
	s_mov_b32 vcc_lo, s0
	s_cbranch_vccnz .LBB227_8
; %bb.7:
	s_load_dwordx2 s[12:13], s[4:5], 0x48
	s_lshl_b64 s[24:25], s[20:21], 3
	s_waitcnt lgkmcnt(0)
	s_add_u32 s12, s12, s24
	s_addc_u32 s13, s13, s25
	s_lshl_b64 s[8:9], s[8:9], 1
	s_load_dwordx2 s[12:13], s[12:13], 0x0
	s_waitcnt lgkmcnt(0)
	s_add_u32 s12, s12, s8
	s_addc_u32 s13, s13, s9
.LBB227_8:
	s_clause 0x1
	s_load_dword s2, s[4:5], 0x0
	s_load_dword s7, s[4:5], 0x18
	s_lshl_b64 s[8:9], s[20:21], 3
	v_and_b32_e32 v3, 3, v0
	s_add_u32 s8, s10, s8
	s_addc_u32 s9, s11, s9
	v_cndmask_b32_e64 v4, 0, 1, s23
	v_mov_b32_e32 v8, 0
	v_mov_b32_e32 v11, 0
	s_waitcnt lgkmcnt(0)
	s_add_i32 s2, s2, -1
	s_ashr_i32 s10, s2, 31
	s_lshr_b32 s10, s10, 26
	s_add_i32 s2, s2, s10
	s_ashr_i32 s2, s2, 6
	s_add_i32 s10, s2, 1
	s_not_b32 s2, s2
	v_cvt_f32_u32_e32 v2, s10
	v_rcp_iflag_f32_e32 v2, v2
	v_mul_f32_e32 v2, 0x4f7ffffe, v2
	v_cvt_u32_f32_e32 v2, v2
	v_readfirstlane_b32 s11, v2
	v_lshl_add_u32 v2, v1, 3, v0
	s_mul_i32 s2, s2, s11
	v_lshrrev_b32_e32 v6, 2, v2
	s_mul_hi_u32 s2, s11, s2
	s_add_i32 s11, s11, s2
	s_mul_hi_u32 s2, s6, s11
	s_mul_i32 s11, s2, s10
	s_add_i32 s20, s2, 1
	s_sub_i32 s11, s6, s11
	s_sub_i32 s21, s11, s10
	s_cmp_ge_u32 s11, s10
	s_cselect_b32 s2, s20, s2
	s_cselect_b32 s11, s21, s11
	s_add_i32 s20, s2, 1
	s_cmp_ge_u32 s11, s10
	s_cselect_b32 s11, s20, s2
	v_cmp_ne_u32_e64 s2, 1, v4
	s_mul_i32 s22, s11, s10
	v_lshlrev_b32_e32 v4, 1, v3
	s_sub_i32 s10, s6, s22
	s_andn2_b32 vcc_lo, exec_lo, s23
	s_lshl_b32 s20, s10, 6
	v_add_nc_u32_e32 v10, s20, v6
	s_cbranch_vccnz .LBB227_10
; %bb.9:
	v_mad_i64_i32 v[11:12], null, v10, s7, 0
	v_lshlrev_b64 v[11:12], 1, v[11:12]
	v_add_co_u32 v3, vcc_lo, s16, v11
	v_add_co_ci_u32_e64 v5, null, s17, v12, vcc_lo
	v_add_co_u32 v11, vcc_lo, v3, v4
	v_add_co_ci_u32_e64 v12, null, 0, v5, vcc_lo
	flat_load_ushort v3, v[11:12]
	s_waitcnt vmcnt(0) lgkmcnt(0)
	v_mul_f16_e32 v11, s15, v3
.LBB227_10:
	s_load_dword s10, s[4:5], 0x30
	v_lshrrev_b32_e32 v5, 6, v2
	v_and_b32_e32 v7, 63, v2
	s_lshl_b32 s21, s11, 8
	v_or_b32_e32 v2, s21, v7
	v_ashrrev_i32_e32 v3, 31, v2
	s_waitcnt lgkmcnt(0)
	v_mad_i64_i32 v[12:13], null, s10, v5, 0
	v_lshlrev_b64 v[12:13], 1, v[12:13]
	v_add_co_u32 v12, vcc_lo, s18, v12
	v_add_co_ci_u32_e64 v13, null, s19, v13, vcc_lo
	s_and_b32 vcc_lo, exec_lo, s2
	s_cbranch_vccnz .LBB227_12
; %bb.11:
	v_lshlrev_b64 v[8:9], 1, v[2:3]
	v_add_co_u32 v8, vcc_lo, v12, v8
	v_add_co_ci_u32_e64 v9, null, v13, v9, vcc_lo
	s_clause 0x1
	flat_load_ushort v14, v[8:9]
	flat_load_ushort v8, v[8:9] offset:128
	s_waitcnt vmcnt(1) lgkmcnt(1)
	v_mul_f16_e32 v9, s15, v14
	s_waitcnt vmcnt(0) lgkmcnt(0)
	v_mul_f16_e32 v8, s15, v8
	v_pack_b32_f16 v9, v9, 0
	s_branch .LBB227_13
.LBB227_12:
	v_mov_b32_e32 v9, 0
.LBB227_13:
	v_mov_b32_e32 v14, 0
	v_perm_b32 v35, v8, v9, 0x5040100
	s_ashr_i32 s11, s10, 31
	s_mov_b32 vcc_lo, s1
	s_cbranch_vccz .LBB227_15
; %bb.14:
	v_and_b32_e32 v36, 0xffff0000, v14
	v_mov_b32_e32 v9, 0
	v_mov_b32_e32 v8, 0
	s_cbranch_execz .LBB227_16
	s_branch .LBB227_17
.LBB227_15:
	v_mov_b32_e32 v9, 0
	v_mov_b32_e32 v8, 0
.LBB227_16:
	v_lshlrev_b64 v[15:16], 1, v[2:3]
	v_add_co_u32 v12, vcc_lo, v12, v15
	v_add_co_ci_u32_e64 v13, null, v13, v16, vcc_lo
	s_clause 0x1
	flat_load_ushort v8, v[12:13] offset:256
	flat_load_ushort v12, v[12:13] offset:384
	s_waitcnt vmcnt(1) lgkmcnt(1)
	v_mul_f16_e32 v8, s15, v8
	v_bfi_b32 v36, 0xffff, v8, v14
	s_waitcnt vmcnt(0) lgkmcnt(0)
	v_mul_f16_e32 v8, s15, v12
.LBB227_17:
	s_and_b32 vcc_lo, exec_lo, s2
	s_cbranch_vccnz .LBB227_19
; %bb.18:
	v_mad_i64_i32 v[9:10], null, v10, s7, 0
	v_lshlrev_b64 v[9:10], 1, v[9:10]
	v_add_co_u32 v9, vcc_lo, s16, v9
	v_add_co_ci_u32_e64 v10, null, s17, v10, vcc_lo
	v_add_co_u32 v9, vcc_lo, v9, v4
	v_add_co_ci_u32_e64 v10, null, 0, v10, vcc_lo
	flat_load_ushort v9, v[9:10] offset:8
	s_waitcnt vmcnt(0) lgkmcnt(0)
	v_mul_f16_e32 v9, s15, v9
.LBB227_19:
	v_add_nc_u32_e32 v10, 4, v5
	v_mad_i64_i32 v[12:13], null, s10, v10, 0
	v_lshlrev_b64 v[12:13], 1, v[12:13]
	v_add_co_u32 v12, vcc_lo, s18, v12
	v_add_co_ci_u32_e64 v13, null, s19, v13, vcc_lo
	s_and_b32 vcc_lo, exec_lo, s2
	s_cbranch_vccnz .LBB227_22
; %bb.20:
	v_lshlrev_b64 v[14:15], 1, v[2:3]
	v_add_co_u32 v14, vcc_lo, v12, v14
	v_add_co_ci_u32_e64 v15, null, v13, v15, vcc_lo
	s_clause 0x1
	flat_load_ushort v10, v[14:15]
	flat_load_ushort v14, v[14:15] offset:128
	s_waitcnt vmcnt(1) lgkmcnt(1)
	v_mul_f16_e32 v15, s15, v10
	s_waitcnt vmcnt(0) lgkmcnt(0)
	v_mul_f16_e32 v10, s15, v14
	v_pack_b32_f16 v15, v15, 0
	v_mov_b32_e32 v14, 0
	v_perm_b32 v43, v10, v15, 0x5040100
	s_mov_b32 vcc_lo, s1
	s_cbranch_vccz .LBB227_23
.LBB227_21:
	v_and_b32_e32 v44, 0xffff0000, v14
	v_mov_b32_e32 v10, 0
	s_cbranch_execz .LBB227_24
	s_branch .LBB227_25
.LBB227_22:
	v_mov_b32_e32 v15, 0
	v_mov_b32_e32 v10, 0
	;; [unrolled: 1-line block ×3, first 2 shown]
	v_perm_b32 v43, v10, v15, 0x5040100
	s_mov_b32 vcc_lo, s1
	s_cbranch_vccnz .LBB227_21
.LBB227_23:
	v_mov_b32_e32 v10, 0
.LBB227_24:
	v_lshlrev_b64 v[2:3], 1, v[2:3]
	v_add_co_u32 v2, vcc_lo, v12, v2
	v_add_co_ci_u32_e64 v3, null, v13, v3, vcc_lo
	s_clause 0x1
	flat_load_ushort v10, v[2:3] offset:256
	flat_load_ushort v2, v[2:3] offset:384
	s_waitcnt vmcnt(1) lgkmcnt(1)
	v_mul_f16_e32 v3, s15, v10
	s_waitcnt vmcnt(0) lgkmcnt(0)
	v_mul_f16_e32 v10, s15, v2
	v_bfi_b32 v44, 0xffff, v3, v14
.LBB227_25:
	v_lshlrev_b32_e32 v3, 3, v7
	v_lshlrev_b32_e32 v87, 3, v0
	v_lshl_or_b32 v2, v6, 3, v4
	v_lshlrev_b32_e32 v88, 3, v1
	s_load_dwordx2 s[8:9], s[8:9], 0x0
	v_lshl_add_u32 v47, v5, 1, v3
	v_add_nc_u32_e32 v3, 0x1000, v87
	ds_write_b16 v2, v11 offset:4096
	s_cmp_lt_i32 s14, 9
	ds_write_b16 v47, v35
	ds_write_b16_d16_hi v47, v35 offset:512
	ds_write_b16 v47, v36 offset:1024
	ds_write_b16 v47, v8 offset:1536
	s_waitcnt lgkmcnt(0)
	s_barrier
	buffer_gl0_inv
	ds_read2_b64 v[11:14], v3 offset1:8
	ds_read2_b64 v[15:18], v88 offset1:32
	ds_read2_b64 v[19:22], v3 offset0:16 offset1:24
	ds_read2_b64 v[23:26], v3 offset0:32 offset1:40
	;; [unrolled: 1-line block ×4, first 2 shown]
	s_waitcnt lgkmcnt(4)
	v_pk_add_f16 v3, v11, v15
	v_pk_add_f16 v37, v13, v15
	s_waitcnt lgkmcnt(3)
	v_pk_add_f16 v38, v19, v15
	v_pk_add_f16 v39, v21, v15
	s_waitcnt lgkmcnt(2)
	v_pk_add_f16 v40, v23, v15
	v_pk_add_f16 v41, v25, v15
	s_waitcnt lgkmcnt(1)
	v_pk_add_f16 v42, v27, v15
	v_pk_add_f16 v45, v29, v15
	v_pk_add_f16 v46, v11, v17
	v_pk_add_f16 v48, v13, v17
	;; [unrolled: 1-line block ×24, first 2 shown]
	s_waitcnt lgkmcnt(0)
	v_pk_add_f16 v71, v11, v31
	v_pk_add_f16 v72, v13, v31
	;; [unrolled: 1-line block ×13, first 2 shown]
	ds_read2_b64 v[15:18], v88 offset0:128 offset1:160
	v_pk_add_f16 v84, v25, v33
	v_pk_add_f16 v112, v27, v33
	;; [unrolled: 1-line block ×19, first 2 shown]
	ds_read2_b64 v[31:34], v88 offset0:192 offset1:224
	v_pk_min_f16 v3, 0x7c00, v3 op_sel_hi:[0,1]
	v_pk_min_f16 v37, 0x7c00, v37 op_sel_hi:[0,1]
	;; [unrolled: 1-line block ×3, first 2 shown]
	s_waitcnt lgkmcnt(1)
	v_pk_add_f16 v127, v11, v15
	v_pk_add_f16 v128, v13, v15
	v_pk_min_f16 v121, v3, v55
	v_pk_min_f16 v3, 0x7c00, v40 op_sel_hi:[0,1]
	v_pk_min_f16 v120, v37, v56
	v_pk_min_f16 v117, v38, v57
	v_pk_min_f16 v37, 0x7c00, v42 op_sel_hi:[0,1]
	v_pk_min_f16 v38, 0x7c00, v45 op_sel_hi:[0,1]
	v_pk_min_f16 v110, v3, v59
	v_pk_min_f16 v3, 0x7c00, v48 op_sel_hi:[0,1]
	v_pk_add_f16 v129, v19, v15
	v_pk_add_f16 v130, v21, v15
	v_pk_add_f16 v131, v23, v15
	v_pk_add_f16 v132, v25, v15
	v_pk_min_f16 v105, v3, v64
	v_pk_min_f16 v3, 0x7c00, v53 op_sel_hi:[0,1]
	v_pk_add_f16 v133, v27, v15
	v_pk_add_f16 v15, v29, v15
	;; [unrolled: 1-line block ×26, first 2 shown]
	s_waitcnt lgkmcnt(0)
	v_pk_add_f16 v155, v11, v31
	v_pk_add_f16 v156, v13, v31
	;; [unrolled: 1-line block ×32, first 2 shown]
	v_pk_min_f16 v34, 0x7c00, v41 op_sel_hi:[0,1]
	v_pk_min_f16 v108, v37, v61
	v_pk_min_f16 v107, v38, v62
	v_pk_min_f16 v37, 0x7c00, v50 op_sel_hi:[0,1]
	v_pk_min_f16 v38, 0x7c00, v51 op_sel_hi:[0,1]
	v_pk_min_f16 v100, v3, v69
	v_pk_min_f16 v3, 0x7c00, v74 op_sel_hi:[0,1]
	v_pk_min_f16 v39, 0x7c00, v39 op_sel_hi:[0,1]
	v_pk_min_f16 v109, v34, v60
	v_pk_min_f16 v34, 0x7c00, v49 op_sel_hi:[0,1]
	v_pk_min_f16 v103, v37, v66
	v_pk_min_f16 v102, v38, v67
	v_pk_min_f16 v37, 0x7c00, v71 op_sel_hi:[0,1]
	v_pk_min_f16 v38, 0x7c00, v72 op_sel_hi:[0,1]
	v_pk_min_f16 v95, v3, v90
	v_pk_min_f16 v3, 0x7c00, v79 op_sel_hi:[0,1]
	v_pk_min_f16 v111, v39, v58
	;; [unrolled: 2-line block ×4, first 2 shown]
	v_pk_min_f16 v97, v38, v86
	v_pk_min_f16 v37, 0x7c00, v76 op_sel_hi:[0,1]
	v_pk_min_f16 v38, 0x7c00, v77 op_sel_hi:[0,1]
	v_pk_min_f16 v90, v3, v116
	v_pk_min_f16 v3, 0x7c00, v84 op_sel_hi:[0,1]
	v_pk_min_f16 v106, v39, v63
	;; [unrolled: 2-line block ×4, first 2 shown]
	v_pk_min_f16 v92, v38, v114
	v_pk_min_f16 v38, 0x7c00, v82 op_sel_hi:[0,1]
	v_pk_min_f16 v82, v3, v124
	v_pk_min_f16 v3, 0x7c00, v129 op_sel_hi:[0,1]
	;; [unrolled: 2-line block ×6, first 2 shown]
	v_pk_min_f16 v37, 0x7c00, v81 op_sel_hi:[0,1]
	v_pk_min_f16 v89, v34, v118
	v_pk_min_f16 v34, 0x7c00, v112 op_sel_hi:[0,1]
	v_pk_min_f16 v15, 0x7c00, v134 op_sel_hi:[0,1]
	v_pk_min_f16 v72, v3, v16
	v_pk_min_f16 v3, 0x7c00, v138 op_sel_hi:[0,1]
	v_pk_min_f16 v91, v39, v115
	;; [unrolled: 2-line block ×3, first 2 shown]
	v_pk_min_f16 v85, v38, v122
	v_pk_min_f16 v37, 0x7c00, v113 op_sel_hi:[0,1]
	v_pk_min_f16 v38, 0x7c00, v127 op_sel_hi:[0,1]
	v_pk_min_f16 v81, v34, v125
	v_pk_min_f16 v34, 0x7c00, v130 op_sel_hi:[0,1]
	v_pk_min_f16 v71, v15, v148
	v_pk_min_f16 v15, 0x7c00, v139 op_sel_hi:[0,1]
	v_pk_min_f16 v16, 0x7c00, v140 op_sel_hi:[0,1]
	v_pk_min_f16 v67, v3, v152
	v_pk_min_f16 v3, 0x7c00, v156 op_sel_hi:[0,1]
	v_pk_min_f16 v83, v39, v123
	;; [unrolled: 2-line block ×3, first 2 shown]
	v_pk_min_f16 v79, v38, v141
	v_pk_min_f16 v37, 0x7c00, v131 op_sel_hi:[0,1]
	v_pk_min_f16 v38, 0x7c00, v132 op_sel_hi:[0,1]
	v_pk_min_f16 v76, v34, v144
	v_pk_min_f16 v34, 0x7c00, v135 op_sel_hi:[0,1]
	v_pk_min_f16 v17, 0x7c00, v17 op_sel_hi:[0,1]
	v_pk_min_f16 v66, v15, v153
	v_pk_min_f16 v65, v16, v154
	v_pk_min_f16 v15, 0x7c00, v159 op_sel_hi:[0,1]
	v_pk_min_f16 v16, 0x7c00, v160 op_sel_hi:[0,1]
	v_pk_min_f16 v62, v3, v158
	v_pk_min_f16 v3, 0x7c00, v167 op_sel_hi:[0,1]
	v_pk_min_f16 v11, 0x7c00, v11 op_sel_hi:[0,1]
	;; [unrolled: 1-line block ×3, first 2 shown]
	v_pk_min_f16 v78, v39, v142
	v_pk_min_f16 v39, 0x7c00, v133 op_sel_hi:[0,1]
	v_pk_min_f16 v75, v37, v145
	v_pk_min_f16 v74, v38, v146
	v_pk_min_f16 v37, 0x7c00, v136 op_sel_hi:[0,1]
	v_pk_min_f16 v38, 0x7c00, v137 op_sel_hi:[0,1]
	v_pk_min_f16 v70, v34, v149
	v_pk_min_f16 v34, 0x7c00, v155 op_sel_hi:[0,1]
	v_pk_min_f16 v64, v17, v18
	v_pk_min_f16 v17, 0x7c00, v163 op_sel_hi:[0,1]
	v_pk_min_f16 v18, 0x7c00, v164 op_sel_hi:[0,1]
	v_pk_min_f16 v61, v15, v161
	v_pk_min_f16 v60, v16, v162
	v_pk_min_f16 v15, 0x7c00, v31 op_sel_hi:[0,1]
	v_pk_min_f16 v16, 0x7c00, v19 op_sel_hi:[0,1]
	v_pk_min_f16 v57, v3, v33
	v_pk_min_f16 v55, v11, v12
	;; [unrolled: 1-line block ×3, first 2 shown]
	v_pk_min_f16 v3, 0x7c00, v21 op_sel_hi:[0,1]
	v_pk_min_f16 v11, 0x7c00, v23 op_sel_hi:[0,1]
	;; [unrolled: 1-line block ×5, first 2 shown]
	v_pk_min_f16 v73, v39, v147
	v_pk_min_f16 v69, v37, v150
	;; [unrolled: 1-line block ×13, first 2 shown]
	ds_write_b16 v2, v9 offset:4608
	ds_write_b16 v47, v43 offset:2048
	ds_write_b16_d16_hi v47, v43 offset:2560
	ds_write_b16 v47, v44 offset:3072
	ds_write_b16 v47, v10 offset:3584
	s_waitcnt lgkmcnt(0)
	s_barrier
	buffer_gl0_inv
	s_cbranch_scc1 .LBB227_48
; %bb.26:
	v_lshl_add_u32 v3, s6, 6, v6
	s_lshl_b32 s6, s22, 6
	v_add_nc_u32_e32 v84, 0x1000, v2
	v_add_nc_u32_e32 v113, 0x1200, v2
	;; [unrolled: 1-line block ×3, first 2 shown]
	v_subrev_nc_u32_e32 v3, s6, v3
	v_perm_b32 v36, v8, v36, 0x5040100
	v_add_nc_u32_e32 v8, 8, v5
	v_add_nc_u32_e32 v5, 12, v5
	v_ashrrev_i32_e32 v7, 31, v6
	v_mad_i64_i32 v[2:3], null, s7, v3, 0
	v_perm_b32 v44, v10, v44, 0x5040100
	v_mad_i64_i32 v[8:9], null, v8, s10, 0
	v_or_b32_e32 v112, 0x1000, v87
	v_or_b32_e32 v114, 0x800, v47
	v_lshl_add_u32 v115, v0, 3, 0x1200
	v_lshlrev_b64 v[2:3], 1, v[2:3]
	v_lshl_or_b32 v116, v1, 3, 0x800
	s_add_i32 s14, s14, -8
	v_lshlrev_b64 v[39:40], 1, v[8:9]
	s_lshl_b64 s[6:7], s[10:11], 4
	v_add_co_u32 v4, vcc_lo, v2, v4
	v_add_co_ci_u32_e64 v10, null, 0, v3, vcc_lo
	v_mad_i64_i32 v[2:3], null, v5, s10, 0
	v_add_co_u32 v11, vcc_lo, s16, v4
	v_lshlrev_b64 v[4:5], 1, v[6:7]
	v_add_co_ci_u32_e64 v10, null, s17, v10, vcc_lo
	v_add_co_u32 v37, vcc_lo, v11, 16
	v_lshlrev_b64 v[41:42], 1, v[2:3]
	v_add_co_ci_u32_e64 v38, null, 0, v10, vcc_lo
	v_add_co_u32 v118, vcc_lo, s18, v4
	v_add_co_ci_u32_e64 v119, null, s19, v5, vcc_lo
	s_mov_b32 s10, 0
	v_mov_b32_e32 v14, 0
	s_and_b32 vcc_lo, exec_lo, s2
	s_cbranch_vccz .LBB227_28
	s_branch .LBB227_29
.LBB227_27:                             ;   in Loop: Header=BB227_29 Depth=1
	v_mov_b32_e32 v43, v45
	v_mov_b32_e32 v14, 0
	s_and_b32 vcc_lo, exec_lo, s2
	s_cbranch_vccnz .LBB227_29
.LBB227_28:
	flat_load_ushort v2, v[37:38]
	s_waitcnt vmcnt(0) lgkmcnt(0)
	v_mul_f16_e32 v14, s15, v2
.LBB227_29:                             ; =>This Inner Loop Header: Depth=1
	s_mov_b32 s11, -1
	s_mov_b32 vcc_lo, s1
                                        ; implicit-def: $vgpr2_vgpr3
	s_cbranch_vccz .LBB227_33
; %bb.30:                               ;   in Loop: Header=BB227_29 Depth=1
	v_and_b32_e32 v2, 0xffff0000, v35
	v_mov_b32_e32 v3, v36
	v_mov_b32_e32 v4, 0
	s_cbranch_execz .LBB227_34
.LBB227_31:                             ;   in Loop: Header=BB227_29 Depth=1
	v_perm_b32 v35, v4, v2, 0x5040100
	s_mov_b32 s11, -1
	s_mov_b32 vcc_lo, s1
	s_cbranch_vccz .LBB227_35
.LBB227_32:                             ;   in Loop: Header=BB227_29 Depth=1
	v_and_b32_e32 v36, 0xffff0000, v3
	v_mov_b32_e32 v122, 0
	v_mov_b32_e32 v125, 0
	s_cbranch_execz .LBB227_36
	s_branch .LBB227_37
.LBB227_33:                             ;   in Loop: Header=BB227_29 Depth=1
	v_mov_b32_e32 v4, 0
	s_andn2_b32 vcc_lo, exec_lo, s11
	s_cbranch_vccnz .LBB227_31
.LBB227_34:                             ;   in Loop: Header=BB227_29 Depth=1
	v_add_co_u32 v2, vcc_lo, v118, v39
	v_add_co_ci_u32_e64 v3, null, v119, v40, vcc_lo
	s_clause 0x1
	flat_load_ushort v4, v[2:3]
	flat_load_ushort v2, v[2:3] offset:128
	s_waitcnt vmcnt(1) lgkmcnt(1)
	v_mul_f16_e32 v3, s15, v4
	s_waitcnt vmcnt(0) lgkmcnt(0)
	v_mul_f16_e32 v4, s15, v2
	v_bfi_b32 v35, 0xffff, v3, v35
	v_mov_b32_e32 v2, v35
	v_mov_b32_e32 v3, v36
	v_perm_b32 v35, v4, v2, 0x5040100
	s_mov_b32 s11, -1
	s_mov_b32 vcc_lo, s1
	s_cbranch_vccnz .LBB227_32
.LBB227_35:                             ;   in Loop: Header=BB227_29 Depth=1
	v_mov_b32_e32 v122, 0
	v_mov_b32_e32 v125, 0
	s_andn2_b32 vcc_lo, exec_lo, s11
	s_cbranch_vccnz .LBB227_37
.LBB227_36:                             ;   in Loop: Header=BB227_29 Depth=1
	v_add_co_u32 v4, vcc_lo, v118, v39
	v_add_co_ci_u32_e64 v5, null, v119, v40, vcc_lo
	s_clause 0x1
	flat_load_ushort v2, v[4:5] offset:256
	flat_load_ushort v4, v[4:5] offset:384
	s_waitcnt vmcnt(1) lgkmcnt(1)
	v_mul_f16_e32 v2, s15, v2
	s_waitcnt vmcnt(0) lgkmcnt(0)
	v_mul_f16_e32 v125, s15, v4
	v_bfi_b32 v36, 0xffff, v2, v3
.LBB227_37:                             ;   in Loop: Header=BB227_29 Depth=1
	ds_read2_b64 v[19:22], v115 offset1:8
	ds_read2_b64 v[2:5], v115 offset0:16 offset1:24
	ds_read2_b64 v[6:9], v115 offset0:32 offset1:40
	;; [unrolled: 1-line block ×3, first 2 shown]
	ds_read2_b64 v[31:34], v116 offset1:32
	ds_read2_b64 v[27:30], v116 offset0:64 offset1:96
	ds_read2_b64 v[23:26], v116 offset0:128 offset1:160
	;; [unrolled: 1-line block ×3, first 2 shown]
	s_and_b32 vcc_lo, exec_lo, s2
	ds_write_b16 v84, v14
	ds_write_b16 v47, v35
	ds_write_b16_d16_hi v47, v35 offset:512
	ds_write_b16 v47, v36 offset:1024
	ds_write_b16 v47, v125 offset:1536
	s_waitcnt lgkmcnt(0)
	s_barrier
	buffer_gl0_inv
	s_cbranch_vccnz .LBB227_39
; %bb.38:                               ;   in Loop: Header=BB227_29 Depth=1
	flat_load_ushort v14, v[37:38] offset:8
	s_waitcnt vmcnt(0) lgkmcnt(0)
	v_mul_f16_e32 v122, s15, v14
.LBB227_39:                             ;   in Loop: Header=BB227_29 Depth=1
	s_mov_b32 s11, -1
	s_mov_b32 vcc_lo, s1
                                        ; implicit-def: $vgpr45_vgpr46
	s_cbranch_vccz .LBB227_41
; %bb.40:                               ;   in Loop: Header=BB227_29 Depth=1
	v_and_b32_e32 v45, 0xffff0000, v43
	v_mov_b32_e32 v46, v44
	v_mov_b32_e32 v14, 0
	s_cbranch_execnz .LBB227_43
	s_branch .LBB227_42
.LBB227_41:                             ;   in Loop: Header=BB227_29 Depth=1
	v_mov_b32_e32 v14, 0
	s_andn2_b32 vcc_lo, exec_lo, s11
	s_cbranch_vccnz .LBB227_43
.LBB227_42:                             ;   in Loop: Header=BB227_29 Depth=1
	v_add_co_u32 v45, vcc_lo, v118, v41
	v_add_co_ci_u32_e64 v46, null, v119, v42, vcc_lo
	s_clause 0x1
	flat_load_ushort v14, v[45:46]
	flat_load_ushort v45, v[45:46] offset:128
	s_waitcnt vmcnt(1) lgkmcnt(1)
	v_mul_f16_e32 v14, s15, v14
	v_bfi_b32 v43, 0xffff, v14, v43
	s_waitcnt vmcnt(0) lgkmcnt(0)
	v_mul_f16_e32 v14, s15, v45
	v_mov_b32_e32 v46, v44
	v_mov_b32_e32 v45, v43
.LBB227_43:                             ;   in Loop: Header=BB227_29 Depth=1
	v_perm_b32 v45, v14, v45, 0x5040100
	s_mov_b32 s11, -1
	s_mov_b32 vcc_lo, s1
                                        ; implicit-def: $vgpr123
	s_cbranch_vccz .LBB227_45
; %bb.44:                               ;   in Loop: Header=BB227_29 Depth=1
	v_and_b32_e32 v123, 0xffff0000, v46
	v_mov_b32_e32 v124, 0
	s_cbranch_execz .LBB227_46
	s_branch .LBB227_47
.LBB227_45:                             ;   in Loop: Header=BB227_29 Depth=1
	v_mov_b32_e32 v124, 0
	s_andn2_b32 vcc_lo, exec_lo, s11
	s_cbranch_vccnz .LBB227_47
.LBB227_46:                             ;   in Loop: Header=BB227_29 Depth=1
	v_add_co_u32 v43, vcc_lo, v118, v41
	v_add_co_ci_u32_e64 v44, null, v119, v42, vcc_lo
	s_clause 0x1
	flat_load_ushort v14, v[43:44] offset:256
	flat_load_ushort v43, v[43:44] offset:384
	s_waitcnt vmcnt(1) lgkmcnt(1)
	v_mul_f16_e32 v14, s15, v14
	s_waitcnt vmcnt(0) lgkmcnt(0)
	v_mul_f16_e32 v124, s15, v43
	v_bfi_b32 v123, 0xffff, v14, v46
.LBB227_47:                             ;   in Loop: Header=BB227_29 Depth=1
	v_pk_add_f16 v14, v19, v31
	v_pk_max_f16 v43, v121, v121
	v_pk_add_f16 v44, v21, v31
	v_pk_max_f16 v46, v120, v120
	;; [unrolled: 2-line block ×3, first 2 shown]
	v_pk_min_f16 v14, v43, v14
	v_pk_max_f16 v43, v117, v117
	v_pk_add_f16 v117, v4, v31
	v_pk_add_f16 v121, v6, v31
	v_pk_max_f16 v110, v110, v110
	v_pk_add_f16 v126, v8, v31
	v_pk_min_f16 v44, v46, v44
	v_pk_min_f16 v43, v43, v120
	;; [unrolled: 1-line block ×3, first 2 shown]
	v_pk_add_f16 v111, v10, v31
	v_pk_max_f16 v108, v108, v108
	v_pk_add_f16 v31, v12, v31
	v_pk_max_f16 v107, v107, v107
	;; [unrolled: 2-line block ×4, first 2 shown]
	v_pk_min_f16 v110, v110, v121
	v_pk_add_f16 v121, v2, v33
	v_pk_min_f16 v108, v108, v111
	v_pk_min_f16 v31, v107, v31
	v_pk_min_f16 v106, v106, v117
	v_pk_min_f16 v105, v105, v120
	v_pk_add_f16 v107, v4, v33
	v_pk_max_f16 v103, v103, v103
	v_pk_add_f16 v111, v6, v33
	v_pk_add_f16 v117, v8, v33
	;; [unrolled: 1-line block ×4, first 2 shown]
	v_pk_max_f16 v99, v99, v99
	v_pk_max_f16 v102, v102, v102
	;; [unrolled: 1-line block ×4, first 2 shown]
	v_pk_min_f16 v103, v103, v107
	v_pk_min_f16 v33, v99, v33
	v_pk_add_f16 v99, v19, v27
	v_pk_max_f16 v98, v98, v98
	v_pk_add_f16 v107, v21, v27
	v_pk_max_f16 v97, v97, v97
	v_pk_min_f16 v102, v102, v111
	v_pk_min_f16 v101, v101, v117
	;; [unrolled: 1-line block ×3, first 2 shown]
	v_pk_add_f16 v111, v2, v27
	v_pk_max_f16 v96, v96, v96
	v_pk_add_f16 v117, v4, v27
	v_pk_max_f16 v95, v95, v95
	v_pk_add_f16 v120, v6, v27
	v_pk_min_f16 v98, v98, v99
	v_pk_min_f16 v97, v97, v107
	v_pk_add_f16 v99, v8, v27
	v_pk_max_f16 v93, v93, v93
	v_pk_add_f16 v107, v10, v27
	v_pk_add_f16 v27, v12, v27
	v_pk_max_f16 v91, v91, v91
	v_pk_min_f16 v96, v96, v111
	v_pk_min_f16 v95, v95, v117
	v_pk_max_f16 v92, v92, v92
	v_pk_add_f16 v111, v19, v29
	v_pk_max_f16 v90, v90, v90
	v_pk_add_f16 v117, v21, v29
	v_pk_max_f16 v89, v89, v89
	v_pk_min_f16 v93, v93, v99
	v_pk_min_f16 v27, v91, v27
	v_pk_add_f16 v91, v2, v29
	v_pk_max_f16 v86, v86, v86
	v_pk_add_f16 v99, v4, v29
	v_pk_max_f16 v85, v85, v85
	v_pk_min_f16 v92, v92, v107
	v_pk_min_f16 v90, v90, v111
	;; [unrolled: 1-line block ×3, first 2 shown]
	v_pk_add_f16 v107, v6, v29
	v_pk_max_f16 v83, v83, v83
	v_pk_add_f16 v111, v8, v29
	v_pk_max_f16 v82, v82, v82
	v_pk_add_f16 v117, v10, v29
	v_pk_min_f16 v86, v86, v91
	v_pk_min_f16 v85, v85, v99
	v_pk_add_f16 v29, v12, v29
	v_pk_max_f16 v80, v80, v80
	v_pk_add_f16 v91, v19, v23
	v_pk_max_f16 v79, v79, v79
	;; [unrolled: 2-line block ×3, first 2 shown]
	v_pk_min_f16 v83, v83, v107
	v_pk_min_f16 v82, v82, v111
	v_pk_add_f16 v107, v2, v23
	v_pk_max_f16 v77, v77, v77
	v_pk_add_f16 v111, v4, v23
	v_pk_min_f16 v29, v80, v29
	v_pk_min_f16 v79, v79, v91
	v_pk_min_f16 v78, v78, v99
	v_pk_add_f16 v80, v6, v23
	v_pk_add_f16 v91, v8, v23
	;; [unrolled: 1-line block ×4, first 2 shown]
	v_pk_max_f16 v72, v72, v72
	v_pk_min_f16 v77, v77, v107
	v_pk_max_f16 v75, v75, v75
	v_pk_max_f16 v74, v74, v74
	;; [unrolled: 1-line block ×3, first 2 shown]
	v_pk_add_f16 v107, v19, v25
	v_pk_max_f16 v71, v71, v71
	v_pk_min_f16 v23, v72, v23
	v_pk_add_f16 v72, v21, v25
	v_pk_max_f16 v70, v70, v70
	v_pk_min_f16 v75, v75, v80
	v_pk_min_f16 v74, v74, v91
	;; [unrolled: 1-line block ×4, first 2 shown]
	v_pk_add_f16 v80, v2, v25
	v_pk_max_f16 v69, v69, v69
	v_pk_add_f16 v91, v4, v25
	v_pk_add_f16 v99, v6, v25
	;; [unrolled: 1-line block ×3, first 2 shown]
	v_pk_min_f16 v70, v70, v72
	v_pk_add_f16 v72, v10, v25
	v_pk_add_f16 v25, v12, v25
	v_pk_max_f16 v64, v64, v64
	v_pk_max_f16 v68, v68, v68
	v_pk_min_f16 v69, v69, v80
	v_pk_add_f16 v80, v19, v15
	v_pk_max_f16 v63, v63, v63
	v_pk_min_f16 v25, v64, v25
	v_pk_add_f16 v64, v4, v15
	v_pk_max_f16 v60, v60, v60
	v_pk_add_f16 v4, v4, v17
	v_pk_max_f16 v52, v52, v52
	v_pk_max_f16 v67, v67, v67
	v_pk_min_f16 v68, v68, v91
	v_pk_max_f16 v65, v65, v65
	v_pk_add_f16 v91, v21, v15
	v_pk_max_f16 v62, v62, v62
	v_pk_min_f16 v63, v63, v80
	v_pk_add_f16 v80, v8, v15
	v_pk_min_f16 v60, v60, v64
	v_pk_min_f16 v64, v52, v4
	v_pk_add_f16 v4, v8, v17
	v_pk_max_f16 v8, v50, v50
	v_pk_min_f16 v67, v67, v99
	v_pk_add_f16 v99, v2, v15
	v_pk_max_f16 v61, v61, v61
	v_pk_min_f16 v65, v65, v72
	v_pk_min_f16 v62, v62, v91
	v_pk_add_f16 v72, v6, v15
	v_pk_max_f16 v59, v59, v59
	v_pk_add_f16 v91, v10, v15
	v_pk_add_f16 v10, v10, v17
	v_pk_max_f16 v49, v49, v49
	v_pk_min_f16 v8, v8, v4
	v_pk_add_f16 v4, v22, v32
	v_pk_max_f16 v76, v76, v76
	v_pk_max_f16 v66, v66, v66
	v_pk_min_f16 v61, v61, v99
	v_pk_min_f16 v59, v59, v72
	;; [unrolled: 1-line block ×3, first 2 shown]
	v_pk_add_f16 v10, v3, v32
	v_pk_min_f16 v99, v44, v4
	v_pk_add_f16 v4, v5, v32
	v_pk_min_f16 v76, v76, v111
	v_pk_min_f16 v66, v66, v107
	;; [unrolled: 1-line block ×3, first 2 shown]
	v_pk_add_f16 v10, v11, v32
	v_pk_min_f16 v111, v46, v4
	v_pk_add_f16 v4, v13, v32
	v_pk_max_f16 v58, v58, v58
	v_pk_add_f16 v15, v12, v15
	v_pk_min_f16 v108, v108, v10
	v_pk_add_f16 v10, v20, v34
	v_pk_min_f16 v129, v31, v4
	v_pk_add_f16 v4, v5, v34
	v_pk_add_f16 v19, v19, v17
	;; [unrolled: 1-line block ×3, first 2 shown]
	v_pk_min_f16 v106, v106, v10
	v_pk_add_f16 v10, v7, v34
	v_pk_min_f16 v103, v103, v4
	v_pk_add_f16 v4, v9, v34
	v_pk_add_f16 v2, v2, v17
	;; [unrolled: 1-line block ×4, first 2 shown]
	v_pk_max_f16 v17, v48, v48
	v_pk_min_f16 v102, v102, v10
	v_pk_add_f16 v10, v20, v28
	v_pk_min_f16 v101, v101, v4
	v_pk_add_f16 v4, v22, v28
	v_pk_min_f16 v58, v58, v80
	v_pk_min_f16 v80, v17, v12
	v_pk_add_f16 v12, v7, v32
	v_pk_min_f16 v98, v98, v10
	v_pk_add_f16 v10, v3, v28
	;; [unrolled: 2-line block ×3, first 2 shown]
	v_pk_max_f16 v109, v109, v109
	v_pk_max_f16 v57, v57, v57
	v_pk_add_f16 v48, v20, v32
	v_pk_min_f16 v110, v110, v12
	v_pk_add_f16 v12, v22, v34
	v_pk_min_f16 v96, v96, v10
	;; [unrolled: 2-line block ×4, first 2 shown]
	v_pk_max_f16 v104, v104, v104
	v_pk_min_f16 v57, v57, v91
	v_pk_min_f16 v91, v14, v48
	v_pk_add_f16 v14, v9, v32
	v_pk_min_f16 v105, v105, v12
	v_pk_add_f16 v12, v11, v34
	;; [unrolled: 2-line block ×4, first 2 shown]
	v_pk_min_f16 v104, v104, v121
	v_pk_min_f16 v109, v109, v14
	v_pk_add_f16 v14, v3, v34
	v_pk_min_f16 v100, v100, v12
	v_pk_add_f16 v12, v5, v28
	;; [unrolled: 2-line block ×4, first 2 shown]
	v_pk_max_f16 v94, v94, v94
	v_pk_min_f16 v104, v104, v14
	v_pk_add_f16 v14, v13, v34
	v_pk_min_f16 v95, v95, v12
	v_pk_add_f16 v12, v20, v30
	;; [unrolled: 2-line block ×4, first 2 shown]
	v_pk_min_f16 v94, v94, v120
	v_pk_min_f16 v130, v33, v14
	v_pk_add_f16 v14, v7, v28
	v_pk_min_f16 v90, v90, v12
	v_pk_add_f16 v12, v9, v30
	;; [unrolled: 2-line block ×4, first 2 shown]
	v_pk_max_f16 v81, v81, v81
	v_pk_max_f16 v53, v53, v53
	v_pk_min_f16 v94, v94, v14
	v_pk_add_f16 v14, v22, v30
	v_pk_min_f16 v82, v82, v12
	v_pk_add_f16 v12, v3, v24
	;; [unrolled: 2-line block ×4, first 2 shown]
	v_pk_min_f16 v81, v81, v117
	v_pk_max_f16 v56, v56, v56
	v_pk_max_f16 v55, v55, v55
	v_pk_min_f16 v2, v53, v2
	v_pk_min_f16 v89, v89, v14
	v_pk_add_f16 v14, v11, v30
	v_pk_min_f16 v77, v77, v12
	v_pk_add_f16 v12, v13, v24
	;; [unrolled: 2-line block ×4, first 2 shown]
	v_pk_min_f16 v15, v56, v15
	v_pk_max_f16 v51, v51, v51
	v_pk_min_f16 v19, v55, v19
	v_pk_min_f16 v81, v81, v14
	v_pk_add_f16 v14, v5, v24
	v_pk_min_f16 v56, v23, v12
	v_pk_add_f16 v12, v7, v26
	;; [unrolled: 2-line block ×4, first 2 shown]
	v_pk_max_f16 v54, v54, v54
	v_pk_min_f16 v6, v51, v6
	v_pk_min_f16 v76, v76, v14
	v_pk_add_f16 v14, v20, v26
	v_pk_min_f16 v51, v67, v12
	v_pk_min_f16 v49, v65, v10
	v_pk_add_f16 v10, v20, v16
	v_pk_add_f16 v12, v22, v16
	v_pk_min_f16 v48, v25, v4
	v_pk_add_f16 v4, v5, v16
	v_pk_min_f16 v21, v54, v21
	v_pk_min_f16 v54, v71, v14
	v_pk_add_f16 v14, v9, v26
	v_pk_min_f16 v46, v63, v10
	v_pk_min_f16 v44, v62, v12
	v_pk_add_f16 v10, v7, v16
	v_pk_min_f16 v30, v60, v4
	v_pk_add_f16 v4, v9, v16
	v_pk_add_f16 v12, v11, v16
	v_pk_min_f16 v50, v66, v14
	v_pk_add_f16 v14, v3, v16
	v_pk_min_f16 v31, v59, v10
	;; [unrolled: 2-line block ×3, first 2 shown]
	v_pk_min_f16 v27, v57, v12
	v_pk_add_f16 v4, v22, v18
	ds_read2_b64 v[23:26], v112 offset1:8
	ds_read2_b64 v[57:60], v88 offset1:32
	v_pk_min_f16 v43, v61, v14
	v_pk_add_f16 v14, v13, v16
	v_pk_min_f16 v10, v19, v10
	v_pk_min_f16 v34, v21, v4
	ds_read2_b64 v[19:22], v112 offset0:16 offset1:24
	v_pk_add_f16 v3, v3, v18
	v_pk_min_f16 v12, v15, v14
	ds_read2_b64 v[14:17], v112 offset0:32 offset1:40
	v_pk_add_f16 v28, v5, v18
	v_pk_max_f16 v91, v91, v91
	v_pk_min_f16 v33, v2, v3
	ds_read2_b64 v[2:5], v112 offset0:48 offset1:56
	v_pk_add_f16 v11, v11, v18
	v_pk_add_f16 v61, v13, v18
	v_pk_min_f16 v32, v64, v28
	v_pk_add_f16 v7, v7, v18
	v_pk_add_f16 v9, v9, v18
	v_pk_min_f16 v13, v72, v11
	v_pk_min_f16 v11, v80, v61
	s_waitcnt lgkmcnt(3)
	v_pk_add_f16 v65, v23, v57
	v_pk_add_f16 v66, v25, v57
	v_pk_add_f16 v72, v23, v59
	v_pk_add_f16 v117, v24, v58
	v_pk_add_f16 v120, v26, v58
	s_waitcnt lgkmcnt(2)
	v_pk_add_f16 v67, v19, v57
	v_pk_min_f16 v65, v91, v65
	v_pk_max_f16 v91, v107, v107
	s_waitcnt lgkmcnt(1)
	v_pk_add_f16 v70, v16, v57
	v_pk_add_f16 v148, v17, v58
	;; [unrolled: 1-line block ×4, first 2 shown]
	v_pk_min_f16 v67, v91, v67
	v_pk_max_f16 v91, v109, v109
	s_waitcnt lgkmcnt(0)
	v_pk_add_f16 v71, v2, v57
	v_pk_add_f16 v57, v4, v57
	v_pk_add_f16 v145, v20, v58
	v_pk_add_f16 v146, v22, v58
	v_pk_min_f16 v70, v91, v70
	v_pk_add_f16 v147, v15, v58
	v_pk_add_f16 v149, v3, v58
	;; [unrolled: 1-line block ×3, first 2 shown]
	v_pk_max_f16 v91, v106, v106
	v_pk_min_f16 v109, v70, v148
	v_pk_max_f16 v70, v129, v129
	v_pk_add_f16 v80, v25, v59
	v_pk_add_f16 v150, v24, v60
	v_pk_min_f16 v72, v91, v72
	v_pk_add_f16 v133, v19, v59
	v_pk_min_f16 v57, v70, v57
	v_pk_add_f16 v134, v21, v59
	ds_read2_b64 v[61:64], v88 offset0:64 offset1:96
	v_pk_min_f16 v106, v72, v150
	v_pk_max_f16 v72, v104, v104
	v_pk_min_f16 v107, v57, v58
	v_pk_max_f16 v57, v105, v105
	v_pk_add_f16 v152, v20, v60
	v_pk_add_f16 v153, v22, v60
	v_pk_min_f16 v72, v72, v133
	v_pk_add_f16 v135, v14, v59
	v_pk_min_f16 v57, v57, v80
	v_pk_max_f16 v80, v103, v103
	v_pk_add_f16 v136, v16, v59
	v_pk_min_f16 v104, v72, v152
	v_pk_max_f16 v72, v102, v102
	v_pk_add_f16 v137, v2, v59
	v_pk_min_f16 v80, v80, v134
	v_pk_add_f16 v154, v15, v60
	v_pk_add_f16 v155, v17, v60
	v_pk_min_f16 v72, v72, v135
	v_pk_max_f16 v91, v100, v100
	v_pk_min_f16 v103, v80, v153
	v_pk_max_f16 v80, v101, v101
	v_pk_min_f16 v28, v6, v7
	v_pk_min_f16 v18, v8, v9
	v_perm_b32 v36, v125, v36, 0x5040100
	ds_read2_b64 v[125:128], v88 offset0:128 offset1:160
	ds_read2_b64 v[6:9], v88 offset0:192 offset1:224
	v_pk_min_f16 v80, v80, v136
	v_pk_add_f16 v59, v4, v59
	v_pk_add_f16 v156, v3, v60
	v_pk_max_f16 v99, v99, v99
	v_pk_min_f16 v121, v65, v117
	v_pk_min_f16 v117, v67, v145
	v_pk_max_f16 v67, v110, v110
	v_pk_min_f16 v102, v72, v154
	v_pk_min_f16 v72, v91, v137
	;; [unrolled: 1-line block ×3, first 2 shown]
	v_pk_max_f16 v80, v130, v130
	s_waitcnt lgkmcnt(2)
	v_pk_add_f16 v138, v23, v61
	v_pk_add_f16 v140, v19, v61
	;; [unrolled: 1-line block ×4, first 2 shown]
	v_pk_min_f16 v66, v99, v66
	v_pk_min_f16 v67, v67, v69
	;; [unrolled: 1-line block ×3, first 2 shown]
	v_pk_max_f16 v72, v98, v98
	v_pk_min_f16 v59, v80, v59
	v_pk_max_f16 v91, v96, v96
	v_pk_add_f16 v139, v25, v61
	v_pk_min_f16 v120, v66, v120
	v_pk_max_f16 v66, v111, v111
	v_pk_min_f16 v110, v67, v147
	v_pk_max_f16 v67, v108, v108
	v_pk_max_f16 v80, v97, v97
	v_pk_min_f16 v72, v72, v138
	v_pk_add_f16 v96, v24, v62
	v_pk_min_f16 v91, v91, v140
	v_pk_min_f16 v99, v59, v60
	v_pk_add_f16 v59, v20, v62
	v_pk_add_f16 v142, v14, v61
	v_pk_min_f16 v66, v66, v68
	v_pk_min_f16 v67, v67, v71
	;; [unrolled: 1-line block ×3, first 2 shown]
	v_pk_add_f16 v97, v26, v62
	v_pk_min_f16 v98, v72, v96
	v_pk_min_f16 v96, v91, v59
	v_pk_max_f16 v59, v94, v94
	v_pk_add_f16 v141, v21, v61
	v_pk_add_f16 v143, v16, v61
	;; [unrolled: 1-line block ×12, first 2 shown]
	s_waitcnt lgkmcnt(1)
	v_pk_add_f16 v145, v23, v125
	v_pk_add_f16 v68, v25, v125
	;; [unrolled: 1-line block ×3, first 2 shown]
	v_pk_min_f16 v111, v66, v146
	v_pk_add_f16 v66, v21, v125
	v_pk_add_f16 v146, v14, v125
	;; [unrolled: 1-line block ×6, first 2 shown]
	v_pk_min_f16 v108, v67, v149
	v_pk_add_f16 v67, v25, v127
	v_pk_add_f16 v125, v19, v127
	;; [unrolled: 1-line block ×6, first 2 shown]
	v_pk_min_f16 v105, v57, v151
	v_pk_add_f16 v57, v4, v127
	s_waitcnt lgkmcnt(0)
	v_pk_add_f16 v127, v23, v6
	v_pk_add_f16 v134, v25, v6
	;; [unrolled: 1-line block ×12, first 2 shown]
	v_pk_max_f16 v60, v95, v95
	v_pk_min_f16 v97, v80, v97
	v_pk_add_f16 v14, v14, v8
	v_pk_add_f16 v16, v16, v8
	;; [unrolled: 1-line block ×3, first 2 shown]
	v_pk_max_f16 v80, v92, v92
	v_pk_min_f16 v59, v59, v142
	v_pk_add_f16 v92, v15, v62
	v_pk_add_f16 v4, v4, v8
	v_pk_max_f16 v8, v131, v131
	v_pk_min_f16 v60, v60, v141
	v_pk_add_f16 v91, v22, v62
	v_pk_min_f16 v94, v59, v92
	v_pk_add_f16 v59, v5, v62
	v_pk_min_f16 v8, v8, v61
	v_pk_min_f16 v80, v80, v144
	;; [unrolled: 1-line block ×3, first 2 shown]
	v_pk_add_f16 v60, v3, v62
	v_pk_max_f16 v61, v89, v89
	v_pk_min_f16 v91, v8, v59
	v_pk_max_f16 v8, v85, v85
	v_pk_add_f16 v59, v22, v64
	v_pk_min_f16 v92, v80, v60
	v_pk_add_f16 v80, v26, v64
	v_pk_min_f16 v61, v61, v158
	v_pk_min_f16 v8, v8, v160
	v_pk_max_f16 v72, v93, v93
	v_pk_add_f16 v93, v17, v62
	v_pk_max_f16 v60, v90, v90
	v_pk_min_f16 v89, v61, v80
	v_pk_max_f16 v61, v82, v82
	v_pk_min_f16 v85, v8, v59
	v_pk_max_f16 v8, v132, v132
	v_pk_min_f16 v72, v72, v143
	v_pk_add_f16 v80, v17, v64
	v_pk_min_f16 v61, v61, v65
	v_pk_add_f16 v59, v5, v64
	v_pk_min_f16 v8, v8, v63
	v_pk_min_f16 v93, v72, v93
	v_pk_max_f16 v72, v86, v86
	v_pk_min_f16 v82, v61, v80
	v_pk_add_f16 v62, v24, v64
	v_pk_min_f16 v80, v8, v59
	v_pk_max_f16 v8, v76, v76
	v_pk_min_f16 v60, v60, v157
	v_pk_add_f16 v86, v20, v64
	v_pk_min_f16 v72, v72, v159
	v_pk_add_f16 v59, v22, v126
	v_pk_min_f16 v8, v8, v66
	v_pk_min_f16 v90, v60, v62
	v_pk_max_f16 v60, v83, v83
	v_pk_min_f16 v86, v72, v86
	v_pk_max_f16 v72, v81, v81
	;; [unrolled: 2-line block ×3, first 2 shown]
	v_pk_add_f16 v62, v15, v64
	v_pk_min_f16 v60, v60, v161
	v_pk_add_f16 v65, v3, v64
	v_pk_min_f16 v72, v72, v162
	;; [unrolled: 2-line block ×3, first 2 shown]
	v_pk_min_f16 v83, v60, v62
	v_pk_max_f16 v60, v79, v79
	v_pk_min_f16 v81, v72, v65
	v_pk_max_f16 v61, v78, v78
	;; [unrolled: 2-line block ×3, first 2 shown]
	v_pk_add_f16 v62, v24, v126
	v_pk_min_f16 v60, v60, v145
	v_pk_add_f16 v64, v26, v126
	v_pk_min_f16 v61, v61, v68
	;; [unrolled: 2-line block ×3, first 2 shown]
	v_pk_max_f16 v63, v77, v77
	v_pk_min_f16 v79, v60, v62
	v_pk_min_f16 v78, v61, v64
	v_pk_max_f16 v60, v75, v75
	v_pk_max_f16 v61, v74, v74
	v_pk_min_f16 v68, v8, v52
	v_pk_max_f16 v8, v48, v48
	v_pk_add_f16 v65, v20, v126
	v_pk_min_f16 v63, v63, v69
	v_pk_add_f16 v62, v15, v126
	v_pk_min_f16 v60, v60, v146
	;; [unrolled: 2-line block ×3, first 2 shown]
	v_pk_max_f16 v54, v54, v54
	v_pk_max_f16 v53, v53, v53
	;; [unrolled: 1-line block ×3, first 2 shown]
	v_pk_add_f16 v48, v5, v128
	v_pk_min_f16 v8, v8, v57
	v_pk_min_f16 v77, v63, v65
	v_pk_max_f16 v63, v73, v73
	v_pk_min_f16 v75, v60, v62
	v_pk_min_f16 v74, v61, v64
	v_pk_add_f16 v59, v24, v128
	v_pk_min_f16 v54, v54, v70
	v_pk_add_f16 v60, v26, v128
	;; [unrolled: 2-line block ×3, first 2 shown]
	v_pk_min_f16 v55, v55, v125
	v_pk_max_f16 v51, v51, v51
	v_pk_max_f16 v50, v50, v50
	;; [unrolled: 1-line block ×3, first 2 shown]
	v_pk_min_f16 v64, v8, v48
	v_pk_max_f16 v8, v30, v30
	v_pk_add_f16 v65, v3, v126
	v_pk_min_f16 v63, v63, v129
	v_pk_min_f16 v71, v54, v59
	;; [unrolled: 1-line block ×4, first 2 shown]
	v_pk_add_f16 v53, v15, v128
	v_pk_min_f16 v51, v51, v148
	v_pk_add_f16 v54, v17, v128
	v_pk_min_f16 v50, v50, v149
	;; [unrolled: 2-line block ×3, first 2 shown]
	v_pk_max_f16 v46, v46, v46
	v_pk_max_f16 v44, v44, v44
	;; [unrolled: 1-line block ×3, first 2 shown]
	v_pk_add_f16 v30, v22, v7
	v_pk_min_f16 v8, v8, v135
	v_pk_min_f16 v73, v63, v65
	;; [unrolled: 1-line block ×5, first 2 shown]
	v_pk_add_f16 v49, v24, v7
	v_pk_min_f16 v46, v46, v127
	v_pk_add_f16 v50, v26, v7
	v_pk_min_f16 v44, v44, v134
	v_pk_add_f16 v51, v20, v7
	v_pk_min_f16 v43, v43, v150
	v_pk_min_f16 v60, v8, v30
	v_pk_max_f16 v8, v12, v12
	v_pk_max_f16 v10, v10, v10
	v_pk_min_f16 v63, v46, v49
	v_pk_min_f16 v62, v44, v50
	v_pk_min_f16 v61, v43, v51
	v_pk_add_f16 v43, v15, v7
	v_pk_add_f16 v44, v17, v7
	;; [unrolled: 1-line block ×4, first 2 shown]
	v_pk_min_f16 v6, v8, v6
	v_pk_max_f16 v8, v34, v34
	v_pk_add_f16 v12, v24, v9
	v_pk_min_f16 v10, v10, v23
	v_pk_max_f16 v31, v31, v31
	v_pk_max_f16 v29, v29, v29
	;; [unrolled: 1-line block ×4, first 2 shown]
	v_pk_add_f16 v23, v26, v9
	v_pk_min_f16 v8, v8, v25
	v_pk_min_f16 v56, v6, v7
	;; [unrolled: 1-line block ×3, first 2 shown]
	v_pk_max_f16 v6, v32, v32
	v_pk_max_f16 v7, v28, v28
	;; [unrolled: 1-line block ×5, first 2 shown]
	v_pk_min_f16 v31, v31, v136
	v_pk_min_f16 v29, v29, v151
	;; [unrolled: 1-line block ×3, first 2 shown]
	v_pk_add_f16 v20, v20, v9
	v_pk_min_f16 v19, v24, v19
	v_pk_min_f16 v54, v8, v23
	v_pk_add_f16 v8, v22, v9
	v_pk_min_f16 v6, v6, v21
	v_pk_add_f16 v10, v15, v9
	;; [unrolled: 2-line block ×5, first 2 shown]
	v_pk_min_f16 v4, v11, v4
	v_add_co_u32 v37, vcc_lo, v37, 16
	v_add_co_ci_u32_e64 v38, null, 0, v38, vcc_lo
	v_add_co_u32 v118, vcc_lo, v118, s6
	v_pk_min_f16 v59, v31, v43
	v_pk_min_f16 v58, v29, v44
	;; [unrolled: 1-line block ×9, first 2 shown]
	v_perm_b32 v44, v124, v123, 0x5040100
	v_add_co_ci_u32_e64 v119, null, s7, v119, vcc_lo
	s_add_i32 s10, s10, 8
	ds_write_b16 v113, v122
	ds_write_b16 v114, v45
	ds_write_b16_d16_hi v114, v45 offset:512
	ds_write_b16 v114, v123 offset:1024
	ds_write_b16 v114, v124 offset:1536
	s_cmp_ge_i32 s10, s14
	s_waitcnt lgkmcnt(0)
	s_barrier
	buffer_gl0_inv
	s_cbranch_scc0 .LBB227_27
.LBB227_48:
	s_load_dword s2, s[4:5], 0x50
	v_add_nc_u32_e32 v84, s21, v1
	ds_read_b64 v[30:31], v87 offset:4608
	ds_read_b64 v[46:47], v88 offset:2048
	v_add_nc_u32_e32 v44, s20, v0
	v_cmp_neq_f16_e64 s7, s3, 0
	v_mov_b32_e32 v34, 0
	v_ashrrev_i32_e32 v45, 31, v44
	s_and_b32 vcc_lo, exec_lo, s7
	v_lshlrev_b64 v[28:29], 1, v[44:45]
	s_waitcnt lgkmcnt(0)
	v_mad_i64_i32 v[1:2], null, v84, s2, 0
	v_lshlrev_b64 v[0:1], 1, v[1:2]
	v_add_co_u32 v112, s1, s12, v0
	v_add_co_ci_u32_e64 v113, null, s13, v1, s1
	v_mov_b32_e32 v0, 0
	s_cbranch_vccz .LBB227_50
; %bb.49:
	v_add_co_u32 v0, vcc_lo, v112, v28
	v_add_co_ci_u32_e64 v1, null, v113, v29, vcc_lo
	flat_load_ushort v0, v[0:1]
	s_waitcnt vmcnt(0) lgkmcnt(0)
	v_mul_f16_e32 v0, s3, v0
	v_cvt_f32_f16_e32 v0, v0
.LBB227_50:
	s_clause 0x1
	s_load_dword s6, s[4:5], 0x68
	s_load_dwordx2 s[4:5], s[4:5], 0x70
	v_pk_add_f16 v2, v30, v46
	v_pk_add_f16 v13, v31, v47
	v_max_f16_e32 v3, v121, v121
	v_lshrrev_b32_e32 v4, 16, v121
	v_add_nc_u32_e32 v1, 0x1000, v87
	v_lshrrev_b32_e32 v5, 16, v2
	v_lshrrev_b32_e32 v6, 16, v13
	v_add_nc_u32_e32 v12, 0x800, v88
	v_min_f16_e32 v14, v3, v2
	ds_read_b64 v[24:25], v87 offset:5056
	ds_read_b64 v[26:27], v88 offset:3840
	v_min3_f16 v15, v4, v5, v6
	v_max_f32_e32 v37, v0, v0
	ds_read2_b64 v[8:11], v1 offset0:72 offset1:80
	ds_read2_b64 v[4:7], v1 offset0:88 offset1:96
	;; [unrolled: 1-line block ×3, first 2 shown]
	v_min3_f16 v33, v14, v13, v15
	ds_read2_b64 v[20:23], v12 offset0:32 offset1:64
	ds_read2_b64 v[16:19], v12 offset0:96 offset1:128
	;; [unrolled: 1-line block ×3, first 2 shown]
	s_waitcnt lgkmcnt(0)
	v_mad_i64_i32 v[35:36], null, v84, s6, 0
	v_add_nc_u32_e32 v32, 8, v44
	s_lshl_b64 s[4:5], s[4:5], 1
	v_cvt_f32_f16_e32 v39, v33
	s_add_u32 s4, s8, s4
	s_addc_u32 s5, s9, s5
	v_ashrrev_i32_e32 v33, 31, v32
	v_lshlrev_b64 v[35:36], 1, v[35:36]
	v_cndmask_b32_e64 v38, 0, 1, s7
	v_min_f32_e32 v37, v37, v39
	v_lshlrev_b64 v[32:33], 1, v[32:33]
	v_cmp_ne_u32_e64 s1, 1, v38
	v_add_co_u32 v87, vcc_lo, s4, v35
	v_add_co_ci_u32_e64 v88, null, s5, v36, vcc_lo
	v_cvt_f16_f32_e32 v37, v37
	v_add_co_u32 v35, vcc_lo, v87, v28
	v_add_co_ci_u32_e64 v36, null, v88, v29, vcc_lo
	s_andn2_b32 vcc_lo, exec_lo, s7
	flat_store_short v[35:36], v37
	s_cbranch_vccnz .LBB227_52
; %bb.51:
	v_add_co_u32 v34, vcc_lo, v112, v32
	v_add_co_ci_u32_e64 v35, null, v113, v33, vcc_lo
	flat_load_ushort v34, v[34:35]
	s_waitcnt vmcnt(0) lgkmcnt(0)
	v_mul_f16_e32 v34, s3, v34
	v_cvt_f32_f16_e32 v34, v34
.LBB227_52:
	v_pk_add_f16 v35, v8, v46
	v_pk_add_f16 v36, v9, v47
	v_max_f16_e32 v37, v120, v120
	v_lshrrev_b32_e32 v38, 16, v120
	v_max_f32_e32 v34, v34, v34
	v_lshrrev_b32_e32 v39, 16, v35
	v_lshrrev_b32_e32 v40, 16, v36
	v_min_f16_e32 v35, v37, v35
	v_min3_f16 v37, v38, v39, v40
	v_add_co_u32 v39, vcc_lo, v87, v32
	v_add_co_ci_u32_e64 v40, null, v88, v33, vcc_lo
	v_min3_f16 v36, v35, v36, v37
	v_add_nc_u32_e32 v35, 16, v44
	v_mov_b32_e32 v38, 0
	s_and_b32 vcc_lo, exec_lo, s1
	v_cvt_f32_f16_e32 v37, v36
	v_ashrrev_i32_e32 v36, 31, v35
	v_min_f32_e32 v34, v34, v37
	v_cvt_f16_f32_e32 v37, v34
	v_lshlrev_b64 v[34:35], 1, v[35:36]
	v_mov_b32_e32 v36, 0
	flat_store_short v[39:40], v37
	s_cbranch_vccnz .LBB227_54
; %bb.53:
	v_add_co_u32 v36, vcc_lo, v112, v34
	v_add_co_ci_u32_e64 v37, null, v113, v35, vcc_lo
	flat_load_ushort v36, v[36:37]
	s_waitcnt vmcnt(0) lgkmcnt(0)
	v_mul_f16_e32 v36, s3, v36
	v_cvt_f32_f16_e32 v36, v36
.LBB227_54:
	v_pk_add_f16 v37, v10, v46
	v_pk_add_f16 v39, v11, v47
	v_max_f16_e32 v40, v117, v117
	v_lshrrev_b32_e32 v41, 16, v117
	v_max_f32_e32 v36, v36, v36
	v_lshrrev_b32_e32 v42, 16, v37
	v_lshrrev_b32_e32 v43, 16, v39
	v_min_f16_e32 v37, v40, v37
	v_min3_f16 v40, v41, v42, v43
	v_add_co_u32 v41, vcc_lo, v87, v34
	v_add_co_ci_u32_e64 v42, null, v88, v35, vcc_lo
	v_min3_f16 v37, v37, v39, v40
	v_add_nc_u32_e32 v39, 24, v44
	s_and_b32 vcc_lo, exec_lo, s1
	v_cvt_f32_f16_e32 v37, v37
	v_ashrrev_i32_e32 v40, 31, v39
	v_min_f32_e32 v36, v36, v37
	v_cvt_f16_f32_e32 v43, v36
	v_lshlrev_b64 v[36:37], 1, v[39:40]
	flat_store_short v[41:42], v43
	s_cbranch_vccnz .LBB227_56
; %bb.55:
	v_add_co_u32 v38, vcc_lo, v112, v36
	v_add_co_ci_u32_e64 v39, null, v113, v37, vcc_lo
	flat_load_ushort v38, v[38:39]
	s_waitcnt vmcnt(0) lgkmcnt(0)
	v_mul_f16_e32 v38, s3, v38
	v_cvt_f32_f16_e32 v38, v38
.LBB227_56:
	v_pk_add_f16 v39, v4, v46
	v_pk_add_f16 v40, v5, v47
	v_max_f16_e32 v41, v111, v111
	v_lshrrev_b32_e32 v42, 16, v111
	v_max_f32_e32 v38, v38, v38
	v_lshrrev_b32_e32 v43, 16, v39
	v_lshrrev_b32_e32 v45, 16, v40
	v_min_f16_e32 v39, v41, v39
	v_add_co_u32 v114, vcc_lo, v87, v36
	v_add_co_ci_u32_e64 v115, null, v88, v37, vcc_lo
	v_min3_f16 v41, v42, v43, v45
	s_and_b32 vcc_lo, exec_lo, s1
	v_min3_f16 v40, v39, v40, v41
	v_add_nc_u32_e32 v39, 32, v44
	v_cvt_f32_f16_e32 v41, v40
	v_ashrrev_i32_e32 v40, 31, v39
	v_min_f32_e32 v41, v38, v41
	v_lshlrev_b64 v[42:43], 1, v[39:40]
	v_mov_b32_e32 v38, 0
	v_mov_b32_e32 v39, 0
	v_cvt_f16_f32_e32 v41, v41
	flat_store_short v[114:115], v41
	s_cbranch_vccnz .LBB227_58
; %bb.57:
	v_add_co_u32 v39, vcc_lo, v112, v42
	v_add_co_ci_u32_e64 v40, null, v113, v43, vcc_lo
	flat_load_ushort v39, v[39:40]
	s_waitcnt vmcnt(0) lgkmcnt(0)
	v_mul_f16_e32 v39, s3, v39
	v_cvt_f32_f16_e32 v39, v39
.LBB227_58:
	v_pk_add_f16 v40, v6, v46
	v_pk_add_f16 v41, v7, v47
	v_max_f16_e32 v45, v110, v110
	v_lshrrev_b32_e32 v110, 16, v110
	v_max_f32_e32 v39, v39, v39
	v_lshrrev_b32_e32 v111, 16, v40
	v_lshrrev_b32_e32 v114, 16, v41
	v_min_f16_e32 v40, v45, v40
	v_min3_f16 v45, v110, v111, v114
	v_add_co_u32 v110, vcc_lo, v87, v42
	v_add_co_ci_u32_e64 v111, null, v88, v43, vcc_lo
	v_min3_f16 v41, v40, v41, v45
	v_add_nc_u32_e32 v40, 40, v44
	s_and_b32 vcc_lo, exec_lo, s1
	v_cvt_f32_f16_e32 v45, v41
	v_ashrrev_i32_e32 v41, 31, v40
	v_min_f32_e32 v39, v39, v45
	v_lshlrev_b64 v[40:41], 1, v[40:41]
	v_cvt_f16_f32_e32 v39, v39
	flat_store_short v[110:111], v39
	s_cbranch_vccnz .LBB227_60
; %bb.59:
	v_add_co_u32 v38, vcc_lo, v112, v40
	v_add_co_ci_u32_e64 v39, null, v113, v41, vcc_lo
	flat_load_ushort v38, v[38:39]
	s_waitcnt vmcnt(0) lgkmcnt(0)
	v_mul_f16_e32 v38, s3, v38
	v_cvt_f32_f16_e32 v38, v38
.LBB227_60:
	v_pk_add_f16 v39, v0, v46
	v_pk_add_f16 v45, v1, v47
	v_max_f16_e32 v110, v109, v109
	v_lshrrev_b32_e32 v109, 16, v109
	v_max_f32_e32 v38, v38, v38
	v_lshrrev_b32_e32 v111, 16, v39
	v_lshrrev_b32_e32 v114, 16, v45
	v_min_f16_e32 v39, v110, v39
	v_add_nc_u32_e32 v110, 48, v44
	v_min3_f16 v109, v109, v111, v114
	v_add_co_u32 v114, vcc_lo, v87, v40
	v_ashrrev_i32_e32 v111, 31, v110
	v_add_co_ci_u32_e64 v115, null, v88, v41, vcc_lo
	v_min3_f16 v39, v39, v45, v109
	v_mov_b32_e32 v109, 0
	v_mov_b32_e32 v45, 0
	s_and_b32 vcc_lo, exec_lo, s1
	v_cvt_f32_f16_e32 v39, v39
	v_min_f32_e32 v38, v38, v39
	v_cvt_f16_f32_e32 v116, v38
	v_lshlrev_b64 v[38:39], 1, v[110:111]
	flat_store_short v[114:115], v116
	s_cbranch_vccnz .LBB227_62
; %bb.61:
	v_add_co_u32 v110, vcc_lo, v112, v38
	v_add_co_ci_u32_e64 v111, null, v113, v39, vcc_lo
	flat_load_ushort v45, v[110:111]
	s_waitcnt vmcnt(0) lgkmcnt(0)
	v_mul_f16_e32 v45, s3, v45
	v_cvt_f32_f16_e32 v45, v45
.LBB227_62:
	v_pk_add_f16 v110, v2, v46
	v_pk_add_f16 v111, v3, v47
	v_max_f16_e32 v114, v108, v108
	v_lshrrev_b32_e32 v108, 16, v108
	v_add_nc_u32_e32 v44, 56, v44
	v_lshrrev_b32_e32 v115, 16, v110
	v_lshrrev_b32_e32 v116, 16, v111
	v_min_f16_e32 v110, v114, v110
	v_min3_f16 v108, v108, v115, v116
	v_min3_f16 v108, v110, v111, v108
	v_max_f32_e32 v110, v45, v45
	v_ashrrev_i32_e32 v45, 31, v44
	v_cvt_f32_f16_e32 v108, v108
	v_lshlrev_b64 v[44:45], 1, v[44:45]
	v_min_f32_e32 v108, v110, v108
	v_add_co_u32 v110, vcc_lo, v87, v38
	v_add_co_ci_u32_e64 v111, null, v88, v39, vcc_lo
	v_cvt_f16_f32_e32 v108, v108
	s_and_b32 vcc_lo, exec_lo, s1
	flat_store_short v[110:111], v108
	s_cbranch_vccnz .LBB227_64
; %bb.63:
	v_add_co_u32 v108, vcc_lo, v112, v44
	v_add_co_ci_u32_e64 v109, null, v113, v45, vcc_lo
	flat_load_ushort v108, v[108:109]
	s_waitcnt vmcnt(0) lgkmcnt(0)
	v_mul_f16_e32 v108, s3, v108
	v_cvt_f32_f16_e32 v109, v108
.LBB227_64:
	v_pk_add_f16 v46, v24, v46
	v_pk_add_f16 v110, v25, v47
	v_max_f16_e32 v47, v107, v107
	v_lshrrev_b32_e32 v107, 16, v107
	v_add_nc_u32_e32 v108, 32, v84
	v_lshrrev_b32_e32 v111, 16, v46
	v_lshrrev_b32_e32 v112, 16, v110
	v_min_f16_e32 v113, v47, v46
	v_mad_i64_i32 v[46:47], null, v108, s2, 0
	v_min3_f16 v107, v107, v111, v112
	v_max_f32_e32 v111, v109, v109
	v_add_co_u32 v109, vcc_lo, v87, v44
	v_min3_f16 v107, v113, v110, v107
	v_lshlrev_b64 v[46:47], 1, v[46:47]
	v_add_co_ci_u32_e64 v110, null, v88, v45, vcc_lo
	v_cvt_f32_f16_e32 v107, v107
	v_add_co_u32 v46, vcc_lo, s12, v46
	v_add_co_ci_u32_e64 v47, null, s13, v47, vcc_lo
	v_min_f32_e32 v87, v111, v107
	v_mov_b32_e32 v107, 0
	s_and_b32 vcc_lo, exec_lo, s1
	v_cvt_f16_f32_e32 v88, v87
	v_mov_b32_e32 v87, 0
	flat_store_short v[109:110], v88
	s_cbranch_vccnz .LBB227_66
; %bb.65:
	v_add_co_u32 v87, vcc_lo, v46, v28
	v_add_co_ci_u32_e64 v88, null, v47, v29, vcc_lo
	flat_load_ushort v87, v[87:88]
	s_waitcnt vmcnt(0) lgkmcnt(0)
	v_mul_f16_e32 v87, s3, v87
	v_cvt_f32_f16_e32 v87, v87
.LBB227_66:
	v_pk_add_f16 v88, v30, v20
	v_pk_add_f16 v110, v31, v21
	v_max_f16_e32 v109, v106, v106
	v_lshrrev_b32_e32 v106, 16, v106
	v_lshrrev_b32_e32 v111, 16, v88
	;; [unrolled: 1-line block ×3, first 2 shown]
	v_min_f16_e32 v88, v109, v88
	v_mad_i64_i32 v[108:109], null, v108, s6, 0
	v_min3_f16 v106, v106, v111, v112
	v_min3_f16 v88, v88, v110, v106
	v_max_f32_e32 v106, v87, v87
	v_cvt_f32_f16_e32 v110, v88
	v_lshlrev_b64 v[87:88], 1, v[108:109]
	v_min_f32_e32 v106, v106, v110
	v_add_co_u32 v87, vcc_lo, s4, v87
	v_add_co_ci_u32_e64 v88, null, s5, v88, vcc_lo
	v_cvt_f16_f32_e32 v106, v106
	v_add_co_u32 v108, vcc_lo, v87, v28
	v_add_co_ci_u32_e64 v109, null, v88, v29, vcc_lo
	s_and_b32 vcc_lo, exec_lo, s1
	flat_store_short v[108:109], v106
	s_cbranch_vccnz .LBB227_68
; %bb.67:
	v_add_co_u32 v106, vcc_lo, v46, v32
	v_add_co_ci_u32_e64 v107, null, v47, v33, vcc_lo
	flat_load_ushort v106, v[106:107]
	s_waitcnt vmcnt(0) lgkmcnt(0)
	v_mul_f16_e32 v106, s3, v106
	v_cvt_f32_f16_e32 v107, v106
.LBB227_68:
	v_pk_add_f16 v106, v8, v20
	v_pk_add_f16 v108, v9, v21
	v_max_f16_e32 v109, v105, v105
	v_lshrrev_b32_e32 v105, 16, v105
	v_lshrrev_b32_e32 v110, 16, v106
	v_lshrrev_b32_e32 v111, 16, v108
	v_min_f16_e32 v106, v109, v106
	v_min3_f16 v105, v105, v110, v111
	v_min3_f16 v105, v106, v108, v105
	v_max_f32_e32 v106, v107, v107
	v_add_co_u32 v107, vcc_lo, v87, v32
	v_add_co_ci_u32_e64 v108, null, v88, v33, vcc_lo
	v_cvt_f32_f16_e32 v105, v105
	s_and_b32 vcc_lo, exec_lo, s1
	v_min_f32_e32 v105, v106, v105
	v_mov_b32_e32 v106, 0
	v_cvt_f16_f32_e32 v109, v105
	v_mov_b32_e32 v105, 0
	flat_store_short v[107:108], v109
	s_cbranch_vccnz .LBB227_70
; %bb.69:
	v_add_co_u32 v106, vcc_lo, v46, v34
	v_add_co_ci_u32_e64 v107, null, v47, v35, vcc_lo
	flat_load_ushort v106, v[106:107]
	s_waitcnt vmcnt(0) lgkmcnt(0)
	v_mul_f16_e32 v106, s3, v106
	v_cvt_f32_f16_e32 v106, v106
.LBB227_70:
	v_pk_add_f16 v107, v10, v20
	v_pk_add_f16 v108, v11, v21
	v_max_f16_e32 v109, v104, v104
	v_lshrrev_b32_e32 v104, 16, v104
	v_max_f32_e32 v106, v106, v106
	v_lshrrev_b32_e32 v110, 16, v107
	v_lshrrev_b32_e32 v111, 16, v108
	v_min_f16_e32 v107, v109, v107
	v_min3_f16 v104, v104, v110, v111
	v_min3_f16 v104, v107, v108, v104
	v_cvt_f32_f16_e32 v104, v104
	v_min_f32_e32 v104, v106, v104
	v_add_co_u32 v106, vcc_lo, v87, v34
	v_add_co_ci_u32_e64 v107, null, v88, v35, vcc_lo
	v_cvt_f16_f32_e32 v104, v104
	s_and_b32 vcc_lo, exec_lo, s1
	flat_store_short v[106:107], v104
	s_cbranch_vccnz .LBB227_72
; %bb.71:
	v_add_co_u32 v104, vcc_lo, v46, v36
	v_add_co_ci_u32_e64 v105, null, v47, v37, vcc_lo
	flat_load_ushort v104, v[104:105]
	s_waitcnt vmcnt(0) lgkmcnt(0)
	v_mul_f16_e32 v104, s3, v104
	v_cvt_f32_f16_e32 v105, v104
.LBB227_72:
	v_pk_add_f16 v104, v4, v20
	v_pk_add_f16 v106, v5, v21
	v_max_f16_e32 v107, v103, v103
	v_lshrrev_b32_e32 v103, 16, v103
	v_lshrrev_b32_e32 v108, 16, v104
	v_lshrrev_b32_e32 v109, 16, v106
	v_min_f16_e32 v104, v107, v104
	v_min3_f16 v103, v103, v108, v109
	v_min3_f16 v103, v104, v106, v103
	v_max_f32_e32 v104, v105, v105
	v_add_co_u32 v105, vcc_lo, v87, v36
	v_add_co_ci_u32_e64 v106, null, v88, v37, vcc_lo
	v_cvt_f32_f16_e32 v103, v103
	s_and_b32 vcc_lo, exec_lo, s1
	v_min_f32_e32 v103, v104, v103
	v_mov_b32_e32 v104, 0
	v_cvt_f16_f32_e32 v107, v103
	v_mov_b32_e32 v103, 0
	flat_store_short v[105:106], v107
	s_cbranch_vccnz .LBB227_74
; %bb.73:
	v_add_co_u32 v104, vcc_lo, v46, v42
	v_add_co_ci_u32_e64 v105, null, v47, v43, vcc_lo
	flat_load_ushort v104, v[104:105]
	s_waitcnt vmcnt(0) lgkmcnt(0)
	v_mul_f16_e32 v104, s3, v104
	v_cvt_f32_f16_e32 v104, v104
.LBB227_74:
	v_pk_add_f16 v105, v6, v20
	v_pk_add_f16 v106, v7, v21
	v_max_f16_e32 v107, v102, v102
	v_lshrrev_b32_e32 v102, 16, v102
	v_max_f32_e32 v104, v104, v104
	v_lshrrev_b32_e32 v108, 16, v105
	v_lshrrev_b32_e32 v109, 16, v106
	v_min_f16_e32 v105, v107, v105
	v_min3_f16 v102, v102, v108, v109
	v_min3_f16 v102, v105, v106, v102
	v_cvt_f32_f16_e32 v102, v102
	v_min_f32_e32 v102, v104, v102
	v_add_co_u32 v104, vcc_lo, v87, v42
	v_add_co_ci_u32_e64 v105, null, v88, v43, vcc_lo
	v_cvt_f16_f32_e32 v102, v102
	;; [unrolled: 54-line block ×3, first 2 shown]
	s_and_b32 vcc_lo, exec_lo, s1
	flat_store_short v[102:103], v100
	s_cbranch_vccnz .LBB227_80
; %bb.79:
	v_add_co_u32 v46, vcc_lo, v46, v44
	v_add_co_ci_u32_e64 v47, null, v47, v45, vcc_lo
	flat_load_ushort v46, v[46:47]
	s_waitcnt vmcnt(0) lgkmcnt(0)
	v_mul_f16_e32 v46, s3, v46
	v_cvt_f32_f16_e32 v101, v46
.LBB227_80:
	v_pk_add_f16 v20, v24, v20
	v_pk_add_f16 v47, v25, v21
	v_max_f16_e32 v21, v99, v99
	v_lshrrev_b32_e32 v99, 16, v99
	v_add_nc_u32_e32 v46, 64, v84
	v_lshrrev_b32_e32 v100, 16, v20
	v_lshrrev_b32_e32 v102, 16, v47
	v_min_f16_e32 v103, v21, v20
	v_max_f32_e32 v101, v101, v101
	v_mad_i64_i32 v[20:21], null, v46, s2, 0
	v_min3_f16 v99, v99, v100, v102
	v_min3_f16 v47, v103, v47, v99
	v_lshlrev_b64 v[20:21], 1, v[20:21]
	v_add_co_u32 v99, vcc_lo, v87, v44
	v_add_co_ci_u32_e64 v100, null, v88, v45, vcc_lo
	v_cvt_f32_f16_e32 v47, v47
	v_add_co_u32 v20, vcc_lo, s12, v20
	v_add_co_ci_u32_e64 v21, null, s13, v21, vcc_lo
	v_min_f32_e32 v47, v101, v47
	v_mov_b32_e32 v87, 0
	s_and_b32 vcc_lo, exec_lo, s1
	v_cvt_f16_f32_e32 v88, v47
	v_mov_b32_e32 v47, 0
	flat_store_short v[99:100], v88
	s_cbranch_vccnz .LBB227_82
; %bb.81:
	v_add_co_u32 v99, vcc_lo, v20, v28
	v_add_co_ci_u32_e64 v100, null, v21, v29, vcc_lo
	flat_load_ushort v47, v[99:100]
	s_waitcnt vmcnt(0) lgkmcnt(0)
	v_mul_f16_e32 v47, s3, v47
	v_cvt_f32_f16_e32 v47, v47
.LBB227_82:
	v_pk_add_f16 v88, v30, v22
	v_pk_add_f16 v100, v31, v23
	v_max_f16_e32 v99, v98, v98
	v_lshrrev_b32_e32 v98, 16, v98
	v_lshrrev_b32_e32 v101, 16, v88
	;; [unrolled: 1-line block ×3, first 2 shown]
	v_min_f16_e32 v88, v99, v88
	v_min3_f16 v101, v98, v101, v102
	v_mad_i64_i32 v[98:99], null, v46, s6, 0
	v_min3_f16 v46, v88, v100, v101
	v_max_f32_e32 v88, v47, v47
	v_cvt_f32_f16_e32 v100, v46
	v_lshlrev_b64 v[46:47], 1, v[98:99]
	v_min_f32_e32 v88, v88, v100
	v_add_co_u32 v46, vcc_lo, s4, v46
	v_add_co_ci_u32_e64 v47, null, s5, v47, vcc_lo
	v_cvt_f16_f32_e32 v88, v88
	v_add_co_u32 v98, vcc_lo, v46, v28
	v_add_co_ci_u32_e64 v99, null, v47, v29, vcc_lo
	s_and_b32 vcc_lo, exec_lo, s1
	flat_store_short v[98:99], v88
	s_cbranch_vccnz .LBB227_84
; %bb.83:
	v_add_co_u32 v87, vcc_lo, v20, v32
	v_add_co_ci_u32_e64 v88, null, v21, v33, vcc_lo
	flat_load_ushort v87, v[87:88]
	s_waitcnt vmcnt(0) lgkmcnt(0)
	v_mul_f16_e32 v87, s3, v87
	v_cvt_f32_f16_e32 v87, v87
.LBB227_84:
	v_pk_add_f16 v88, v8, v22
	v_pk_add_f16 v98, v9, v23
	v_max_f16_e32 v99, v97, v97
	v_lshrrev_b32_e32 v97, 16, v97
	v_max_f32_e32 v87, v87, v87
	v_lshrrev_b32_e32 v100, 16, v88
	v_lshrrev_b32_e32 v101, 16, v98
	v_min_f16_e32 v88, v99, v88
	v_min3_f16 v97, v97, v100, v101
	v_min3_f16 v88, v88, v98, v97
	v_add_co_u32 v97, vcc_lo, v46, v32
	v_add_co_ci_u32_e64 v98, null, v47, v33, vcc_lo
	v_cvt_f32_f16_e32 v88, v88
	s_and_b32 vcc_lo, exec_lo, s1
	v_min_f32_e32 v87, v87, v88
	v_mov_b32_e32 v88, 0
	v_cvt_f16_f32_e32 v99, v87
	v_mov_b32_e32 v87, 0
	flat_store_short v[97:98], v99
	s_cbranch_vccnz .LBB227_86
; %bb.85:
	v_add_co_u32 v97, vcc_lo, v20, v34
	v_add_co_ci_u32_e64 v98, null, v21, v35, vcc_lo
	flat_load_ushort v88, v[97:98]
	s_waitcnt vmcnt(0) lgkmcnt(0)
	v_mul_f16_e32 v88, s3, v88
	v_cvt_f32_f16_e32 v88, v88
.LBB227_86:
	v_pk_add_f16 v97, v10, v22
	v_pk_add_f16 v98, v11, v23
	v_max_f16_e32 v99, v96, v96
	v_lshrrev_b32_e32 v96, 16, v96
	v_max_f32_e32 v88, v88, v88
	v_lshrrev_b32_e32 v100, 16, v97
	v_lshrrev_b32_e32 v101, 16, v98
	v_min_f16_e32 v97, v99, v97
	v_min3_f16 v96, v96, v100, v101
	v_min3_f16 v96, v97, v98, v96
	v_cvt_f32_f16_e32 v96, v96
	v_min_f32_e32 v88, v88, v96
	v_add_co_u32 v96, vcc_lo, v46, v34
	v_add_co_ci_u32_e64 v97, null, v47, v35, vcc_lo
	v_cvt_f16_f32_e32 v88, v88
	s_and_b32 vcc_lo, exec_lo, s1
	flat_store_short v[96:97], v88
	s_cbranch_vccnz .LBB227_88
; %bb.87:
	v_add_co_u32 v87, vcc_lo, v20, v36
	v_add_co_ci_u32_e64 v88, null, v21, v37, vcc_lo
	flat_load_ushort v87, v[87:88]
	s_waitcnt vmcnt(0) lgkmcnt(0)
	v_mul_f16_e32 v87, s3, v87
	v_cvt_f32_f16_e32 v87, v87
.LBB227_88:
	v_pk_add_f16 v88, v4, v22
	v_pk_add_f16 v96, v5, v23
	v_max_f16_e32 v97, v95, v95
	v_lshrrev_b32_e32 v95, 16, v95
	v_max_f32_e32 v87, v87, v87
	v_lshrrev_b32_e32 v98, 16, v88
	v_lshrrev_b32_e32 v99, 16, v96
	v_min_f16_e32 v88, v97, v88
	v_min3_f16 v95, v95, v98, v99
	v_min3_f16 v88, v88, v96, v95
	v_add_co_u32 v95, vcc_lo, v46, v36
	v_add_co_ci_u32_e64 v96, null, v47, v37, vcc_lo
	v_cvt_f32_f16_e32 v88, v88
	s_and_b32 vcc_lo, exec_lo, s1
	v_min_f32_e32 v87, v87, v88
	v_mov_b32_e32 v88, 0
	v_cvt_f16_f32_e32 v97, v87
	v_mov_b32_e32 v87, 0
	flat_store_short v[95:96], v97
	s_cbranch_vccnz .LBB227_90
; %bb.89:
	v_add_co_u32 v95, vcc_lo, v20, v42
	v_add_co_ci_u32_e64 v96, null, v21, v43, vcc_lo
	flat_load_ushort v88, v[95:96]
	s_waitcnt vmcnt(0) lgkmcnt(0)
	v_mul_f16_e32 v88, s3, v88
	v_cvt_f32_f16_e32 v88, v88
.LBB227_90:
	v_pk_add_f16 v95, v6, v22
	v_pk_add_f16 v96, v7, v23
	v_max_f16_e32 v97, v94, v94
	v_lshrrev_b32_e32 v94, 16, v94
	v_max_f32_e32 v88, v88, v88
	v_lshrrev_b32_e32 v98, 16, v95
	v_lshrrev_b32_e32 v99, 16, v96
	v_min_f16_e32 v95, v97, v95
	v_min3_f16 v94, v94, v98, v99
	v_min3_f16 v94, v95, v96, v94
	v_cvt_f32_f16_e32 v94, v94
	v_min_f32_e32 v88, v88, v94
	v_add_co_u32 v94, vcc_lo, v46, v42
	v_add_co_ci_u32_e64 v95, null, v47, v43, vcc_lo
	v_cvt_f16_f32_e32 v88, v88
	;; [unrolled: 54-line block ×3, first 2 shown]
	s_and_b32 vcc_lo, exec_lo, s1
	flat_store_short v[92:93], v88
	s_cbranch_vccnz .LBB227_96
; %bb.95:
	v_add_co_u32 v20, vcc_lo, v20, v44
	v_add_co_ci_u32_e64 v21, null, v21, v45, vcc_lo
	flat_load_ushort v20, v[20:21]
	s_waitcnt vmcnt(0) lgkmcnt(0)
	v_mul_f16_e32 v20, s3, v20
	v_cvt_f32_f16_e32 v87, v20
.LBB227_96:
	v_pk_add_f16 v20, v24, v22
	v_pk_add_f16 v23, v25, v23
	v_max_f16_e32 v21, v91, v91
	v_lshrrev_b32_e32 v88, 16, v91
	v_add_nc_u32_e32 v22, 0x60, v84
	v_lshrrev_b32_e32 v91, 16, v20
	v_lshrrev_b32_e32 v92, 16, v23
	v_min_f16_e32 v93, v21, v20
	v_mad_i64_i32 v[20:21], null, v22, s2, 0
	v_min3_f16 v88, v88, v91, v92
	v_max_f32_e32 v91, v87, v87
	v_add_co_u32 v87, vcc_lo, v46, v44
	v_mov_b32_e32 v46, 0
	v_min3_f16 v23, v93, v23, v88
	v_lshlrev_b64 v[20:21], 1, v[20:21]
	v_add_co_ci_u32_e64 v88, null, v47, v45, vcc_lo
	v_cvt_f32_f16_e32 v23, v23
	v_add_co_u32 v20, vcc_lo, s12, v20
	v_add_co_ci_u32_e64 v21, null, s13, v21, vcc_lo
	v_min_f32_e32 v23, v91, v23
	s_and_b32 vcc_lo, exec_lo, s1
	v_cvt_f16_f32_e32 v47, v23
	v_mov_b32_e32 v23, 0
	flat_store_short v[87:88], v47
	s_cbranch_vccnz .LBB227_98
; %bb.97:
	v_add_co_u32 v87, vcc_lo, v20, v28
	v_add_co_ci_u32_e64 v88, null, v21, v29, vcc_lo
	flat_load_ushort v23, v[87:88]
	s_waitcnt vmcnt(0) lgkmcnt(0)
	v_mul_f16_e32 v23, s3, v23
	v_cvt_f32_f16_e32 v23, v23
.LBB227_98:
	v_pk_add_f16 v47, v30, v16
	v_pk_add_f16 v91, v31, v17
	v_max_f16_e32 v87, v90, v90
	v_lshrrev_b32_e32 v88, 16, v90
	v_lshrrev_b32_e32 v90, 16, v47
	;; [unrolled: 1-line block ×3, first 2 shown]
	v_min_f16_e32 v47, v87, v47
	v_min3_f16 v90, v88, v90, v92
	v_mad_i64_i32 v[87:88], null, v22, s6, 0
	v_min3_f16 v22, v47, v91, v90
	v_max_f32_e32 v47, v23, v23
	v_cvt_f32_f16_e32 v90, v22
	v_lshlrev_b64 v[22:23], 1, v[87:88]
	v_min_f32_e32 v47, v47, v90
	v_add_co_u32 v22, vcc_lo, s4, v22
	v_add_co_ci_u32_e64 v23, null, s5, v23, vcc_lo
	v_cvt_f16_f32_e32 v47, v47
	v_add_co_u32 v87, vcc_lo, v22, v28
	v_add_co_ci_u32_e64 v88, null, v23, v29, vcc_lo
	s_and_b32 vcc_lo, exec_lo, s1
	flat_store_short v[87:88], v47
	s_cbranch_vccnz .LBB227_100
; %bb.99:
	v_add_co_u32 v46, vcc_lo, v20, v32
	v_add_co_ci_u32_e64 v47, null, v21, v33, vcc_lo
	flat_load_ushort v46, v[46:47]
	s_waitcnt vmcnt(0) lgkmcnt(0)
	v_mul_f16_e32 v46, s3, v46
	v_cvt_f32_f16_e32 v46, v46
.LBB227_100:
	v_pk_add_f16 v47, v8, v16
	v_pk_add_f16 v87, v9, v17
	v_max_f16_e32 v88, v89, v89
	v_lshrrev_b32_e32 v89, 16, v89
	v_max_f32_e32 v46, v46, v46
	v_lshrrev_b32_e32 v90, 16, v47
	v_lshrrev_b32_e32 v91, 16, v87
	v_min_f16_e32 v47, v88, v47
	v_min3_f16 v88, v89, v90, v91
	v_min3_f16 v47, v47, v87, v88
	v_add_co_u32 v87, vcc_lo, v22, v32
	v_add_co_ci_u32_e64 v88, null, v23, v33, vcc_lo
	v_cvt_f32_f16_e32 v47, v47
	s_and_b32 vcc_lo, exec_lo, s1
	v_min_f32_e32 v46, v46, v47
	v_mov_b32_e32 v47, 0
	v_cvt_f16_f32_e32 v89, v46
	v_mov_b32_e32 v46, 0
	flat_store_short v[87:88], v89
	s_cbranch_vccnz .LBB227_102
; %bb.101:
	v_add_co_u32 v87, vcc_lo, v20, v34
	v_add_co_ci_u32_e64 v88, null, v21, v35, vcc_lo
	flat_load_ushort v47, v[87:88]
	s_waitcnt vmcnt(0) lgkmcnt(0)
	v_mul_f16_e32 v47, s3, v47
	v_cvt_f32_f16_e32 v47, v47
.LBB227_102:
	v_pk_add_f16 v87, v10, v16
	v_pk_add_f16 v88, v11, v17
	v_max_f16_e32 v89, v86, v86
	v_lshrrev_b32_e32 v86, 16, v86
	v_max_f32_e32 v47, v47, v47
	v_lshrrev_b32_e32 v90, 16, v87
	v_lshrrev_b32_e32 v91, 16, v88
	v_min_f16_e32 v87, v89, v87
	v_min3_f16 v86, v86, v90, v91
	v_min3_f16 v86, v87, v88, v86
	v_cvt_f32_f16_e32 v86, v86
	v_min_f32_e32 v47, v47, v86
	v_add_co_u32 v86, vcc_lo, v22, v34
	v_add_co_ci_u32_e64 v87, null, v23, v35, vcc_lo
	v_cvt_f16_f32_e32 v47, v47
	s_and_b32 vcc_lo, exec_lo, s1
	flat_store_short v[86:87], v47
	s_cbranch_vccnz .LBB227_104
; %bb.103:
	v_add_co_u32 v46, vcc_lo, v20, v36
	v_add_co_ci_u32_e64 v47, null, v21, v37, vcc_lo
	flat_load_ushort v46, v[46:47]
	s_waitcnt vmcnt(0) lgkmcnt(0)
	v_mul_f16_e32 v46, s3, v46
	v_cvt_f32_f16_e32 v46, v46
.LBB227_104:
	v_pk_add_f16 v47, v4, v16
	v_pk_add_f16 v86, v5, v17
	v_max_f16_e32 v87, v85, v85
	v_lshrrev_b32_e32 v85, 16, v85
	v_max_f32_e32 v46, v46, v46
	v_lshrrev_b32_e32 v88, 16, v47
	v_lshrrev_b32_e32 v89, 16, v86
	v_min_f16_e32 v47, v87, v47
	v_min3_f16 v85, v85, v88, v89
	v_min3_f16 v47, v47, v86, v85
	v_add_co_u32 v85, vcc_lo, v22, v36
	v_add_co_ci_u32_e64 v86, null, v23, v37, vcc_lo
	v_cvt_f32_f16_e32 v47, v47
	s_and_b32 vcc_lo, exec_lo, s1
	v_min_f32_e32 v46, v46, v47
	v_mov_b32_e32 v47, 0
	v_cvt_f16_f32_e32 v87, v46
	v_mov_b32_e32 v46, 0
	flat_store_short v[85:86], v87
	s_cbranch_vccnz .LBB227_106
; %bb.105:
	v_add_co_u32 v85, vcc_lo, v20, v42
	v_add_co_ci_u32_e64 v86, null, v21, v43, vcc_lo
	flat_load_ushort v47, v[85:86]
	s_waitcnt vmcnt(0) lgkmcnt(0)
	v_mul_f16_e32 v47, s3, v47
	v_cvt_f32_f16_e32 v47, v47
.LBB227_106:
	v_pk_add_f16 v85, v6, v16
	v_pk_add_f16 v86, v7, v17
	v_max_f16_e32 v87, v83, v83
	v_lshrrev_b32_e32 v83, 16, v83
	v_max_f32_e32 v47, v47, v47
	v_lshrrev_b32_e32 v88, 16, v85
	v_lshrrev_b32_e32 v89, 16, v86
	v_min_f16_e32 v85, v87, v85
	v_min3_f16 v83, v83, v88, v89
	v_min3_f16 v83, v85, v86, v83
	v_add_co_u32 v85, vcc_lo, v22, v42
	v_add_co_ci_u32_e64 v86, null, v23, v43, vcc_lo
	v_cvt_f32_f16_e32 v83, v83
	s_and_b32 vcc_lo, exec_lo, s1
	v_min_f32_e32 v47, v47, v83
	v_cvt_f16_f32_e32 v47, v47
	flat_store_short v[85:86], v47
	s_cbranch_vccnz .LBB227_108
; %bb.107:
	v_add_co_u32 v46, vcc_lo, v20, v40
	v_add_co_ci_u32_e64 v47, null, v21, v41, vcc_lo
	flat_load_ushort v46, v[46:47]
	s_waitcnt vmcnt(0) lgkmcnt(0)
	v_mul_f16_e32 v46, s3, v46
	v_cvt_f32_f16_e32 v46, v46
.LBB227_108:
	v_pk_add_f16 v47, v0, v16
	v_pk_add_f16 v83, v1, v17
	v_max_f16_e32 v85, v82, v82
	v_lshrrev_b32_e32 v82, 16, v82
	v_max_f32_e32 v46, v46, v46
	v_lshrrev_b32_e32 v86, 16, v47
	v_lshrrev_b32_e32 v87, 16, v83
	v_min_f16_e32 v47, v85, v47
	v_min3_f16 v82, v82, v86, v87
	v_min3_f16 v47, v47, v83, v82
	v_add_co_u32 v82, vcc_lo, v22, v40
	v_add_co_ci_u32_e64 v83, null, v23, v41, vcc_lo
	v_cvt_f32_f16_e32 v47, v47
	s_and_b32 vcc_lo, exec_lo, s1
	v_min_f32_e32 v46, v46, v47
	v_mov_b32_e32 v47, 0
	v_cvt_f16_f32_e32 v85, v46
	v_mov_b32_e32 v46, 0
	flat_store_short v[82:83], v85
	s_cbranch_vccnz .LBB227_110
; %bb.109:
	v_add_co_u32 v82, vcc_lo, v20, v38
	v_add_co_ci_u32_e64 v83, null, v21, v39, vcc_lo
	flat_load_ushort v47, v[82:83]
	s_waitcnt vmcnt(0) lgkmcnt(0)
	v_mul_f16_e32 v47, s3, v47
	v_cvt_f32_f16_e32 v47, v47
.LBB227_110:
	v_pk_add_f16 v82, v2, v16
	v_pk_add_f16 v83, v3, v17
	v_max_f16_e32 v85, v81, v81
	v_lshrrev_b32_e32 v81, 16, v81
	v_max_f32_e32 v47, v47, v47
	v_lshrrev_b32_e32 v86, 16, v82
	v_lshrrev_b32_e32 v87, 16, v83
	v_min_f16_e32 v82, v85, v82
	v_min3_f16 v81, v81, v86, v87
	v_min3_f16 v81, v82, v83, v81
	v_cvt_f32_f16_e32 v81, v81
	v_min_f32_e32 v47, v47, v81
	v_add_co_u32 v81, vcc_lo, v22, v38
	v_add_co_ci_u32_e64 v82, null, v23, v39, vcc_lo
	v_cvt_f16_f32_e32 v47, v47
	s_and_b32 vcc_lo, exec_lo, s1
	flat_store_short v[81:82], v47
	s_cbranch_vccnz .LBB227_112
; %bb.111:
	v_add_co_u32 v20, vcc_lo, v20, v44
	v_add_co_ci_u32_e64 v21, null, v21, v45, vcc_lo
	flat_load_ushort v20, v[20:21]
	s_waitcnt vmcnt(0) lgkmcnt(0)
	v_mul_f16_e32 v20, s3, v20
	v_cvt_f32_f16_e32 v46, v20
.LBB227_112:
	v_pk_add_f16 v16, v24, v16
	v_pk_add_f16 v21, v25, v17
	v_max_f16_e32 v17, v80, v80
	v_lshrrev_b32_e32 v47, 16, v80
	v_add_nc_u32_e32 v20, 0x80, v84
	v_lshrrev_b32_e32 v80, 16, v16
	v_lshrrev_b32_e32 v81, 16, v21
	v_min_f16_e32 v82, v17, v16
	v_mad_i64_i32 v[16:17], null, v20, s2, 0
	v_min3_f16 v47, v47, v80, v81
	v_max_f32_e32 v80, v46, v46
	v_add_co_u32 v46, vcc_lo, v22, v44
	v_mov_b32_e32 v22, 0
	v_min3_f16 v21, v82, v21, v47
	v_lshlrev_b64 v[16:17], 1, v[16:17]
	v_add_co_ci_u32_e64 v47, null, v23, v45, vcc_lo
	v_cvt_f32_f16_e32 v21, v21
	v_add_co_u32 v16, vcc_lo, s12, v16
	v_add_co_ci_u32_e64 v17, null, s13, v17, vcc_lo
	v_min_f32_e32 v21, v80, v21
	s_and_b32 vcc_lo, exec_lo, s1
	v_cvt_f16_f32_e32 v23, v21
	v_mov_b32_e32 v21, 0
	flat_store_short v[46:47], v23
	s_cbranch_vccnz .LBB227_114
; %bb.113:
	v_add_co_u32 v46, vcc_lo, v16, v28
	v_add_co_ci_u32_e64 v47, null, v17, v29, vcc_lo
	flat_load_ushort v21, v[46:47]
	s_waitcnt vmcnt(0) lgkmcnt(0)
	v_mul_f16_e32 v21, s3, v21
	v_cvt_f32_f16_e32 v21, v21
.LBB227_114:
	v_pk_add_f16 v23, v30, v18
	v_pk_add_f16 v80, v31, v19
	v_max_f16_e32 v46, v79, v79
	v_lshrrev_b32_e32 v47, 16, v79
	v_lshrrev_b32_e32 v79, 16, v23
	;; [unrolled: 1-line block ×3, first 2 shown]
	v_min_f16_e32 v23, v46, v23
	v_min3_f16 v79, v47, v79, v81
	v_mad_i64_i32 v[46:47], null, v20, s6, 0
	v_min3_f16 v20, v23, v80, v79
	v_max_f32_e32 v23, v21, v21
	v_cvt_f32_f16_e32 v79, v20
	v_lshlrev_b64 v[20:21], 1, v[46:47]
	v_min_f32_e32 v23, v23, v79
	v_add_co_u32 v20, vcc_lo, s4, v20
	v_add_co_ci_u32_e64 v21, null, s5, v21, vcc_lo
	v_cvt_f16_f32_e32 v23, v23
	v_add_co_u32 v46, vcc_lo, v20, v28
	v_add_co_ci_u32_e64 v47, null, v21, v29, vcc_lo
	s_and_b32 vcc_lo, exec_lo, s1
	flat_store_short v[46:47], v23
	s_cbranch_vccnz .LBB227_116
; %bb.115:
	v_add_co_u32 v22, vcc_lo, v16, v32
	v_add_co_ci_u32_e64 v23, null, v17, v33, vcc_lo
	flat_load_ushort v22, v[22:23]
	s_waitcnt vmcnt(0) lgkmcnt(0)
	v_mul_f16_e32 v22, s3, v22
	v_cvt_f32_f16_e32 v22, v22
.LBB227_116:
	v_pk_add_f16 v23, v8, v18
	v_pk_add_f16 v46, v9, v19
	v_max_f16_e32 v47, v78, v78
	v_lshrrev_b32_e32 v78, 16, v78
	v_max_f32_e32 v22, v22, v22
	v_lshrrev_b32_e32 v79, 16, v23
	v_lshrrev_b32_e32 v80, 16, v46
	v_min_f16_e32 v23, v47, v23
	v_min3_f16 v47, v78, v79, v80
	v_min3_f16 v23, v23, v46, v47
	v_add_co_u32 v46, vcc_lo, v20, v32
	v_add_co_ci_u32_e64 v47, null, v21, v33, vcc_lo
	v_cvt_f32_f16_e32 v23, v23
	s_and_b32 vcc_lo, exec_lo, s1
	v_min_f32_e32 v22, v22, v23
	v_mov_b32_e32 v23, 0
	v_cvt_f16_f32_e32 v78, v22
	v_mov_b32_e32 v22, 0
	flat_store_short v[46:47], v78
	s_cbranch_vccnz .LBB227_118
; %bb.117:
	v_add_co_u32 v46, vcc_lo, v16, v34
	v_add_co_ci_u32_e64 v47, null, v17, v35, vcc_lo
	flat_load_ushort v23, v[46:47]
	s_waitcnt vmcnt(0) lgkmcnt(0)
	v_mul_f16_e32 v23, s3, v23
	v_cvt_f32_f16_e32 v23, v23
.LBB227_118:
	v_pk_add_f16 v46, v10, v18
	v_pk_add_f16 v47, v11, v19
	v_max_f16_e32 v78, v77, v77
	v_lshrrev_b32_e32 v77, 16, v77
	v_max_f32_e32 v23, v23, v23
	v_lshrrev_b32_e32 v79, 16, v46
	v_lshrrev_b32_e32 v80, 16, v47
	v_min_f16_e32 v46, v78, v46
	v_min3_f16 v77, v77, v79, v80
	v_min3_f16 v46, v46, v47, v77
	v_cvt_f32_f16_e32 v46, v46
	v_min_f32_e32 v23, v23, v46
	v_add_co_u32 v46, vcc_lo, v20, v34
	v_add_co_ci_u32_e64 v47, null, v21, v35, vcc_lo
	v_cvt_f16_f32_e32 v23, v23
	s_and_b32 vcc_lo, exec_lo, s1
	flat_store_short v[46:47], v23
	s_cbranch_vccnz .LBB227_120
; %bb.119:
	v_add_co_u32 v22, vcc_lo, v16, v36
	v_add_co_ci_u32_e64 v23, null, v17, v37, vcc_lo
	flat_load_ushort v22, v[22:23]
	s_waitcnt vmcnt(0) lgkmcnt(0)
	v_mul_f16_e32 v22, s3, v22
	v_cvt_f32_f16_e32 v22, v22
.LBB227_120:
	v_pk_add_f16 v23, v4, v18
	v_pk_add_f16 v46, v5, v19
	v_max_f16_e32 v47, v76, v76
	v_lshrrev_b32_e32 v76, 16, v76
	v_max_f32_e32 v22, v22, v22
	v_lshrrev_b32_e32 v77, 16, v23
	v_lshrrev_b32_e32 v78, 16, v46
	v_min_f16_e32 v23, v47, v23
	v_min3_f16 v47, v76, v77, v78
	v_min3_f16 v23, v23, v46, v47
	v_add_co_u32 v46, vcc_lo, v20, v36
	v_add_co_ci_u32_e64 v47, null, v21, v37, vcc_lo
	v_cvt_f32_f16_e32 v23, v23
	s_and_b32 vcc_lo, exec_lo, s1
	v_min_f32_e32 v22, v22, v23
	v_mov_b32_e32 v23, 0
	v_cvt_f16_f32_e32 v76, v22
	v_mov_b32_e32 v22, 0
	flat_store_short v[46:47], v76
	s_cbranch_vccnz .LBB227_122
; %bb.121:
	v_add_co_u32 v46, vcc_lo, v16, v42
	v_add_co_ci_u32_e64 v47, null, v17, v43, vcc_lo
	flat_load_ushort v23, v[46:47]
	s_waitcnt vmcnt(0) lgkmcnt(0)
	v_mul_f16_e32 v23, s3, v23
	v_cvt_f32_f16_e32 v23, v23
.LBB227_122:
	v_pk_add_f16 v46, v6, v18
	v_pk_add_f16 v47, v7, v19
	v_max_f16_e32 v76, v75, v75
	v_lshrrev_b32_e32 v75, 16, v75
	v_max_f32_e32 v23, v23, v23
	v_lshrrev_b32_e32 v77, 16, v46
	v_lshrrev_b32_e32 v78, 16, v47
	v_min_f16_e32 v46, v76, v46
	v_min3_f16 v75, v75, v77, v78
	v_min3_f16 v46, v46, v47, v75
	v_cvt_f32_f16_e32 v46, v46
	v_min_f32_e32 v23, v23, v46
	v_add_co_u32 v46, vcc_lo, v20, v42
	v_add_co_ci_u32_e64 v47, null, v21, v43, vcc_lo
	v_cvt_f16_f32_e32 v23, v23
	s_and_b32 vcc_lo, exec_lo, s1
	flat_store_short v[46:47], v23
	s_cbranch_vccnz .LBB227_124
; %bb.123:
	v_add_co_u32 v22, vcc_lo, v16, v40
	v_add_co_ci_u32_e64 v23, null, v17, v41, vcc_lo
	flat_load_ushort v22, v[22:23]
	s_waitcnt vmcnt(0) lgkmcnt(0)
	v_mul_f16_e32 v22, s3, v22
	v_cvt_f32_f16_e32 v22, v22
.LBB227_124:
	v_pk_add_f16 v23, v0, v18
	v_pk_add_f16 v46, v1, v19
	v_max_f16_e32 v47, v74, v74
	v_lshrrev_b32_e32 v74, 16, v74
	v_max_f32_e32 v22, v22, v22
	v_lshrrev_b32_e32 v75, 16, v23
	v_lshrrev_b32_e32 v76, 16, v46
	v_min_f16_e32 v23, v47, v23
	v_min3_f16 v47, v74, v75, v76
	v_min3_f16 v23, v23, v46, v47
	v_add_co_u32 v46, vcc_lo, v20, v40
	v_add_co_ci_u32_e64 v47, null, v21, v41, vcc_lo
	v_cvt_f32_f16_e32 v23, v23
	s_and_b32 vcc_lo, exec_lo, s1
	v_min_f32_e32 v22, v22, v23
	v_mov_b32_e32 v23, 0
	v_cvt_f16_f32_e32 v74, v22
	v_mov_b32_e32 v22, 0
	flat_store_short v[46:47], v74
	s_cbranch_vccnz .LBB227_126
; %bb.125:
	v_add_co_u32 v46, vcc_lo, v16, v38
	v_add_co_ci_u32_e64 v47, null, v17, v39, vcc_lo
	flat_load_ushort v23, v[46:47]
	s_waitcnt vmcnt(0) lgkmcnt(0)
	v_mul_f16_e32 v23, s3, v23
	v_cvt_f32_f16_e32 v23, v23
.LBB227_126:
	v_pk_add_f16 v46, v2, v18
	v_pk_add_f16 v47, v3, v19
	v_max_f16_e32 v74, v73, v73
	v_lshrrev_b32_e32 v73, 16, v73
	v_max_f32_e32 v23, v23, v23
	v_lshrrev_b32_e32 v75, 16, v46
	v_lshrrev_b32_e32 v76, 16, v47
	v_min_f16_e32 v46, v74, v46
	v_min3_f16 v73, v73, v75, v76
	v_min3_f16 v46, v46, v47, v73
	v_cvt_f32_f16_e32 v46, v46
	v_min_f32_e32 v23, v23, v46
	v_add_co_u32 v46, vcc_lo, v20, v38
	v_add_co_ci_u32_e64 v47, null, v21, v39, vcc_lo
	v_cvt_f16_f32_e32 v23, v23
	s_and_b32 vcc_lo, exec_lo, s1
	flat_store_short v[46:47], v23
	s_cbranch_vccnz .LBB227_128
; %bb.127:
	v_add_co_u32 v16, vcc_lo, v16, v44
	v_add_co_ci_u32_e64 v17, null, v17, v45, vcc_lo
	flat_load_ushort v16, v[16:17]
	s_waitcnt vmcnt(0) lgkmcnt(0)
	v_mul_f16_e32 v16, s3, v16
	v_cvt_f32_f16_e32 v22, v16
.LBB227_128:
	v_pk_add_f16 v16, v24, v18
	v_pk_add_f16 v19, v25, v19
	v_max_f16_e32 v17, v72, v72
	v_lshrrev_b32_e32 v23, 16, v72
	v_add_nc_u32_e32 v18, 0xa0, v84
	v_lshrrev_b32_e32 v46, 16, v16
	v_lshrrev_b32_e32 v47, 16, v19
	v_min_f16_e32 v72, v17, v16
	v_mad_i64_i32 v[16:17], null, v18, s2, 0
	v_min3_f16 v23, v23, v46, v47
	v_max_f32_e32 v46, v22, v22
	v_add_co_u32 v22, vcc_lo, v20, v44
	v_mov_b32_e32 v20, 0
	v_min3_f16 v19, v72, v19, v23
	v_lshlrev_b64 v[16:17], 1, v[16:17]
	v_add_co_ci_u32_e64 v23, null, v21, v45, vcc_lo
	v_cvt_f32_f16_e32 v19, v19
	v_add_co_u32 v16, vcc_lo, s12, v16
	v_add_co_ci_u32_e64 v17, null, s13, v17, vcc_lo
	v_min_f32_e32 v19, v46, v19
	s_and_b32 vcc_lo, exec_lo, s1
	v_cvt_f16_f32_e32 v21, v19
	v_mov_b32_e32 v19, 0
	flat_store_short v[22:23], v21
	s_cbranch_vccnz .LBB227_130
; %bb.129:
	v_add_co_u32 v21, vcc_lo, v16, v28
	v_add_co_ci_u32_e64 v22, null, v17, v29, vcc_lo
	flat_load_ushort v19, v[21:22]
	s_waitcnt vmcnt(0) lgkmcnt(0)
	v_mul_f16_e32 v19, s3, v19
	v_cvt_f32_f16_e32 v19, v19
.LBB227_130:
	v_pk_add_f16 v21, v30, v12
	v_pk_add_f16 v23, v31, v13
	v_max_f16_e32 v22, v71, v71
	v_lshrrev_b32_e32 v46, 16, v71
	v_lshrrev_b32_e32 v47, 16, v21
	;; [unrolled: 1-line block ×3, first 2 shown]
	v_min_f16_e32 v72, v22, v21
	v_mad_i64_i32 v[21:22], null, v18, s6, 0
	v_min3_f16 v46, v46, v47, v71
	v_min3_f16 v18, v72, v23, v46
	v_max_f32_e32 v23, v19, v19
	v_cvt_f32_f16_e32 v46, v18
	v_lshlrev_b64 v[18:19], 1, v[21:22]
	v_min_f32_e32 v21, v23, v46
	v_add_co_u32 v18, vcc_lo, s4, v18
	v_add_co_ci_u32_e64 v19, null, s5, v19, vcc_lo
	v_cvt_f16_f32_e32 v23, v21
	v_add_co_u32 v21, vcc_lo, v18, v28
	v_add_co_ci_u32_e64 v22, null, v19, v29, vcc_lo
	s_and_b32 vcc_lo, exec_lo, s1
	flat_store_short v[21:22], v23
	s_cbranch_vccnz .LBB227_132
; %bb.131:
	v_add_co_u32 v20, vcc_lo, v16, v32
	v_add_co_ci_u32_e64 v21, null, v17, v33, vcc_lo
	flat_load_ushort v20, v[20:21]
	s_waitcnt vmcnt(0) lgkmcnt(0)
	v_mul_f16_e32 v20, s3, v20
	v_cvt_f32_f16_e32 v20, v20
.LBB227_132:
	v_pk_add_f16 v21, v8, v12
	v_pk_add_f16 v22, v9, v13
	v_max_f16_e32 v23, v70, v70
	v_lshrrev_b32_e32 v46, 16, v70
	v_max_f32_e32 v20, v20, v20
	v_lshrrev_b32_e32 v47, 16, v21
	v_lshrrev_b32_e32 v70, 16, v22
	v_min_f16_e32 v21, v23, v21
	v_min3_f16 v23, v46, v47, v70
	v_min3_f16 v21, v21, v22, v23
	v_add_co_u32 v22, vcc_lo, v18, v32
	v_add_co_ci_u32_e64 v23, null, v19, v33, vcc_lo
	v_cvt_f32_f16_e32 v21, v21
	s_and_b32 vcc_lo, exec_lo, s1
	v_min_f32_e32 v20, v20, v21
	v_mov_b32_e32 v21, 0
	v_cvt_f16_f32_e32 v46, v20
	v_mov_b32_e32 v20, 0
	flat_store_short v[22:23], v46
	s_cbranch_vccnz .LBB227_134
; %bb.133:
	v_add_co_u32 v21, vcc_lo, v16, v34
	v_add_co_ci_u32_e64 v22, null, v17, v35, vcc_lo
	flat_load_ushort v21, v[21:22]
	s_waitcnt vmcnt(0) lgkmcnt(0)
	v_mul_f16_e32 v21, s3, v21
	v_cvt_f32_f16_e32 v21, v21
.LBB227_134:
	v_pk_add_f16 v22, v10, v12
	v_pk_add_f16 v23, v11, v13
	v_max_f16_e32 v46, v69, v69
	v_lshrrev_b32_e32 v47, 16, v69
	v_max_f32_e32 v21, v21, v21
	v_lshrrev_b32_e32 v69, 16, v22
	v_lshrrev_b32_e32 v70, 16, v23
	v_min_f16_e32 v22, v46, v22
	v_min3_f16 v46, v47, v69, v70
	v_min3_f16 v22, v22, v23, v46
	v_cvt_f32_f16_e32 v22, v22
	v_min_f32_e32 v21, v21, v22
	v_cvt_f16_f32_e32 v23, v21
	v_add_co_u32 v21, vcc_lo, v18, v34
	v_add_co_ci_u32_e64 v22, null, v19, v35, vcc_lo
	s_and_b32 vcc_lo, exec_lo, s1
	flat_store_short v[21:22], v23
	s_cbranch_vccnz .LBB227_136
; %bb.135:
	v_add_co_u32 v20, vcc_lo, v16, v36
	v_add_co_ci_u32_e64 v21, null, v17, v37, vcc_lo
	flat_load_ushort v20, v[20:21]
	s_waitcnt vmcnt(0) lgkmcnt(0)
	v_mul_f16_e32 v20, s3, v20
	v_cvt_f32_f16_e32 v20, v20
.LBB227_136:
	v_pk_add_f16 v21, v4, v12
	v_pk_add_f16 v22, v5, v13
	v_max_f16_e32 v23, v68, v68
	v_lshrrev_b32_e32 v46, 16, v68
	v_max_f32_e32 v20, v20, v20
	v_lshrrev_b32_e32 v47, 16, v21
	v_lshrrev_b32_e32 v68, 16, v22
	v_min_f16_e32 v21, v23, v21
	v_min3_f16 v23, v46, v47, v68
	v_min3_f16 v21, v21, v22, v23
	v_add_co_u32 v22, vcc_lo, v18, v36
	v_add_co_ci_u32_e64 v23, null, v19, v37, vcc_lo
	v_cvt_f32_f16_e32 v21, v21
	s_and_b32 vcc_lo, exec_lo, s1
	v_min_f32_e32 v20, v20, v21
	v_mov_b32_e32 v21, 0
	v_cvt_f16_f32_e32 v46, v20
	v_mov_b32_e32 v20, 0
	flat_store_short v[22:23], v46
	s_cbranch_vccnz .LBB227_138
; %bb.137:
	v_add_co_u32 v21, vcc_lo, v16, v42
	v_add_co_ci_u32_e64 v22, null, v17, v43, vcc_lo
	flat_load_ushort v21, v[21:22]
	s_waitcnt vmcnt(0) lgkmcnt(0)
	v_mul_f16_e32 v21, s3, v21
	v_cvt_f32_f16_e32 v21, v21
.LBB227_138:
	v_pk_add_f16 v22, v6, v12
	v_pk_add_f16 v23, v7, v13
	v_max_f16_e32 v46, v67, v67
	v_lshrrev_b32_e32 v47, 16, v67
	v_max_f32_e32 v21, v21, v21
	v_lshrrev_b32_e32 v67, 16, v22
	v_lshrrev_b32_e32 v68, 16, v23
	v_min_f16_e32 v22, v46, v22
	v_min3_f16 v46, v47, v67, v68
	v_min3_f16 v22, v22, v23, v46
	v_cvt_f32_f16_e32 v22, v22
	v_min_f32_e32 v21, v21, v22
	;; [unrolled: 54-line block ×3, first 2 shown]
	v_cvt_f16_f32_e32 v23, v21
	v_add_co_u32 v21, vcc_lo, v18, v38
	v_add_co_ci_u32_e64 v22, null, v19, v39, vcc_lo
	s_and_b32 vcc_lo, exec_lo, s1
	flat_store_short v[21:22], v23
	s_cbranch_vccnz .LBB227_144
; %bb.143:
	v_add_co_u32 v16, vcc_lo, v16, v44
	v_add_co_ci_u32_e64 v17, null, v17, v45, vcc_lo
	flat_load_ushort v16, v[16:17]
	s_waitcnt vmcnt(0) lgkmcnt(0)
	v_mul_f16_e32 v16, s3, v16
	v_cvt_f32_f16_e32 v20, v16
.LBB227_144:
	v_pk_add_f16 v12, v24, v12
	v_pk_add_f16 v17, v25, v13
	v_max_f16_e32 v13, v64, v64
	v_lshrrev_b32_e32 v21, 16, v64
	v_add_nc_u32_e32 v16, 0xc0, v84
	v_lshrrev_b32_e32 v22, 16, v12
	v_lshrrev_b32_e32 v23, 16, v17
	v_min_f16_e32 v46, v13, v12
	v_mad_i64_i32 v[12:13], null, v16, s2, 0
	v_min3_f16 v21, v21, v22, v23
	v_max_f32_e32 v22, v20, v20
	v_add_co_u32 v20, vcc_lo, v18, v44
	v_mov_b32_e32 v18, 0
	v_min3_f16 v17, v46, v17, v21
	v_lshlrev_b64 v[12:13], 1, v[12:13]
	v_add_co_ci_u32_e64 v21, null, v19, v45, vcc_lo
	v_cvt_f32_f16_e32 v17, v17
	v_add_co_u32 v12, vcc_lo, s12, v12
	v_add_co_ci_u32_e64 v13, null, s13, v13, vcc_lo
	v_min_f32_e32 v17, v22, v17
	s_and_b32 vcc_lo, exec_lo, s1
	v_cvt_f16_f32_e32 v19, v17
	v_mov_b32_e32 v17, 0
	flat_store_short v[20:21], v19
	s_cbranch_vccnz .LBB227_146
; %bb.145:
	v_add_co_u32 v19, vcc_lo, v12, v28
	v_add_co_ci_u32_e64 v20, null, v13, v29, vcc_lo
	flat_load_ushort v17, v[19:20]
	s_waitcnt vmcnt(0) lgkmcnt(0)
	v_mul_f16_e32 v17, s3, v17
	v_cvt_f32_f16_e32 v17, v17
.LBB227_146:
	v_pk_add_f16 v19, v30, v14
	v_pk_add_f16 v21, v31, v15
	v_max_f16_e32 v20, v63, v63
	v_lshrrev_b32_e32 v22, 16, v63
	v_lshrrev_b32_e32 v23, 16, v19
	;; [unrolled: 1-line block ×3, first 2 shown]
	v_min_f16_e32 v47, v20, v19
	v_mad_i64_i32 v[19:20], null, v16, s6, 0
	v_min3_f16 v22, v22, v23, v46
	v_min3_f16 v16, v47, v21, v22
	v_max_f32_e32 v21, v17, v17
	v_cvt_f32_f16_e32 v22, v16
	v_lshlrev_b64 v[16:17], 1, v[19:20]
	v_min_f32_e32 v19, v21, v22
	v_add_co_u32 v16, vcc_lo, s4, v16
	v_add_co_ci_u32_e64 v17, null, s5, v17, vcc_lo
	v_cvt_f16_f32_e32 v21, v19
	v_add_co_u32 v19, vcc_lo, v16, v28
	v_add_co_ci_u32_e64 v20, null, v17, v29, vcc_lo
	s_and_b32 vcc_lo, exec_lo, s1
	flat_store_short v[19:20], v21
	s_cbranch_vccnz .LBB227_148
; %bb.147:
	v_add_co_u32 v18, vcc_lo, v12, v32
	v_add_co_ci_u32_e64 v19, null, v13, v33, vcc_lo
	flat_load_ushort v18, v[18:19]
	s_waitcnt vmcnt(0) lgkmcnt(0)
	v_mul_f16_e32 v18, s3, v18
	v_cvt_f32_f16_e32 v18, v18
.LBB227_148:
	v_pk_add_f16 v19, v8, v14
	v_pk_add_f16 v20, v9, v15
	v_max_f16_e32 v21, v62, v62
	v_lshrrev_b32_e32 v22, 16, v62
	v_max_f32_e32 v18, v18, v18
	v_lshrrev_b32_e32 v23, 16, v19
	v_lshrrev_b32_e32 v46, 16, v20
	v_min_f16_e32 v19, v21, v19
	v_min3_f16 v21, v22, v23, v46
	v_min3_f16 v19, v19, v20, v21
	v_add_co_u32 v20, vcc_lo, v16, v32
	v_add_co_ci_u32_e64 v21, null, v17, v33, vcc_lo
	v_cvt_f32_f16_e32 v19, v19
	s_and_b32 vcc_lo, exec_lo, s1
	v_min_f32_e32 v18, v18, v19
	v_mov_b32_e32 v19, 0
	v_cvt_f16_f32_e32 v22, v18
	v_mov_b32_e32 v18, 0
	flat_store_short v[20:21], v22
	s_cbranch_vccnz .LBB227_150
; %bb.149:
	v_add_co_u32 v19, vcc_lo, v12, v34
	v_add_co_ci_u32_e64 v20, null, v13, v35, vcc_lo
	flat_load_ushort v19, v[19:20]
	s_waitcnt vmcnt(0) lgkmcnt(0)
	v_mul_f16_e32 v19, s3, v19
	v_cvt_f32_f16_e32 v19, v19
.LBB227_150:
	v_pk_add_f16 v20, v10, v14
	v_pk_add_f16 v21, v11, v15
	v_max_f16_e32 v22, v61, v61
	v_lshrrev_b32_e32 v23, 16, v61
	v_max_f32_e32 v19, v19, v19
	v_lshrrev_b32_e32 v46, 16, v20
	v_lshrrev_b32_e32 v47, 16, v21
	v_min_f16_e32 v20, v22, v20
	v_min3_f16 v22, v23, v46, v47
	v_min3_f16 v20, v20, v21, v22
	v_cvt_f32_f16_e32 v20, v20
	v_min_f32_e32 v19, v19, v20
	v_cvt_f16_f32_e32 v21, v19
	v_add_co_u32 v19, vcc_lo, v16, v34
	v_add_co_ci_u32_e64 v20, null, v17, v35, vcc_lo
	s_and_b32 vcc_lo, exec_lo, s1
	flat_store_short v[19:20], v21
	s_cbranch_vccnz .LBB227_152
; %bb.151:
	v_add_co_u32 v18, vcc_lo, v12, v36
	v_add_co_ci_u32_e64 v19, null, v13, v37, vcc_lo
	flat_load_ushort v18, v[18:19]
	s_waitcnt vmcnt(0) lgkmcnt(0)
	v_mul_f16_e32 v18, s3, v18
	v_cvt_f32_f16_e32 v18, v18
.LBB227_152:
	v_pk_add_f16 v19, v4, v14
	v_pk_add_f16 v20, v5, v15
	v_max_f16_e32 v21, v60, v60
	v_lshrrev_b32_e32 v22, 16, v60
	v_max_f32_e32 v18, v18, v18
	v_lshrrev_b32_e32 v23, 16, v19
	v_lshrrev_b32_e32 v46, 16, v20
	v_min_f16_e32 v19, v21, v19
	v_min3_f16 v21, v22, v23, v46
	v_min3_f16 v19, v19, v20, v21
	v_add_co_u32 v20, vcc_lo, v16, v36
	v_add_co_ci_u32_e64 v21, null, v17, v37, vcc_lo
	v_cvt_f32_f16_e32 v19, v19
	s_and_b32 vcc_lo, exec_lo, s1
	v_min_f32_e32 v18, v18, v19
	v_mov_b32_e32 v19, 0
	v_cvt_f16_f32_e32 v22, v18
	v_mov_b32_e32 v18, 0
	flat_store_short v[20:21], v22
	s_cbranch_vccnz .LBB227_154
; %bb.153:
	v_add_co_u32 v19, vcc_lo, v12, v42
	v_add_co_ci_u32_e64 v20, null, v13, v43, vcc_lo
	flat_load_ushort v19, v[19:20]
	s_waitcnt vmcnt(0) lgkmcnt(0)
	v_mul_f16_e32 v19, s3, v19
	v_cvt_f32_f16_e32 v19, v19
.LBB227_154:
	v_pk_add_f16 v20, v6, v14
	v_pk_add_f16 v21, v7, v15
	v_max_f16_e32 v22, v59, v59
	v_lshrrev_b32_e32 v23, 16, v59
	v_max_f32_e32 v19, v19, v19
	v_lshrrev_b32_e32 v46, 16, v20
	v_lshrrev_b32_e32 v47, 16, v21
	v_min_f16_e32 v20, v22, v20
	v_min3_f16 v22, v23, v46, v47
	v_min3_f16 v20, v20, v21, v22
	v_cvt_f32_f16_e32 v20, v20
	v_min_f32_e32 v19, v19, v20
	;; [unrolled: 54-line block ×3, first 2 shown]
	v_cvt_f16_f32_e32 v21, v19
	v_add_co_u32 v19, vcc_lo, v16, v38
	v_add_co_ci_u32_e64 v20, null, v17, v39, vcc_lo
	s_and_b32 vcc_lo, exec_lo, s1
	flat_store_short v[19:20], v21
	s_cbranch_vccnz .LBB227_160
; %bb.159:
	v_add_co_u32 v12, vcc_lo, v12, v44
	v_add_co_ci_u32_e64 v13, null, v13, v45, vcc_lo
	flat_load_ushort v12, v[12:13]
	s_waitcnt vmcnt(0) lgkmcnt(0)
	v_mul_f16_e32 v12, s3, v12
	v_cvt_f32_f16_e32 v18, v12
.LBB227_160:
	v_pk_add_f16 v12, v24, v14
	v_pk_add_f16 v15, v25, v15
	v_max_f16_e32 v13, v56, v56
	v_lshrrev_b32_e32 v19, 16, v56
	v_add_nc_u32_e32 v14, 0xe0, v84
	v_lshrrev_b32_e32 v20, 16, v12
	v_lshrrev_b32_e32 v21, 16, v15
	v_min_f16_e32 v22, v13, v12
	v_mad_i64_i32 v[12:13], null, v14, s2, 0
	v_min3_f16 v19, v19, v20, v21
	v_max_f32_e32 v20, v18, v18
	v_add_co_u32 v18, vcc_lo, v16, v44
	v_mov_b32_e32 v16, 0
	v_min3_f16 v15, v22, v15, v19
	v_lshlrev_b64 v[12:13], 1, v[12:13]
	v_add_co_ci_u32_e64 v19, null, v17, v45, vcc_lo
	v_cvt_f32_f16_e32 v15, v15
	v_add_co_u32 v12, vcc_lo, s12, v12
	v_add_co_ci_u32_e64 v13, null, s13, v13, vcc_lo
	v_min_f32_e32 v15, v20, v15
	s_and_b32 vcc_lo, exec_lo, s1
	v_cvt_f16_f32_e32 v17, v15
	v_mov_b32_e32 v15, 0
	flat_store_short v[18:19], v17
	s_cbranch_vccnz .LBB227_162
; %bb.161:
	v_add_co_u32 v17, vcc_lo, v12, v28
	v_add_co_ci_u32_e64 v18, null, v13, v29, vcc_lo
	flat_load_ushort v15, v[17:18]
	s_waitcnt vmcnt(0) lgkmcnt(0)
	v_mul_f16_e32 v15, s3, v15
	v_cvt_f32_f16_e32 v15, v15
.LBB227_162:
	v_pk_add_f16 v17, v30, v26
	v_pk_add_f16 v19, v31, v27
	v_max_f16_e32 v18, v55, v55
	v_lshrrev_b32_e32 v20, 16, v55
	v_lshrrev_b32_e32 v21, 16, v17
	;; [unrolled: 1-line block ×3, first 2 shown]
	v_min_f16_e32 v23, v18, v17
	v_mad_i64_i32 v[17:18], null, v14, s6, 0
	v_min3_f16 v20, v20, v21, v22
	v_min3_f16 v14, v23, v19, v20
	v_max_f32_e32 v19, v15, v15
	v_cvt_f32_f16_e32 v20, v14
	v_lshlrev_b64 v[14:15], 1, v[17:18]
	v_min_f32_e32 v17, v19, v20
	v_add_co_u32 v14, vcc_lo, s4, v14
	v_add_co_ci_u32_e64 v15, null, s5, v15, vcc_lo
	v_cvt_f16_f32_e32 v19, v17
	v_add_co_u32 v17, vcc_lo, v14, v28
	v_add_co_ci_u32_e64 v18, null, v15, v29, vcc_lo
	s_and_b32 vcc_lo, exec_lo, s1
	flat_store_short v[17:18], v19
	s_cbranch_vccnz .LBB227_164
; %bb.163:
	v_add_co_u32 v16, vcc_lo, v12, v32
	v_add_co_ci_u32_e64 v17, null, v13, v33, vcc_lo
	flat_load_ushort v16, v[16:17]
	s_waitcnt vmcnt(0) lgkmcnt(0)
	v_mul_f16_e32 v16, s3, v16
	v_cvt_f32_f16_e32 v16, v16
.LBB227_164:
	v_pk_add_f16 v8, v8, v26
	v_pk_add_f16 v9, v9, v27
	v_max_f16_e32 v17, v54, v54
	v_lshrrev_b32_e32 v18, 16, v54
	v_lshrrev_b32_e32 v19, 16, v8
	;; [unrolled: 1-line block ×3, first 2 shown]
	v_min_f16_e32 v8, v17, v8
	v_min3_f16 v17, v18, v19, v20
	v_min3_f16 v8, v8, v9, v17
	v_max_f32_e32 v9, v16, v16
	v_add_co_u32 v16, vcc_lo, v14, v32
	v_add_co_ci_u32_e64 v17, null, v15, v33, vcc_lo
	v_cvt_f32_f16_e32 v8, v8
	s_and_b32 vcc_lo, exec_lo, s1
	v_min_f32_e32 v8, v9, v8
	v_mov_b32_e32 v9, 0
	v_cvt_f16_f32_e32 v18, v8
	v_mov_b32_e32 v8, 0
	flat_store_short v[16:17], v18
	s_cbranch_vccnz .LBB227_166
; %bb.165:
	v_add_co_u32 v16, vcc_lo, v12, v34
	v_add_co_ci_u32_e64 v17, null, v13, v35, vcc_lo
	flat_load_ushort v9, v[16:17]
	s_waitcnt vmcnt(0) lgkmcnt(0)
	v_mul_f16_e32 v9, s3, v9
	v_cvt_f32_f16_e32 v9, v9
.LBB227_166:
	v_pk_add_f16 v10, v10, v26
	v_pk_add_f16 v11, v11, v27
	v_max_f16_e32 v16, v53, v53
	v_lshrrev_b32_e32 v17, 16, v53
	v_max_f32_e32 v9, v9, v9
	v_lshrrev_b32_e32 v18, 16, v10
	v_lshrrev_b32_e32 v19, 16, v11
	v_min_f16_e32 v10, v16, v10
	v_min3_f16 v16, v17, v18, v19
	v_min3_f16 v10, v10, v11, v16
	v_cvt_f32_f16_e32 v10, v10
	v_min_f32_e32 v9, v9, v10
	v_cvt_f16_f32_e32 v11, v9
	v_add_co_u32 v9, vcc_lo, v14, v34
	v_add_co_ci_u32_e64 v10, null, v15, v35, vcc_lo
	s_and_b32 vcc_lo, exec_lo, s1
	flat_store_short v[9:10], v11
	s_cbranch_vccnz .LBB227_168
; %bb.167:
	v_add_co_u32 v8, vcc_lo, v12, v36
	v_add_co_ci_u32_e64 v9, null, v13, v37, vcc_lo
	flat_load_ushort v8, v[8:9]
	s_waitcnt vmcnt(0) lgkmcnt(0)
	v_mul_f16_e32 v8, s3, v8
	v_cvt_f32_f16_e32 v8, v8
.LBB227_168:
	v_pk_add_f16 v4, v4, v26
	v_pk_add_f16 v5, v5, v27
	v_max_f16_e32 v9, v52, v52
	v_lshrrev_b32_e32 v10, 16, v52
	v_lshrrev_b32_e32 v11, 16, v4
	;; [unrolled: 1-line block ×3, first 2 shown]
	v_min_f16_e32 v4, v9, v4
	v_min3_f16 v9, v10, v11, v16
	v_min3_f16 v4, v4, v5, v9
	v_max_f32_e32 v5, v8, v8
	v_add_co_u32 v8, vcc_lo, v14, v36
	v_add_co_ci_u32_e64 v9, null, v15, v37, vcc_lo
	v_cvt_f32_f16_e32 v4, v4
	s_and_b32 vcc_lo, exec_lo, s1
	v_min_f32_e32 v4, v5, v4
	v_mov_b32_e32 v5, 0
	v_cvt_f16_f32_e32 v10, v4
	v_mov_b32_e32 v4, 0
	flat_store_short v[8:9], v10
	s_cbranch_vccnz .LBB227_170
; %bb.169:
	v_add_co_u32 v8, vcc_lo, v12, v42
	v_add_co_ci_u32_e64 v9, null, v13, v43, vcc_lo
	flat_load_ushort v5, v[8:9]
	s_waitcnt vmcnt(0) lgkmcnt(0)
	v_mul_f16_e32 v5, s3, v5
	v_cvt_f32_f16_e32 v5, v5
.LBB227_170:
	v_pk_add_f16 v6, v6, v26
	v_pk_add_f16 v7, v7, v27
	v_max_f16_e32 v8, v51, v51
	v_lshrrev_b32_e32 v9, 16, v51
	v_max_f32_e32 v5, v5, v5
	v_lshrrev_b32_e32 v10, 16, v6
	v_lshrrev_b32_e32 v11, 16, v7
	v_min_f16_e32 v6, v8, v6
	v_min3_f16 v8, v9, v10, v11
	v_min3_f16 v6, v6, v7, v8
	v_cvt_f32_f16_e32 v6, v6
	v_min_f32_e32 v5, v5, v6
	v_cvt_f16_f32_e32 v7, v5
	v_add_co_u32 v5, vcc_lo, v14, v42
	v_add_co_ci_u32_e64 v6, null, v15, v43, vcc_lo
	s_and_b32 vcc_lo, exec_lo, s1
	flat_store_short v[5:6], v7
	s_cbranch_vccnz .LBB227_172
; %bb.171:
	v_add_co_u32 v4, vcc_lo, v12, v40
	v_add_co_ci_u32_e64 v5, null, v13, v41, vcc_lo
	flat_load_ushort v4, v[4:5]
	s_waitcnt vmcnt(0) lgkmcnt(0)
	v_mul_f16_e32 v4, s3, v4
	v_cvt_f32_f16_e32 v4, v4
.LBB227_172:
	v_pk_add_f16 v0, v0, v26
	v_pk_add_f16 v1, v1, v27
	v_max_f16_e32 v5, v50, v50
	v_lshrrev_b32_e32 v6, 16, v50
	v_pk_add_f16 v3, v3, v27
	v_lshrrev_b32_e32 v7, 16, v0
	v_lshrrev_b32_e32 v8, 16, v1
	v_min_f16_e32 v0, v5, v0
	s_mov_b32 s1, -1
	v_min3_f16 v5, v6, v7, v8
	v_lshrrev_b32_e32 v6, 16, v49
	v_lshrrev_b32_e32 v8, 16, v3
	v_min3_f16 v0, v0, v1, v5
	v_pk_add_f16 v5, v2, v26
	v_max_f32_e32 v1, v4, v4
	v_max_f16_e32 v4, v49, v49
	v_cvt_f32_f16_e32 v0, v0
	v_lshrrev_b32_e32 v7, 16, v5
	v_min_f16_e32 v4, v4, v5
	v_min_f32_e32 v0, v1, v0
	v_min3_f16 v5, v6, v7, v8
	v_add_co_u32 v1, vcc_lo, v14, v40
	v_add_co_ci_u32_e64 v2, null, v15, v41, vcc_lo
	v_cvt_f16_f32_e32 v6, v0
	v_min3_f16 v0, v4, v3, v5
	s_mov_b32 vcc_lo, s0
	flat_store_short v[1:2], v6
	s_cbranch_vccz .LBB227_174
; %bb.173:
	v_cvt_f32_f16_e32 v1, v0
	s_mov_b32 s1, 0
	v_min_f32_e32 v1, 0, v1
	v_cvt_f16_f32_e32 v3, v1
	v_add_co_u32 v1, vcc_lo, v14, v38
	v_add_co_ci_u32_e64 v2, null, v15, v39, vcc_lo
	flat_store_short v[1:2], v3
.LBB227_174:
	v_mov_b32_e32 v1, 0
	s_andn2_b32 vcc_lo, exec_lo, s1
	s_cbranch_vccnz .LBB227_176
; %bb.175:
	v_add_co_u32 v1, vcc_lo, v12, v38
	v_add_co_ci_u32_e64 v2, null, v13, v39, vcc_lo
	flat_load_ushort v1, v[1:2]
	v_max_f16_e32 v2, v0, v0
	v_add_co_u32 v0, vcc_lo, v14, v38
	s_waitcnt vmcnt(0) lgkmcnt(0)
	v_mul_f16_e32 v3, s3, v1
	v_add_co_ci_u32_e64 v1, null, v15, v39, vcc_lo
	v_min_f16_e32 v4, v3, v2
	v_add_co_u32 v2, vcc_lo, v12, v44
	v_add_co_ci_u32_e64 v3, null, v13, v45, vcc_lo
	flat_store_short v[0:1], v4
	flat_load_ushort v0, v[2:3]
	s_waitcnt vmcnt(0) lgkmcnt(0)
	v_mul_f16_e32 v0, s3, v0
	v_cvt_f32_f16_e32 v1, v0
.LBB227_176:
	v_pk_add_f16 v0, v24, v26
	v_pk_add_f16 v2, v25, v27
	v_max_f16_e32 v3, v48, v48
	v_lshrrev_b32_e32 v4, 16, v48
	v_max_f32_e32 v1, v1, v1
	v_lshrrev_b32_e32 v5, 16, v0
	v_lshrrev_b32_e32 v6, 16, v2
	v_min_f16_e32 v0, v3, v0
	v_min3_f16 v3, v4, v5, v6
	v_min3_f16 v0, v0, v2, v3
	v_cvt_f32_f16_e32 v0, v0
	v_min_f32_e32 v0, v1, v0
	v_cvt_f16_f32_e32 v2, v0
	v_add_co_u32 v0, vcc_lo, v14, v44
	v_add_co_ci_u32_e64 v1, null, v15, v45, vcc_lo
	flat_store_short v[0:1], v2
	s_endpgm
	.section	.rodata,"a",@progbits
	.p2align	6, 0x0
	.amdhsa_kernel _ZN12_GLOBAL__N_120geam_min_plus_kernelIDF16_Dv2_DF16_S1_Li8ELi32ELi64ELi256ELi4ELi4ELi64ELi64ELi4ELc84ELc84ELb0ELb0ELb1EDF16_KPKDF16_KPDF16_EEviiiT16_PT17_ilS9_ilS7_S9_ilPT18_ili26rocblas_geam_ex_operation_
		.amdhsa_group_segment_fixed_size 5120
		.amdhsa_private_segment_fixed_size 0
		.amdhsa_kernarg_size 128
		.amdhsa_user_sgpr_count 6
		.amdhsa_user_sgpr_private_segment_buffer 1
		.amdhsa_user_sgpr_dispatch_ptr 0
		.amdhsa_user_sgpr_queue_ptr 0
		.amdhsa_user_sgpr_kernarg_segment_ptr 1
		.amdhsa_user_sgpr_dispatch_id 0
		.amdhsa_user_sgpr_flat_scratch_init 0
		.amdhsa_user_sgpr_private_segment_size 0
		.amdhsa_wavefront_size32 1
		.amdhsa_uses_dynamic_stack 0
		.amdhsa_system_sgpr_private_segment_wavefront_offset 0
		.amdhsa_system_sgpr_workgroup_id_x 1
		.amdhsa_system_sgpr_workgroup_id_y 0
		.amdhsa_system_sgpr_workgroup_id_z 1
		.amdhsa_system_sgpr_workgroup_info 0
		.amdhsa_system_vgpr_workitem_id 1
		.amdhsa_next_free_vgpr 168
		.amdhsa_next_free_sgpr 26
		.amdhsa_reserve_vcc 1
		.amdhsa_reserve_flat_scratch 1
		.amdhsa_float_round_mode_32 0
		.amdhsa_float_round_mode_16_64 0
		.amdhsa_float_denorm_mode_32 3
		.amdhsa_float_denorm_mode_16_64 3
		.amdhsa_dx10_clamp 1
		.amdhsa_ieee_mode 1
		.amdhsa_fp16_overflow 0
		.amdhsa_workgroup_processor_mode 1
		.amdhsa_memory_ordered 1
		.amdhsa_forward_progress 1
		.amdhsa_shared_vgpr_count 0
		.amdhsa_exception_fp_ieee_invalid_op 0
		.amdhsa_exception_fp_denorm_src 0
		.amdhsa_exception_fp_ieee_div_zero 0
		.amdhsa_exception_fp_ieee_overflow 0
		.amdhsa_exception_fp_ieee_underflow 0
		.amdhsa_exception_fp_ieee_inexact 0
		.amdhsa_exception_int_div_zero 0
	.end_amdhsa_kernel
	.section	.text._ZN12_GLOBAL__N_120geam_min_plus_kernelIDF16_Dv2_DF16_S1_Li8ELi32ELi64ELi256ELi4ELi4ELi64ELi64ELi4ELc84ELc84ELb0ELb0ELb1EDF16_KPKDF16_KPDF16_EEviiiT16_PT17_ilS9_ilS7_S9_ilPT18_ili26rocblas_geam_ex_operation_,"axG",@progbits,_ZN12_GLOBAL__N_120geam_min_plus_kernelIDF16_Dv2_DF16_S1_Li8ELi32ELi64ELi256ELi4ELi4ELi64ELi64ELi4ELc84ELc84ELb0ELb0ELb1EDF16_KPKDF16_KPDF16_EEviiiT16_PT17_ilS9_ilS7_S9_ilPT18_ili26rocblas_geam_ex_operation_,comdat
.Lfunc_end227:
	.size	_ZN12_GLOBAL__N_120geam_min_plus_kernelIDF16_Dv2_DF16_S1_Li8ELi32ELi64ELi256ELi4ELi4ELi64ELi64ELi4ELc84ELc84ELb0ELb0ELb1EDF16_KPKDF16_KPDF16_EEviiiT16_PT17_ilS9_ilS7_S9_ilPT18_ili26rocblas_geam_ex_operation_, .Lfunc_end227-_ZN12_GLOBAL__N_120geam_min_plus_kernelIDF16_Dv2_DF16_S1_Li8ELi32ELi64ELi256ELi4ELi4ELi64ELi64ELi4ELc84ELc84ELb0ELb0ELb1EDF16_KPKDF16_KPDF16_EEviiiT16_PT17_ilS9_ilS7_S9_ilPT18_ili26rocblas_geam_ex_operation_
                                        ; -- End function
	.set _ZN12_GLOBAL__N_120geam_min_plus_kernelIDF16_Dv2_DF16_S1_Li8ELi32ELi64ELi256ELi4ELi4ELi64ELi64ELi4ELc84ELc84ELb0ELb0ELb1EDF16_KPKDF16_KPDF16_EEviiiT16_PT17_ilS9_ilS7_S9_ilPT18_ili26rocblas_geam_ex_operation_.num_vgpr, 168
	.set _ZN12_GLOBAL__N_120geam_min_plus_kernelIDF16_Dv2_DF16_S1_Li8ELi32ELi64ELi256ELi4ELi4ELi64ELi64ELi4ELc84ELc84ELb0ELb0ELb1EDF16_KPKDF16_KPDF16_EEviiiT16_PT17_ilS9_ilS7_S9_ilPT18_ili26rocblas_geam_ex_operation_.num_agpr, 0
	.set _ZN12_GLOBAL__N_120geam_min_plus_kernelIDF16_Dv2_DF16_S1_Li8ELi32ELi64ELi256ELi4ELi4ELi64ELi64ELi4ELc84ELc84ELb0ELb0ELb1EDF16_KPKDF16_KPDF16_EEviiiT16_PT17_ilS9_ilS7_S9_ilPT18_ili26rocblas_geam_ex_operation_.numbered_sgpr, 26
	.set _ZN12_GLOBAL__N_120geam_min_plus_kernelIDF16_Dv2_DF16_S1_Li8ELi32ELi64ELi256ELi4ELi4ELi64ELi64ELi4ELc84ELc84ELb0ELb0ELb1EDF16_KPKDF16_KPDF16_EEviiiT16_PT17_ilS9_ilS7_S9_ilPT18_ili26rocblas_geam_ex_operation_.num_named_barrier, 0
	.set _ZN12_GLOBAL__N_120geam_min_plus_kernelIDF16_Dv2_DF16_S1_Li8ELi32ELi64ELi256ELi4ELi4ELi64ELi64ELi4ELc84ELc84ELb0ELb0ELb1EDF16_KPKDF16_KPDF16_EEviiiT16_PT17_ilS9_ilS7_S9_ilPT18_ili26rocblas_geam_ex_operation_.private_seg_size, 0
	.set _ZN12_GLOBAL__N_120geam_min_plus_kernelIDF16_Dv2_DF16_S1_Li8ELi32ELi64ELi256ELi4ELi4ELi64ELi64ELi4ELc84ELc84ELb0ELb0ELb1EDF16_KPKDF16_KPDF16_EEviiiT16_PT17_ilS9_ilS7_S9_ilPT18_ili26rocblas_geam_ex_operation_.uses_vcc, 1
	.set _ZN12_GLOBAL__N_120geam_min_plus_kernelIDF16_Dv2_DF16_S1_Li8ELi32ELi64ELi256ELi4ELi4ELi64ELi64ELi4ELc84ELc84ELb0ELb0ELb1EDF16_KPKDF16_KPDF16_EEviiiT16_PT17_ilS9_ilS7_S9_ilPT18_ili26rocblas_geam_ex_operation_.uses_flat_scratch, 1
	.set _ZN12_GLOBAL__N_120geam_min_plus_kernelIDF16_Dv2_DF16_S1_Li8ELi32ELi64ELi256ELi4ELi4ELi64ELi64ELi4ELc84ELc84ELb0ELb0ELb1EDF16_KPKDF16_KPDF16_EEviiiT16_PT17_ilS9_ilS7_S9_ilPT18_ili26rocblas_geam_ex_operation_.has_dyn_sized_stack, 0
	.set _ZN12_GLOBAL__N_120geam_min_plus_kernelIDF16_Dv2_DF16_S1_Li8ELi32ELi64ELi256ELi4ELi4ELi64ELi64ELi4ELc84ELc84ELb0ELb0ELb1EDF16_KPKDF16_KPDF16_EEviiiT16_PT17_ilS9_ilS7_S9_ilPT18_ili26rocblas_geam_ex_operation_.has_recursion, 0
	.set _ZN12_GLOBAL__N_120geam_min_plus_kernelIDF16_Dv2_DF16_S1_Li8ELi32ELi64ELi256ELi4ELi4ELi64ELi64ELi4ELc84ELc84ELb0ELb0ELb1EDF16_KPKDF16_KPDF16_EEviiiT16_PT17_ilS9_ilS7_S9_ilPT18_ili26rocblas_geam_ex_operation_.has_indirect_call, 0
	.section	.AMDGPU.csdata,"",@progbits
; Kernel info:
; codeLenInByte = 19892
; TotalNumSgprs: 28
; NumVgprs: 168
; ScratchSize: 0
; MemoryBound: 0
; FloatMode: 240
; IeeeMode: 1
; LDSByteSize: 5120 bytes/workgroup (compile time only)
; SGPRBlocks: 0
; VGPRBlocks: 20
; NumSGPRsForWavesPerEU: 28
; NumVGPRsForWavesPerEU: 168
; Occupancy: 5
; WaveLimiterHint : 1
; COMPUTE_PGM_RSRC2:SCRATCH_EN: 0
; COMPUTE_PGM_RSRC2:USER_SGPR: 6
; COMPUTE_PGM_RSRC2:TRAP_HANDLER: 0
; COMPUTE_PGM_RSRC2:TGID_X_EN: 1
; COMPUTE_PGM_RSRC2:TGID_Y_EN: 0
; COMPUTE_PGM_RSRC2:TGID_Z_EN: 1
; COMPUTE_PGM_RSRC2:TIDIG_COMP_CNT: 1
	.section	.text._ZN12_GLOBAL__N_120geam_min_plus_kernelIDF16_Dv2_DF16_S1_Li8ELi32ELi64ELi256ELi4ELi4ELi64ELi64ELi4ELc84ELc84ELb0ELb1ELb1EPKDF16_KS3_KPDF16_EEviiiT16_PT17_ilS9_ilS7_S9_ilPT18_ili26rocblas_geam_ex_operation_,"axG",@progbits,_ZN12_GLOBAL__N_120geam_min_plus_kernelIDF16_Dv2_DF16_S1_Li8ELi32ELi64ELi256ELi4ELi4ELi64ELi64ELi4ELc84ELc84ELb0ELb1ELb1EPKDF16_KS3_KPDF16_EEviiiT16_PT17_ilS9_ilS7_S9_ilPT18_ili26rocblas_geam_ex_operation_,comdat
	.globl	_ZN12_GLOBAL__N_120geam_min_plus_kernelIDF16_Dv2_DF16_S1_Li8ELi32ELi64ELi256ELi4ELi4ELi64ELi64ELi4ELc84ELc84ELb0ELb1ELb1EPKDF16_KS3_KPDF16_EEviiiT16_PT17_ilS9_ilS7_S9_ilPT18_ili26rocblas_geam_ex_operation_ ; -- Begin function _ZN12_GLOBAL__N_120geam_min_plus_kernelIDF16_Dv2_DF16_S1_Li8ELi32ELi64ELi256ELi4ELi4ELi64ELi64ELi4ELc84ELc84ELb0ELb1ELb1EPKDF16_KS3_KPDF16_EEviiiT16_PT17_ilS9_ilS7_S9_ilPT18_ili26rocblas_geam_ex_operation_
	.p2align	8
	.type	_ZN12_GLOBAL__N_120geam_min_plus_kernelIDF16_Dv2_DF16_S1_Li8ELi32ELi64ELi256ELi4ELi4ELi64ELi64ELi4ELc84ELc84ELb0ELb1ELb1EPKDF16_KS3_KPDF16_EEviiiT16_PT17_ilS9_ilS7_S9_ilPT18_ili26rocblas_geam_ex_operation_,@function
_ZN12_GLOBAL__N_120geam_min_plus_kernelIDF16_Dv2_DF16_S1_Li8ELi32ELi64ELi256ELi4ELi4ELi64ELi64ELi4ELc84ELc84ELb0ELb1ELb1EPKDF16_KS3_KPDF16_EEviiiT16_PT17_ilS9_ilS7_S9_ilPT18_ili26rocblas_geam_ex_operation_: ; @_ZN12_GLOBAL__N_120geam_min_plus_kernelIDF16_Dv2_DF16_S1_Li8ELi32ELi64ELi256ELi4ELi4ELi64ELi64ELi4ELc84ELc84ELb0ELb1ELb1EPKDF16_KS3_KPDF16_EEviiiT16_PT17_ilS9_ilS7_S9_ilPT18_ili26rocblas_geam_ex_operation_
; %bb.0:
	s_clause 0x1
	s_load_dwordx4 s[0:3], s[4:5], 0x10
	s_load_dwordx4 s[8:11], s[4:5], 0x40
	s_mov_b32 s22, s7
	s_mov_b32 s23, 0
	v_mov_b32_e32 v2, 0
	s_lshl_b64 s[18:19], s[22:23], 1
	s_clause 0x1
	s_load_dwordx4 s[12:15], s[4:5], 0x28
	s_load_dwordx2 s[16:17], s[4:5], 0x50
	s_mov_b64 s[20:21], 0
	s_waitcnt lgkmcnt(0)
	s_add_u32 s0, s0, s18
	s_addc_u32 s1, s1, s19
	global_load_ushort v71, v2, s[0:1]
	s_add_u32 s0, s10, s18
	s_addc_u32 s1, s11, s19
	s_mov_b64 s[18:19], 0
	global_load_ushort v48, v2, s[0:1]
	s_waitcnt vmcnt(1)
	v_cmp_eq_f16_e32 vcc_lo, 0, v71
	v_cmp_neq_f16_e64 s0, 0, v71
	s_cbranch_vccnz .LBB228_2
; %bb.1:
	s_lshl_b64 s[10:11], s[22:23], 3
	s_add_u32 s2, s2, s10
	s_addc_u32 s3, s3, s11
	s_lshl_b64 s[10:11], s[12:13], 1
	s_load_dwordx2 s[2:3], s[2:3], 0x0
	s_waitcnt lgkmcnt(0)
	s_add_u32 s20, s2, s10
	s_addc_u32 s21, s3, s11
.LBB228_2:
	s_andn2_b32 vcc_lo, exec_lo, s0
	s_cbranch_vccnz .LBB228_4
; %bb.3:
	s_lshl_b64 s[0:1], s[22:23], 3
	s_add_u32 s0, s14, s0
	s_addc_u32 s1, s15, s1
	s_lshl_b64 s[2:3], s[8:9], 1
	s_load_dwordx2 s[0:1], s[0:1], 0x0
	s_waitcnt lgkmcnt(0)
	s_add_u32 s18, s0, s2
	s_addc_u32 s19, s1, s3
.LBB228_4:
	s_load_dwordx4 s[8:11], s[4:5], 0x60
	s_waitcnt vmcnt(0)
	v_cmp_eq_f16_e32 vcc_lo, 0, v48
	v_cmp_neq_f16_e64 s1, 0, v48
	s_cbranch_vccnz .LBB228_6
; %bb.5:
	s_lshl_b64 s[2:3], s[22:23], 3
	s_add_u32 s2, s16, s2
	s_addc_u32 s3, s17, s3
	s_waitcnt lgkmcnt(0)
	s_lshl_b64 s[8:9], s[8:9], 1
	s_load_dwordx2 s[2:3], s[2:3], 0x0
	s_waitcnt lgkmcnt(0)
	s_add_u32 s16, s2, s8
	s_addc_u32 s17, s3, s9
	s_branch .LBB228_7
.LBB228_6:
	s_mov_b64 s[16:17], 0
.LBB228_7:
	s_clause 0x1
	s_load_dwordx4 s[12:15], s[4:5], 0x0
	s_load_dword s24, s[4:5], 0x20
	s_lshl_b64 s[2:3], s[22:23], 3
	v_and_b32_e32 v78, 3, v0
	s_waitcnt lgkmcnt(0)
	s_add_u32 s10, s10, s2
	s_addc_u32 s11, s11, s3
                                        ; implicit-def: $vgpr18
	s_add_i32 s0, s12, -1
	s_ashr_i32 s2, s0, 31
	s_lshr_b32 s2, s2, 26
	s_add_i32 s0, s0, s2
	s_ashr_i32 s0, s0, 6
	s_add_i32 s2, s0, 1
	s_not_b32 s0, s0
	v_cvt_f32_u32_e32 v2, s2
	v_rcp_iflag_f32_e32 v2, v2
	v_mul_f32_e32 v2, 0x4f7ffffe, v2
	v_cvt_u32_f32_e32 v2, v2
	v_readfirstlane_b32 s3, v2
	v_lshl_add_u32 v2, v1, 3, v0
	s_mul_i32 s0, s0, s3
	v_lshrrev_b32_e32 v16, 2, v2
	s_mul_hi_u32 s0, s3, s0
	s_add_i32 s3, s3, s0
	s_mul_hi_u32 s0, s6, s3
	s_mul_i32 s3, s0, s2
	s_add_i32 s7, s0, 1
	s_sub_i32 s3, s6, s3
	s_sub_i32 s8, s3, s2
	s_cmp_ge_u32 s3, s2
	s_cselect_b32 s0, s7, s0
	s_cselect_b32 s3, s8, s3
	s_add_i32 s7, s0, 1
	s_cmp_ge_u32 s3, s2
                                        ; implicit-def: $sgpr8
	s_cselect_b32 s3, s7, s0
	s_mul_i32 s0, s3, s2
	v_cmp_le_i32_e64 s2, s14, v78
	s_sub_i32 s0, s6, s0
	s_lshl_b32 s15, s0, 6
	v_cmp_eq_f16_e64 s0, 0, v71
	v_add_nc_u32_e32 v10, s15, v16
	v_cmp_le_i32_e32 vcc_lo, s12, v10
	s_or_b32 s6, s2, vcc_lo
	s_nor_b32 s2, s0, s6
	s_and_saveexec_b32 s7, s2
	s_xor_b32 s7, exec_lo, s7
	s_cbranch_execz .LBB228_9
; %bb.8:
	v_mad_i64_i32 v[3:4], null, v10, s24, 0
	s_add_i32 s8, s14, -1
	v_min_u32_e32 v5, s8, v78
	v_lshlrev_b64 v[3:4], 1, v[3:4]
	v_lshlrev_b32_e32 v5, 1, v5
	v_add_co_u32 v3, s2, s20, v3
	v_add_co_ci_u32_e64 v4, null, s21, v4, s2
	v_add_co_u32 v3, s2, v3, v5
	v_add_co_ci_u32_e64 v4, null, 0, v4, s2
	flat_load_ushort v3, v[3:4]
	s_waitcnt vmcnt(0) lgkmcnt(0)
	v_mul_f16_e32 v18, v71, v3
.LBB228_9:
	s_or_saveexec_b32 s2, s7
	v_mov_b32_e32 v3, s8
	s_xor_b32 exec_lo, exec_lo, s2
; %bb.10:
	s_add_i32 s7, s14, -1
	v_cndmask_b32_e64 v18, 0, 0x7c00, s6
	v_mov_b32_e32 v3, s7
; %bb.11:
	s_or_b32 exec_lo, exec_lo, s2
	s_load_dword s23, s[4:5], 0x38
	v_lshrrev_b32_e32 v95, 6, v2
	v_and_b32_e32 v19, 63, v2
	s_lshl_b32 s22, s3, 8
	v_min_i32_e32 v3, v95, v3
	v_or_b32_e32 v2, s22, v19
	v_cmp_le_i32_e64 s8, s14, v95
	v_cmp_le_i32_e64 s2, s13, v2
	s_or_b32 s6, s2, s8
	v_cndmask_b32_e64 v20, 0, 0x7c00, s6
	s_waitcnt lgkmcnt(0)
	v_mad_i64_i32 v[3:4], null, v3, s23, 0
	v_lshlrev_b64 v[3:4], 1, v[3:4]
	v_add_co_u32 v11, s3, s18, v3
	v_add_co_ci_u32_e64 v12, null, s19, v4, s3
	v_ashrrev_i32_e32 v3, 31, v2
	s_nor_b32 s3, s0, s6
	s_and_saveexec_b32 s6, s3
	s_cbranch_execz .LBB228_13
; %bb.12:
	v_lshlrev_b64 v[4:5], 1, v[2:3]
	v_add_co_u32 v4, s3, v11, v4
	v_add_co_ci_u32_e64 v5, null, v12, v5, s3
	flat_load_ushort v4, v[4:5]
	s_waitcnt vmcnt(0) lgkmcnt(0)
	v_mul_f16_e32 v20, v71, v4
.LBB228_13:
	s_or_b32 exec_lo, exec_lo, s6
	v_or_b32_e32 v4, 64, v2
	s_add_i32 s9, s13, -1
	v_cmp_le_i32_e64 s3, s13, v4
	v_min_i32_e32 v4, s9, v4
	s_or_b32 s6, s3, s8
	v_ashrrev_i32_e32 v5, 31, v4
	v_cndmask_b32_e64 v21, 0, 0x7c00, s6
	s_nor_b32 s6, s6, s0
	s_and_saveexec_b32 s7, s6
	s_cbranch_execz .LBB228_15
; %bb.14:
	v_lshlrev_b64 v[6:7], 1, v[4:5]
	v_add_co_u32 v6, s6, v11, v6
	v_add_co_ci_u32_e64 v7, null, v12, v7, s6
	flat_load_ushort v6, v[6:7]
	s_waitcnt vmcnt(0) lgkmcnt(0)
	v_mul_f16_e32 v21, v71, v6
.LBB228_15:
	s_or_b32 exec_lo, exec_lo, s7
	v_or_b32_e32 v6, 0x80, v2
	v_cmp_le_i32_e64 s6, s13, v6
	v_min_i32_e32 v6, s9, v6
	s_or_b32 s7, s6, s8
	v_ashrrev_i32_e32 v7, 31, v6
	v_cndmask_b32_e64 v22, 0, 0x7c00, s7
	s_nor_b32 s7, s7, s0
	s_and_saveexec_b32 s25, s7
	s_cbranch_execz .LBB228_17
; %bb.16:
	v_lshlrev_b64 v[8:9], 1, v[6:7]
	v_add_co_u32 v8, s7, v11, v8
	v_add_co_ci_u32_e64 v9, null, v12, v9, s7
	flat_load_ushort v8, v[8:9]
	s_waitcnt vmcnt(0) lgkmcnt(0)
	v_mul_f16_e32 v22, v71, v8
.LBB228_17:
	s_or_b32 exec_lo, exec_lo, s25
	v_or_b32_e32 v8, 0xc0, v2
	;; [unrolled: 18-line block ×3, first 2 shown]
                                        ; implicit-def: $vgpr11
                                        ; implicit-def: $sgpr26
	v_cmp_le_i32_e64 s8, s14, v12
	s_or_b32 s9, s8, vcc_lo
	s_nor_b32 s8, s0, s9
	s_and_saveexec_b32 s25, s8
	s_xor_b32 s25, exec_lo, s25
	s_cbranch_execz .LBB228_21
; %bb.20:
	v_mad_i64_i32 v[13:14], null, v10, s24, 0
	s_add_i32 s26, s14, -1
	v_min_u32_e32 v15, s26, v12
	v_lshlrev_b64 v[11:12], 1, v[13:14]
	v_lshlrev_b32_e32 v13, 1, v15
	v_add_co_u32 v11, s8, s20, v11
	v_add_co_ci_u32_e64 v12, null, s21, v12, s8
	v_add_co_u32 v11, s8, v11, v13
	v_add_co_ci_u32_e64 v12, null, 0, v12, s8
	flat_load_ushort v11, v[11:12]
	s_waitcnt vmcnt(0) lgkmcnt(0)
	v_mul_f16_e32 v11, v71, v11
.LBB228_21:
	s_or_saveexec_b32 s8, s25
	v_mov_b32_e32 v12, s26
	s_xor_b32 exec_lo, exec_lo, s8
; %bb.22:
	s_add_i32 s25, s14, -1
	v_cndmask_b32_e64 v11, 0, 0x7c00, s9
	v_mov_b32_e32 v12, s25
; %bb.23:
	s_or_b32 exec_lo, exec_lo, s8
	v_add_nc_u32_e32 v14, 4, v95
	v_min_i32_e32 v12, v14, v12
	v_cmp_le_i32_e64 s8, s14, v14
	v_mad_i64_i32 v[12:13], null, v12, s23, 0
	v_lshlrev_b64 v[12:13], 1, v[12:13]
	v_add_co_u32 v14, s9, s18, v12
	v_add_co_ci_u32_e64 v24, null, s19, v13, s9
	s_or_b32 s9, s2, s8
	v_cndmask_b32_e64 v12, 0, 0x7c00, s9
	s_nor_b32 s9, s0, s9
	s_and_saveexec_b32 s25, s9
	s_cbranch_execz .LBB228_25
; %bb.24:
	v_lshlrev_b64 v[12:13], 1, v[2:3]
	v_add_co_u32 v12, s9, v14, v12
	v_add_co_ci_u32_e64 v13, null, v24, v13, s9
	flat_load_ushort v12, v[12:13]
	s_waitcnt vmcnt(0) lgkmcnt(0)
	v_mul_f16_e32 v12, v71, v12
.LBB228_25:
	s_or_b32 exec_lo, exec_lo, s25
	s_or_b32 s9, s3, s8
	v_cndmask_b32_e64 v13, 0, 0x7c00, s9
	s_nor_b32 s9, s9, s0
	s_and_saveexec_b32 s25, s9
	s_cbranch_execz .LBB228_27
; %bb.26:
	v_lshlrev_b64 v[25:26], 1, v[4:5]
	v_add_co_u32 v25, s9, v14, v25
	v_add_co_ci_u32_e64 v26, null, v24, v26, s9
	flat_load_ushort v13, v[25:26]
	s_waitcnt vmcnt(0) lgkmcnt(0)
	v_mul_f16_e32 v13, v71, v13
.LBB228_27:
	s_or_b32 exec_lo, exec_lo, s25
	;; [unrolled: 14-line block ×4, first 2 shown]
	v_lshlrev_b32_e32 v14, 1, v78
	v_lshlrev_b32_e32 v99, 3, v0
	;; [unrolled: 1-line block ×4, first 2 shown]
	s_load_dwordx2 s[10:11], s[10:11], 0x0
	v_lshl_or_b32 v16, v16, 3, v14
	v_add_nc_u32_e32 v34, 0x1000, v99
	v_lshl_add_u32 v104, v95, 1, v19
	s_cmp_lt_i32 s14, 9
	ds_write_b16 v16, v18 offset:4096
	ds_write_b16 v104, v20
	ds_write_b16 v104, v21 offset:512
	ds_write_b16 v104, v22 offset:1024
	;; [unrolled: 1-line block ×3, first 2 shown]
	s_waitcnt lgkmcnt(0)
	s_barrier
	buffer_gl0_inv
	ds_read2_b64 v[18:21], v34 offset1:8
	ds_read2_b64 v[22:25], v98 offset1:32
	ds_read2_b64 v[26:29], v34 offset0:16 offset1:24
	ds_read2_b64 v[30:33], v34 offset0:32 offset1:40
	;; [unrolled: 1-line block ×4, first 2 shown]
	s_waitcnt lgkmcnt(4)
	v_pk_add_f16 v42, v18, v22
	v_pk_add_f16 v43, v20, v22
	s_waitcnt lgkmcnt(3)
	v_pk_add_f16 v44, v26, v22
	v_pk_add_f16 v45, v28, v22
	;; [unrolled: 3-line block ×4, first 2 shown]
	v_pk_add_f16 v51, v18, v24
	v_pk_add_f16 v52, v20, v24
	;; [unrolled: 1-line block ×24, first 2 shown]
	s_waitcnt lgkmcnt(0)
	v_pk_add_f16 v76, v18, v38
	v_pk_add_f16 v77, v20, v38
	;; [unrolled: 1-line block ×13, first 2 shown]
	ds_read2_b64 v[22:25], v98 offset0:128 offset1:160
	v_pk_add_f16 v116, v32, v40
	v_pk_add_f16 v117, v34, v40
	;; [unrolled: 1-line block ×19, first 2 shown]
	ds_read2_b64 v[38:41], v98 offset0:192 offset1:224
	s_waitcnt lgkmcnt(1)
	v_pk_add_f16 v133, v18, v22
	v_pk_add_f16 v134, v20, v22
	;; [unrolled: 1-line block ×32, first 2 shown]
	s_waitcnt lgkmcnt(0)
	v_pk_add_f16 v161, v18, v38
	v_pk_add_f16 v162, v20, v38
	v_pk_add_f16 v18, v18, v40
	v_pk_add_f16 v20, v20, v40
	v_pk_add_f16 v163, v19, v39
	v_pk_add_f16 v164, v21, v39
	v_pk_add_f16 v19, v19, v41
	v_pk_add_f16 v21, v21, v41
	v_pk_add_f16 v165, v26, v38
	v_pk_add_f16 v166, v28, v38
	v_pk_add_f16 v26, v26, v40
	v_pk_add_f16 v28, v28, v40
	v_pk_add_f16 v167, v27, v39
	v_pk_add_f16 v168, v29, v39
	v_pk_add_f16 v27, v27, v41
	v_pk_add_f16 v29, v29, v41
	v_pk_add_f16 v169, v30, v38
	v_pk_add_f16 v170, v32, v38
	v_pk_add_f16 v30, v30, v40
	v_pk_add_f16 v32, v32, v40
	v_pk_add_f16 v171, v31, v39
	v_pk_add_f16 v172, v33, v39
	v_pk_add_f16 v31, v31, v41
	v_pk_add_f16 v33, v33, v41
	v_pk_add_f16 v173, v34, v38
	v_pk_add_f16 v38, v36, v38
	v_pk_add_f16 v34, v34, v40
	v_pk_add_f16 v36, v36, v40
	v_pk_add_f16 v40, v35, v39
	v_pk_add_f16 v39, v37, v39
	v_pk_add_f16 v35, v35, v41
	v_pk_min_f16 v42, 0x7c00, v42 op_sel_hi:[0,1]
	v_pk_add_f16 v37, v37, v41
	v_pk_min_f16 v41, 0x7c00, v46 op_sel_hi:[0,1]
	v_pk_min_f16 v43, 0x7c00, v43 op_sel_hi:[0,1]
	;; [unrolled: 1-line block ×4, first 2 shown]
	v_pk_min_f16 v124, v42, v59
	v_pk_min_f16 v42, 0x7c00, v47 op_sel_hi:[0,1]
	v_pk_min_f16 v114, v41, v63
	v_pk_min_f16 v41, 0x7c00, v52 op_sel_hi:[0,1]
	v_pk_min_f16 v123, v43, v60
	v_pk_min_f16 v122, v44, v61
	v_pk_min_f16 v115, v45, v62
	v_pk_min_f16 v43, 0x7c00, v49 op_sel_hi:[0,1]
	v_pk_min_f16 v44, 0x7c00, v50 op_sel_hi:[0,1]
	v_pk_min_f16 v45, 0x7c00, v51 op_sel_hi:[0,1]
	v_pk_min_f16 v113, v42, v64
	v_pk_min_f16 v42, 0x7c00, v53 op_sel_hi:[0,1]
	v_pk_min_f16 v109, v41, v68
	v_pk_min_f16 v41, 0x7c00, v57 op_sel_hi:[0,1]
	v_pk_min_f16 v112, v43, v65
	v_pk_min_f16 v111, v44, v66
	v_pk_min_f16 v110, v45, v67
	v_pk_min_f16 v43, 0x7c00, v54 op_sel_hi:[0,1]
	v_pk_min_f16 v44, 0x7c00, v55 op_sel_hi:[0,1]
	v_pk_min_f16 v45, 0x7c00, v56 op_sel_hi:[0,1]
	;; [unrolled: 10-line block ×4, first 2 shown]
	v_pk_min_f16 v94, v42, v94
	v_pk_min_f16 v42, 0x7c00, v86 op_sel_hi:[0,1]
	v_pk_min_f16 v90, v41, v125
	v_pk_min_f16 v41, 0x7c00, v116 op_sel_hi:[0,1]
	v_pk_min_f16 v22, 0x7c00, v22 op_sel_hi:[0,1]
	v_pk_min_f16 v93, v43, v119
	v_pk_min_f16 v92, v44, v120
	;; [unrolled: 1-line block ×3, first 2 shown]
	v_pk_min_f16 v43, 0x7c00, v87 op_sel_hi:[0,1]
	v_pk_min_f16 v44, 0x7c00, v88 op_sel_hi:[0,1]
	v_pk_min_f16 v45, 0x7c00, v89 op_sel_hi:[0,1]
	v_pk_min_f16 v89, v42, v126
	v_pk_min_f16 v42, 0x7c00, v117 op_sel_hi:[0,1]
	v_pk_min_f16 v85, v41, v130
	v_pk_min_f16 v41, 0x7c00, v135 op_sel_hi:[0,1]
	;; [unrolled: 2-line block ×3, first 2 shown]
	v_pk_min_f16 v88, v43, v127
	v_pk_min_f16 v87, v44, v128
	v_pk_min_f16 v43, 0x7c00, v118 op_sel_hi:[0,1]
	v_pk_min_f16 v44, 0x7c00, v133 op_sel_hi:[0,1]
	v_pk_min_f16 v84, v42, v131
	v_pk_min_f16 v42, 0x7c00, v136 op_sel_hi:[0,1]
	v_pk_min_f16 v80, v41, v149
	v_pk_min_f16 v41, 0x7c00, v140 op_sel_hi:[0,1]
	v_pk_min_f16 v23, 0x7c00, v145 op_sel_hi:[0,1]
	;; [unrolled: 1-line block ×3, first 2 shown]
	v_pk_min_f16 v68, v22, v158
	v_pk_min_f16 v22, 0x7c00, v162 op_sel_hi:[0,1]
	v_pk_min_f16 v86, v45, v129
	v_pk_min_f16 v45, 0x7c00, v134 op_sel_hi:[0,1]
	v_pk_min_f16 v83, v43, v132
	v_pk_min_f16 v82, v44, v147
	v_pk_min_f16 v43, 0x7c00, v137 op_sel_hi:[0,1]
	v_pk_min_f16 v44, 0x7c00, v138 op_sel_hi:[0,1]
	v_pk_min_f16 v79, v42, v150
	v_pk_min_f16 v42, 0x7c00, v141 op_sel_hi:[0,1]
	v_pk_min_f16 v73, v41, v154
	;; [unrolled: 2-line block ×3, first 2 shown]
	v_pk_min_f16 v65, v24, v25
	v_pk_min_f16 v23, 0x7c00, v165 op_sel_hi:[0,1]
	v_pk_min_f16 v24, 0x7c00, v166 op_sel_hi:[0,1]
	v_pk_min_f16 v63, v22, v164
	v_pk_min_f16 v22, 0x7c00, v173 op_sel_hi:[0,1]
	v_pk_min_f16 v18, 0x7c00, v18 op_sel_hi:[0,1]
	;; [unrolled: 1-line block ×3, first 2 shown]
	v_pk_min_f16 v81, v45, v148
	v_pk_min_f16 v45, 0x7c00, v139 op_sel_hi:[0,1]
	v_pk_min_f16 v77, v43, v151
	v_pk_min_f16 v76, v44, v152
	v_pk_min_f16 v43, 0x7c00, v142 op_sel_hi:[0,1]
	v_pk_min_f16 v44, 0x7c00, v143 op_sel_hi:[0,1]
	v_pk_min_f16 v72, v42, v155
	v_pk_min_f16 v42, 0x7c00, v161 op_sel_hi:[0,1]
	v_pk_min_f16 v66, v41, v160
	v_pk_min_f16 v25, 0x7c00, v169 op_sel_hi:[0,1]
	v_pk_min_f16 v41, 0x7c00, v170 op_sel_hi:[0,1]
	v_pk_min_f16 v62, v23, v167
	v_pk_min_f16 v61, v24, v168
	v_pk_min_f16 v23, 0x7c00, v38 op_sel_hi:[0,1]
	v_pk_min_f16 v24, 0x7c00, v26 op_sel_hi:[0,1]
	v_pk_min_f16 v58, v22, v40
	v_pk_min_f16 v56, v18, v19
	;; [unrolled: 1-line block ×3, first 2 shown]
	v_pk_min_f16 v18, 0x7c00, v28 op_sel_hi:[0,1]
	v_pk_min_f16 v19, 0x7c00, v30 op_sel_hi:[0,1]
	;; [unrolled: 1-line block ×5, first 2 shown]
	v_pk_min_f16 v75, v45, v153
	v_pk_min_f16 v70, v43, v156
	;; [unrolled: 1-line block ×13, first 2 shown]
	ds_write_b16 v16, v11 offset:4608
	ds_write_b16 v104, v12 offset:2048
	;; [unrolled: 1-line block ×5, first 2 shown]
	s_waitcnt lgkmcnt(0)
	s_barrier
	buffer_gl0_inv
	s_cbranch_scc1 .LBB228_58
; %bb.32:
	v_mad_i64_i32 v[10:11], null, s24, v10, 0
	v_lshlrev_b64 v[38:39], 1, v[2:3]
	v_lshlrev_b64 v[40:41], 1, v[4:5]
	;; [unrolled: 1-line block ×4, first 2 shown]
	v_add_nc_u32_e32 v116, 0x1000, v16
	v_or_b32_e32 v117, 0x1000, v99
	v_lshlrev_b64 v[10:11], 1, v[10:11]
	v_add_nc_u32_e32 v118, 0x1200, v16
	v_add_nc_u32_e32 v119, 0x800, v104
	v_lshl_add_u32 v120, v0, 3, 0x1200
	v_lshl_or_b32 v121, v1, 3, 0x800
	s_mov_b32 s24, 0
	v_add_co_u32 v2, s8, v10, v14
	v_add_co_ci_u32_e64 v3, null, 0, v11, s8
	v_add_co_u32 v2, s8, s20, v2
	v_add_co_ci_u32_e64 v3, null, s21, v3, s8
	s_add_i32 s20, s14, -8
	v_add_co_u32 v46, s8, v2, 24
	v_add_co_ci_u32_e64 v47, null, 0, v3, s8
	s_add_i32 s21, s14, -1
	s_branch .LBB228_34
.LBB228_33:                             ;   in Loop: Header=BB228_34 Depth=1
	s_or_b32 exec_lo, exec_lo, s9
	v_pk_add_f16 v6, v17, v34
	v_pk_max_f16 v7, v124, v124
	v_pk_add_f16 v8, v19, v34
	v_pk_max_f16 v21, v123, v123
	v_pk_add_f16 v123, v2, v34
	v_pk_max_f16 v115, v115, v115
	v_pk_min_f16 v6, v7, v6
	v_pk_max_f16 v7, v122, v122
	v_pk_add_f16 v122, v4, v34
	v_pk_add_f16 v124, v9, v34
	v_pk_max_f16 v114, v114, v114
	v_pk_add_f16 v130, v11, v34
	v_pk_min_f16 v8, v21, v8
	v_pk_min_f16 v7, v7, v123
	;; [unrolled: 1-line block ×3, first 2 shown]
	v_pk_add_f16 v115, v13, v34
	v_pk_max_f16 v112, v112, v112
	v_pk_add_f16 v34, v15, v34
	v_pk_max_f16 v111, v111, v111
	;; [unrolled: 2-line block ×4, first 2 shown]
	v_pk_min_f16 v114, v114, v124
	v_pk_add_f16 v124, v2, v36
	v_pk_min_f16 v112, v112, v115
	v_pk_min_f16 v34, v111, v34
	;; [unrolled: 1-line block ×4, first 2 shown]
	v_pk_add_f16 v111, v4, v36
	v_pk_max_f16 v107, v107, v107
	v_pk_add_f16 v115, v9, v36
	v_pk_add_f16 v122, v11, v36
	;; [unrolled: 1-line block ×4, first 2 shown]
	v_pk_max_f16 v102, v102, v102
	v_pk_max_f16 v106, v106, v106
	;; [unrolled: 1-line block ×4, first 2 shown]
	v_pk_min_f16 v107, v107, v111
	v_pk_min_f16 v36, v102, v36
	v_pk_add_f16 v102, v17, v30
	v_pk_max_f16 v101, v101, v101
	v_pk_add_f16 v111, v19, v30
	v_pk_max_f16 v100, v100, v100
	v_pk_min_f16 v106, v106, v115
	v_pk_min_f16 v105, v105, v122
	;; [unrolled: 1-line block ×3, first 2 shown]
	v_pk_add_f16 v115, v2, v30
	v_pk_max_f16 v97, v97, v97
	v_pk_add_f16 v122, v4, v30
	v_pk_max_f16 v96, v96, v96
	v_pk_add_f16 v123, v9, v30
	v_pk_min_f16 v101, v101, v102
	v_pk_min_f16 v100, v100, v111
	v_pk_add_f16 v102, v11, v30
	v_pk_max_f16 v93, v93, v93
	v_pk_add_f16 v111, v13, v30
	v_pk_add_f16 v30, v15, v30
	v_pk_max_f16 v91, v91, v91
	v_pk_min_f16 v97, v97, v115
	v_pk_min_f16 v96, v96, v122
	v_pk_max_f16 v92, v92, v92
	v_pk_add_f16 v115, v17, v32
	v_pk_max_f16 v90, v90, v90
	v_pk_add_f16 v122, v19, v32
	v_pk_max_f16 v89, v89, v89
	v_pk_min_f16 v93, v93, v102
	v_pk_min_f16 v30, v91, v30
	v_pk_add_f16 v91, v2, v32
	v_pk_max_f16 v88, v88, v88
	v_pk_add_f16 v102, v4, v32
	v_pk_max_f16 v87, v87, v87
	v_pk_min_f16 v92, v92, v111
	v_pk_min_f16 v90, v90, v115
	;; [unrolled: 1-line block ×3, first 2 shown]
	v_pk_add_f16 v111, v9, v32
	v_pk_max_f16 v86, v86, v86
	v_pk_add_f16 v115, v11, v32
	v_pk_max_f16 v85, v85, v85
	v_pk_add_f16 v122, v13, v32
	v_pk_min_f16 v88, v88, v91
	v_pk_min_f16 v87, v87, v102
	v_pk_add_f16 v32, v15, v32
	v_pk_max_f16 v83, v83, v83
	v_pk_add_f16 v91, v17, v26
	v_pk_max_f16 v82, v82, v82
	;; [unrolled: 2-line block ×3, first 2 shown]
	v_pk_min_f16 v86, v86, v111
	v_pk_min_f16 v85, v85, v115
	v_pk_add_f16 v111, v2, v26
	v_pk_max_f16 v80, v80, v80
	v_pk_add_f16 v115, v4, v26
	v_pk_min_f16 v32, v83, v32
	v_pk_min_f16 v82, v82, v91
	;; [unrolled: 1-line block ×3, first 2 shown]
	v_pk_add_f16 v83, v9, v26
	v_pk_add_f16 v91, v11, v26
	;; [unrolled: 1-line block ×4, first 2 shown]
	v_pk_max_f16 v74, v74, v74
	v_pk_min_f16 v80, v80, v111
	v_pk_max_f16 v77, v77, v77
	v_pk_max_f16 v76, v76, v76
	;; [unrolled: 1-line block ×3, first 2 shown]
	v_pk_add_f16 v111, v17, v28
	v_pk_max_f16 v73, v73, v73
	v_pk_min_f16 v26, v74, v26
	v_pk_add_f16 v74, v19, v28
	v_pk_max_f16 v72, v72, v72
	v_pk_min_f16 v77, v77, v83
	v_pk_min_f16 v76, v76, v91
	;; [unrolled: 1-line block ×4, first 2 shown]
	v_pk_add_f16 v83, v2, v28
	v_pk_add_f16 v91, v4, v28
	;; [unrolled: 1-line block ×3, first 2 shown]
	v_pk_max_f16 v68, v68, v68
	v_pk_add_f16 v111, v11, v28
	v_pk_min_f16 v72, v72, v74
	v_pk_add_f16 v74, v13, v28
	v_pk_add_f16 v28, v15, v28
	v_pk_max_f16 v65, v65, v65
	v_pk_max_f16 v79, v79, v79
	;; [unrolled: 1-line block ×4, first 2 shown]
	v_pk_min_f16 v68, v68, v102
	v_pk_max_f16 v66, v66, v66
	v_pk_add_f16 v102, v2, v22
	v_pk_min_f16 v28, v65, v28
	v_pk_add_f16 v65, v4, v22
	v_pk_add_f16 v2, v2, v24
	v_pk_max_f16 v54, v54, v54
	v_pk_add_f16 v4, v4, v24
	v_pk_max_f16 v53, v53, v53
	v_pk_max_f16 v94, v94, v94
	;; [unrolled: 1-line block ×3, first 2 shown]
	v_pk_min_f16 v79, v79, v115
	v_pk_max_f16 v70, v70, v70
	v_pk_min_f16 v69, v69, v91
	v_pk_min_f16 v67, v67, v111
	v_pk_add_f16 v91, v19, v22
	v_pk_max_f16 v63, v63, v63
	v_pk_max_f16 v62, v62, v62
	v_pk_min_f16 v66, v66, v74
	v_pk_add_f16 v74, v9, v22
	v_pk_add_f16 v19, v19, v24
	v_pk_max_f16 v55, v55, v55
	v_pk_add_f16 v9, v9, v24
	v_pk_max_f16 v52, v52, v52
	v_pk_min_f16 v111, v54, v2
	v_pk_min_f16 v115, v53, v4
	v_pk_add_f16 v2, v11, v24
	v_pk_max_f16 v4, v51, v51
	v_pk_max_f16 v113, v113, v113
	;; [unrolled: 1-line block ×3, first 2 shown]
	v_pk_min_f16 v94, v94, v123
	v_pk_min_f16 v84, v84, v122
	;; [unrolled: 1-line block ×3, first 2 shown]
	v_pk_add_f16 v83, v17, v22
	v_pk_min_f16 v63, v63, v91
	v_pk_min_f16 v62, v62, v102
	v_pk_add_f16 v91, v13, v22
	v_pk_add_f16 v17, v17, v24
	v_pk_min_f16 v102, v55, v19
	v_pk_min_f16 v122, v52, v9
	v_pk_add_f16 v9, v13, v24
	v_pk_add_f16 v13, v15, v24
	v_pk_add_f16 v19, v18, v35
	v_pk_add_f16 v24, v20, v35
	v_pk_min_f16 v123, v4, v2
	v_pk_add_f16 v2, v3, v35
	v_pk_min_f16 v113, v113, v130
	v_pk_min_f16 v108, v108, v124
	;; [unrolled: 1-line block ×4, first 2 shown]
	v_pk_add_f16 v4, v5, v35
	v_pk_add_f16 v6, v10, v35
	;; [unrolled: 1-line block ×3, first 2 shown]
	v_pk_min_f16 v135, v7, v2
	v_pk_add_f16 v7, v3, v37
	v_pk_min_f16 v136, v21, v4
	v_pk_min_f16 v114, v114, v6
	v_pk_min_f16 v113, v113, v8
	v_pk_add_f16 v2, v16, v35
	v_pk_add_f16 v4, v18, v37
	v_pk_add_f16 v6, v20, v37
	v_pk_add_f16 v8, v5, v37
	v_pk_min_f16 v108, v108, v7
	v_pk_add_f16 v7, v16, v37
	v_pk_min_f16 v137, v34, v2
	v_pk_min_f16 v110, v110, v4
	v_pk_min_f16 v109, v109, v6
	v_pk_min_f16 v107, v107, v8
	v_pk_add_f16 v2, v10, v37
	v_pk_add_f16 v4, v12, v37
	v_pk_add_f16 v6, v14, v37
	v_pk_add_f16 v8, v18, v31
	v_pk_min_f16 v138, v36, v7
	v_pk_add_f16 v7, v10, v31
	v_pk_min_f16 v106, v106, v2
	;; [unrolled: 10-line block ×3, first 2 shown]
	v_pk_min_f16 v97, v97, v4
	v_pk_min_f16 v96, v96, v6
	;; [unrolled: 1-line block ×3, first 2 shown]
	v_pk_add_f16 v2, v14, v31
	v_pk_add_f16 v4, v16, v31
	;; [unrolled: 1-line block ×4, first 2 shown]
	v_pk_min_f16 v89, v89, v7
	v_pk_add_f16 v7, v14, v33
	v_pk_max_f16 v61, v61, v61
	v_pk_min_f16 v92, v92, v2
	v_pk_min_f16 v139, v30, v4
	;; [unrolled: 1-line block ×4, first 2 shown]
	v_pk_add_f16 v2, v5, v33
	v_pk_add_f16 v4, v10, v33
	;; [unrolled: 1-line block ×4, first 2 shown]
	v_pk_min_f16 v84, v84, v7
	v_pk_add_f16 v7, v5, v27
	v_pk_max_f16 v64, v64, v64
	v_pk_max_f16 v58, v58, v58
	v_pk_min_f16 v65, v61, v65
	v_pk_min_f16 v87, v87, v2
	;; [unrolled: 1-line block ×5, first 2 shown]
	v_pk_add_f16 v2, v18, v27
	v_pk_add_f16 v4, v20, v27
	;; [unrolled: 1-line block ×4, first 2 shown]
	v_pk_min_f16 v61, v79, v7
	v_pk_add_f16 v7, v18, v29
	v_pk_min_f16 v64, v64, v83
	v_pk_max_f16 v60, v60, v60
	v_pk_add_f16 v83, v11, v22
	v_pk_max_f16 v59, v59, v59
	v_pk_add_f16 v22, v15, v22
	v_pk_max_f16 v57, v57, v57
	v_pk_min_f16 v91, v58, v91
	v_pk_min_f16 v82, v82, v2
	v_pk_min_f16 v81, v81, v4
	v_pk_min_f16 v80, v80, v6
	v_pk_min_f16 v58, v77, v8
	v_pk_add_f16 v2, v12, v27
	v_pk_add_f16 v4, v14, v27
	;; [unrolled: 1-line block ×4, first 2 shown]
	v_pk_min_f16 v55, v73, v7
	v_pk_add_f16 v7, v12, v29
	v_pk_min_f16 v74, v60, v74
	v_pk_min_f16 v83, v59, v83
	;; [unrolled: 1-line block ×3, first 2 shown]
	v_pk_max_f16 v56, v56, v56
	v_pk_max_f16 v11, v50, v50
	v_pk_min_f16 v60, v76, v2
	v_pk_min_f16 v59, v75, v4
	;; [unrolled: 1-line block ×4, first 2 shown]
	v_pk_add_f16 v2, v3, v29
	v_pk_add_f16 v4, v5, v29
	;; [unrolled: 1-line block ×4, first 2 shown]
	v_pk_min_f16 v51, v67, v7
	v_pk_add_f16 v7, v3, v23
	v_pk_min_f16 v17, v56, v17
	v_pk_max_f16 v15, v49, v49
	v_pk_min_f16 v11, v11, v9
	v_pk_add_f16 v9, v14, v35
	v_pk_min_f16 v56, v70, v2
	v_pk_min_f16 v53, v69, v4
	;; [unrolled: 1-line block ×4, first 2 shown]
	v_pk_add_f16 v2, v16, v29
	v_pk_add_f16 v4, v18, v23
	;; [unrolled: 1-line block ×4, first 2 shown]
	v_pk_min_f16 v35, v62, v7
	v_pk_add_f16 v7, v16, v23
	v_pk_min_f16 v50, v28, v2
	v_pk_min_f16 v37, v64, v4
	;; [unrolled: 1-line block ×4, first 2 shown]
	v_pk_add_f16 v2, v10, v23
	v_pk_add_f16 v4, v12, v23
	;; [unrolled: 1-line block ×4, first 2 shown]
	v_pk_min_f16 v26, v22, v7
	ds_read2_b64 v[21:24], v117 offset1:8
	ds_read2_b64 v[62:65], v98 offset1:32
	v_pk_min_f16 v13, v15, v13
	v_pk_min_f16 v32, v74, v2
	;; [unrolled: 1-line block ×3, first 2 shown]
	v_pk_add_f16 v2, v20, v25
	ds_read2_b64 v[17:20], v117 offset0:16 offset1:24
	v_pk_min_f16 v112, v112, v9
	v_pk_min_f16 v28, v91, v6
	v_pk_add_f16 v27, v3, v25
	ds_read2_b64 v[6:9], v117 offset0:32 offset1:40
	v_pk_add_f16 v14, v14, v25
	v_pk_add_f16 v70, v16, v25
	;; [unrolled: 1-line block ×3, first 2 shown]
	v_pk_min_f16 v33, v111, v27
	v_pk_max_f16 v111, v124, v124
	v_pk_min_f16 v16, v11, v14
	v_pk_min_f16 v14, v13, v70
	;; [unrolled: 1-line block ×4, first 2 shown]
	v_pk_add_f16 v29, v5, v25
	s_waitcnt lgkmcnt(2)
	v_pk_add_f16 v70, v21, v62
	ds_read2_b64 v[2:5], v117 offset0:48 offset1:56
	v_pk_add_f16 v10, v10, v25
	v_pk_min_f16 v25, v123, v12
	v_pk_add_f16 v72, v23, v62
	s_waitcnt lgkmcnt(2)
	v_pk_add_f16 v73, v17, v62
	v_pk_max_f16 v123, v134, v134
	v_pk_min_f16 v70, v111, v70
	v_pk_max_f16 v111, v135, v135
	v_pk_min_f16 v27, v122, v10
	v_pk_add_f16 v122, v24, v63
	v_pk_add_f16 v154, v18, v63
	v_pk_min_f16 v72, v123, v72
	v_pk_min_f16 v73, v111, v73
	s_waitcnt lgkmcnt(1)
	v_pk_add_f16 v75, v6, v62
	v_pk_add_f16 v76, v8, v62
	;; [unrolled: 1-line block ×3, first 2 shown]
	v_pk_min_f16 v123, v72, v122
	v_pk_min_f16 v122, v73, v154
	v_pk_max_f16 v73, v114, v114
	v_pk_max_f16 v111, v113, v113
	s_waitcnt lgkmcnt(0)
	v_pk_add_f16 v77, v2, v62
	v_pk_add_f16 v157, v9, v63
	;; [unrolled: 1-line block ×3, first 2 shown]
	v_pk_min_f16 v73, v73, v75
	v_pk_min_f16 v76, v111, v76
	v_pk_add_f16 v62, v4, v62
	v_pk_add_f16 v79, v21, v64
	;; [unrolled: 1-line block ×3, first 2 shown]
	v_pk_min_f16 v114, v73, v156
	v_pk_max_f16 v73, v112, v112
	v_pk_min_f16 v113, v76, v157
	v_pk_max_f16 v76, v137, v137
	v_pk_add_f16 v102, v19, v64
	v_pk_add_f16 v159, v22, v65
	v_pk_min_f16 v73, v73, v77
	v_pk_max_f16 v77, v110, v110
	v_pk_min_f16 v62, v76, v62
	v_pk_max_f16 v76, v107, v107
	ds_read2_b64 v[66:69], v98 offset0:64 offset1:96
	v_pk_min_f16 v112, v73, v158
	v_pk_min_f16 v73, v77, v79
	v_pk_add_f16 v91, v17, v64
	v_pk_add_f16 v162, v20, v65
	v_pk_min_f16 v76, v76, v102
	v_pk_add_f16 v142, v8, v64
	v_pk_min_f16 v110, v73, v159
	v_pk_max_f16 v73, v108, v108
	v_pk_add_f16 v161, v18, v65
	v_pk_min_f16 v107, v76, v162
	v_pk_max_f16 v76, v105, v105
	ds_read2_b64 v[130:133], v98 offset0:128 offset1:160
	ds_read2_b64 v[10:13], v98 offset0:192 offset1:224
	v_pk_min_f16 v73, v73, v91
	v_pk_add_f16 v141, v6, v64
	v_pk_add_f16 v164, v9, v65
	v_pk_min_f16 v76, v76, v142
	v_pk_min_f16 v29, v115, v29
	;; [unrolled: 1-line block ×3, first 2 shown]
	v_pk_max_f16 v73, v106, v106
	v_pk_add_f16 v83, v23, v64
	v_pk_add_f16 v143, v2, v64
	;; [unrolled: 1-line block ×7, first 2 shown]
	v_pk_min_f16 v73, v73, v141
	v_pk_max_f16 v77, v103, v103
	v_pk_min_f16 v105, v76, v164
	v_pk_max_f16 v76, v138, v138
	s_waitcnt lgkmcnt(2)
	v_pk_add_f16 v146, v17, v66
	v_pk_add_f16 v160, v24, v65
	v_pk_add_f16 v165, v3, v65
	v_pk_add_f16 v65, v5, v65
	v_pk_max_f16 v72, v136, v136
	v_pk_min_f16 v111, v62, v63
	v_pk_max_f16 v62, v109, v109
	v_pk_min_f16 v106, v73, v163
	v_pk_min_f16 v73, v77, v143
	;; [unrolled: 1-line block ×3, first 2 shown]
	v_pk_max_f16 v77, v97, v97
	v_pk_add_f16 v145, v23, v66
	v_pk_add_f16 v147, v19, v66
	v_pk_min_f16 v72, v72, v74
	v_pk_min_f16 v62, v62, v83
	v_pk_max_f16 v76, v100, v100
	v_pk_min_f16 v77, v77, v146
	v_pk_min_f16 v102, v64, v65
	v_pk_add_f16 v64, v18, v67
	v_pk_max_f16 v65, v96, v96
	v_pk_add_f16 v144, v21, v66
	v_pk_add_f16 v148, v6, v66
	;; [unrolled: 1-line block ×13, first 2 shown]
	v_pk_min_f16 v124, v70, v115
	s_waitcnt lgkmcnt(1)
	v_pk_add_f16 v70, v21, v130
	v_pk_add_f16 v135, v23, v130
	v_pk_add_f16 v136, v17, v130
	v_pk_add_f16 v154, v19, v130
	v_pk_add_f16 v74, v6, v130
	v_pk_add_f16 v75, v8, v130
	v_pk_min_f16 v115, v72, v155
	v_pk_add_f16 v72, v2, v130
	v_pk_add_f16 v130, v4, v130
	;; [unrolled: 1-line block ×10, first 2 shown]
	s_waitcnt lgkmcnt(0)
	v_pk_add_f16 v159, v21, v10
	v_pk_add_f16 v170, v23, v10
	v_pk_min_f16 v109, v62, v160
	v_pk_add_f16 v62, v17, v10
	v_pk_add_f16 v160, v19, v10
	;; [unrolled: 1-line block ×12, first 2 shown]
	v_pk_min_f16 v76, v76, v145
	v_pk_add_f16 v83, v24, v67
	v_pk_add_f16 v2, v2, v12
	;; [unrolled: 1-line block ×3, first 2 shown]
	v_pk_min_f16 v97, v77, v64
	v_pk_add_f16 v12, v20, v67
	v_pk_max_f16 v64, v94, v94
	v_pk_min_f16 v65, v65, v147
	v_pk_min_f16 v100, v76, v83
	v_pk_add_f16 v76, v7, v67
	v_pk_min_f16 v103, v73, v165
	v_pk_min_f16 v64, v64, v148
	;; [unrolled: 1-line block ×3, first 2 shown]
	v_pk_max_f16 v12, v139, v139
	v_pk_max_f16 v73, v101, v101
	v_pk_add_f16 v79, v22, v67
	v_pk_min_f16 v94, v64, v76
	v_pk_add_f16 v64, v5, v67
	v_pk_min_f16 v12, v12, v66
	v_pk_min_f16 v73, v73, v144
	v_pk_max_f16 v77, v92, v92
	v_pk_max_f16 v65, v90, v90
	v_pk_add_f16 v83, v3, v67
	v_pk_min_f16 v91, v12, v64
	v_pk_max_f16 v12, v87, v87
	v_pk_add_f16 v64, v20, v69
	v_pk_min_f16 v101, v73, v79
	v_pk_add_f16 v79, v9, v67
	v_pk_min_f16 v77, v77, v150
	v_pk_min_f16 v12, v12, v166
	v_pk_add_f16 v67, v22, v69
	v_pk_min_f16 v65, v65, v151
	v_pk_max_f16 v73, v93, v93
	v_pk_min_f16 v92, v77, v83
	v_pk_min_f16 v87, v12, v64
	v_pk_max_f16 v12, v140, v140
	v_pk_add_f16 v64, v5, v69
	v_pk_max_f16 v66, v89, v89
	v_pk_min_f16 v90, v65, v67
	v_pk_max_f16 v65, v86, v86
	v_pk_min_f16 v12, v12, v68
	v_pk_min_f16 v73, v73, v149
	v_pk_add_f16 v76, v24, v69
	v_pk_min_f16 v66, v66, v152
	v_pk_add_f16 v67, v7, v69
	v_pk_min_f16 v83, v12, v64
	v_pk_max_f16 v12, v61, v61
	v_pk_min_f16 v65, v65, v167
	v_pk_add_f16 v61, v20, v131
	v_pk_min_f16 v93, v73, v79
	v_pk_min_f16 v89, v66, v76
	;; [unrolled: 1-line block ×3, first 2 shown]
	v_pk_max_f16 v66, v85, v85
	v_pk_min_f16 v86, v65, v67
	v_pk_max_f16 v65, v82, v82
	v_pk_max_f16 v73, v88, v88
	v_pk_min_f16 v79, v12, v61
	v_pk_max_f16 v12, v57, v57
	v_pk_add_f16 v76, v9, v69
	v_pk_min_f16 v66, v66, v134
	v_pk_add_f16 v67, v22, v131
	v_pk_min_f16 v65, v65, v70
	v_pk_max_f16 v58, v58, v58
	v_pk_max_f16 v60, v60, v60
	v_pk_add_f16 v57, v5, v131
	v_pk_min_f16 v12, v12, v130
	v_pk_add_f16 v77, v18, v69
	v_pk_min_f16 v73, v73, v153
	v_pk_min_f16 v85, v66, v76
	v_pk_max_f16 v66, v81, v81
	v_pk_max_f16 v68, v80, v80
	v_pk_min_f16 v82, v65, v67
	v_pk_min_f16 v58, v58, v74
	v_pk_add_f16 v65, v9, v131
	v_pk_min_f16 v60, v60, v75
	v_pk_max_f16 v56, v56, v56
	v_pk_min_f16 v74, v12, v57
	v_pk_max_f16 v12, v53, v53
	v_pk_min_f16 v88, v73, v77
	v_pk_add_f16 v77, v3, v69
	v_pk_add_f16 v69, v24, v131
	v_pk_min_f16 v66, v66, v135
	v_pk_add_f16 v70, v18, v131
	v_pk_min_f16 v68, v68, v136
	v_pk_max_f16 v59, v59, v59
	v_pk_min_f16 v76, v60, v65
	v_pk_add_f16 v60, v18, v133
	v_pk_min_f16 v56, v56, v156
	v_pk_add_f16 v53, v20, v133
	v_pk_min_f16 v12, v12, v157
	v_pk_max_f16 v49, v49, v49
	v_pk_max_f16 v73, v84, v84
	v_pk_min_f16 v81, v66, v69
	v_pk_min_f16 v80, v68, v70
	v_pk_add_f16 v66, v3, v131
	v_pk_min_f16 v59, v59, v72
	v_pk_min_f16 v70, v56, v60
	v_pk_add_f16 v56, v3, v133
	v_pk_min_f16 v49, v49, v63
	v_pk_min_f16 v69, v12, v53
	v_pk_max_f16 v12, v50, v50
	v_pk_min_f16 v73, v73, v168
	v_pk_add_f16 v64, v7, v131
	v_pk_min_f16 v75, v59, v66
	v_pk_max_f16 v55, v55, v55
	v_pk_max_f16 v54, v54, v54
	v_pk_min_f16 v66, v49, v56
	v_pk_add_f16 v49, v5, v133
	v_pk_min_f16 v12, v12, v132
	v_pk_min_f16 v84, v73, v77
	;; [unrolled: 1-line block ×3, first 2 shown]
	v_pk_add_f16 v58, v22, v133
	v_pk_min_f16 v55, v55, v155
	v_pk_add_f16 v59, v24, v133
	v_pk_min_f16 v54, v54, v137
	v_pk_max_f16 v52, v52, v52
	v_pk_max_f16 v51, v51, v51
	v_pk_min_f16 v65, v12, v49
	v_pk_max_f16 v12, v31, v31
	v_pk_min_f16 v73, v55, v58
	v_pk_min_f16 v72, v54, v59
	v_pk_add_f16 v54, v7, v133
	v_pk_min_f16 v52, v52, v158
	v_pk_add_f16 v55, v9, v133
	v_pk_min_f16 v51, v51, v169
	v_pk_max_f16 v37, v37, v37
	v_pk_max_f16 v36, v36, v36
	;; [unrolled: 1-line block ×3, first 2 shown]
	v_pk_add_f16 v31, v20, v11
	v_pk_min_f16 v12, v12, v160
	v_pk_min_f16 v68, v52, v54
	;; [unrolled: 1-line block ×3, first 2 shown]
	v_pk_add_f16 v50, v22, v11
	v_pk_min_f16 v37, v37, v159
	v_pk_add_f16 v51, v24, v11
	v_pk_min_f16 v36, v36, v170
	;; [unrolled: 2-line block ×3, first 2 shown]
	v_pk_min_f16 v61, v12, v31
	v_pk_max_f16 v12, v26, v26
	v_pk_min_f16 v64, v37, v50
	v_pk_min_f16 v63, v36, v51
	;; [unrolled: 1-line block ×3, first 2 shown]
	v_pk_add_f16 v35, v7, v11
	v_pk_add_f16 v36, v9, v11
	;; [unrolled: 1-line block ×4, first 2 shown]
	v_pk_max_f16 v15, v15, v15
	v_pk_min_f16 v10, v12, v10
	v_pk_max_f16 v12, v34, v34
	v_pk_add_f16 v22, v22, v13
	v_pk_max_f16 v32, v32, v32
	v_pk_min_f16 v15, v15, v21
	v_pk_min_f16 v57, v10, v11
	v_pk_max_f16 v11, v27, v27
	v_pk_max_f16 v30, v30, v30
	;; [unrolled: 1-line block ×4, first 2 shown]
	v_pk_add_f16 v21, v24, v13
	v_pk_min_f16 v12, v12, v23
	v_pk_min_f16 v56, v15, v22
	v_pk_max_f16 v10, v29, v29
	v_pk_max_f16 v15, v25, v25
	v_pk_min_f16 v6, v11, v6
	v_pk_max_f16 v11, v16, v16
	v_pk_max_f16 v14, v14, v14
	v_pk_min_f16 v32, v32, v161
	v_pk_min_f16 v30, v30, v162
	;; [unrolled: 1-line block ×3, first 2 shown]
	v_pk_add_f16 v18, v18, v13
	v_pk_min_f16 v17, v26, v17
	v_pk_min_f16 v55, v12, v21
	v_pk_add_f16 v12, v20, v13
	v_pk_min_f16 v10, v10, v19
	v_pk_add_f16 v7, v7, v13
	v_pk_add_f16 v9, v9, v13
	v_pk_min_f16 v8, v15, v8
	v_pk_add_f16 v3, v3, v13
	v_pk_min_f16 v2, v11, v2
	;; [unrolled: 2-line block ×3, first 2 shown]
	v_add_co_u32 v46, s8, v46, 16
	v_pk_min_f16 v60, v32, v35
	v_pk_min_f16 v59, v30, v36
	v_pk_min_f16 v58, v28, v37
	v_pk_min_f16 v54, v17, v18
	v_pk_min_f16 v53, v10, v12
	v_pk_min_f16 v52, v6, v7
	v_pk_min_f16 v51, v8, v9
	v_pk_min_f16 v50, v2, v3
	v_pk_min_f16 v49, v4, v5
	v_add_co_ci_u32_e64 v47, null, 0, v47, s8
	s_add_i32 s24, s24, 8
	ds_write_b16 v118, v125
	ds_write_b16 v119, v126
	ds_write_b16 v119, v127 offset:512
	ds_write_b16 v119, v128 offset:1024
	;; [unrolled: 1-line block ×3, first 2 shown]
	s_cmp_ge_i32 s24, s20
	s_waitcnt lgkmcnt(0)
	s_barrier
	buffer_gl0_inv
	s_cbranch_scc1 .LBB228_58
.LBB228_34:                             ; =>This Inner Loop Header: Depth=1
	v_add_nc_u32_e32 v7, s24, v78
                                        ; implicit-def: $vgpr8
	v_add_nc_u32_e32 v2, 8, v7
	v_cmp_le_i32_e64 s8, s14, v2
	s_or_b32 s9, s8, vcc_lo
	s_nor_b32 s8, s0, s9
	s_and_saveexec_b32 s25, s8
	s_xor_b32 s25, exec_lo, s25
	s_cbranch_execz .LBB228_36
; %bb.35:                               ;   in Loop: Header=BB228_34 Depth=1
	v_add_co_u32 v2, s8, -8, v46
	v_add_co_ci_u32_e64 v3, null, -1, v47, s8
	flat_load_ushort v2, v[2:3]
	s_waitcnt vmcnt(0) lgkmcnt(0)
	v_mul_f16_e32 v8, v71, v2
.LBB228_36:                             ;   in Loop: Header=BB228_34 Depth=1
	s_andn2_saveexec_b32 s8, s25
; %bb.37:                               ;   in Loop: Header=BB228_34 Depth=1
	v_cndmask_b32_e64 v8, 0, 0x7c00, s9
; %bb.38:                               ;   in Loop: Header=BB228_34 Depth=1
	s_or_b32 exec_lo, exec_lo, s8
	v_add_nc_u32_e32 v6, s24, v95
	v_add_nc_u32_e32 v4, 8, v6
	v_min_i32_e32 v2, s21, v4
	v_cmp_le_i32_e64 s8, s14, v4
	v_mad_i64_i32 v[2:3], null, v2, s23, 0
	v_lshlrev_b64 v[2:3], 1, v[2:3]
	v_add_co_u32 v2, s9, s18, v2
	v_add_co_ci_u32_e64 v3, null, s19, v3, s9
	s_or_b32 s9, s2, s8
	v_cndmask_b32_e64 v21, 0, 0x7c00, s9
	s_nor_b32 s9, s0, s9
	s_and_saveexec_b32 s25, s9
	s_cbranch_execz .LBB228_40
; %bb.39:                               ;   in Loop: Header=BB228_34 Depth=1
	v_add_co_u32 v4, s9, v2, v38
	v_add_co_ci_u32_e64 v5, null, v3, v39, s9
	flat_load_ushort v4, v[4:5]
	s_waitcnt vmcnt(0) lgkmcnt(0)
	v_mul_f16_e32 v21, v71, v4
.LBB228_40:                             ;   in Loop: Header=BB228_34 Depth=1
	s_or_b32 exec_lo, exec_lo, s25
	s_or_b32 s9, s3, s8
	v_cndmask_b32_e64 v125, 0, 0x7c00, s9
	s_nor_b32 s9, s9, s0
	s_and_saveexec_b32 s25, s9
	s_cbranch_execz .LBB228_42
; %bb.41:                               ;   in Loop: Header=BB228_34 Depth=1
	v_add_co_u32 v4, s9, v2, v40
	v_add_co_ci_u32_e64 v5, null, v3, v41, s9
	flat_load_ushort v4, v[4:5]
	s_waitcnt vmcnt(0) lgkmcnt(0)
	v_mul_f16_e32 v125, v71, v4
.LBB228_42:                             ;   in Loop: Header=BB228_34 Depth=1
	s_or_b32 exec_lo, exec_lo, s25
	;; [unrolled: 13-line block ×4, first 2 shown]
	ds_read2_b64 v[17:20], v120 offset1:8
	ds_read2_b64 v[2:5], v120 offset0:16 offset1:24
	ds_read2_b64 v[9:12], v120 offset0:32 offset1:40
	;; [unrolled: 1-line block ×3, first 2 shown]
	ds_read2_b64 v[34:37], v121 offset1:32
	ds_read2_b64 v[30:33], v121 offset0:64 offset1:96
	ds_read2_b64 v[26:29], v121 offset0:128 offset1:160
	;; [unrolled: 1-line block ×3, first 2 shown]
	v_add_nc_u32_e32 v7, 12, v7
	ds_write_b16 v116, v8
	ds_write_b16 v104, v21
	ds_write_b16 v104, v125 offset:512
	ds_write_b16 v104, v126 offset:1024
	;; [unrolled: 1-line block ×3, first 2 shown]
	s_waitcnt lgkmcnt(0)
	s_barrier
	v_cmp_le_i32_e64 s8, s14, v7
	buffer_gl0_inv
                                        ; implicit-def: $vgpr125
	s_or_b32 s8, s8, vcc_lo
	s_nor_b32 s9, s0, s8
	s_and_saveexec_b32 s25, s9
	s_xor_b32 s9, exec_lo, s25
	s_cbranch_execz .LBB228_48
; %bb.47:                               ;   in Loop: Header=BB228_34 Depth=1
	flat_load_ushort v7, v[46:47]
	s_waitcnt vmcnt(0) lgkmcnt(0)
	v_mul_f16_e32 v125, v71, v7
.LBB228_48:                             ;   in Loop: Header=BB228_34 Depth=1
	s_andn2_saveexec_b32 s9, s9
; %bb.49:                               ;   in Loop: Header=BB228_34 Depth=1
	v_cndmask_b32_e64 v125, 0, 0x7c00, s8
; %bb.50:                               ;   in Loop: Header=BB228_34 Depth=1
	s_or_b32 exec_lo, exec_lo, s9
	v_add_nc_u32_e32 v8, 12, v6
	v_min_i32_e32 v6, s21, v8
	v_cmp_le_i32_e64 s8, s14, v8
	v_mad_i64_i32 v[6:7], null, v6, s23, 0
	v_lshlrev_b64 v[6:7], 1, v[6:7]
	v_add_co_u32 v6, s9, s18, v6
	v_add_co_ci_u32_e64 v7, null, s19, v7, s9
	s_or_b32 s9, s2, s8
	v_cndmask_b32_e64 v126, 0, 0x7c00, s9
	s_nor_b32 s9, s0, s9
	s_and_saveexec_b32 s25, s9
	s_cbranch_execz .LBB228_52
; %bb.51:                               ;   in Loop: Header=BB228_34 Depth=1
	v_add_co_u32 v126, s9, v6, v38
	v_add_co_ci_u32_e64 v127, null, v7, v39, s9
	flat_load_ushort v8, v[126:127]
	s_waitcnt vmcnt(0) lgkmcnt(0)
	v_mul_f16_e32 v126, v71, v8
.LBB228_52:                             ;   in Loop: Header=BB228_34 Depth=1
	s_or_b32 exec_lo, exec_lo, s25
	s_or_b32 s9, s3, s8
	v_cndmask_b32_e64 v127, 0, 0x7c00, s9
	s_nor_b32 s9, s9, s0
	s_and_saveexec_b32 s25, s9
	s_cbranch_execz .LBB228_54
; %bb.53:                               ;   in Loop: Header=BB228_34 Depth=1
	v_add_co_u32 v127, s9, v6, v40
	v_add_co_ci_u32_e64 v128, null, v7, v41, s9
	flat_load_ushort v8, v[127:128]
	s_waitcnt vmcnt(0) lgkmcnt(0)
	v_mul_f16_e32 v127, v71, v8
.LBB228_54:                             ;   in Loop: Header=BB228_34 Depth=1
	s_or_b32 exec_lo, exec_lo, s25
	;; [unrolled: 13-line block ×3, first 2 shown]
	s_or_b32 s8, s7, s8
	v_cndmask_b32_e64 v129, 0, 0x7c00, s8
	s_nor_b32 s8, s8, s0
	s_and_saveexec_b32 s9, s8
	s_cbranch_execz .LBB228_33
; %bb.57:                               ;   in Loop: Header=BB228_34 Depth=1
	v_add_co_u32 v6, s8, v6, v44
	v_add_co_ci_u32_e64 v7, null, v7, v45, s8
	flat_load_ushort v6, v[6:7]
	s_waitcnt vmcnt(0) lgkmcnt(0)
	v_mul_f16_e32 v129, v71, v6
	s_branch .LBB228_33
.LBB228_58:
	s_clause 0x2
	s_load_dword s14, s[4:5], 0x58
	s_load_dword s9, s[4:5], 0x70
	s_load_dwordx2 s[2:3], s[4:5], 0x78
	v_add_nc_u32_e32 v2, 0x1000, v99
	v_add_nc_u32_e32 v78, s22, v1
	;; [unrolled: 1-line block ×4, first 2 shown]
	ds_read2_b64 v[16:19], v2 offset0:64 offset1:72
	ds_read2_b64 v[12:15], v2 offset0:80 offset1:88
	;; [unrolled: 1-line block ×4, first 2 shown]
	ds_read2_b64 v[28:31], v4 offset1:32
	ds_read2_b64 v[24:27], v4 offset0:64 offset1:96
	ds_read2_b64 v[20:23], v4 offset0:128 offset1:160
	;; [unrolled: 1-line block ×3, first 2 shown]
	v_cmp_gt_i32_e64 s0, s12, v32
	v_cmp_gt_i32_e64 s8, s13, v78
	v_ashrrev_i32_e32 v33, 31, v32
	v_cndmask_b32_e64 v71, 0, 1, s1
	s_waitcnt lgkmcnt(0)
	v_mad_i64_i32 v[34:35], null, v78, s14, 0
	v_mad_i64_i32 v[36:37], null, v78, s9, 0
	s_lshl_b64 s[2:3], s[2:3], 1
	s_add_u32 s10, s10, s2
	s_addc_u32 s11, s11, s3
	v_lshlrev_b64 v[34:35], 1, v[34:35]
	s_and_b32 s3, s0, s8
	v_lshlrev_b64 v[36:37], 1, v[36:37]
	v_add_co_u32 v99, vcc_lo, s16, v34
	v_add_co_ci_u32_e64 v104, null, s17, v35, vcc_lo
	v_add_co_u32 v95, vcc_lo, s10, v36
	v_add_co_ci_u32_e64 v98, null, s11, v37, vcc_lo
	s_and_saveexec_b32 s2, s3
	s_cbranch_execz .LBB228_63
; %bb.59:
	s_andn2_b32 vcc_lo, exec_lo, s1
	s_cbranch_vccnz .LBB228_61
; %bb.60:
	v_lshlrev_b64 v[34:35], 1, v[32:33]
	v_add_co_u32 v34, vcc_lo, v99, v34
	v_add_co_ci_u32_e64 v35, null, v104, v35, vcc_lo
	flat_load_ushort v34, v[34:35]
	s_waitcnt vmcnt(0) lgkmcnt(0)
	v_mul_f16_e32 v34, v48, v34
	v_cvt_f32_f16_e32 v34, v34
	s_branch .LBB228_62
.LBB228_61:
	v_mov_b32_e32 v34, 0
.LBB228_62:
	v_pk_add_f16 v35, v16, v28
	v_pk_add_f16 v36, v17, v29
	v_max_f16_e32 v37, v124, v124
	v_lshrrev_b32_e32 v38, 16, v124
	v_max_f32_e32 v34, v34, v34
	v_lshrrev_b32_e32 v39, 16, v35
	v_lshrrev_b32_e32 v40, 16, v36
	v_min_f16_e32 v35, v37, v35
	v_min3_f16 v37, v38, v39, v40
	v_min3_f16 v35, v35, v36, v37
	v_cvt_f32_f16_e32 v35, v35
	v_min_f32_e32 v36, v34, v35
	v_lshlrev_b64 v[34:35], 1, v[32:33]
	v_cvt_f16_f32_e32 v36, v36
	v_add_co_u32 v34, vcc_lo, v95, v34
	v_add_co_ci_u32_e64 v35, null, v98, v35, vcc_lo
	flat_store_short v[34:35], v36
.LBB228_63:
	s_or_b32 exec_lo, exec_lo, s2
	v_add_nc_u32_e32 v34, 8, v32
	v_cmp_gt_i32_e64 s1, s12, v34
	v_ashrrev_i32_e32 v35, 31, v34
	s_and_b32 s3, s1, s8
	s_and_saveexec_b32 s2, s3
	s_cbranch_execz .LBB228_68
; %bb.64:
	v_cmp_ne_u32_e32 vcc_lo, 1, v71
	s_cbranch_vccnz .LBB228_66
; %bb.65:
	v_lshlrev_b64 v[36:37], 1, v[34:35]
	v_add_co_u32 v36, vcc_lo, v99, v36
	v_add_co_ci_u32_e64 v37, null, v104, v37, vcc_lo
	flat_load_ushort v36, v[36:37]
	s_waitcnt vmcnt(0) lgkmcnt(0)
	v_mul_f16_e32 v36, v48, v36
	v_cvt_f32_f16_e32 v36, v36
	s_branch .LBB228_67
.LBB228_66:
	v_mov_b32_e32 v36, 0
.LBB228_67:
	v_pk_add_f16 v37, v18, v28
	v_pk_add_f16 v38, v19, v29
	v_max_f16_e32 v39, v123, v123
	v_lshrrev_b32_e32 v40, 16, v123
	v_max_f32_e32 v36, v36, v36
	v_lshrrev_b32_e32 v41, 16, v37
	v_lshrrev_b32_e32 v42, 16, v38
	v_min_f16_e32 v37, v39, v37
	v_min3_f16 v39, v40, v41, v42
	v_min3_f16 v37, v37, v38, v39
	v_cvt_f32_f16_e32 v37, v37
	v_min_f32_e32 v38, v36, v37
	v_lshlrev_b64 v[36:37], 1, v[34:35]
	v_cvt_f16_f32_e32 v38, v38
	v_add_co_u32 v36, vcc_lo, v95, v36
	v_add_co_ci_u32_e64 v37, null, v98, v37, vcc_lo
	flat_store_short v[36:37], v38
.LBB228_68:
	s_or_b32 exec_lo, exec_lo, s2
	v_add_nc_u32_e32 v36, 16, v32
	v_cmp_gt_i32_e64 s2, s12, v36
	v_ashrrev_i32_e32 v37, 31, v36
	s_and_b32 s4, s2, s8
	s_and_saveexec_b32 s3, s4
	s_cbranch_execz .LBB228_73
; %bb.69:
	v_cmp_ne_u32_e32 vcc_lo, 1, v71
	s_cbranch_vccnz .LBB228_71
; %bb.70:
	v_lshlrev_b64 v[38:39], 1, v[36:37]
	v_add_co_u32 v38, vcc_lo, v99, v38
	v_add_co_ci_u32_e64 v39, null, v104, v39, vcc_lo
	flat_load_ushort v38, v[38:39]
	s_waitcnt vmcnt(0) lgkmcnt(0)
	v_mul_f16_e32 v38, v48, v38
	v_cvt_f32_f16_e32 v38, v38
	s_branch .LBB228_72
.LBB228_71:
	v_mov_b32_e32 v38, 0
.LBB228_72:
	v_pk_add_f16 v39, v12, v28
	v_pk_add_f16 v40, v13, v29
	v_max_f16_e32 v41, v122, v122
	v_lshrrev_b32_e32 v42, 16, v122
	v_max_f32_e32 v38, v38, v38
	v_lshrrev_b32_e32 v43, 16, v39
	v_lshrrev_b32_e32 v44, 16, v40
	v_min_f16_e32 v39, v41, v39
	v_min3_f16 v41, v42, v43, v44
	v_min3_f16 v39, v39, v40, v41
	v_cvt_f32_f16_e32 v39, v39
	v_min_f32_e32 v40, v38, v39
	v_lshlrev_b64 v[38:39], 1, v[36:37]
	v_cvt_f16_f32_e32 v40, v40
	v_add_co_u32 v38, vcc_lo, v95, v38
	v_add_co_ci_u32_e64 v39, null, v98, v39, vcc_lo
	flat_store_short v[38:39], v40
.LBB228_73:
	;; [unrolled: 40-line block ×6, first 2 shown]
	s_or_b32 exec_lo, exec_lo, s7
	v_add_nc_u32_e32 v46, 56, v32
	v_cmp_gt_i32_e64 s7, s12, v46
	v_ashrrev_i32_e32 v47, 31, v46
	s_and_b32 s12, s7, s8
	s_and_saveexec_b32 s8, s12
	s_cbranch_execz .LBB228_98
; %bb.94:
	v_cmp_ne_u32_e32 vcc_lo, 1, v71
	s_cbranch_vccnz .LBB228_96
; %bb.95:
	v_lshlrev_b64 v[112:113], 1, v[46:47]
	v_add_co_u32 v112, vcc_lo, v99, v112
	v_add_co_ci_u32_e64 v113, null, v104, v113, vcc_lo
	flat_load_ushort v99, v[112:113]
	s_waitcnt vmcnt(0) lgkmcnt(0)
	v_mul_f16_e32 v99, v48, v99
	v_cvt_f32_f16_e32 v99, v99
	s_branch .LBB228_97
.LBB228_96:
	v_mov_b32_e32 v99, 0
.LBB228_97:
	v_pk_add_f16 v28, v2, v28
	v_pk_add_f16 v29, v3, v29
	v_max_f16_e32 v104, v111, v111
	v_lshrrev_b32_e32 v111, 16, v111
	v_lshrrev_b32_e32 v112, 16, v28
	;; [unrolled: 1-line block ×3, first 2 shown]
	v_min_f16_e32 v28, v104, v28
	v_min3_f16 v104, v111, v112, v113
	v_min3_f16 v28, v28, v29, v104
	v_max_f32_e32 v29, v99, v99
	v_cvt_f32_f16_e32 v28, v28
	v_min_f32_e32 v99, v29, v28
	v_lshlrev_b64 v[28:29], 1, v[46:47]
	v_cvt_f16_f32_e32 v99, v99
	v_add_co_u32 v28, vcc_lo, v95, v28
	v_add_co_ci_u32_e64 v29, null, v98, v29, vcc_lo
	flat_store_short v[28:29], v99
.LBB228_98:
	s_or_b32 exec_lo, exec_lo, s8
	v_add_nc_u32_e32 v95, 32, v78
	v_mad_i64_i32 v[28:29], null, v95, s14, 0
	v_mad_i64_i32 v[98:99], null, v95, s9, 0
	v_cmp_gt_i32_e64 s8, s13, v95
	v_lshlrev_b64 v[28:29], 1, v[28:29]
	s_and_b32 s15, s0, s8
	v_lshlrev_b64 v[111:112], 1, v[98:99]
	v_add_co_u32 v95, vcc_lo, s16, v28
	v_add_co_ci_u32_e64 v98, null, s17, v29, vcc_lo
	v_add_co_u32 v28, vcc_lo, s10, v111
	v_add_co_ci_u32_e64 v29, null, s11, v112, vcc_lo
	s_and_saveexec_b32 s12, s15
	s_cbranch_execnz .LBB228_106
; %bb.99:
	s_or_b32 exec_lo, exec_lo, s12
	s_and_b32 s15, s1, s8
	s_and_saveexec_b32 s12, s15
	s_cbranch_execnz .LBB228_110
.LBB228_100:
	s_or_b32 exec_lo, exec_lo, s12
	s_and_b32 s15, s2, s8
	s_and_saveexec_b32 s12, s15
	s_cbranch_execnz .LBB228_114
.LBB228_101:
	s_or_b32 exec_lo, exec_lo, s12
	s_and_b32 s15, s3, s8
	s_and_saveexec_b32 s12, s15
	s_cbranch_execnz .LBB228_118
.LBB228_102:
	s_or_b32 exec_lo, exec_lo, s12
	s_and_b32 s15, s4, s8
	s_and_saveexec_b32 s12, s15
	s_cbranch_execnz .LBB228_122
.LBB228_103:
	s_or_b32 exec_lo, exec_lo, s12
	s_and_b32 s15, s5, s8
	s_and_saveexec_b32 s12, s15
	s_cbranch_execnz .LBB228_126
.LBB228_104:
	s_or_b32 exec_lo, exec_lo, s12
	s_and_b32 s15, s6, s8
	s_and_saveexec_b32 s12, s15
	s_cbranch_execnz .LBB228_130
.LBB228_105:
	s_or_b32 exec_lo, exec_lo, s12
	s_and_b32 s12, s7, s8
	s_and_saveexec_b32 s8, s12
	s_cbranch_execnz .LBB228_134
	s_branch .LBB228_138
.LBB228_106:
	v_cmp_ne_u32_e32 vcc_lo, 1, v71
	s_cbranch_vccnz .LBB228_108
; %bb.107:
	v_lshlrev_b64 v[111:112], 1, v[32:33]
	v_add_co_u32 v111, vcc_lo, v95, v111
	v_add_co_ci_u32_e64 v112, null, v98, v112, vcc_lo
	flat_load_ushort v99, v[111:112]
	s_waitcnt vmcnt(0) lgkmcnt(0)
	v_mul_f16_e32 v99, v48, v99
	v_cvt_f32_f16_e32 v99, v99
	s_branch .LBB228_109
.LBB228_108:
	v_mov_b32_e32 v99, 0
.LBB228_109:
	v_pk_add_f16 v104, v16, v30
	v_pk_add_f16 v111, v17, v31
	v_max_f16_e32 v112, v110, v110
	v_lshrrev_b32_e32 v110, 16, v110
	v_max_f32_e32 v99, v99, v99
	v_lshrrev_b32_e32 v113, 16, v104
	v_lshrrev_b32_e32 v114, 16, v111
	v_min_f16_e32 v104, v112, v104
	v_min3_f16 v110, v110, v113, v114
	v_min3_f16 v104, v104, v111, v110
	v_lshlrev_b64 v[110:111], 1, v[32:33]
	v_cvt_f32_f16_e32 v104, v104
	v_add_co_u32 v110, vcc_lo, v28, v110
	v_add_co_ci_u32_e64 v111, null, v29, v111, vcc_lo
	v_min_f32_e32 v99, v99, v104
	v_cvt_f16_f32_e32 v99, v99
	flat_store_short v[110:111], v99
	s_or_b32 exec_lo, exec_lo, s12
	s_and_b32 s15, s1, s8
	s_and_saveexec_b32 s12, s15
	s_cbranch_execz .LBB228_100
.LBB228_110:
	v_cmp_ne_u32_e32 vcc_lo, 1, v71
	s_cbranch_vccnz .LBB228_112
; %bb.111:
	v_lshlrev_b64 v[110:111], 1, v[34:35]
	v_add_co_u32 v110, vcc_lo, v95, v110
	v_add_co_ci_u32_e64 v111, null, v98, v111, vcc_lo
	flat_load_ushort v99, v[110:111]
	s_waitcnt vmcnt(0) lgkmcnt(0)
	v_mul_f16_e32 v99, v48, v99
	v_cvt_f32_f16_e32 v99, v99
	s_branch .LBB228_113
.LBB228_112:
	v_mov_b32_e32 v99, 0
.LBB228_113:
	v_pk_add_f16 v104, v18, v30
	v_pk_add_f16 v110, v19, v31
	v_max_f16_e32 v111, v109, v109
	v_lshrrev_b32_e32 v109, 16, v109
	v_max_f32_e32 v99, v99, v99
	v_lshrrev_b32_e32 v112, 16, v104
	v_lshrrev_b32_e32 v113, 16, v110
	v_min_f16_e32 v104, v111, v104
	v_min3_f16 v109, v109, v112, v113
	v_min3_f16 v104, v104, v110, v109
	v_lshlrev_b64 v[109:110], 1, v[34:35]
	v_cvt_f32_f16_e32 v104, v104
	v_add_co_u32 v109, vcc_lo, v28, v109
	v_add_co_ci_u32_e64 v110, null, v29, v110, vcc_lo
	v_min_f32_e32 v99, v99, v104
	v_cvt_f16_f32_e32 v99, v99
	flat_store_short v[109:110], v99
	s_or_b32 exec_lo, exec_lo, s12
	s_and_b32 s15, s2, s8
	s_and_saveexec_b32 s12, s15
	s_cbranch_execz .LBB228_101
.LBB228_114:
	v_cmp_ne_u32_e32 vcc_lo, 1, v71
	s_cbranch_vccnz .LBB228_116
; %bb.115:
	v_lshlrev_b64 v[109:110], 1, v[36:37]
	v_add_co_u32 v109, vcc_lo, v95, v109
	v_add_co_ci_u32_e64 v110, null, v98, v110, vcc_lo
	flat_load_ushort v99, v[109:110]
	s_waitcnt vmcnt(0) lgkmcnt(0)
	v_mul_f16_e32 v99, v48, v99
	v_cvt_f32_f16_e32 v99, v99
	s_branch .LBB228_117
.LBB228_116:
	v_mov_b32_e32 v99, 0
.LBB228_117:
	v_pk_add_f16 v104, v12, v30
	v_pk_add_f16 v109, v13, v31
	v_max_f16_e32 v110, v108, v108
	v_lshrrev_b32_e32 v108, 16, v108
	v_max_f32_e32 v99, v99, v99
	v_lshrrev_b32_e32 v111, 16, v104
	v_lshrrev_b32_e32 v112, 16, v109
	v_min_f16_e32 v104, v110, v104
	v_min3_f16 v108, v108, v111, v112
	v_min3_f16 v104, v104, v109, v108
	v_lshlrev_b64 v[108:109], 1, v[36:37]
	v_cvt_f32_f16_e32 v104, v104
	v_add_co_u32 v108, vcc_lo, v28, v108
	v_add_co_ci_u32_e64 v109, null, v29, v109, vcc_lo
	v_min_f32_e32 v99, v99, v104
	v_cvt_f16_f32_e32 v99, v99
	flat_store_short v[108:109], v99
	s_or_b32 exec_lo, exec_lo, s12
	s_and_b32 s15, s3, s8
	s_and_saveexec_b32 s12, s15
	s_cbranch_execz .LBB228_102
.LBB228_118:
	v_cmp_ne_u32_e32 vcc_lo, 1, v71
	s_cbranch_vccnz .LBB228_120
; %bb.119:
	v_lshlrev_b64 v[108:109], 1, v[38:39]
	v_add_co_u32 v108, vcc_lo, v95, v108
	v_add_co_ci_u32_e64 v109, null, v98, v109, vcc_lo
	flat_load_ushort v99, v[108:109]
	s_waitcnt vmcnt(0) lgkmcnt(0)
	v_mul_f16_e32 v99, v48, v99
	v_cvt_f32_f16_e32 v99, v99
	s_branch .LBB228_121
.LBB228_120:
	v_mov_b32_e32 v99, 0
.LBB228_121:
	v_pk_add_f16 v104, v14, v30
	v_pk_add_f16 v108, v15, v31
	v_max_f16_e32 v109, v107, v107
	v_lshrrev_b32_e32 v107, 16, v107
	v_max_f32_e32 v99, v99, v99
	v_lshrrev_b32_e32 v110, 16, v104
	v_lshrrev_b32_e32 v111, 16, v108
	v_min_f16_e32 v104, v109, v104
	v_min3_f16 v107, v107, v110, v111
	v_min3_f16 v104, v104, v108, v107
	v_lshlrev_b64 v[107:108], 1, v[38:39]
	v_cvt_f32_f16_e32 v104, v104
	v_add_co_u32 v107, vcc_lo, v28, v107
	v_add_co_ci_u32_e64 v108, null, v29, v108, vcc_lo
	v_min_f32_e32 v99, v99, v104
	v_cvt_f16_f32_e32 v99, v99
	flat_store_short v[107:108], v99
	s_or_b32 exec_lo, exec_lo, s12
	s_and_b32 s15, s4, s8
	s_and_saveexec_b32 s12, s15
	s_cbranch_execz .LBB228_103
.LBB228_122:
	v_cmp_ne_u32_e32 vcc_lo, 1, v71
	s_cbranch_vccnz .LBB228_124
; %bb.123:
	v_lshlrev_b64 v[107:108], 1, v[40:41]
	v_add_co_u32 v107, vcc_lo, v95, v107
	v_add_co_ci_u32_e64 v108, null, v98, v108, vcc_lo
	flat_load_ushort v99, v[107:108]
	s_waitcnt vmcnt(0) lgkmcnt(0)
	v_mul_f16_e32 v99, v48, v99
	v_cvt_f32_f16_e32 v99, v99
	s_branch .LBB228_125
.LBB228_124:
	v_mov_b32_e32 v99, 0
.LBB228_125:
	v_pk_add_f16 v104, v8, v30
	v_pk_add_f16 v107, v9, v31
	v_max_f16_e32 v108, v106, v106
	v_lshrrev_b32_e32 v106, 16, v106
	v_max_f32_e32 v99, v99, v99
	v_lshrrev_b32_e32 v109, 16, v104
	v_lshrrev_b32_e32 v110, 16, v107
	v_min_f16_e32 v104, v108, v104
	v_min3_f16 v106, v106, v109, v110
	v_min3_f16 v104, v104, v107, v106
	v_lshlrev_b64 v[106:107], 1, v[40:41]
	v_cvt_f32_f16_e32 v104, v104
	v_add_co_u32 v106, vcc_lo, v28, v106
	v_add_co_ci_u32_e64 v107, null, v29, v107, vcc_lo
	v_min_f32_e32 v99, v99, v104
	v_cvt_f16_f32_e32 v99, v99
	flat_store_short v[106:107], v99
	s_or_b32 exec_lo, exec_lo, s12
	s_and_b32 s15, s5, s8
	s_and_saveexec_b32 s12, s15
	s_cbranch_execz .LBB228_104
.LBB228_126:
	v_cmp_ne_u32_e32 vcc_lo, 1, v71
	s_cbranch_vccnz .LBB228_128
; %bb.127:
	v_lshlrev_b64 v[106:107], 1, v[42:43]
	v_add_co_u32 v106, vcc_lo, v95, v106
	v_add_co_ci_u32_e64 v107, null, v98, v107, vcc_lo
	flat_load_ushort v99, v[106:107]
	s_waitcnt vmcnt(0) lgkmcnt(0)
	v_mul_f16_e32 v99, v48, v99
	v_cvt_f32_f16_e32 v99, v99
	s_branch .LBB228_129
.LBB228_128:
	v_mov_b32_e32 v99, 0
.LBB228_129:
	v_pk_add_f16 v104, v10, v30
	v_pk_add_f16 v106, v11, v31
	v_max_f16_e32 v107, v105, v105
	v_lshrrev_b32_e32 v105, 16, v105
	v_max_f32_e32 v99, v99, v99
	v_lshrrev_b32_e32 v108, 16, v104
	v_lshrrev_b32_e32 v109, 16, v106
	v_min_f16_e32 v104, v107, v104
	v_min3_f16 v105, v105, v108, v109
	v_min3_f16 v104, v104, v106, v105
	v_cvt_f32_f16_e32 v104, v104
	v_min_f32_e32 v99, v99, v104
	v_lshlrev_b64 v[104:105], 1, v[42:43]
	v_cvt_f16_f32_e32 v99, v99
	v_add_co_u32 v104, vcc_lo, v28, v104
	v_add_co_ci_u32_e64 v105, null, v29, v105, vcc_lo
	flat_store_short v[104:105], v99
	s_or_b32 exec_lo, exec_lo, s12
	s_and_b32 s15, s6, s8
	s_and_saveexec_b32 s12, s15
	s_cbranch_execz .LBB228_105
.LBB228_130:
	v_cmp_ne_u32_e32 vcc_lo, 1, v71
	s_cbranch_vccnz .LBB228_132
; %bb.131:
	v_lshlrev_b64 v[104:105], 1, v[44:45]
	v_add_co_u32 v104, vcc_lo, v95, v104
	v_add_co_ci_u32_e64 v105, null, v98, v105, vcc_lo
	flat_load_ushort v99, v[104:105]
	s_waitcnt vmcnt(0) lgkmcnt(0)
	v_mul_f16_e32 v99, v48, v99
	v_cvt_f32_f16_e32 v99, v99
	s_branch .LBB228_133
.LBB228_132:
	v_mov_b32_e32 v99, 0
.LBB228_133:
	v_pk_add_f16 v104, v0, v30
	v_pk_add_f16 v105, v1, v31
	v_max_f16_e32 v106, v103, v103
	v_lshrrev_b32_e32 v103, 16, v103
	v_max_f32_e32 v99, v99, v99
	v_lshrrev_b32_e32 v107, 16, v104
	v_lshrrev_b32_e32 v108, 16, v105
	v_min_f16_e32 v104, v106, v104
	v_min3_f16 v103, v103, v107, v108
	v_min3_f16 v103, v104, v105, v103
	v_cvt_f32_f16_e32 v103, v103
	v_min_f32_e32 v99, v99, v103
	v_lshlrev_b64 v[103:104], 1, v[44:45]
	v_cvt_f16_f32_e32 v99, v99
	v_add_co_u32 v103, vcc_lo, v28, v103
	v_add_co_ci_u32_e64 v104, null, v29, v104, vcc_lo
	flat_store_short v[103:104], v99
	s_or_b32 exec_lo, exec_lo, s12
	s_and_b32 s12, s7, s8
	s_and_saveexec_b32 s8, s12
	s_cbranch_execz .LBB228_138
.LBB228_134:
	v_cmp_ne_u32_e32 vcc_lo, 1, v71
	s_cbranch_vccnz .LBB228_136
; %bb.135:
	v_lshlrev_b64 v[103:104], 1, v[46:47]
	v_add_co_u32 v103, vcc_lo, v95, v103
	v_add_co_ci_u32_e64 v104, null, v98, v104, vcc_lo
	flat_load_ushort v95, v[103:104]
	s_waitcnt vmcnt(0) lgkmcnt(0)
	v_mul_f16_e32 v95, v48, v95
	v_cvt_f32_f16_e32 v95, v95
	s_branch .LBB228_137
.LBB228_136:
	v_mov_b32_e32 v95, 0
.LBB228_137:
	v_pk_add_f16 v30, v2, v30
	v_pk_add_f16 v31, v3, v31
	v_max_f16_e32 v98, v102, v102
	v_lshrrev_b32_e32 v99, 16, v102
	v_lshrrev_b32_e32 v102, 16, v30
	;; [unrolled: 1-line block ×3, first 2 shown]
	v_min_f16_e32 v30, v98, v30
	v_min3_f16 v98, v99, v102, v103
	v_min3_f16 v30, v30, v31, v98
	v_max_f32_e32 v31, v95, v95
	v_cvt_f32_f16_e32 v30, v30
	v_min_f32_e32 v95, v31, v30
	v_lshlrev_b64 v[30:31], 1, v[46:47]
	v_cvt_f16_f32_e32 v95, v95
	v_add_co_u32 v28, vcc_lo, v28, v30
	v_add_co_ci_u32_e64 v29, null, v29, v31, vcc_lo
	flat_store_short v[28:29], v95
.LBB228_138:
	s_or_b32 exec_lo, exec_lo, s8
	v_add_nc_u32_e32 v95, 64, v78
	v_mad_i64_i32 v[28:29], null, v95, s14, 0
	v_mad_i64_i32 v[30:31], null, v95, s9, 0
	v_cmp_gt_i32_e64 s8, s13, v95
	v_lshlrev_b64 v[28:29], 1, v[28:29]
	s_and_b32 s15, s0, s8
	v_lshlrev_b64 v[98:99], 1, v[30:31]
	v_add_co_u32 v30, vcc_lo, s16, v28
	v_add_co_ci_u32_e64 v31, null, s17, v29, vcc_lo
	v_add_co_u32 v28, vcc_lo, s10, v98
	v_add_co_ci_u32_e64 v29, null, s11, v99, vcc_lo
	s_and_saveexec_b32 s12, s15
	s_cbranch_execnz .LBB228_146
; %bb.139:
	s_or_b32 exec_lo, exec_lo, s12
	s_and_b32 s15, s1, s8
	s_and_saveexec_b32 s12, s15
	s_cbranch_execnz .LBB228_150
.LBB228_140:
	s_or_b32 exec_lo, exec_lo, s12
	s_and_b32 s15, s2, s8
	s_and_saveexec_b32 s12, s15
	s_cbranch_execnz .LBB228_154
.LBB228_141:
	s_or_b32 exec_lo, exec_lo, s12
	s_and_b32 s15, s3, s8
	s_and_saveexec_b32 s12, s15
	s_cbranch_execnz .LBB228_158
.LBB228_142:
	s_or_b32 exec_lo, exec_lo, s12
	s_and_b32 s15, s4, s8
	s_and_saveexec_b32 s12, s15
	s_cbranch_execnz .LBB228_162
.LBB228_143:
	s_or_b32 exec_lo, exec_lo, s12
	s_and_b32 s15, s5, s8
	s_and_saveexec_b32 s12, s15
	s_cbranch_execnz .LBB228_166
.LBB228_144:
	s_or_b32 exec_lo, exec_lo, s12
	s_and_b32 s15, s6, s8
	s_and_saveexec_b32 s12, s15
	s_cbranch_execnz .LBB228_170
.LBB228_145:
	s_or_b32 exec_lo, exec_lo, s12
	s_and_b32 s12, s7, s8
	s_and_saveexec_b32 s8, s12
	s_cbranch_execnz .LBB228_174
	s_branch .LBB228_178
.LBB228_146:
	v_cmp_ne_u32_e32 vcc_lo, 1, v71
	s_cbranch_vccnz .LBB228_148
; %bb.147:
	v_lshlrev_b64 v[98:99], 1, v[32:33]
	v_add_co_u32 v98, vcc_lo, v30, v98
	v_add_co_ci_u32_e64 v99, null, v31, v99, vcc_lo
	flat_load_ushort v95, v[98:99]
	s_waitcnt vmcnt(0) lgkmcnt(0)
	v_mul_f16_e32 v95, v48, v95
	v_cvt_f32_f16_e32 v95, v95
	s_branch .LBB228_149
.LBB228_148:
	v_mov_b32_e32 v95, 0
.LBB228_149:
	v_pk_add_f16 v98, v16, v24
	v_pk_add_f16 v99, v17, v25
	v_max_f16_e32 v102, v101, v101
	v_lshrrev_b32_e32 v101, 16, v101
	v_max_f32_e32 v95, v95, v95
	v_lshrrev_b32_e32 v103, 16, v98
	v_lshrrev_b32_e32 v104, 16, v99
	v_min_f16_e32 v98, v102, v98
	v_min3_f16 v101, v101, v103, v104
	v_min3_f16 v98, v98, v99, v101
	v_cvt_f32_f16_e32 v98, v98
	v_min_f32_e32 v95, v95, v98
	v_lshlrev_b64 v[98:99], 1, v[32:33]
	v_cvt_f16_f32_e32 v95, v95
	v_add_co_u32 v98, vcc_lo, v28, v98
	v_add_co_ci_u32_e64 v99, null, v29, v99, vcc_lo
	flat_store_short v[98:99], v95
	s_or_b32 exec_lo, exec_lo, s12
	s_and_b32 s15, s1, s8
	s_and_saveexec_b32 s12, s15
	s_cbranch_execz .LBB228_140
.LBB228_150:
	v_cmp_ne_u32_e32 vcc_lo, 1, v71
	s_cbranch_vccnz .LBB228_152
; %bb.151:
	v_lshlrev_b64 v[98:99], 1, v[34:35]
	v_add_co_u32 v98, vcc_lo, v30, v98
	v_add_co_ci_u32_e64 v99, null, v31, v99, vcc_lo
	flat_load_ushort v95, v[98:99]
	s_waitcnt vmcnt(0) lgkmcnt(0)
	v_mul_f16_e32 v95, v48, v95
	v_cvt_f32_f16_e32 v95, v95
	s_branch .LBB228_153
.LBB228_152:
	v_mov_b32_e32 v95, 0
.LBB228_153:
	v_pk_add_f16 v98, v18, v24
	v_pk_add_f16 v99, v19, v25
	v_max_f16_e32 v101, v100, v100
	v_lshrrev_b32_e32 v100, 16, v100
	v_max_f32_e32 v95, v95, v95
	v_lshrrev_b32_e32 v102, 16, v98
	v_lshrrev_b32_e32 v103, 16, v99
	v_min_f16_e32 v98, v101, v98
	v_min3_f16 v100, v100, v102, v103
	v_min3_f16 v98, v98, v99, v100
	v_cvt_f32_f16_e32 v98, v98
	v_min_f32_e32 v95, v95, v98
	v_lshlrev_b64 v[98:99], 1, v[34:35]
	v_cvt_f16_f32_e32 v95, v95
	v_add_co_u32 v98, vcc_lo, v28, v98
	v_add_co_ci_u32_e64 v99, null, v29, v99, vcc_lo
	flat_store_short v[98:99], v95
	s_or_b32 exec_lo, exec_lo, s12
	s_and_b32 s15, s2, s8
	s_and_saveexec_b32 s12, s15
	s_cbranch_execz .LBB228_141
.LBB228_154:
	v_cmp_ne_u32_e32 vcc_lo, 1, v71
	s_cbranch_vccnz .LBB228_156
; %bb.155:
	v_lshlrev_b64 v[98:99], 1, v[36:37]
	v_add_co_u32 v98, vcc_lo, v30, v98
	v_add_co_ci_u32_e64 v99, null, v31, v99, vcc_lo
	flat_load_ushort v95, v[98:99]
	s_waitcnt vmcnt(0) lgkmcnt(0)
	v_mul_f16_e32 v95, v48, v95
	v_cvt_f32_f16_e32 v95, v95
	s_branch .LBB228_157
.LBB228_156:
	v_mov_b32_e32 v95, 0
.LBB228_157:
	v_pk_add_f16 v98, v12, v24
	v_pk_add_f16 v99, v13, v25
	v_max_f16_e32 v100, v97, v97
	v_lshrrev_b32_e32 v97, 16, v97
	v_max_f32_e32 v95, v95, v95
	v_lshrrev_b32_e32 v101, 16, v98
	v_lshrrev_b32_e32 v102, 16, v99
	v_min_f16_e32 v98, v100, v98
	v_min3_f16 v97, v97, v101, v102
	v_min3_f16 v97, v98, v99, v97
	v_cvt_f32_f16_e32 v97, v97
	v_min_f32_e32 v95, v95, v97
	v_lshlrev_b64 v[97:98], 1, v[36:37]
	v_cvt_f16_f32_e32 v95, v95
	v_add_co_u32 v97, vcc_lo, v28, v97
	v_add_co_ci_u32_e64 v98, null, v29, v98, vcc_lo
	flat_store_short v[97:98], v95
	s_or_b32 exec_lo, exec_lo, s12
	s_and_b32 s15, s3, s8
	s_and_saveexec_b32 s12, s15
	s_cbranch_execz .LBB228_142
.LBB228_158:
	v_cmp_ne_u32_e32 vcc_lo, 1, v71
	s_cbranch_vccnz .LBB228_160
; %bb.159:
	v_lshlrev_b64 v[97:98], 1, v[38:39]
	v_add_co_u32 v97, vcc_lo, v30, v97
	v_add_co_ci_u32_e64 v98, null, v31, v98, vcc_lo
	flat_load_ushort v95, v[97:98]
	s_waitcnt vmcnt(0) lgkmcnt(0)
	v_mul_f16_e32 v95, v48, v95
	v_cvt_f32_f16_e32 v95, v95
	s_branch .LBB228_161
.LBB228_160:
	v_mov_b32_e32 v95, 0
.LBB228_161:
	v_pk_add_f16 v97, v14, v24
	v_pk_add_f16 v98, v15, v25
	v_max_f16_e32 v99, v96, v96
	v_lshrrev_b32_e32 v96, 16, v96
	v_max_f32_e32 v95, v95, v95
	v_lshrrev_b32_e32 v100, 16, v97
	v_lshrrev_b32_e32 v101, 16, v98
	v_min_f16_e32 v97, v99, v97
	v_min3_f16 v96, v96, v100, v101
	v_min3_f16 v96, v97, v98, v96
	v_cvt_f32_f16_e32 v96, v96
	v_min_f32_e32 v97, v95, v96
	v_lshlrev_b64 v[95:96], 1, v[38:39]
	v_cvt_f16_f32_e32 v97, v97
	v_add_co_u32 v95, vcc_lo, v28, v95
	v_add_co_ci_u32_e64 v96, null, v29, v96, vcc_lo
	flat_store_short v[95:96], v97
	s_or_b32 exec_lo, exec_lo, s12
	s_and_b32 s15, s4, s8
	s_and_saveexec_b32 s12, s15
	s_cbranch_execz .LBB228_143
.LBB228_162:
	v_cmp_ne_u32_e32 vcc_lo, 1, v71
	s_cbranch_vccnz .LBB228_164
; %bb.163:
	v_lshlrev_b64 v[95:96], 1, v[40:41]
	v_add_co_u32 v95, vcc_lo, v30, v95
	v_add_co_ci_u32_e64 v96, null, v31, v96, vcc_lo
	flat_load_ushort v95, v[95:96]
	s_waitcnt vmcnt(0) lgkmcnt(0)
	v_mul_f16_e32 v95, v48, v95
	v_cvt_f32_f16_e32 v95, v95
	s_branch .LBB228_165
.LBB228_164:
	v_mov_b32_e32 v95, 0
.LBB228_165:
	v_pk_add_f16 v96, v8, v24
	v_pk_add_f16 v97, v9, v25
	v_max_f16_e32 v98, v94, v94
	v_lshrrev_b32_e32 v94, 16, v94
	v_max_f32_e32 v95, v95, v95
	v_lshrrev_b32_e32 v99, 16, v96
	v_lshrrev_b32_e32 v100, 16, v97
	v_min_f16_e32 v96, v98, v96
	v_min3_f16 v94, v94, v99, v100
	v_min3_f16 v94, v96, v97, v94
	v_cvt_f32_f16_e32 v94, v94
	v_min_f32_e32 v96, v95, v94
	v_lshlrev_b64 v[94:95], 1, v[40:41]
	v_cvt_f16_f32_e32 v96, v96
	v_add_co_u32 v94, vcc_lo, v28, v94
	v_add_co_ci_u32_e64 v95, null, v29, v95, vcc_lo
	flat_store_short v[94:95], v96
	s_or_b32 exec_lo, exec_lo, s12
	s_and_b32 s15, s5, s8
	s_and_saveexec_b32 s12, s15
	s_cbranch_execz .LBB228_144
.LBB228_166:
	v_cmp_ne_u32_e32 vcc_lo, 1, v71
	s_cbranch_vccnz .LBB228_168
; %bb.167:
	v_lshlrev_b64 v[94:95], 1, v[42:43]
	v_add_co_u32 v94, vcc_lo, v30, v94
	v_add_co_ci_u32_e64 v95, null, v31, v95, vcc_lo
	flat_load_ushort v94, v[94:95]
	s_waitcnt vmcnt(0) lgkmcnt(0)
	v_mul_f16_e32 v94, v48, v94
	v_cvt_f32_f16_e32 v94, v94
	s_branch .LBB228_169
.LBB228_168:
	v_mov_b32_e32 v94, 0
.LBB228_169:
	v_pk_add_f16 v95, v10, v24
	v_pk_add_f16 v96, v11, v25
	v_max_f16_e32 v97, v93, v93
	v_lshrrev_b32_e32 v93, 16, v93
	v_max_f32_e32 v94, v94, v94
	v_lshrrev_b32_e32 v98, 16, v95
	v_lshrrev_b32_e32 v99, 16, v96
	v_min_f16_e32 v95, v97, v95
	v_min3_f16 v93, v93, v98, v99
	v_min3_f16 v93, v95, v96, v93
	v_cvt_f32_f16_e32 v93, v93
	v_min_f32_e32 v95, v94, v93
	v_lshlrev_b64 v[93:94], 1, v[42:43]
	v_cvt_f16_f32_e32 v95, v95
	v_add_co_u32 v93, vcc_lo, v28, v93
	v_add_co_ci_u32_e64 v94, null, v29, v94, vcc_lo
	flat_store_short v[93:94], v95
	s_or_b32 exec_lo, exec_lo, s12
	s_and_b32 s15, s6, s8
	s_and_saveexec_b32 s12, s15
	s_cbranch_execz .LBB228_145
.LBB228_170:
	v_cmp_ne_u32_e32 vcc_lo, 1, v71
	s_cbranch_vccnz .LBB228_172
; %bb.171:
	v_lshlrev_b64 v[93:94], 1, v[44:45]
	v_add_co_u32 v93, vcc_lo, v30, v93
	v_add_co_ci_u32_e64 v94, null, v31, v94, vcc_lo
	flat_load_ushort v93, v[93:94]
	s_waitcnt vmcnt(0) lgkmcnt(0)
	v_mul_f16_e32 v93, v48, v93
	v_cvt_f32_f16_e32 v93, v93
	s_branch .LBB228_173
.LBB228_172:
	v_mov_b32_e32 v93, 0
.LBB228_173:
	v_pk_add_f16 v94, v0, v24
	v_pk_add_f16 v95, v1, v25
	v_max_f16_e32 v96, v92, v92
	v_lshrrev_b32_e32 v92, 16, v92
	v_max_f32_e32 v93, v93, v93
	v_lshrrev_b32_e32 v97, 16, v94
	v_lshrrev_b32_e32 v98, 16, v95
	v_min_f16_e32 v94, v96, v94
	v_min3_f16 v92, v92, v97, v98
	v_min3_f16 v92, v94, v95, v92
	v_cvt_f32_f16_e32 v92, v92
	v_min_f32_e32 v94, v93, v92
	v_lshlrev_b64 v[92:93], 1, v[44:45]
	v_cvt_f16_f32_e32 v94, v94
	v_add_co_u32 v92, vcc_lo, v28, v92
	v_add_co_ci_u32_e64 v93, null, v29, v93, vcc_lo
	flat_store_short v[92:93], v94
	s_or_b32 exec_lo, exec_lo, s12
	s_and_b32 s12, s7, s8
	s_and_saveexec_b32 s8, s12
	s_cbranch_execz .LBB228_178
.LBB228_174:
	v_cmp_ne_u32_e32 vcc_lo, 1, v71
	s_cbranch_vccnz .LBB228_176
; %bb.175:
	v_lshlrev_b64 v[92:93], 1, v[46:47]
	v_add_co_u32 v30, vcc_lo, v30, v92
	v_add_co_ci_u32_e64 v31, null, v31, v93, vcc_lo
	flat_load_ushort v30, v[30:31]
	s_waitcnt vmcnt(0) lgkmcnt(0)
	v_mul_f16_e32 v30, v48, v30
	v_cvt_f32_f16_e32 v30, v30
	s_branch .LBB228_177
.LBB228_176:
	v_mov_b32_e32 v30, 0
.LBB228_177:
	v_pk_add_f16 v24, v2, v24
	v_pk_add_f16 v25, v3, v25
	v_max_f16_e32 v31, v91, v91
	v_lshrrev_b32_e32 v91, 16, v91
	v_lshrrev_b32_e32 v92, 16, v24
	;; [unrolled: 1-line block ×3, first 2 shown]
	v_min_f16_e32 v24, v31, v24
	v_min3_f16 v31, v91, v92, v93
	v_min3_f16 v24, v24, v25, v31
	v_max_f32_e32 v25, v30, v30
	v_cvt_f32_f16_e32 v24, v24
	v_min_f32_e32 v30, v25, v24
	v_lshlrev_b64 v[24:25], 1, v[46:47]
	v_cvt_f16_f32_e32 v30, v30
	v_add_co_u32 v24, vcc_lo, v28, v24
	v_add_co_ci_u32_e64 v25, null, v29, v25, vcc_lo
	flat_store_short v[24:25], v30
.LBB228_178:
	s_or_b32 exec_lo, exec_lo, s8
	v_add_nc_u32_e32 v30, 0x60, v78
	v_mad_i64_i32 v[24:25], null, v30, s14, 0
	v_mad_i64_i32 v[28:29], null, v30, s9, 0
	v_cmp_gt_i32_e64 s8, s13, v30
	v_lshlrev_b64 v[24:25], 1, v[24:25]
	s_and_b32 s15, s0, s8
	v_lshlrev_b64 v[30:31], 1, v[28:29]
	v_add_co_u32 v28, vcc_lo, s16, v24
	v_add_co_ci_u32_e64 v29, null, s17, v25, vcc_lo
	v_add_co_u32 v24, vcc_lo, s10, v30
	v_add_co_ci_u32_e64 v25, null, s11, v31, vcc_lo
	s_and_saveexec_b32 s12, s15
	s_cbranch_execnz .LBB228_186
; %bb.179:
	s_or_b32 exec_lo, exec_lo, s12
	s_and_b32 s15, s1, s8
	s_and_saveexec_b32 s12, s15
	s_cbranch_execnz .LBB228_190
.LBB228_180:
	s_or_b32 exec_lo, exec_lo, s12
	s_and_b32 s15, s2, s8
	s_and_saveexec_b32 s12, s15
	s_cbranch_execnz .LBB228_194
.LBB228_181:
	s_or_b32 exec_lo, exec_lo, s12
	s_and_b32 s15, s3, s8
	s_and_saveexec_b32 s12, s15
	s_cbranch_execnz .LBB228_198
.LBB228_182:
	s_or_b32 exec_lo, exec_lo, s12
	s_and_b32 s15, s4, s8
	s_and_saveexec_b32 s12, s15
	s_cbranch_execnz .LBB228_202
.LBB228_183:
	s_or_b32 exec_lo, exec_lo, s12
	s_and_b32 s15, s5, s8
	s_and_saveexec_b32 s12, s15
	s_cbranch_execnz .LBB228_206
.LBB228_184:
	s_or_b32 exec_lo, exec_lo, s12
	s_and_b32 s15, s6, s8
	s_and_saveexec_b32 s12, s15
	s_cbranch_execnz .LBB228_210
.LBB228_185:
	s_or_b32 exec_lo, exec_lo, s12
	s_and_b32 s12, s7, s8
	s_and_saveexec_b32 s8, s12
	s_cbranch_execnz .LBB228_214
	s_branch .LBB228_218
.LBB228_186:
	v_cmp_ne_u32_e32 vcc_lo, 1, v71
	s_cbranch_vccnz .LBB228_188
; %bb.187:
	v_lshlrev_b64 v[30:31], 1, v[32:33]
	v_add_co_u32 v30, vcc_lo, v28, v30
	v_add_co_ci_u32_e64 v31, null, v29, v31, vcc_lo
	flat_load_ushort v30, v[30:31]
	s_waitcnt vmcnt(0) lgkmcnt(0)
	v_mul_f16_e32 v30, v48, v30
	v_cvt_f32_f16_e32 v30, v30
	s_branch .LBB228_189
.LBB228_188:
	v_mov_b32_e32 v30, 0
.LBB228_189:
	v_pk_add_f16 v31, v16, v26
	v_pk_add_f16 v91, v17, v27
	v_max_f16_e32 v92, v90, v90
	v_lshrrev_b32_e32 v90, 16, v90
	v_max_f32_e32 v30, v30, v30
	v_lshrrev_b32_e32 v93, 16, v31
	v_lshrrev_b32_e32 v94, 16, v91
	v_min_f16_e32 v31, v92, v31
	v_min3_f16 v90, v90, v93, v94
	v_min3_f16 v31, v31, v91, v90
	v_cvt_f32_f16_e32 v31, v31
	v_min_f32_e32 v90, v30, v31
	v_lshlrev_b64 v[30:31], 1, v[32:33]
	v_cvt_f16_f32_e32 v90, v90
	v_add_co_u32 v30, vcc_lo, v24, v30
	v_add_co_ci_u32_e64 v31, null, v25, v31, vcc_lo
	flat_store_short v[30:31], v90
	s_or_b32 exec_lo, exec_lo, s12
	s_and_b32 s15, s1, s8
	s_and_saveexec_b32 s12, s15
	s_cbranch_execz .LBB228_180
.LBB228_190:
	v_cmp_ne_u32_e32 vcc_lo, 1, v71
	s_cbranch_vccnz .LBB228_192
; %bb.191:
	v_lshlrev_b64 v[30:31], 1, v[34:35]
	v_add_co_u32 v30, vcc_lo, v28, v30
	v_add_co_ci_u32_e64 v31, null, v29, v31, vcc_lo
	flat_load_ushort v30, v[30:31]
	s_waitcnt vmcnt(0) lgkmcnt(0)
	v_mul_f16_e32 v30, v48, v30
	v_cvt_f32_f16_e32 v30, v30
	s_branch .LBB228_193
.LBB228_192:
	v_mov_b32_e32 v30, 0
.LBB228_193:
	v_pk_add_f16 v31, v18, v26
	v_pk_add_f16 v90, v19, v27
	v_max_f16_e32 v91, v89, v89
	v_lshrrev_b32_e32 v89, 16, v89
	v_max_f32_e32 v30, v30, v30
	v_lshrrev_b32_e32 v92, 16, v31
	v_lshrrev_b32_e32 v93, 16, v90
	v_min_f16_e32 v31, v91, v31
	v_min3_f16 v89, v89, v92, v93
	v_min3_f16 v31, v31, v90, v89
	v_cvt_f32_f16_e32 v31, v31
	v_min_f32_e32 v89, v30, v31
	v_lshlrev_b64 v[30:31], 1, v[34:35]
	v_cvt_f16_f32_e32 v89, v89
	v_add_co_u32 v30, vcc_lo, v24, v30
	v_add_co_ci_u32_e64 v31, null, v25, v31, vcc_lo
	flat_store_short v[30:31], v89
	s_or_b32 exec_lo, exec_lo, s12
	s_and_b32 s15, s2, s8
	s_and_saveexec_b32 s12, s15
	s_cbranch_execz .LBB228_181
.LBB228_194:
	v_cmp_ne_u32_e32 vcc_lo, 1, v71
	s_cbranch_vccnz .LBB228_196
; %bb.195:
	v_lshlrev_b64 v[30:31], 1, v[36:37]
	v_add_co_u32 v30, vcc_lo, v28, v30
	v_add_co_ci_u32_e64 v31, null, v29, v31, vcc_lo
	flat_load_ushort v30, v[30:31]
	s_waitcnt vmcnt(0) lgkmcnt(0)
	v_mul_f16_e32 v30, v48, v30
	v_cvt_f32_f16_e32 v30, v30
	s_branch .LBB228_197
.LBB228_196:
	v_mov_b32_e32 v30, 0
.LBB228_197:
	v_pk_add_f16 v31, v12, v26
	v_pk_add_f16 v89, v13, v27
	v_max_f16_e32 v90, v88, v88
	v_lshrrev_b32_e32 v88, 16, v88
	v_max_f32_e32 v30, v30, v30
	v_lshrrev_b32_e32 v91, 16, v31
	v_lshrrev_b32_e32 v92, 16, v89
	v_min_f16_e32 v31, v90, v31
	v_min3_f16 v88, v88, v91, v92
	v_min3_f16 v31, v31, v89, v88
	v_cvt_f32_f16_e32 v31, v31
	v_min_f32_e32 v88, v30, v31
	v_lshlrev_b64 v[30:31], 1, v[36:37]
	v_cvt_f16_f32_e32 v88, v88
	v_add_co_u32 v30, vcc_lo, v24, v30
	v_add_co_ci_u32_e64 v31, null, v25, v31, vcc_lo
	flat_store_short v[30:31], v88
	s_or_b32 exec_lo, exec_lo, s12
	s_and_b32 s15, s3, s8
	s_and_saveexec_b32 s12, s15
	s_cbranch_execz .LBB228_182
.LBB228_198:
	v_cmp_ne_u32_e32 vcc_lo, 1, v71
	s_cbranch_vccnz .LBB228_200
; %bb.199:
	v_lshlrev_b64 v[30:31], 1, v[38:39]
	v_add_co_u32 v30, vcc_lo, v28, v30
	v_add_co_ci_u32_e64 v31, null, v29, v31, vcc_lo
	flat_load_ushort v30, v[30:31]
	s_waitcnt vmcnt(0) lgkmcnt(0)
	v_mul_f16_e32 v30, v48, v30
	v_cvt_f32_f16_e32 v30, v30
	s_branch .LBB228_201
.LBB228_200:
	v_mov_b32_e32 v30, 0
.LBB228_201:
	v_pk_add_f16 v31, v14, v26
	v_pk_add_f16 v88, v15, v27
	v_max_f16_e32 v89, v87, v87
	v_lshrrev_b32_e32 v87, 16, v87
	v_max_f32_e32 v30, v30, v30
	v_lshrrev_b32_e32 v90, 16, v31
	v_lshrrev_b32_e32 v91, 16, v88
	v_min_f16_e32 v31, v89, v31
	v_min3_f16 v87, v87, v90, v91
	v_min3_f16 v31, v31, v88, v87
	v_cvt_f32_f16_e32 v31, v31
	v_min_f32_e32 v87, v30, v31
	v_lshlrev_b64 v[30:31], 1, v[38:39]
	v_cvt_f16_f32_e32 v87, v87
	v_add_co_u32 v30, vcc_lo, v24, v30
	v_add_co_ci_u32_e64 v31, null, v25, v31, vcc_lo
	flat_store_short v[30:31], v87
	s_or_b32 exec_lo, exec_lo, s12
	s_and_b32 s15, s4, s8
	s_and_saveexec_b32 s12, s15
	s_cbranch_execz .LBB228_183
.LBB228_202:
	v_cmp_ne_u32_e32 vcc_lo, 1, v71
	s_cbranch_vccnz .LBB228_204
; %bb.203:
	v_lshlrev_b64 v[30:31], 1, v[40:41]
	v_add_co_u32 v30, vcc_lo, v28, v30
	v_add_co_ci_u32_e64 v31, null, v29, v31, vcc_lo
	flat_load_ushort v30, v[30:31]
	s_waitcnt vmcnt(0) lgkmcnt(0)
	v_mul_f16_e32 v30, v48, v30
	v_cvt_f32_f16_e32 v30, v30
	s_branch .LBB228_205
.LBB228_204:
	v_mov_b32_e32 v30, 0
.LBB228_205:
	v_pk_add_f16 v31, v8, v26
	v_pk_add_f16 v87, v9, v27
	v_max_f16_e32 v88, v86, v86
	v_lshrrev_b32_e32 v86, 16, v86
	v_max_f32_e32 v30, v30, v30
	v_lshrrev_b32_e32 v89, 16, v31
	v_lshrrev_b32_e32 v90, 16, v87
	v_min_f16_e32 v31, v88, v31
	v_min3_f16 v86, v86, v89, v90
	v_min3_f16 v31, v31, v87, v86
	v_cvt_f32_f16_e32 v31, v31
	v_min_f32_e32 v86, v30, v31
	v_lshlrev_b64 v[30:31], 1, v[40:41]
	v_cvt_f16_f32_e32 v86, v86
	v_add_co_u32 v30, vcc_lo, v24, v30
	v_add_co_ci_u32_e64 v31, null, v25, v31, vcc_lo
	flat_store_short v[30:31], v86
	s_or_b32 exec_lo, exec_lo, s12
	s_and_b32 s15, s5, s8
	s_and_saveexec_b32 s12, s15
	s_cbranch_execz .LBB228_184
.LBB228_206:
	v_cmp_ne_u32_e32 vcc_lo, 1, v71
	s_cbranch_vccnz .LBB228_208
; %bb.207:
	v_lshlrev_b64 v[30:31], 1, v[42:43]
	v_add_co_u32 v30, vcc_lo, v28, v30
	v_add_co_ci_u32_e64 v31, null, v29, v31, vcc_lo
	flat_load_ushort v30, v[30:31]
	s_waitcnt vmcnt(0) lgkmcnt(0)
	v_mul_f16_e32 v30, v48, v30
	v_cvt_f32_f16_e32 v30, v30
	s_branch .LBB228_209
.LBB228_208:
	v_mov_b32_e32 v30, 0
.LBB228_209:
	v_pk_add_f16 v31, v10, v26
	v_pk_add_f16 v86, v11, v27
	v_max_f16_e32 v87, v85, v85
	v_lshrrev_b32_e32 v85, 16, v85
	v_max_f32_e32 v30, v30, v30
	v_lshrrev_b32_e32 v88, 16, v31
	v_lshrrev_b32_e32 v89, 16, v86
	v_min_f16_e32 v31, v87, v31
	v_min3_f16 v85, v85, v88, v89
	v_min3_f16 v31, v31, v86, v85
	v_cvt_f32_f16_e32 v31, v31
	v_min_f32_e32 v85, v30, v31
	v_lshlrev_b64 v[30:31], 1, v[42:43]
	v_cvt_f16_f32_e32 v85, v85
	v_add_co_u32 v30, vcc_lo, v24, v30
	v_add_co_ci_u32_e64 v31, null, v25, v31, vcc_lo
	flat_store_short v[30:31], v85
	s_or_b32 exec_lo, exec_lo, s12
	s_and_b32 s15, s6, s8
	s_and_saveexec_b32 s12, s15
	s_cbranch_execz .LBB228_185
.LBB228_210:
	v_cmp_ne_u32_e32 vcc_lo, 1, v71
	s_cbranch_vccnz .LBB228_212
; %bb.211:
	v_lshlrev_b64 v[30:31], 1, v[44:45]
	v_add_co_u32 v30, vcc_lo, v28, v30
	v_add_co_ci_u32_e64 v31, null, v29, v31, vcc_lo
	flat_load_ushort v30, v[30:31]
	s_waitcnt vmcnt(0) lgkmcnt(0)
	v_mul_f16_e32 v30, v48, v30
	v_cvt_f32_f16_e32 v30, v30
	s_branch .LBB228_213
.LBB228_212:
	v_mov_b32_e32 v30, 0
.LBB228_213:
	v_pk_add_f16 v31, v0, v26
	v_pk_add_f16 v85, v1, v27
	v_max_f16_e32 v86, v84, v84
	v_lshrrev_b32_e32 v84, 16, v84
	v_max_f32_e32 v30, v30, v30
	v_lshrrev_b32_e32 v87, 16, v31
	v_lshrrev_b32_e32 v88, 16, v85
	v_min_f16_e32 v31, v86, v31
	v_min3_f16 v84, v84, v87, v88
	v_min3_f16 v31, v31, v85, v84
	v_cvt_f32_f16_e32 v31, v31
	v_min_f32_e32 v84, v30, v31
	v_lshlrev_b64 v[30:31], 1, v[44:45]
	v_cvt_f16_f32_e32 v84, v84
	v_add_co_u32 v30, vcc_lo, v24, v30
	v_add_co_ci_u32_e64 v31, null, v25, v31, vcc_lo
	flat_store_short v[30:31], v84
	s_or_b32 exec_lo, exec_lo, s12
	s_and_b32 s12, s7, s8
	s_and_saveexec_b32 s8, s12
	s_cbranch_execz .LBB228_218
.LBB228_214:
	v_cmp_ne_u32_e32 vcc_lo, 1, v71
	s_cbranch_vccnz .LBB228_216
; %bb.215:
	v_lshlrev_b64 v[30:31], 1, v[46:47]
	v_add_co_u32 v28, vcc_lo, v28, v30
	v_add_co_ci_u32_e64 v29, null, v29, v31, vcc_lo
	flat_load_ushort v28, v[28:29]
	s_waitcnt vmcnt(0) lgkmcnt(0)
	v_mul_f16_e32 v28, v48, v28
	v_cvt_f32_f16_e32 v28, v28
	s_branch .LBB228_217
.LBB228_216:
	v_mov_b32_e32 v28, 0
.LBB228_217:
	v_pk_add_f16 v26, v2, v26
	v_pk_add_f16 v27, v3, v27
	v_max_f16_e32 v29, v83, v83
	v_lshrrev_b32_e32 v30, 16, v83
	v_lshrrev_b32_e32 v31, 16, v26
	;; [unrolled: 1-line block ×3, first 2 shown]
	v_min_f16_e32 v26, v29, v26
	v_min3_f16 v29, v30, v31, v83
	v_min3_f16 v26, v26, v27, v29
	v_max_f32_e32 v27, v28, v28
	v_cvt_f32_f16_e32 v26, v26
	v_min_f32_e32 v28, v27, v26
	v_lshlrev_b64 v[26:27], 1, v[46:47]
	v_cvt_f16_f32_e32 v28, v28
	v_add_co_u32 v24, vcc_lo, v24, v26
	v_add_co_ci_u32_e64 v25, null, v25, v27, vcc_lo
	flat_store_short v[24:25], v28
.LBB228_218:
	s_or_b32 exec_lo, exec_lo, s8
	v_add_nc_u32_e32 v28, 0x80, v78
	v_mad_i64_i32 v[24:25], null, v28, s14, 0
	v_mad_i64_i32 v[26:27], null, v28, s9, 0
	v_cmp_gt_i32_e64 s8, s13, v28
	v_lshlrev_b64 v[24:25], 1, v[24:25]
	s_and_b32 s15, s0, s8
	v_lshlrev_b64 v[28:29], 1, v[26:27]
	v_add_co_u32 v26, vcc_lo, s16, v24
	v_add_co_ci_u32_e64 v27, null, s17, v25, vcc_lo
	v_add_co_u32 v24, vcc_lo, s10, v28
	v_add_co_ci_u32_e64 v25, null, s11, v29, vcc_lo
	s_and_saveexec_b32 s12, s15
	s_cbranch_execnz .LBB228_226
; %bb.219:
	s_or_b32 exec_lo, exec_lo, s12
	s_and_b32 s15, s1, s8
	s_and_saveexec_b32 s12, s15
	s_cbranch_execnz .LBB228_230
.LBB228_220:
	s_or_b32 exec_lo, exec_lo, s12
	s_and_b32 s15, s2, s8
	s_and_saveexec_b32 s12, s15
	s_cbranch_execnz .LBB228_234
.LBB228_221:
	s_or_b32 exec_lo, exec_lo, s12
	s_and_b32 s15, s3, s8
	s_and_saveexec_b32 s12, s15
	s_cbranch_execnz .LBB228_238
.LBB228_222:
	s_or_b32 exec_lo, exec_lo, s12
	s_and_b32 s15, s4, s8
	s_and_saveexec_b32 s12, s15
	s_cbranch_execnz .LBB228_242
.LBB228_223:
	s_or_b32 exec_lo, exec_lo, s12
	s_and_b32 s15, s5, s8
	s_and_saveexec_b32 s12, s15
	s_cbranch_execnz .LBB228_246
.LBB228_224:
	s_or_b32 exec_lo, exec_lo, s12
	s_and_b32 s15, s6, s8
	s_and_saveexec_b32 s12, s15
	s_cbranch_execnz .LBB228_250
.LBB228_225:
	s_or_b32 exec_lo, exec_lo, s12
	s_and_b32 s12, s7, s8
	s_and_saveexec_b32 s8, s12
	s_cbranch_execnz .LBB228_254
	s_branch .LBB228_258
.LBB228_226:
	v_cmp_ne_u32_e32 vcc_lo, 1, v71
	s_cbranch_vccnz .LBB228_228
; %bb.227:
	v_lshlrev_b64 v[28:29], 1, v[32:33]
	v_add_co_u32 v28, vcc_lo, v26, v28
	v_add_co_ci_u32_e64 v29, null, v27, v29, vcc_lo
	flat_load_ushort v28, v[28:29]
	s_waitcnt vmcnt(0) lgkmcnt(0)
	v_mul_f16_e32 v28, v48, v28
	v_cvt_f32_f16_e32 v28, v28
	s_branch .LBB228_229
.LBB228_228:
	v_mov_b32_e32 v28, 0
.LBB228_229:
	v_pk_add_f16 v29, v16, v20
	v_pk_add_f16 v30, v17, v21
	v_max_f16_e32 v31, v82, v82
	v_lshrrev_b32_e32 v82, 16, v82
	v_max_f32_e32 v28, v28, v28
	v_lshrrev_b32_e32 v83, 16, v29
	v_lshrrev_b32_e32 v84, 16, v30
	v_min_f16_e32 v29, v31, v29
	v_min3_f16 v31, v82, v83, v84
	v_min3_f16 v29, v29, v30, v31
	v_cvt_f32_f16_e32 v29, v29
	v_min_f32_e32 v30, v28, v29
	v_lshlrev_b64 v[28:29], 1, v[32:33]
	v_cvt_f16_f32_e32 v30, v30
	v_add_co_u32 v28, vcc_lo, v24, v28
	v_add_co_ci_u32_e64 v29, null, v25, v29, vcc_lo
	flat_store_short v[28:29], v30
	s_or_b32 exec_lo, exec_lo, s12
	s_and_b32 s15, s1, s8
	s_and_saveexec_b32 s12, s15
	s_cbranch_execz .LBB228_220
.LBB228_230:
	v_cmp_ne_u32_e32 vcc_lo, 1, v71
	s_cbranch_vccnz .LBB228_232
; %bb.231:
	v_lshlrev_b64 v[28:29], 1, v[34:35]
	v_add_co_u32 v28, vcc_lo, v26, v28
	v_add_co_ci_u32_e64 v29, null, v27, v29, vcc_lo
	flat_load_ushort v28, v[28:29]
	s_waitcnt vmcnt(0) lgkmcnt(0)
	v_mul_f16_e32 v28, v48, v28
	v_cvt_f32_f16_e32 v28, v28
	s_branch .LBB228_233
.LBB228_232:
	v_mov_b32_e32 v28, 0
.LBB228_233:
	v_pk_add_f16 v29, v18, v20
	v_pk_add_f16 v30, v19, v21
	v_max_f16_e32 v31, v81, v81
	v_lshrrev_b32_e32 v81, 16, v81
	v_max_f32_e32 v28, v28, v28
	v_lshrrev_b32_e32 v82, 16, v29
	v_lshrrev_b32_e32 v83, 16, v30
	v_min_f16_e32 v29, v31, v29
	v_min3_f16 v31, v81, v82, v83
	v_min3_f16 v29, v29, v30, v31
	v_cvt_f32_f16_e32 v29, v29
	v_min_f32_e32 v30, v28, v29
	v_lshlrev_b64 v[28:29], 1, v[34:35]
	v_cvt_f16_f32_e32 v30, v30
	v_add_co_u32 v28, vcc_lo, v24, v28
	v_add_co_ci_u32_e64 v29, null, v25, v29, vcc_lo
	flat_store_short v[28:29], v30
	s_or_b32 exec_lo, exec_lo, s12
	s_and_b32 s15, s2, s8
	s_and_saveexec_b32 s12, s15
	s_cbranch_execz .LBB228_221
.LBB228_234:
	v_cmp_ne_u32_e32 vcc_lo, 1, v71
	s_cbranch_vccnz .LBB228_236
; %bb.235:
	v_lshlrev_b64 v[28:29], 1, v[36:37]
	v_add_co_u32 v28, vcc_lo, v26, v28
	v_add_co_ci_u32_e64 v29, null, v27, v29, vcc_lo
	flat_load_ushort v28, v[28:29]
	s_waitcnt vmcnt(0) lgkmcnt(0)
	v_mul_f16_e32 v28, v48, v28
	v_cvt_f32_f16_e32 v28, v28
	s_branch .LBB228_237
.LBB228_236:
	v_mov_b32_e32 v28, 0
.LBB228_237:
	v_pk_add_f16 v29, v12, v20
	v_pk_add_f16 v30, v13, v21
	v_max_f16_e32 v31, v80, v80
	v_lshrrev_b32_e32 v80, 16, v80
	v_max_f32_e32 v28, v28, v28
	v_lshrrev_b32_e32 v81, 16, v29
	v_lshrrev_b32_e32 v82, 16, v30
	v_min_f16_e32 v29, v31, v29
	v_min3_f16 v31, v80, v81, v82
	v_min3_f16 v29, v29, v30, v31
	v_cvt_f32_f16_e32 v29, v29
	v_min_f32_e32 v30, v28, v29
	v_lshlrev_b64 v[28:29], 1, v[36:37]
	v_cvt_f16_f32_e32 v30, v30
	v_add_co_u32 v28, vcc_lo, v24, v28
	v_add_co_ci_u32_e64 v29, null, v25, v29, vcc_lo
	flat_store_short v[28:29], v30
	s_or_b32 exec_lo, exec_lo, s12
	s_and_b32 s15, s3, s8
	s_and_saveexec_b32 s12, s15
	s_cbranch_execz .LBB228_222
.LBB228_238:
	v_cmp_ne_u32_e32 vcc_lo, 1, v71
	s_cbranch_vccnz .LBB228_240
; %bb.239:
	v_lshlrev_b64 v[28:29], 1, v[38:39]
	v_add_co_u32 v28, vcc_lo, v26, v28
	v_add_co_ci_u32_e64 v29, null, v27, v29, vcc_lo
	flat_load_ushort v28, v[28:29]
	s_waitcnt vmcnt(0) lgkmcnt(0)
	v_mul_f16_e32 v28, v48, v28
	v_cvt_f32_f16_e32 v28, v28
	s_branch .LBB228_241
.LBB228_240:
	v_mov_b32_e32 v28, 0
.LBB228_241:
	v_pk_add_f16 v29, v14, v20
	v_pk_add_f16 v30, v15, v21
	v_max_f16_e32 v31, v79, v79
	v_lshrrev_b32_e32 v79, 16, v79
	v_max_f32_e32 v28, v28, v28
	v_lshrrev_b32_e32 v80, 16, v29
	v_lshrrev_b32_e32 v81, 16, v30
	v_min_f16_e32 v29, v31, v29
	v_min3_f16 v31, v79, v80, v81
	v_min3_f16 v29, v29, v30, v31
	v_cvt_f32_f16_e32 v29, v29
	v_min_f32_e32 v30, v28, v29
	v_lshlrev_b64 v[28:29], 1, v[38:39]
	v_cvt_f16_f32_e32 v30, v30
	v_add_co_u32 v28, vcc_lo, v24, v28
	v_add_co_ci_u32_e64 v29, null, v25, v29, vcc_lo
	flat_store_short v[28:29], v30
	s_or_b32 exec_lo, exec_lo, s12
	s_and_b32 s15, s4, s8
	s_and_saveexec_b32 s12, s15
	s_cbranch_execz .LBB228_223
.LBB228_242:
	v_cmp_ne_u32_e32 vcc_lo, 1, v71
	s_cbranch_vccnz .LBB228_244
; %bb.243:
	v_lshlrev_b64 v[28:29], 1, v[40:41]
	v_add_co_u32 v28, vcc_lo, v26, v28
	v_add_co_ci_u32_e64 v29, null, v27, v29, vcc_lo
	flat_load_ushort v28, v[28:29]
	s_waitcnt vmcnt(0) lgkmcnt(0)
	v_mul_f16_e32 v28, v48, v28
	v_cvt_f32_f16_e32 v28, v28
	s_branch .LBB228_245
.LBB228_244:
	v_mov_b32_e32 v28, 0
.LBB228_245:
	v_pk_add_f16 v29, v8, v20
	v_pk_add_f16 v30, v9, v21
	v_max_f16_e32 v31, v77, v77
	v_lshrrev_b32_e32 v77, 16, v77
	v_max_f32_e32 v28, v28, v28
	v_lshrrev_b32_e32 v79, 16, v29
	v_lshrrev_b32_e32 v80, 16, v30
	v_min_f16_e32 v29, v31, v29
	v_min3_f16 v31, v77, v79, v80
	v_min3_f16 v29, v29, v30, v31
	v_cvt_f32_f16_e32 v29, v29
	v_min_f32_e32 v30, v28, v29
	v_lshlrev_b64 v[28:29], 1, v[40:41]
	v_cvt_f16_f32_e32 v30, v30
	v_add_co_u32 v28, vcc_lo, v24, v28
	v_add_co_ci_u32_e64 v29, null, v25, v29, vcc_lo
	flat_store_short v[28:29], v30
	s_or_b32 exec_lo, exec_lo, s12
	s_and_b32 s15, s5, s8
	s_and_saveexec_b32 s12, s15
	s_cbranch_execz .LBB228_224
.LBB228_246:
	v_cmp_ne_u32_e32 vcc_lo, 1, v71
	s_cbranch_vccnz .LBB228_248
; %bb.247:
	v_lshlrev_b64 v[28:29], 1, v[42:43]
	v_add_co_u32 v28, vcc_lo, v26, v28
	v_add_co_ci_u32_e64 v29, null, v27, v29, vcc_lo
	flat_load_ushort v28, v[28:29]
	s_waitcnt vmcnt(0) lgkmcnt(0)
	v_mul_f16_e32 v28, v48, v28
	v_cvt_f32_f16_e32 v28, v28
	s_branch .LBB228_249
.LBB228_248:
	v_mov_b32_e32 v28, 0
.LBB228_249:
	v_pk_add_f16 v29, v10, v20
	v_pk_add_f16 v30, v11, v21
	v_max_f16_e32 v31, v76, v76
	v_lshrrev_b32_e32 v76, 16, v76
	v_max_f32_e32 v28, v28, v28
	v_lshrrev_b32_e32 v77, 16, v29
	v_lshrrev_b32_e32 v79, 16, v30
	v_min_f16_e32 v29, v31, v29
	v_min3_f16 v31, v76, v77, v79
	v_min3_f16 v29, v29, v30, v31
	v_cvt_f32_f16_e32 v29, v29
	v_min_f32_e32 v30, v28, v29
	v_lshlrev_b64 v[28:29], 1, v[42:43]
	v_cvt_f16_f32_e32 v30, v30
	v_add_co_u32 v28, vcc_lo, v24, v28
	v_add_co_ci_u32_e64 v29, null, v25, v29, vcc_lo
	flat_store_short v[28:29], v30
	s_or_b32 exec_lo, exec_lo, s12
	s_and_b32 s15, s6, s8
	s_and_saveexec_b32 s12, s15
	s_cbranch_execz .LBB228_225
.LBB228_250:
	v_cmp_ne_u32_e32 vcc_lo, 1, v71
	s_cbranch_vccnz .LBB228_252
; %bb.251:
	v_lshlrev_b64 v[28:29], 1, v[44:45]
	v_add_co_u32 v28, vcc_lo, v26, v28
	v_add_co_ci_u32_e64 v29, null, v27, v29, vcc_lo
	flat_load_ushort v28, v[28:29]
	s_waitcnt vmcnt(0) lgkmcnt(0)
	v_mul_f16_e32 v28, v48, v28
	v_cvt_f32_f16_e32 v28, v28
	s_branch .LBB228_253
.LBB228_252:
	v_mov_b32_e32 v28, 0
.LBB228_253:
	v_pk_add_f16 v29, v0, v20
	v_pk_add_f16 v30, v1, v21
	v_max_f16_e32 v31, v75, v75
	v_lshrrev_b32_e32 v75, 16, v75
	v_max_f32_e32 v28, v28, v28
	v_lshrrev_b32_e32 v76, 16, v29
	v_lshrrev_b32_e32 v77, 16, v30
	v_min_f16_e32 v29, v31, v29
	v_min3_f16 v31, v75, v76, v77
	v_min3_f16 v29, v29, v30, v31
	v_cvt_f32_f16_e32 v29, v29
	v_min_f32_e32 v30, v28, v29
	v_lshlrev_b64 v[28:29], 1, v[44:45]
	v_cvt_f16_f32_e32 v30, v30
	v_add_co_u32 v28, vcc_lo, v24, v28
	v_add_co_ci_u32_e64 v29, null, v25, v29, vcc_lo
	flat_store_short v[28:29], v30
	s_or_b32 exec_lo, exec_lo, s12
	s_and_b32 s12, s7, s8
	s_and_saveexec_b32 s8, s12
	s_cbranch_execz .LBB228_258
.LBB228_254:
	v_cmp_ne_u32_e32 vcc_lo, 1, v71
	s_cbranch_vccnz .LBB228_256
; %bb.255:
	v_lshlrev_b64 v[28:29], 1, v[46:47]
	v_add_co_u32 v26, vcc_lo, v26, v28
	v_add_co_ci_u32_e64 v27, null, v27, v29, vcc_lo
	flat_load_ushort v26, v[26:27]
	s_waitcnt vmcnt(0) lgkmcnt(0)
	v_mul_f16_e32 v26, v48, v26
	v_cvt_f32_f16_e32 v26, v26
	s_branch .LBB228_257
.LBB228_256:
	v_mov_b32_e32 v26, 0
.LBB228_257:
	v_pk_add_f16 v20, v2, v20
	v_pk_add_f16 v21, v3, v21
	v_max_f16_e32 v27, v74, v74
	v_lshrrev_b32_e32 v28, 16, v74
	v_lshrrev_b32_e32 v29, 16, v20
	;; [unrolled: 1-line block ×3, first 2 shown]
	v_min_f16_e32 v20, v27, v20
	v_min3_f16 v27, v28, v29, v30
	v_min3_f16 v20, v20, v21, v27
	v_max_f32_e32 v21, v26, v26
	v_cvt_f32_f16_e32 v20, v20
	v_min_f32_e32 v26, v21, v20
	v_lshlrev_b64 v[20:21], 1, v[46:47]
	v_cvt_f16_f32_e32 v26, v26
	v_add_co_u32 v20, vcc_lo, v24, v20
	v_add_co_ci_u32_e64 v21, null, v25, v21, vcc_lo
	flat_store_short v[20:21], v26
.LBB228_258:
	s_or_b32 exec_lo, exec_lo, s8
	v_add_nc_u32_e32 v26, 0xa0, v78
	v_mad_i64_i32 v[20:21], null, v26, s14, 0
	v_mad_i64_i32 v[24:25], null, v26, s9, 0
	v_cmp_gt_i32_e64 s8, s13, v26
	v_lshlrev_b64 v[20:21], 1, v[20:21]
	s_and_b32 s15, s0, s8
	v_lshlrev_b64 v[26:27], 1, v[24:25]
	v_add_co_u32 v24, vcc_lo, s16, v20
	v_add_co_ci_u32_e64 v25, null, s17, v21, vcc_lo
	v_add_co_u32 v20, vcc_lo, s10, v26
	v_add_co_ci_u32_e64 v21, null, s11, v27, vcc_lo
	s_and_saveexec_b32 s12, s15
	s_cbranch_execnz .LBB228_266
; %bb.259:
	s_or_b32 exec_lo, exec_lo, s12
	s_and_b32 s15, s1, s8
	s_and_saveexec_b32 s12, s15
	s_cbranch_execnz .LBB228_270
.LBB228_260:
	s_or_b32 exec_lo, exec_lo, s12
	s_and_b32 s15, s2, s8
	s_and_saveexec_b32 s12, s15
	s_cbranch_execnz .LBB228_274
.LBB228_261:
	s_or_b32 exec_lo, exec_lo, s12
	s_and_b32 s15, s3, s8
	s_and_saveexec_b32 s12, s15
	s_cbranch_execnz .LBB228_278
.LBB228_262:
	s_or_b32 exec_lo, exec_lo, s12
	s_and_b32 s15, s4, s8
	s_and_saveexec_b32 s12, s15
	s_cbranch_execnz .LBB228_282
.LBB228_263:
	s_or_b32 exec_lo, exec_lo, s12
	s_and_b32 s15, s5, s8
	s_and_saveexec_b32 s12, s15
	s_cbranch_execnz .LBB228_286
.LBB228_264:
	s_or_b32 exec_lo, exec_lo, s12
	s_and_b32 s15, s6, s8
	s_and_saveexec_b32 s12, s15
	s_cbranch_execnz .LBB228_290
.LBB228_265:
	s_or_b32 exec_lo, exec_lo, s12
	s_and_b32 s12, s7, s8
	s_and_saveexec_b32 s8, s12
	s_cbranch_execnz .LBB228_294
	s_branch .LBB228_298
.LBB228_266:
	v_cmp_ne_u32_e32 vcc_lo, 1, v71
	s_cbranch_vccnz .LBB228_268
; %bb.267:
	v_lshlrev_b64 v[26:27], 1, v[32:33]
	v_add_co_u32 v26, vcc_lo, v24, v26
	v_add_co_ci_u32_e64 v27, null, v25, v27, vcc_lo
	flat_load_ushort v26, v[26:27]
	s_waitcnt vmcnt(0) lgkmcnt(0)
	v_mul_f16_e32 v26, v48, v26
	v_cvt_f32_f16_e32 v26, v26
	s_branch .LBB228_269
.LBB228_268:
	v_mov_b32_e32 v26, 0
.LBB228_269:
	v_pk_add_f16 v27, v16, v22
	v_pk_add_f16 v28, v17, v23
	v_max_f16_e32 v29, v73, v73
	v_lshrrev_b32_e32 v30, 16, v73
	v_max_f32_e32 v26, v26, v26
	v_lshrrev_b32_e32 v31, 16, v27
	v_lshrrev_b32_e32 v73, 16, v28
	v_min_f16_e32 v27, v29, v27
	v_min3_f16 v29, v30, v31, v73
	v_min3_f16 v27, v27, v28, v29
	v_cvt_f32_f16_e32 v27, v27
	v_min_f32_e32 v28, v26, v27
	v_lshlrev_b64 v[26:27], 1, v[32:33]
	v_cvt_f16_f32_e32 v28, v28
	v_add_co_u32 v26, vcc_lo, v20, v26
	v_add_co_ci_u32_e64 v27, null, v21, v27, vcc_lo
	flat_store_short v[26:27], v28
	s_or_b32 exec_lo, exec_lo, s12
	s_and_b32 s15, s1, s8
	s_and_saveexec_b32 s12, s15
	s_cbranch_execz .LBB228_260
.LBB228_270:
	v_cmp_ne_u32_e32 vcc_lo, 1, v71
	s_cbranch_vccnz .LBB228_272
; %bb.271:
	v_lshlrev_b64 v[26:27], 1, v[34:35]
	v_add_co_u32 v26, vcc_lo, v24, v26
	v_add_co_ci_u32_e64 v27, null, v25, v27, vcc_lo
	flat_load_ushort v26, v[26:27]
	s_waitcnt vmcnt(0) lgkmcnt(0)
	v_mul_f16_e32 v26, v48, v26
	v_cvt_f32_f16_e32 v26, v26
	s_branch .LBB228_273
.LBB228_272:
	v_mov_b32_e32 v26, 0
.LBB228_273:
	v_pk_add_f16 v27, v18, v22
	v_pk_add_f16 v28, v19, v23
	v_max_f16_e32 v29, v72, v72
	v_lshrrev_b32_e32 v30, 16, v72
	v_max_f32_e32 v26, v26, v26
	v_lshrrev_b32_e32 v31, 16, v27
	v_lshrrev_b32_e32 v72, 16, v28
	v_min_f16_e32 v27, v29, v27
	v_min3_f16 v29, v30, v31, v72
	v_min3_f16 v27, v27, v28, v29
	v_cvt_f32_f16_e32 v27, v27
	v_min_f32_e32 v28, v26, v27
	v_lshlrev_b64 v[26:27], 1, v[34:35]
	v_cvt_f16_f32_e32 v28, v28
	v_add_co_u32 v26, vcc_lo, v20, v26
	v_add_co_ci_u32_e64 v27, null, v21, v27, vcc_lo
	flat_store_short v[26:27], v28
	s_or_b32 exec_lo, exec_lo, s12
	s_and_b32 s15, s2, s8
	s_and_saveexec_b32 s12, s15
	s_cbranch_execz .LBB228_261
.LBB228_274:
	v_cmp_ne_u32_e32 vcc_lo, 1, v71
	s_cbranch_vccnz .LBB228_276
; %bb.275:
	v_lshlrev_b64 v[26:27], 1, v[36:37]
	v_add_co_u32 v26, vcc_lo, v24, v26
	v_add_co_ci_u32_e64 v27, null, v25, v27, vcc_lo
	flat_load_ushort v26, v[26:27]
	s_waitcnt vmcnt(0) lgkmcnt(0)
	v_mul_f16_e32 v26, v48, v26
	v_cvt_f32_f16_e32 v26, v26
	s_branch .LBB228_277
.LBB228_276:
	v_mov_b32_e32 v26, 0
.LBB228_277:
	v_pk_add_f16 v27, v12, v22
	v_pk_add_f16 v28, v13, v23
	v_max_f16_e32 v29, v70, v70
	v_lshrrev_b32_e32 v30, 16, v70
	v_max_f32_e32 v26, v26, v26
	v_lshrrev_b32_e32 v31, 16, v27
	v_lshrrev_b32_e32 v70, 16, v28
	v_min_f16_e32 v27, v29, v27
	v_min3_f16 v29, v30, v31, v70
	v_min3_f16 v27, v27, v28, v29
	v_cvt_f32_f16_e32 v27, v27
	v_min_f32_e32 v28, v26, v27
	v_lshlrev_b64 v[26:27], 1, v[36:37]
	v_cvt_f16_f32_e32 v28, v28
	v_add_co_u32 v26, vcc_lo, v20, v26
	v_add_co_ci_u32_e64 v27, null, v21, v27, vcc_lo
	flat_store_short v[26:27], v28
	s_or_b32 exec_lo, exec_lo, s12
	s_and_b32 s15, s3, s8
	s_and_saveexec_b32 s12, s15
	s_cbranch_execz .LBB228_262
.LBB228_278:
	v_cmp_ne_u32_e32 vcc_lo, 1, v71
	s_cbranch_vccnz .LBB228_280
; %bb.279:
	v_lshlrev_b64 v[26:27], 1, v[38:39]
	v_add_co_u32 v26, vcc_lo, v24, v26
	v_add_co_ci_u32_e64 v27, null, v25, v27, vcc_lo
	flat_load_ushort v26, v[26:27]
	s_waitcnt vmcnt(0) lgkmcnt(0)
	v_mul_f16_e32 v26, v48, v26
	v_cvt_f32_f16_e32 v26, v26
	s_branch .LBB228_281
.LBB228_280:
	v_mov_b32_e32 v26, 0
.LBB228_281:
	v_pk_add_f16 v27, v14, v22
	v_pk_add_f16 v28, v15, v23
	v_max_f16_e32 v29, v69, v69
	v_lshrrev_b32_e32 v30, 16, v69
	v_max_f32_e32 v26, v26, v26
	v_lshrrev_b32_e32 v31, 16, v27
	v_lshrrev_b32_e32 v69, 16, v28
	v_min_f16_e32 v27, v29, v27
	v_min3_f16 v29, v30, v31, v69
	v_min3_f16 v27, v27, v28, v29
	v_cvt_f32_f16_e32 v27, v27
	v_min_f32_e32 v28, v26, v27
	v_lshlrev_b64 v[26:27], 1, v[38:39]
	v_cvt_f16_f32_e32 v28, v28
	v_add_co_u32 v26, vcc_lo, v20, v26
	v_add_co_ci_u32_e64 v27, null, v21, v27, vcc_lo
	flat_store_short v[26:27], v28
	s_or_b32 exec_lo, exec_lo, s12
	s_and_b32 s15, s4, s8
	s_and_saveexec_b32 s12, s15
	s_cbranch_execz .LBB228_263
.LBB228_282:
	v_cmp_ne_u32_e32 vcc_lo, 1, v71
	s_cbranch_vccnz .LBB228_284
; %bb.283:
	v_lshlrev_b64 v[26:27], 1, v[40:41]
	v_add_co_u32 v26, vcc_lo, v24, v26
	v_add_co_ci_u32_e64 v27, null, v25, v27, vcc_lo
	flat_load_ushort v26, v[26:27]
	s_waitcnt vmcnt(0) lgkmcnt(0)
	v_mul_f16_e32 v26, v48, v26
	v_cvt_f32_f16_e32 v26, v26
	s_branch .LBB228_285
.LBB228_284:
	v_mov_b32_e32 v26, 0
.LBB228_285:
	v_pk_add_f16 v27, v8, v22
	v_pk_add_f16 v28, v9, v23
	v_max_f16_e32 v29, v68, v68
	v_lshrrev_b32_e32 v30, 16, v68
	v_max_f32_e32 v26, v26, v26
	v_lshrrev_b32_e32 v31, 16, v27
	v_lshrrev_b32_e32 v68, 16, v28
	v_min_f16_e32 v27, v29, v27
	v_min3_f16 v29, v30, v31, v68
	v_min3_f16 v27, v27, v28, v29
	v_cvt_f32_f16_e32 v27, v27
	v_min_f32_e32 v28, v26, v27
	v_lshlrev_b64 v[26:27], 1, v[40:41]
	v_cvt_f16_f32_e32 v28, v28
	v_add_co_u32 v26, vcc_lo, v20, v26
	v_add_co_ci_u32_e64 v27, null, v21, v27, vcc_lo
	flat_store_short v[26:27], v28
	s_or_b32 exec_lo, exec_lo, s12
	s_and_b32 s15, s5, s8
	s_and_saveexec_b32 s12, s15
	s_cbranch_execz .LBB228_264
.LBB228_286:
	v_cmp_ne_u32_e32 vcc_lo, 1, v71
	s_cbranch_vccnz .LBB228_288
; %bb.287:
	v_lshlrev_b64 v[26:27], 1, v[42:43]
	v_add_co_u32 v26, vcc_lo, v24, v26
	v_add_co_ci_u32_e64 v27, null, v25, v27, vcc_lo
	flat_load_ushort v26, v[26:27]
	s_waitcnt vmcnt(0) lgkmcnt(0)
	v_mul_f16_e32 v26, v48, v26
	v_cvt_f32_f16_e32 v26, v26
	s_branch .LBB228_289
.LBB228_288:
	v_mov_b32_e32 v26, 0
.LBB228_289:
	v_pk_add_f16 v27, v10, v22
	v_pk_add_f16 v28, v11, v23
	v_max_f16_e32 v29, v67, v67
	v_lshrrev_b32_e32 v30, 16, v67
	v_max_f32_e32 v26, v26, v26
	v_lshrrev_b32_e32 v31, 16, v27
	v_lshrrev_b32_e32 v67, 16, v28
	v_min_f16_e32 v27, v29, v27
	v_min3_f16 v29, v30, v31, v67
	v_min3_f16 v27, v27, v28, v29
	v_cvt_f32_f16_e32 v27, v27
	v_min_f32_e32 v28, v26, v27
	v_lshlrev_b64 v[26:27], 1, v[42:43]
	v_cvt_f16_f32_e32 v28, v28
	v_add_co_u32 v26, vcc_lo, v20, v26
	v_add_co_ci_u32_e64 v27, null, v21, v27, vcc_lo
	flat_store_short v[26:27], v28
	s_or_b32 exec_lo, exec_lo, s12
	s_and_b32 s15, s6, s8
	s_and_saveexec_b32 s12, s15
	s_cbranch_execz .LBB228_265
.LBB228_290:
	v_cmp_ne_u32_e32 vcc_lo, 1, v71
	s_cbranch_vccnz .LBB228_292
; %bb.291:
	v_lshlrev_b64 v[26:27], 1, v[44:45]
	v_add_co_u32 v26, vcc_lo, v24, v26
	v_add_co_ci_u32_e64 v27, null, v25, v27, vcc_lo
	flat_load_ushort v26, v[26:27]
	s_waitcnt vmcnt(0) lgkmcnt(0)
	v_mul_f16_e32 v26, v48, v26
	v_cvt_f32_f16_e32 v26, v26
	s_branch .LBB228_293
.LBB228_292:
	v_mov_b32_e32 v26, 0
.LBB228_293:
	v_pk_add_f16 v27, v0, v22
	v_pk_add_f16 v28, v1, v23
	v_max_f16_e32 v29, v66, v66
	v_lshrrev_b32_e32 v30, 16, v66
	v_max_f32_e32 v26, v26, v26
	v_lshrrev_b32_e32 v31, 16, v27
	v_lshrrev_b32_e32 v66, 16, v28
	v_min_f16_e32 v27, v29, v27
	v_min3_f16 v29, v30, v31, v66
	v_min3_f16 v27, v27, v28, v29
	v_cvt_f32_f16_e32 v27, v27
	v_min_f32_e32 v28, v26, v27
	v_lshlrev_b64 v[26:27], 1, v[44:45]
	v_cvt_f16_f32_e32 v28, v28
	v_add_co_u32 v26, vcc_lo, v20, v26
	v_add_co_ci_u32_e64 v27, null, v21, v27, vcc_lo
	flat_store_short v[26:27], v28
	s_or_b32 exec_lo, exec_lo, s12
	s_and_b32 s12, s7, s8
	s_and_saveexec_b32 s8, s12
	s_cbranch_execz .LBB228_298
.LBB228_294:
	v_cmp_ne_u32_e32 vcc_lo, 1, v71
	s_cbranch_vccnz .LBB228_296
; %bb.295:
	v_lshlrev_b64 v[26:27], 1, v[46:47]
	v_add_co_u32 v24, vcc_lo, v24, v26
	v_add_co_ci_u32_e64 v25, null, v25, v27, vcc_lo
	flat_load_ushort v24, v[24:25]
	s_waitcnt vmcnt(0) lgkmcnt(0)
	v_mul_f16_e32 v24, v48, v24
	v_cvt_f32_f16_e32 v24, v24
	s_branch .LBB228_297
.LBB228_296:
	v_mov_b32_e32 v24, 0
.LBB228_297:
	v_pk_add_f16 v22, v2, v22
	v_pk_add_f16 v23, v3, v23
	v_max_f16_e32 v25, v65, v65
	v_lshrrev_b32_e32 v26, 16, v65
	v_lshrrev_b32_e32 v27, 16, v22
	;; [unrolled: 1-line block ×3, first 2 shown]
	v_min_f16_e32 v22, v25, v22
	v_min3_f16 v25, v26, v27, v28
	v_min3_f16 v22, v22, v23, v25
	v_max_f32_e32 v23, v24, v24
	v_cvt_f32_f16_e32 v22, v22
	v_min_f32_e32 v24, v23, v22
	v_lshlrev_b64 v[22:23], 1, v[46:47]
	v_cvt_f16_f32_e32 v24, v24
	v_add_co_u32 v20, vcc_lo, v20, v22
	v_add_co_ci_u32_e64 v21, null, v21, v23, vcc_lo
	flat_store_short v[20:21], v24
.LBB228_298:
	s_or_b32 exec_lo, exec_lo, s8
	v_add_nc_u32_e32 v24, 0xc0, v78
	v_mad_i64_i32 v[20:21], null, v24, s14, 0
	v_mad_i64_i32 v[22:23], null, v24, s9, 0
	v_cmp_gt_i32_e64 s8, s13, v24
	v_lshlrev_b64 v[20:21], 1, v[20:21]
	s_and_b32 s15, s0, s8
	v_lshlrev_b64 v[24:25], 1, v[22:23]
	v_add_co_u32 v22, vcc_lo, s16, v20
	v_add_co_ci_u32_e64 v23, null, s17, v21, vcc_lo
	v_add_co_u32 v20, vcc_lo, s10, v24
	v_add_co_ci_u32_e64 v21, null, s11, v25, vcc_lo
	s_and_saveexec_b32 s12, s15
	s_cbranch_execnz .LBB228_306
; %bb.299:
	s_or_b32 exec_lo, exec_lo, s12
	s_and_b32 s15, s1, s8
	s_and_saveexec_b32 s12, s15
	s_cbranch_execnz .LBB228_310
.LBB228_300:
	s_or_b32 exec_lo, exec_lo, s12
	s_and_b32 s15, s2, s8
	s_and_saveexec_b32 s12, s15
	s_cbranch_execnz .LBB228_314
.LBB228_301:
	s_or_b32 exec_lo, exec_lo, s12
	s_and_b32 s15, s3, s8
	s_and_saveexec_b32 s12, s15
	s_cbranch_execnz .LBB228_318
.LBB228_302:
	s_or_b32 exec_lo, exec_lo, s12
	s_and_b32 s15, s4, s8
	s_and_saveexec_b32 s12, s15
	s_cbranch_execnz .LBB228_322
.LBB228_303:
	s_or_b32 exec_lo, exec_lo, s12
	s_and_b32 s15, s5, s8
	s_and_saveexec_b32 s12, s15
	s_cbranch_execnz .LBB228_326
.LBB228_304:
	s_or_b32 exec_lo, exec_lo, s12
	s_and_b32 s15, s6, s8
	s_and_saveexec_b32 s12, s15
	s_cbranch_execnz .LBB228_330
.LBB228_305:
	s_or_b32 exec_lo, exec_lo, s12
	s_and_b32 s12, s7, s8
	s_and_saveexec_b32 s8, s12
	s_cbranch_execnz .LBB228_334
	s_branch .LBB228_338
.LBB228_306:
	v_cmp_ne_u32_e32 vcc_lo, 1, v71
	s_cbranch_vccnz .LBB228_308
; %bb.307:
	v_lshlrev_b64 v[24:25], 1, v[32:33]
	v_add_co_u32 v24, vcc_lo, v22, v24
	v_add_co_ci_u32_e64 v25, null, v23, v25, vcc_lo
	flat_load_ushort v24, v[24:25]
	s_waitcnt vmcnt(0) lgkmcnt(0)
	v_mul_f16_e32 v24, v48, v24
	v_cvt_f32_f16_e32 v24, v24
	s_branch .LBB228_309
.LBB228_308:
	v_mov_b32_e32 v24, 0
.LBB228_309:
	v_pk_add_f16 v25, v16, v4
	v_pk_add_f16 v26, v17, v5
	v_max_f16_e32 v27, v64, v64
	v_lshrrev_b32_e32 v28, 16, v64
	v_max_f32_e32 v24, v24, v24
	v_lshrrev_b32_e32 v29, 16, v25
	v_lshrrev_b32_e32 v30, 16, v26
	v_min_f16_e32 v25, v27, v25
	v_min3_f16 v27, v28, v29, v30
	v_min3_f16 v25, v25, v26, v27
	v_cvt_f32_f16_e32 v25, v25
	v_min_f32_e32 v26, v24, v25
	v_lshlrev_b64 v[24:25], 1, v[32:33]
	v_cvt_f16_f32_e32 v26, v26
	v_add_co_u32 v24, vcc_lo, v20, v24
	v_add_co_ci_u32_e64 v25, null, v21, v25, vcc_lo
	flat_store_short v[24:25], v26
	s_or_b32 exec_lo, exec_lo, s12
	s_and_b32 s15, s1, s8
	s_and_saveexec_b32 s12, s15
	s_cbranch_execz .LBB228_300
.LBB228_310:
	v_cmp_ne_u32_e32 vcc_lo, 1, v71
	s_cbranch_vccnz .LBB228_312
; %bb.311:
	v_lshlrev_b64 v[24:25], 1, v[34:35]
	v_add_co_u32 v24, vcc_lo, v22, v24
	v_add_co_ci_u32_e64 v25, null, v23, v25, vcc_lo
	flat_load_ushort v24, v[24:25]
	s_waitcnt vmcnt(0) lgkmcnt(0)
	v_mul_f16_e32 v24, v48, v24
	v_cvt_f32_f16_e32 v24, v24
	s_branch .LBB228_313
.LBB228_312:
	v_mov_b32_e32 v24, 0
.LBB228_313:
	v_pk_add_f16 v25, v18, v4
	v_pk_add_f16 v26, v19, v5
	v_max_f16_e32 v27, v63, v63
	v_lshrrev_b32_e32 v28, 16, v63
	v_max_f32_e32 v24, v24, v24
	v_lshrrev_b32_e32 v29, 16, v25
	v_lshrrev_b32_e32 v30, 16, v26
	v_min_f16_e32 v25, v27, v25
	v_min3_f16 v27, v28, v29, v30
	v_min3_f16 v25, v25, v26, v27
	v_cvt_f32_f16_e32 v25, v25
	v_min_f32_e32 v26, v24, v25
	v_lshlrev_b64 v[24:25], 1, v[34:35]
	v_cvt_f16_f32_e32 v26, v26
	v_add_co_u32 v24, vcc_lo, v20, v24
	v_add_co_ci_u32_e64 v25, null, v21, v25, vcc_lo
	flat_store_short v[24:25], v26
	s_or_b32 exec_lo, exec_lo, s12
	s_and_b32 s15, s2, s8
	s_and_saveexec_b32 s12, s15
	s_cbranch_execz .LBB228_301
.LBB228_314:
	v_cmp_ne_u32_e32 vcc_lo, 1, v71
	s_cbranch_vccnz .LBB228_316
; %bb.315:
	v_lshlrev_b64 v[24:25], 1, v[36:37]
	v_add_co_u32 v24, vcc_lo, v22, v24
	v_add_co_ci_u32_e64 v25, null, v23, v25, vcc_lo
	flat_load_ushort v24, v[24:25]
	s_waitcnt vmcnt(0) lgkmcnt(0)
	v_mul_f16_e32 v24, v48, v24
	v_cvt_f32_f16_e32 v24, v24
	s_branch .LBB228_317
.LBB228_316:
	v_mov_b32_e32 v24, 0
.LBB228_317:
	v_pk_add_f16 v25, v12, v4
	v_pk_add_f16 v26, v13, v5
	v_max_f16_e32 v27, v62, v62
	v_lshrrev_b32_e32 v28, 16, v62
	v_max_f32_e32 v24, v24, v24
	v_lshrrev_b32_e32 v29, 16, v25
	v_lshrrev_b32_e32 v30, 16, v26
	v_min_f16_e32 v25, v27, v25
	v_min3_f16 v27, v28, v29, v30
	v_min3_f16 v25, v25, v26, v27
	v_cvt_f32_f16_e32 v25, v25
	v_min_f32_e32 v26, v24, v25
	v_lshlrev_b64 v[24:25], 1, v[36:37]
	v_cvt_f16_f32_e32 v26, v26
	v_add_co_u32 v24, vcc_lo, v20, v24
	v_add_co_ci_u32_e64 v25, null, v21, v25, vcc_lo
	flat_store_short v[24:25], v26
	s_or_b32 exec_lo, exec_lo, s12
	s_and_b32 s15, s3, s8
	s_and_saveexec_b32 s12, s15
	s_cbranch_execz .LBB228_302
.LBB228_318:
	v_cmp_ne_u32_e32 vcc_lo, 1, v71
	s_cbranch_vccnz .LBB228_320
; %bb.319:
	v_lshlrev_b64 v[24:25], 1, v[38:39]
	v_add_co_u32 v24, vcc_lo, v22, v24
	v_add_co_ci_u32_e64 v25, null, v23, v25, vcc_lo
	flat_load_ushort v24, v[24:25]
	s_waitcnt vmcnt(0) lgkmcnt(0)
	v_mul_f16_e32 v24, v48, v24
	v_cvt_f32_f16_e32 v24, v24
	s_branch .LBB228_321
.LBB228_320:
	v_mov_b32_e32 v24, 0
.LBB228_321:
	v_pk_add_f16 v25, v14, v4
	v_pk_add_f16 v26, v15, v5
	v_max_f16_e32 v27, v61, v61
	v_lshrrev_b32_e32 v28, 16, v61
	v_max_f32_e32 v24, v24, v24
	v_lshrrev_b32_e32 v29, 16, v25
	v_lshrrev_b32_e32 v30, 16, v26
	v_min_f16_e32 v25, v27, v25
	v_min3_f16 v27, v28, v29, v30
	v_min3_f16 v25, v25, v26, v27
	v_cvt_f32_f16_e32 v25, v25
	v_min_f32_e32 v26, v24, v25
	v_lshlrev_b64 v[24:25], 1, v[38:39]
	v_cvt_f16_f32_e32 v26, v26
	v_add_co_u32 v24, vcc_lo, v20, v24
	v_add_co_ci_u32_e64 v25, null, v21, v25, vcc_lo
	flat_store_short v[24:25], v26
	s_or_b32 exec_lo, exec_lo, s12
	s_and_b32 s15, s4, s8
	s_and_saveexec_b32 s12, s15
	s_cbranch_execz .LBB228_303
.LBB228_322:
	v_cmp_ne_u32_e32 vcc_lo, 1, v71
	s_cbranch_vccnz .LBB228_324
; %bb.323:
	v_lshlrev_b64 v[24:25], 1, v[40:41]
	v_add_co_u32 v24, vcc_lo, v22, v24
	v_add_co_ci_u32_e64 v25, null, v23, v25, vcc_lo
	flat_load_ushort v24, v[24:25]
	s_waitcnt vmcnt(0) lgkmcnt(0)
	v_mul_f16_e32 v24, v48, v24
	v_cvt_f32_f16_e32 v24, v24
	s_branch .LBB228_325
.LBB228_324:
	v_mov_b32_e32 v24, 0
.LBB228_325:
	v_pk_add_f16 v25, v8, v4
	v_pk_add_f16 v26, v9, v5
	v_max_f16_e32 v27, v60, v60
	v_lshrrev_b32_e32 v28, 16, v60
	v_max_f32_e32 v24, v24, v24
	v_lshrrev_b32_e32 v29, 16, v25
	v_lshrrev_b32_e32 v30, 16, v26
	v_min_f16_e32 v25, v27, v25
	v_min3_f16 v27, v28, v29, v30
	v_min3_f16 v25, v25, v26, v27
	v_cvt_f32_f16_e32 v25, v25
	v_min_f32_e32 v26, v24, v25
	v_lshlrev_b64 v[24:25], 1, v[40:41]
	v_cvt_f16_f32_e32 v26, v26
	v_add_co_u32 v24, vcc_lo, v20, v24
	v_add_co_ci_u32_e64 v25, null, v21, v25, vcc_lo
	flat_store_short v[24:25], v26
	s_or_b32 exec_lo, exec_lo, s12
	s_and_b32 s15, s5, s8
	s_and_saveexec_b32 s12, s15
	s_cbranch_execz .LBB228_304
.LBB228_326:
	v_cmp_ne_u32_e32 vcc_lo, 1, v71
	s_cbranch_vccnz .LBB228_328
; %bb.327:
	v_lshlrev_b64 v[24:25], 1, v[42:43]
	v_add_co_u32 v24, vcc_lo, v22, v24
	v_add_co_ci_u32_e64 v25, null, v23, v25, vcc_lo
	flat_load_ushort v24, v[24:25]
	s_waitcnt vmcnt(0) lgkmcnt(0)
	v_mul_f16_e32 v24, v48, v24
	v_cvt_f32_f16_e32 v24, v24
	s_branch .LBB228_329
.LBB228_328:
	v_mov_b32_e32 v24, 0
.LBB228_329:
	v_pk_add_f16 v25, v10, v4
	v_pk_add_f16 v26, v11, v5
	v_max_f16_e32 v27, v59, v59
	v_lshrrev_b32_e32 v28, 16, v59
	v_max_f32_e32 v24, v24, v24
	v_lshrrev_b32_e32 v29, 16, v25
	v_lshrrev_b32_e32 v30, 16, v26
	v_min_f16_e32 v25, v27, v25
	v_min3_f16 v27, v28, v29, v30
	v_min3_f16 v25, v25, v26, v27
	v_cvt_f32_f16_e32 v25, v25
	v_min_f32_e32 v26, v24, v25
	v_lshlrev_b64 v[24:25], 1, v[42:43]
	v_cvt_f16_f32_e32 v26, v26
	v_add_co_u32 v24, vcc_lo, v20, v24
	v_add_co_ci_u32_e64 v25, null, v21, v25, vcc_lo
	flat_store_short v[24:25], v26
	s_or_b32 exec_lo, exec_lo, s12
	s_and_b32 s15, s6, s8
	s_and_saveexec_b32 s12, s15
	s_cbranch_execz .LBB228_305
.LBB228_330:
	v_cmp_ne_u32_e32 vcc_lo, 1, v71
	s_cbranch_vccnz .LBB228_332
; %bb.331:
	v_lshlrev_b64 v[24:25], 1, v[44:45]
	v_add_co_u32 v24, vcc_lo, v22, v24
	v_add_co_ci_u32_e64 v25, null, v23, v25, vcc_lo
	flat_load_ushort v24, v[24:25]
	s_waitcnt vmcnt(0) lgkmcnt(0)
	v_mul_f16_e32 v24, v48, v24
	v_cvt_f32_f16_e32 v24, v24
	s_branch .LBB228_333
.LBB228_332:
	v_mov_b32_e32 v24, 0
.LBB228_333:
	v_pk_add_f16 v25, v0, v4
	v_pk_add_f16 v26, v1, v5
	v_max_f16_e32 v27, v58, v58
	v_lshrrev_b32_e32 v28, 16, v58
	v_max_f32_e32 v24, v24, v24
	v_lshrrev_b32_e32 v29, 16, v25
	v_lshrrev_b32_e32 v30, 16, v26
	v_min_f16_e32 v25, v27, v25
	v_min3_f16 v27, v28, v29, v30
	v_min3_f16 v25, v25, v26, v27
	v_cvt_f32_f16_e32 v25, v25
	v_min_f32_e32 v26, v24, v25
	v_lshlrev_b64 v[24:25], 1, v[44:45]
	v_cvt_f16_f32_e32 v26, v26
	v_add_co_u32 v24, vcc_lo, v20, v24
	v_add_co_ci_u32_e64 v25, null, v21, v25, vcc_lo
	flat_store_short v[24:25], v26
	s_or_b32 exec_lo, exec_lo, s12
	s_and_b32 s12, s7, s8
	s_and_saveexec_b32 s8, s12
	s_cbranch_execz .LBB228_338
.LBB228_334:
	v_cmp_ne_u32_e32 vcc_lo, 1, v71
	s_cbranch_vccnz .LBB228_336
; %bb.335:
	v_lshlrev_b64 v[24:25], 1, v[46:47]
	v_add_co_u32 v22, vcc_lo, v22, v24
	v_add_co_ci_u32_e64 v23, null, v23, v25, vcc_lo
	flat_load_ushort v22, v[22:23]
	s_waitcnt vmcnt(0) lgkmcnt(0)
	v_mul_f16_e32 v22, v48, v22
	v_cvt_f32_f16_e32 v22, v22
	s_branch .LBB228_337
.LBB228_336:
	v_mov_b32_e32 v22, 0
.LBB228_337:
	v_pk_add_f16 v4, v2, v4
	v_pk_add_f16 v5, v3, v5
	v_max_f16_e32 v23, v57, v57
	v_lshrrev_b32_e32 v24, 16, v57
	v_lshrrev_b32_e32 v25, 16, v4
	;; [unrolled: 1-line block ×3, first 2 shown]
	v_min_f16_e32 v4, v23, v4
	v_min3_f16 v23, v24, v25, v26
	v_min3_f16 v4, v4, v5, v23
	v_max_f32_e32 v5, v22, v22
	v_cvt_f32_f16_e32 v4, v4
	v_min_f32_e32 v22, v5, v4
	v_lshlrev_b64 v[4:5], 1, v[46:47]
	v_cvt_f16_f32_e32 v22, v22
	v_add_co_u32 v4, vcc_lo, v20, v4
	v_add_co_ci_u32_e64 v5, null, v21, v5, vcc_lo
	flat_store_short v[4:5], v22
.LBB228_338:
	s_or_b32 exec_lo, exec_lo, s8
	v_add_nc_u32_e32 v22, 0xe0, v78
	v_mad_i64_i32 v[4:5], null, v22, s14, 0
	v_mad_i64_i32 v[20:21], null, v22, s9, 0
	v_cmp_gt_i32_e64 s8, s13, v22
	v_lshlrev_b64 v[4:5], 1, v[4:5]
	s_and_b32 s9, s0, s8
	v_lshlrev_b64 v[20:21], 1, v[20:21]
	v_add_co_u32 v22, vcc_lo, s16, v4
	v_add_co_ci_u32_e64 v23, null, s17, v5, vcc_lo
	v_add_co_u32 v20, vcc_lo, s10, v20
	v_add_co_ci_u32_e64 v21, null, s11, v21, vcc_lo
	s_and_saveexec_b32 s0, s9
	s_cbranch_execnz .LBB228_347
; %bb.339:
	s_or_b32 exec_lo, exec_lo, s0
	s_and_b32 s1, s1, s8
	s_and_saveexec_b32 s0, s1
	s_cbranch_execnz .LBB228_351
.LBB228_340:
	s_or_b32 exec_lo, exec_lo, s0
	s_and_b32 s1, s2, s8
	s_and_saveexec_b32 s0, s1
	s_cbranch_execnz .LBB228_355
.LBB228_341:
	s_or_b32 exec_lo, exec_lo, s0
	s_and_b32 s1, s3, s8
	s_and_saveexec_b32 s0, s1
	s_cbranch_execnz .LBB228_359
.LBB228_342:
	s_or_b32 exec_lo, exec_lo, s0
	s_and_b32 s1, s4, s8
	s_and_saveexec_b32 s0, s1
	s_cbranch_execnz .LBB228_363
.LBB228_343:
	s_or_b32 exec_lo, exec_lo, s0
	s_and_b32 s1, s5, s8
	s_and_saveexec_b32 s0, s1
	s_cbranch_execnz .LBB228_367
.LBB228_344:
	s_or_b32 exec_lo, exec_lo, s0
	s_and_b32 s1, s6, s8
	s_and_saveexec_b32 s0, s1
	s_cbranch_execnz .LBB228_371
.LBB228_345:
	s_or_b32 exec_lo, exec_lo, s0
	s_and_b32 s0, s7, s8
	s_and_saveexec_b32 s1, s0
	s_cbranch_execnz .LBB228_375
.LBB228_346:
	s_endpgm
.LBB228_347:
	v_cmp_ne_u32_e32 vcc_lo, 1, v71
	v_lshlrev_b64 v[4:5], 1, v[32:33]
	s_cbranch_vccnz .LBB228_349
; %bb.348:
	v_add_co_u32 v24, vcc_lo, v22, v4
	v_add_co_ci_u32_e64 v25, null, v23, v5, vcc_lo
	flat_load_ushort v24, v[24:25]
	s_waitcnt vmcnt(0) lgkmcnt(0)
	v_mul_f16_e32 v24, v48, v24
	v_cvt_f32_f16_e32 v24, v24
	s_branch .LBB228_350
.LBB228_349:
	v_mov_b32_e32 v24, 0
.LBB228_350:
	v_pk_add_f16 v16, v16, v6
	v_pk_add_f16 v17, v17, v7
	v_max_f16_e32 v25, v56, v56
	v_lshrrev_b32_e32 v26, 16, v56
	v_add_co_u32 v4, vcc_lo, v20, v4
	v_lshrrev_b32_e32 v27, 16, v16
	v_lshrrev_b32_e32 v28, 16, v17
	v_min_f16_e32 v16, v25, v16
	v_add_co_ci_u32_e64 v5, null, v21, v5, vcc_lo
	v_min3_f16 v25, v26, v27, v28
	v_min3_f16 v16, v16, v17, v25
	v_max_f32_e32 v17, v24, v24
	v_cvt_f32_f16_e32 v16, v16
	v_min_f32_e32 v16, v17, v16
	v_cvt_f16_f32_e32 v16, v16
	flat_store_short v[4:5], v16
	s_or_b32 exec_lo, exec_lo, s0
	s_and_b32 s1, s1, s8
	s_and_saveexec_b32 s0, s1
	s_cbranch_execz .LBB228_340
.LBB228_351:
	v_cmp_ne_u32_e32 vcc_lo, 1, v71
	v_lshlrev_b64 v[4:5], 1, v[34:35]
	s_cbranch_vccnz .LBB228_353
; %bb.352:
	v_add_co_u32 v16, vcc_lo, v22, v4
	v_add_co_ci_u32_e64 v17, null, v23, v5, vcc_lo
	flat_load_ushort v16, v[16:17]
	s_waitcnt vmcnt(0) lgkmcnt(0)
	v_mul_f16_e32 v16, v48, v16
	v_cvt_f32_f16_e32 v16, v16
	s_branch .LBB228_354
.LBB228_353:
	v_mov_b32_e32 v16, 0
.LBB228_354:
	v_pk_add_f16 v17, v18, v6
	v_pk_add_f16 v18, v19, v7
	v_max_f16_e32 v19, v55, v55
	v_lshrrev_b32_e32 v24, 16, v55
	v_max_f32_e32 v16, v16, v16
	v_lshrrev_b32_e32 v25, 16, v17
	v_lshrrev_b32_e32 v26, 16, v18
	v_min_f16_e32 v17, v19, v17
	v_add_co_u32 v4, vcc_lo, v20, v4
	v_add_co_ci_u32_e64 v5, null, v21, v5, vcc_lo
	v_min3_f16 v19, v24, v25, v26
	v_min3_f16 v17, v17, v18, v19
	v_cvt_f32_f16_e32 v17, v17
	v_min_f32_e32 v16, v16, v17
	v_cvt_f16_f32_e32 v16, v16
	flat_store_short v[4:5], v16
	s_or_b32 exec_lo, exec_lo, s0
	s_and_b32 s1, s2, s8
	s_and_saveexec_b32 s0, s1
	s_cbranch_execz .LBB228_341
.LBB228_355:
	v_cmp_ne_u32_e32 vcc_lo, 1, v71
	v_lshlrev_b64 v[4:5], 1, v[36:37]
	s_cbranch_vccnz .LBB228_357
; %bb.356:
	v_add_co_u32 v16, vcc_lo, v22, v4
	v_add_co_ci_u32_e64 v17, null, v23, v5, vcc_lo
	flat_load_ushort v16, v[16:17]
	s_waitcnt vmcnt(0) lgkmcnt(0)
	v_mul_f16_e32 v16, v48, v16
	v_cvt_f32_f16_e32 v16, v16
	s_branch .LBB228_358
.LBB228_357:
	v_mov_b32_e32 v16, 0
.LBB228_358:
	v_pk_add_f16 v12, v12, v6
	v_pk_add_f16 v13, v13, v7
	v_max_f16_e32 v17, v54, v54
	v_lshrrev_b32_e32 v18, 16, v54
	v_add_co_u32 v4, vcc_lo, v20, v4
	v_lshrrev_b32_e32 v19, 16, v12
	v_lshrrev_b32_e32 v24, 16, v13
	v_min_f16_e32 v12, v17, v12
	v_add_co_ci_u32_e64 v5, null, v21, v5, vcc_lo
	v_min3_f16 v17, v18, v19, v24
	v_min3_f16 v12, v12, v13, v17
	v_max_f32_e32 v13, v16, v16
	v_cvt_f32_f16_e32 v12, v12
	v_min_f32_e32 v12, v13, v12
	v_cvt_f16_f32_e32 v12, v12
	flat_store_short v[4:5], v12
	s_or_b32 exec_lo, exec_lo, s0
	s_and_b32 s1, s3, s8
	s_and_saveexec_b32 s0, s1
	s_cbranch_execz .LBB228_342
.LBB228_359:
	v_cmp_ne_u32_e32 vcc_lo, 1, v71
	v_lshlrev_b64 v[4:5], 1, v[38:39]
	s_cbranch_vccnz .LBB228_361
; %bb.360:
	v_add_co_u32 v12, vcc_lo, v22, v4
	v_add_co_ci_u32_e64 v13, null, v23, v5, vcc_lo
	flat_load_ushort v12, v[12:13]
	s_waitcnt vmcnt(0) lgkmcnt(0)
	v_mul_f16_e32 v12, v48, v12
	v_cvt_f32_f16_e32 v12, v12
	s_branch .LBB228_362
.LBB228_361:
	v_mov_b32_e32 v12, 0
.LBB228_362:
	v_pk_add_f16 v13, v14, v6
	v_pk_add_f16 v14, v15, v7
	v_max_f16_e32 v15, v53, v53
	v_lshrrev_b32_e32 v16, 16, v53
	v_max_f32_e32 v12, v12, v12
	v_lshrrev_b32_e32 v17, 16, v13
	v_lshrrev_b32_e32 v18, 16, v14
	v_min_f16_e32 v13, v15, v13
	v_add_co_u32 v4, vcc_lo, v20, v4
	v_add_co_ci_u32_e64 v5, null, v21, v5, vcc_lo
	v_min3_f16 v15, v16, v17, v18
	v_min3_f16 v13, v13, v14, v15
	v_cvt_f32_f16_e32 v13, v13
	v_min_f32_e32 v12, v12, v13
	v_cvt_f16_f32_e32 v12, v12
	flat_store_short v[4:5], v12
	s_or_b32 exec_lo, exec_lo, s0
	s_and_b32 s1, s4, s8
	s_and_saveexec_b32 s0, s1
	s_cbranch_execz .LBB228_343
.LBB228_363:
	v_cmp_ne_u32_e32 vcc_lo, 1, v71
	v_lshlrev_b64 v[4:5], 1, v[40:41]
	s_cbranch_vccnz .LBB228_365
; %bb.364:
	v_add_co_u32 v12, vcc_lo, v22, v4
	v_add_co_ci_u32_e64 v13, null, v23, v5, vcc_lo
	flat_load_ushort v12, v[12:13]
	s_waitcnt vmcnt(0) lgkmcnt(0)
	v_mul_f16_e32 v12, v48, v12
	v_cvt_f32_f16_e32 v12, v12
	s_branch .LBB228_366
.LBB228_365:
	v_mov_b32_e32 v12, 0
.LBB228_366:
	v_pk_add_f16 v8, v8, v6
	v_pk_add_f16 v9, v9, v7
	v_max_f16_e32 v13, v52, v52
	v_lshrrev_b32_e32 v14, 16, v52
	v_add_co_u32 v4, vcc_lo, v20, v4
	v_lshrrev_b32_e32 v15, 16, v8
	v_lshrrev_b32_e32 v16, 16, v9
	v_min_f16_e32 v8, v13, v8
	v_add_co_ci_u32_e64 v5, null, v21, v5, vcc_lo
	v_min3_f16 v13, v14, v15, v16
	v_min3_f16 v8, v8, v9, v13
	v_max_f32_e32 v9, v12, v12
	v_cvt_f32_f16_e32 v8, v8
	v_min_f32_e32 v8, v9, v8
	v_cvt_f16_f32_e32 v8, v8
	flat_store_short v[4:5], v8
	s_or_b32 exec_lo, exec_lo, s0
	s_and_b32 s1, s5, s8
	s_and_saveexec_b32 s0, s1
	s_cbranch_execz .LBB228_344
.LBB228_367:
	v_cmp_ne_u32_e32 vcc_lo, 1, v71
	v_lshlrev_b64 v[4:5], 1, v[42:43]
	s_cbranch_vccnz .LBB228_369
; %bb.368:
	v_add_co_u32 v8, vcc_lo, v22, v4
	v_add_co_ci_u32_e64 v9, null, v23, v5, vcc_lo
	flat_load_ushort v8, v[8:9]
	s_waitcnt vmcnt(0) lgkmcnt(0)
	v_mul_f16_e32 v8, v48, v8
	v_cvt_f32_f16_e32 v8, v8
	s_branch .LBB228_370
.LBB228_369:
	v_mov_b32_e32 v8, 0
.LBB228_370:
	v_pk_add_f16 v9, v10, v6
	v_pk_add_f16 v10, v11, v7
	v_max_f16_e32 v11, v51, v51
	v_lshrrev_b32_e32 v12, 16, v51
	v_max_f32_e32 v8, v8, v8
	v_lshrrev_b32_e32 v13, 16, v9
	v_lshrrev_b32_e32 v14, 16, v10
	v_min_f16_e32 v9, v11, v9
	v_add_co_u32 v4, vcc_lo, v20, v4
	v_add_co_ci_u32_e64 v5, null, v21, v5, vcc_lo
	v_min3_f16 v11, v12, v13, v14
	v_min3_f16 v9, v9, v10, v11
	v_cvt_f32_f16_e32 v9, v9
	v_min_f32_e32 v8, v8, v9
	v_cvt_f16_f32_e32 v8, v8
	flat_store_short v[4:5], v8
	s_or_b32 exec_lo, exec_lo, s0
	s_and_b32 s1, s6, s8
	s_and_saveexec_b32 s0, s1
	s_cbranch_execz .LBB228_345
.LBB228_371:
	v_cmp_ne_u32_e32 vcc_lo, 1, v71
	v_lshlrev_b64 v[4:5], 1, v[44:45]
	s_cbranch_vccnz .LBB228_373
; %bb.372:
	v_add_co_u32 v8, vcc_lo, v22, v4
	v_add_co_ci_u32_e64 v9, null, v23, v5, vcc_lo
	flat_load_ushort v8, v[8:9]
	s_waitcnt vmcnt(0) lgkmcnt(0)
	v_mul_f16_e32 v8, v48, v8
	v_cvt_f32_f16_e32 v8, v8
	s_branch .LBB228_374
.LBB228_373:
	v_mov_b32_e32 v8, 0
.LBB228_374:
	v_pk_add_f16 v0, v0, v6
	v_pk_add_f16 v1, v1, v7
	v_max_f16_e32 v9, v50, v50
	v_lshrrev_b32_e32 v10, 16, v50
	v_lshrrev_b32_e32 v11, 16, v0
	;; [unrolled: 1-line block ×3, first 2 shown]
	v_min_f16_e32 v0, v9, v0
	v_min3_f16 v9, v10, v11, v12
	v_min3_f16 v0, v0, v1, v9
	v_max_f32_e32 v1, v8, v8
	v_cvt_f32_f16_e32 v0, v0
	v_min_f32_e32 v0, v1, v0
	v_cvt_f16_f32_e32 v8, v0
	v_add_co_u32 v0, vcc_lo, v20, v4
	v_add_co_ci_u32_e64 v1, null, v21, v5, vcc_lo
	flat_store_short v[0:1], v8
	s_or_b32 exec_lo, exec_lo, s0
	s_and_b32 s0, s7, s8
	s_and_saveexec_b32 s1, s0
	s_cbranch_execz .LBB228_346
.LBB228_375:
	v_cmp_ne_u32_e32 vcc_lo, 1, v71
	v_lshlrev_b64 v[0:1], 1, v[46:47]
	s_cbranch_vccnz .LBB228_377
; %bb.376:
	v_add_co_u32 v4, vcc_lo, v22, v0
	v_add_co_ci_u32_e64 v5, null, v23, v1, vcc_lo
	flat_load_ushort v4, v[4:5]
	s_waitcnt vmcnt(0) lgkmcnt(0)
	v_mul_f16_e32 v4, v48, v4
	v_cvt_f32_f16_e32 v4, v4
	s_branch .LBB228_378
.LBB228_377:
	v_mov_b32_e32 v4, 0
.LBB228_378:
	v_pk_add_f16 v2, v2, v6
	v_pk_add_f16 v3, v3, v7
	v_max_f16_e32 v5, v49, v49
	v_lshrrev_b32_e32 v6, 16, v49
	v_add_co_u32 v0, vcc_lo, v20, v0
	v_lshrrev_b32_e32 v7, 16, v2
	v_lshrrev_b32_e32 v8, 16, v3
	v_min_f16_e32 v2, v5, v2
	v_add_co_ci_u32_e64 v1, null, v21, v1, vcc_lo
	v_min3_f16 v5, v6, v7, v8
	v_min3_f16 v2, v2, v3, v5
	v_max_f32_e32 v3, v4, v4
	v_cvt_f32_f16_e32 v2, v2
	v_min_f32_e32 v2, v3, v2
	v_cvt_f16_f32_e32 v2, v2
	flat_store_short v[0:1], v2
	s_endpgm
	.section	.rodata,"a",@progbits
	.p2align	6, 0x0
	.amdhsa_kernel _ZN12_GLOBAL__N_120geam_min_plus_kernelIDF16_Dv2_DF16_S1_Li8ELi32ELi64ELi256ELi4ELi4ELi64ELi64ELi4ELc84ELc84ELb0ELb1ELb1EPKDF16_KS3_KPDF16_EEviiiT16_PT17_ilS9_ilS7_S9_ilPT18_ili26rocblas_geam_ex_operation_
		.amdhsa_group_segment_fixed_size 5120
		.amdhsa_private_segment_fixed_size 0
		.amdhsa_kernarg_size 136
		.amdhsa_user_sgpr_count 6
		.amdhsa_user_sgpr_private_segment_buffer 1
		.amdhsa_user_sgpr_dispatch_ptr 0
		.amdhsa_user_sgpr_queue_ptr 0
		.amdhsa_user_sgpr_kernarg_segment_ptr 1
		.amdhsa_user_sgpr_dispatch_id 0
		.amdhsa_user_sgpr_flat_scratch_init 0
		.amdhsa_user_sgpr_private_segment_size 0
		.amdhsa_wavefront_size32 1
		.amdhsa_uses_dynamic_stack 0
		.amdhsa_system_sgpr_private_segment_wavefront_offset 0
		.amdhsa_system_sgpr_workgroup_id_x 1
		.amdhsa_system_sgpr_workgroup_id_y 0
		.amdhsa_system_sgpr_workgroup_id_z 1
		.amdhsa_system_sgpr_workgroup_info 0
		.amdhsa_system_vgpr_workitem_id 1
		.amdhsa_next_free_vgpr 174
		.amdhsa_next_free_sgpr 27
		.amdhsa_reserve_vcc 1
		.amdhsa_reserve_flat_scratch 0
		.amdhsa_float_round_mode_32 0
		.amdhsa_float_round_mode_16_64 0
		.amdhsa_float_denorm_mode_32 3
		.amdhsa_float_denorm_mode_16_64 3
		.amdhsa_dx10_clamp 1
		.amdhsa_ieee_mode 1
		.amdhsa_fp16_overflow 0
		.amdhsa_workgroup_processor_mode 1
		.amdhsa_memory_ordered 1
		.amdhsa_forward_progress 1
		.amdhsa_shared_vgpr_count 0
		.amdhsa_exception_fp_ieee_invalid_op 0
		.amdhsa_exception_fp_denorm_src 0
		.amdhsa_exception_fp_ieee_div_zero 0
		.amdhsa_exception_fp_ieee_overflow 0
		.amdhsa_exception_fp_ieee_underflow 0
		.amdhsa_exception_fp_ieee_inexact 0
		.amdhsa_exception_int_div_zero 0
	.end_amdhsa_kernel
	.section	.text._ZN12_GLOBAL__N_120geam_min_plus_kernelIDF16_Dv2_DF16_S1_Li8ELi32ELi64ELi256ELi4ELi4ELi64ELi64ELi4ELc84ELc84ELb0ELb1ELb1EPKDF16_KS3_KPDF16_EEviiiT16_PT17_ilS9_ilS7_S9_ilPT18_ili26rocblas_geam_ex_operation_,"axG",@progbits,_ZN12_GLOBAL__N_120geam_min_plus_kernelIDF16_Dv2_DF16_S1_Li8ELi32ELi64ELi256ELi4ELi4ELi64ELi64ELi4ELc84ELc84ELb0ELb1ELb1EPKDF16_KS3_KPDF16_EEviiiT16_PT17_ilS9_ilS7_S9_ilPT18_ili26rocblas_geam_ex_operation_,comdat
.Lfunc_end228:
	.size	_ZN12_GLOBAL__N_120geam_min_plus_kernelIDF16_Dv2_DF16_S1_Li8ELi32ELi64ELi256ELi4ELi4ELi64ELi64ELi4ELc84ELc84ELb0ELb1ELb1EPKDF16_KS3_KPDF16_EEviiiT16_PT17_ilS9_ilS7_S9_ilPT18_ili26rocblas_geam_ex_operation_, .Lfunc_end228-_ZN12_GLOBAL__N_120geam_min_plus_kernelIDF16_Dv2_DF16_S1_Li8ELi32ELi64ELi256ELi4ELi4ELi64ELi64ELi4ELc84ELc84ELb0ELb1ELb1EPKDF16_KS3_KPDF16_EEviiiT16_PT17_ilS9_ilS7_S9_ilPT18_ili26rocblas_geam_ex_operation_
                                        ; -- End function
	.set _ZN12_GLOBAL__N_120geam_min_plus_kernelIDF16_Dv2_DF16_S1_Li8ELi32ELi64ELi256ELi4ELi4ELi64ELi64ELi4ELc84ELc84ELb0ELb1ELb1EPKDF16_KS3_KPDF16_EEviiiT16_PT17_ilS9_ilS7_S9_ilPT18_ili26rocblas_geam_ex_operation_.num_vgpr, 174
	.set _ZN12_GLOBAL__N_120geam_min_plus_kernelIDF16_Dv2_DF16_S1_Li8ELi32ELi64ELi256ELi4ELi4ELi64ELi64ELi4ELc84ELc84ELb0ELb1ELb1EPKDF16_KS3_KPDF16_EEviiiT16_PT17_ilS9_ilS7_S9_ilPT18_ili26rocblas_geam_ex_operation_.num_agpr, 0
	.set _ZN12_GLOBAL__N_120geam_min_plus_kernelIDF16_Dv2_DF16_S1_Li8ELi32ELi64ELi256ELi4ELi4ELi64ELi64ELi4ELc84ELc84ELb0ELb1ELb1EPKDF16_KS3_KPDF16_EEviiiT16_PT17_ilS9_ilS7_S9_ilPT18_ili26rocblas_geam_ex_operation_.numbered_sgpr, 27
	.set _ZN12_GLOBAL__N_120geam_min_plus_kernelIDF16_Dv2_DF16_S1_Li8ELi32ELi64ELi256ELi4ELi4ELi64ELi64ELi4ELc84ELc84ELb0ELb1ELb1EPKDF16_KS3_KPDF16_EEviiiT16_PT17_ilS9_ilS7_S9_ilPT18_ili26rocblas_geam_ex_operation_.num_named_barrier, 0
	.set _ZN12_GLOBAL__N_120geam_min_plus_kernelIDF16_Dv2_DF16_S1_Li8ELi32ELi64ELi256ELi4ELi4ELi64ELi64ELi4ELc84ELc84ELb0ELb1ELb1EPKDF16_KS3_KPDF16_EEviiiT16_PT17_ilS9_ilS7_S9_ilPT18_ili26rocblas_geam_ex_operation_.private_seg_size, 0
	.set _ZN12_GLOBAL__N_120geam_min_plus_kernelIDF16_Dv2_DF16_S1_Li8ELi32ELi64ELi256ELi4ELi4ELi64ELi64ELi4ELc84ELc84ELb0ELb1ELb1EPKDF16_KS3_KPDF16_EEviiiT16_PT17_ilS9_ilS7_S9_ilPT18_ili26rocblas_geam_ex_operation_.uses_vcc, 1
	.set _ZN12_GLOBAL__N_120geam_min_plus_kernelIDF16_Dv2_DF16_S1_Li8ELi32ELi64ELi256ELi4ELi4ELi64ELi64ELi4ELc84ELc84ELb0ELb1ELb1EPKDF16_KS3_KPDF16_EEviiiT16_PT17_ilS9_ilS7_S9_ilPT18_ili26rocblas_geam_ex_operation_.uses_flat_scratch, 0
	.set _ZN12_GLOBAL__N_120geam_min_plus_kernelIDF16_Dv2_DF16_S1_Li8ELi32ELi64ELi256ELi4ELi4ELi64ELi64ELi4ELc84ELc84ELb0ELb1ELb1EPKDF16_KS3_KPDF16_EEviiiT16_PT17_ilS9_ilS7_S9_ilPT18_ili26rocblas_geam_ex_operation_.has_dyn_sized_stack, 0
	.set _ZN12_GLOBAL__N_120geam_min_plus_kernelIDF16_Dv2_DF16_S1_Li8ELi32ELi64ELi256ELi4ELi4ELi64ELi64ELi4ELc84ELc84ELb0ELb1ELb1EPKDF16_KS3_KPDF16_EEviiiT16_PT17_ilS9_ilS7_S9_ilPT18_ili26rocblas_geam_ex_operation_.has_recursion, 0
	.set _ZN12_GLOBAL__N_120geam_min_plus_kernelIDF16_Dv2_DF16_S1_Li8ELi32ELi64ELi256ELi4ELi4ELi64ELi64ELi4ELc84ELc84ELb0ELb1ELb1EPKDF16_KS3_KPDF16_EEviiiT16_PT17_ilS9_ilS7_S9_ilPT18_ili26rocblas_geam_ex_operation_.has_indirect_call, 0
	.section	.AMDGPU.csdata,"",@progbits
; Kernel info:
; codeLenInByte = 23348
; TotalNumSgprs: 29
; NumVgprs: 174
; ScratchSize: 0
; MemoryBound: 0
; FloatMode: 240
; IeeeMode: 1
; LDSByteSize: 5120 bytes/workgroup (compile time only)
; SGPRBlocks: 0
; VGPRBlocks: 21
; NumSGPRsForWavesPerEU: 29
; NumVGPRsForWavesPerEU: 174
; Occupancy: 5
; WaveLimiterHint : 1
; COMPUTE_PGM_RSRC2:SCRATCH_EN: 0
; COMPUTE_PGM_RSRC2:USER_SGPR: 6
; COMPUTE_PGM_RSRC2:TRAP_HANDLER: 0
; COMPUTE_PGM_RSRC2:TGID_X_EN: 1
; COMPUTE_PGM_RSRC2:TGID_Y_EN: 0
; COMPUTE_PGM_RSRC2:TGID_Z_EN: 1
; COMPUTE_PGM_RSRC2:TIDIG_COMP_CNT: 1
	.section	.text._ZN12_GLOBAL__N_120geam_min_plus_kernelIDF16_Dv2_DF16_S1_Li8ELi32ELi64ELi256ELi4ELi4ELi64ELi64ELi4ELc84ELc84ELb1ELb1ELb1EDF16_KPKDF16_KPDF16_EEviiiT16_PT17_ilS9_ilS7_S9_ilPT18_ili26rocblas_geam_ex_operation_,"axG",@progbits,_ZN12_GLOBAL__N_120geam_min_plus_kernelIDF16_Dv2_DF16_S1_Li8ELi32ELi64ELi256ELi4ELi4ELi64ELi64ELi4ELc84ELc84ELb1ELb1ELb1EDF16_KPKDF16_KPDF16_EEviiiT16_PT17_ilS9_ilS7_S9_ilPT18_ili26rocblas_geam_ex_operation_,comdat
	.globl	_ZN12_GLOBAL__N_120geam_min_plus_kernelIDF16_Dv2_DF16_S1_Li8ELi32ELi64ELi256ELi4ELi4ELi64ELi64ELi4ELc84ELc84ELb1ELb1ELb1EDF16_KPKDF16_KPDF16_EEviiiT16_PT17_ilS9_ilS7_S9_ilPT18_ili26rocblas_geam_ex_operation_ ; -- Begin function _ZN12_GLOBAL__N_120geam_min_plus_kernelIDF16_Dv2_DF16_S1_Li8ELi32ELi64ELi256ELi4ELi4ELi64ELi64ELi4ELc84ELc84ELb1ELb1ELb1EDF16_KPKDF16_KPDF16_EEviiiT16_PT17_ilS9_ilS7_S9_ilPT18_ili26rocblas_geam_ex_operation_
	.p2align	8
	.type	_ZN12_GLOBAL__N_120geam_min_plus_kernelIDF16_Dv2_DF16_S1_Li8ELi32ELi64ELi256ELi4ELi4ELi64ELi64ELi4ELc84ELc84ELb1ELb1ELb1EDF16_KPKDF16_KPDF16_EEviiiT16_PT17_ilS9_ilS7_S9_ilPT18_ili26rocblas_geam_ex_operation_,@function
_ZN12_GLOBAL__N_120geam_min_plus_kernelIDF16_Dv2_DF16_S1_Li8ELi32ELi64ELi256ELi4ELi4ELi64ELi64ELi4ELc84ELc84ELb1ELb1ELb1EDF16_KPKDF16_KPDF16_EEviiiT16_PT17_ilS9_ilS7_S9_ilPT18_ili26rocblas_geam_ex_operation_: ; @_ZN12_GLOBAL__N_120geam_min_plus_kernelIDF16_Dv2_DF16_S1_Li8ELi32ELi64ELi256ELi4ELi4ELi64ELi64ELi4ELc84ELc84ELb1ELb1ELb1EDF16_KPKDF16_KPDF16_EEviiiT16_PT17_ilS9_ilS7_S9_ilPT18_ili26rocblas_geam_ex_operation_
; %bb.0:
	s_clause 0x1
	s_load_dwordx4 s[12:15], s[4:5], 0x0
	s_load_dwordx4 s[0:3], s[4:5], 0x20
	s_mov_b32 s16, s7
	s_mov_b32 s17, 0
	s_waitcnt lgkmcnt(0)
	v_cmp_eq_f16_e64 s7, s15, 0
	s_and_b32 vcc_lo, exec_lo, s7
	s_cbranch_vccnz .LBB229_3
; %bb.1:
	s_load_dwordx2 s[8:9], s[4:5], 0x10
	s_lshl_b64 s[10:11], s[16:17], 3
	s_waitcnt lgkmcnt(0)
	s_add_u32 s8, s8, s10
	s_addc_u32 s9, s9, s11
	s_lshl_b64 s[0:1], s[0:1], 1
	s_load_dwordx2 s[8:9], s[8:9], 0x0
	s_waitcnt lgkmcnt(0)
	s_add_u32 s8, s8, s0
	s_addc_u32 s9, s9, s1
	s_andn2_b32 vcc_lo, exec_lo, s7
	s_cbranch_vccnz .LBB229_4
.LBB229_2:
	s_mov_b32 s21, 0
	s_mov_b32 s20, s16
	;; [unrolled: 1-line block ×3, first 2 shown]
	s_mov_b64 s[10:11], 0
	s_andn2_b32 vcc_lo, exec_lo, s0
	s_mov_b64 s[18:19], 0
	s_cbranch_vccz .LBB229_5
	s_branch .LBB229_6
.LBB229_3:
	s_mov_b64 s[8:9], 0
	s_andn2_b32 vcc_lo, exec_lo, s7
	s_cbranch_vccz .LBB229_2
.LBB229_4:
	s_mov_b64 s[20:21], s[16:17]
	s_mov_b64 s[10:11], 0
	;; [unrolled: 1-line block ×3, first 2 shown]
.LBB229_5:
	s_lshl_b64 s[0:1], s[16:17], 3
	s_load_dwordx2 s[16:17], s[4:5], 0x38
	s_add_u32 s0, s2, s0
	s_addc_u32 s1, s3, s1
	s_load_dwordx2 s[0:1], s[0:1], 0x0
	s_waitcnt lgkmcnt(0)
	s_lshl_b64 s[2:3], s[16:17], 1
	s_add_u32 s18, s0, s2
	s_addc_u32 s19, s1, s3
.LBB229_6:
	s_clause 0x1
	s_load_dword s15, s[4:5], 0x40
	s_load_dwordx4 s[0:3], s[4:5], 0x58
	s_waitcnt lgkmcnt(0)
	v_cmp_eq_f16_e64 s7, s15, 0
	v_cmp_neq_f16_e64 s22, s15, 0
	s_and_b32 vcc_lo, exec_lo, s7
	s_cbranch_vccnz .LBB229_8
; %bb.7:
	s_load_dwordx2 s[10:11], s[4:5], 0x48
	s_lshl_b64 s[16:17], s[20:21], 3
	s_waitcnt lgkmcnt(0)
	s_add_u32 s10, s10, s16
	s_addc_u32 s11, s11, s17
	s_lshl_b64 s[0:1], s[0:1], 1
	s_load_dwordx2 s[10:11], s[10:11], 0x0
	s_waitcnt lgkmcnt(0)
	s_add_u32 s10, s10, s0
	s_addc_u32 s11, s11, s1
.LBB229_8:
	s_lshl_b64 s[0:1], s[20:21], 3
	s_load_dword s26, s[4:5], 0x18
	s_add_u32 s16, s2, s0
	s_addc_u32 s17, s3, s1
	s_add_i32 s0, s12, -1
	v_and_b32_e32 v43, 3, v0
	s_ashr_i32 s1, s0, 31
	v_mov_b32_e32 v12, 0x7c00
	s_lshr_b32 s1, s1, 26
	v_mov_b32_e32 v13, 0x7c00
	s_add_i32 s0, s0, s1
	v_cmp_gt_i32_e32 vcc_lo, s14, v43
	s_ashr_i32 s0, s0, 6
	v_lshlrev_b32_e32 v4, 1, v43
	s_add_i32 s2, s0, 1
	s_not_b32 s0, s0
	v_cvt_f32_u32_e32 v2, s2
	v_rcp_iflag_f32_e32 v2, v2
	v_mul_f32_e32 v2, 0x4f7ffffe, v2
	v_cvt_u32_f32_e32 v2, v2
	v_readfirstlane_b32 s1, v2
	v_lshl_add_u32 v2, v1, 3, v0
	s_mul_i32 s0, s0, s1
	v_lshrrev_b32_e32 v5, 2, v2
	s_mul_hi_u32 s0, s1, s0
	s_add_i32 s1, s1, s0
	s_mul_hi_u32 s0, s6, s1
	s_mul_i32 s1, s0, s2
	s_add_i32 s3, s0, 1
	s_sub_i32 s1, s6, s1
	s_sub_i32 s7, s1, s2
	s_cmp_ge_u32 s1, s2
	s_cselect_b32 s0, s3, s0
	s_cselect_b32 s1, s7, s1
	s_add_i32 s3, s0, 1
	s_cmp_ge_u32 s1, s2
	s_cselect_b32 s1, s3, s0
	s_mul_i32 s27, s1, s2
	s_sub_i32 s0, s6, s27
	s_lshl_b32 s23, s0, 6
	v_add_nc_u32_e32 v7, s23, v5
	v_cmp_gt_i32_e64 s0, s12, v7
	v_cmp_le_i32_e64 s3, s12, v7
	s_and_b32 s2, vcc_lo, s0
	s_and_saveexec_b32 s0, s2
	s_cbranch_execz .LBB229_10
; %bb.9:
	s_waitcnt lgkmcnt(0)
	v_mad_i64_i32 v[8:9], null, v7, s26, 0
	v_lshlrev_b64 v[8:9], 1, v[8:9]
	v_add_co_u32 v3, vcc_lo, s8, v8
	v_add_co_ci_u32_e64 v6, null, s9, v9, vcc_lo
	v_add_co_u32 v8, vcc_lo, v3, v4
	v_add_co_ci_u32_e64 v9, null, 0, v6, vcc_lo
	flat_load_ushort v13, v[8:9]
.LBB229_10:
	s_or_b32 exec_lo, exec_lo, s0
	s_load_dword s20, s[4:5], 0x30
	v_lshrrev_b32_e32 v44, 6, v2
	v_and_b32_e32 v11, 63, v2
	s_lshl_b32 s24, s1, 8
	v_cmp_le_i32_e64 s7, s14, v44
	v_or_b32_e32 v2, s24, v11
	v_cmp_le_i32_e32 vcc_lo, s13, v2
	v_ashrrev_i32_e32 v3, 31, v2
	s_waitcnt lgkmcnt(0)
	v_mad_i64_i32 v[8:9], null, s20, v44, 0
	v_lshlrev_b64 v[8:9], 1, v[8:9]
	v_add_co_u32 v8, s0, s18, v8
	v_add_co_ci_u32_e64 v9, null, s19, v9, s0
	s_nor_b32 s0, vcc_lo, s7
	s_and_saveexec_b32 s1, s0
	s_cbranch_execz .LBB229_12
; %bb.11:
	v_lshlrev_b64 v[14:15], 1, v[2:3]
	v_add_co_u32 v14, s0, v8, v14
	v_add_co_ci_u32_e64 v15, null, v9, v15, s0
	flat_load_ushort v12, v[14:15]
.LBB229_12:
	s_or_b32 exec_lo, exec_lo, s1
	v_or_b32_e32 v6, 64, v2
	v_mov_b32_e32 v14, 0x7c00
	v_mov_b32_e32 v15, 0x7c00
	v_cmp_le_i32_e64 s0, s13, v6
	s_nor_b32 s1, s0, s7
	s_and_saveexec_b32 s2, s1
	s_cbranch_execz .LBB229_14
; %bb.13:
	v_lshlrev_b64 v[15:16], 1, v[2:3]
	v_add_co_u32 v15, s1, v8, v15
	v_add_co_ci_u32_e64 v16, null, v9, v16, s1
	flat_load_ushort v15, v[15:16] offset:128
.LBB229_14:
	s_or_b32 exec_lo, exec_lo, s2
	v_or_b32_e32 v6, 0x80, v2
	s_ashr_i32 s21, s20, 31
	v_cmp_le_i32_e64 s1, s13, v6
	s_nor_b32 s2, s1, s7
	s_and_saveexec_b32 s25, s2
	s_cbranch_execz .LBB229_16
; %bb.15:
	v_lshlrev_b64 v[16:17], 1, v[2:3]
	v_add_co_u32 v16, s2, v8, v16
	v_add_co_ci_u32_e64 v17, null, v9, v17, s2
	flat_load_ushort v14, v[16:17] offset:256
.LBB229_16:
	s_or_b32 exec_lo, exec_lo, s25
	v_or_b32_e32 v6, 0xc0, v2
	v_mov_b32_e32 v16, 0x7c00
	v_cmp_le_i32_e64 s2, s13, v6
	v_mov_b32_e32 v6, 0x7c00
	s_nor_b32 s7, s2, s7
	s_and_saveexec_b32 s25, s7
	s_cbranch_execz .LBB229_18
; %bb.17:
	v_lshlrev_b64 v[16:17], 1, v[2:3]
	v_add_co_u32 v8, s7, v8, v16
	v_add_co_ci_u32_e64 v9, null, v9, v17, s7
	flat_load_ushort v16, v[8:9] offset:384
.LBB229_18:
	s_or_b32 exec_lo, exec_lo, s25
	v_or_b32_e32 v8, 4, v43
	s_xor_b32 s25, s3, -1
	v_cmp_gt_i32_e64 s7, s14, v8
	s_and_b32 s3, s7, s25
	s_and_saveexec_b32 s7, s3
	s_cbranch_execz .LBB229_20
; %bb.19:
	v_mad_i64_i32 v[6:7], null, v7, s26, 0
	v_lshlrev_b64 v[6:7], 1, v[6:7]
	v_add_co_u32 v6, s3, s8, v6
	v_add_co_ci_u32_e64 v7, null, s9, v7, s3
	v_add_co_u32 v6, s3, v6, v4
	v_add_co_ci_u32_e64 v7, null, 0, v7, s3
	flat_load_ushort v6, v[6:7] offset:8
.LBB229_20:
	s_or_b32 exec_lo, exec_lo, s7
	v_add_nc_u32_e32 v10, 4, v44
	v_mad_u64_u32 v[7:8], null, s20, v10, 0
	v_cmp_le_i32_e64 s3, s14, v10
	v_mad_u64_u32 v[8:9], null, s21, v10, v[8:9]
	v_lshlrev_b64 v[8:9], 1, v[7:8]
	v_mov_b32_e32 v7, 0x7c00
	v_add_co_u32 v17, s7, s18, v8
	v_add_co_ci_u32_e64 v18, null, s19, v9, s7
	v_mov_b32_e32 v8, 0x7c00
	s_nor_b32 s7, vcc_lo, s3
	s_and_saveexec_b32 s28, s7
	s_cbranch_execz .LBB229_22
; %bb.21:
	v_lshlrev_b64 v[8:9], 1, v[2:3]
	v_add_co_u32 v8, s7, v17, v8
	v_add_co_ci_u32_e64 v9, null, v18, v9, s7
	flat_load_ushort v8, v[8:9]
.LBB229_22:
	s_or_b32 exec_lo, exec_lo, s28
	s_nor_b32 s7, s0, s3
	s_and_saveexec_b32 s28, s7
	s_cbranch_execz .LBB229_24
; %bb.23:
	v_lshlrev_b64 v[9:10], 1, v[2:3]
	v_add_co_u32 v9, s7, v17, v9
	v_add_co_ci_u32_e64 v10, null, v18, v10, s7
	flat_load_ushort v7, v[9:10] offset:128
.LBB229_24:
	s_or_b32 exec_lo, exec_lo, s28
	v_mov_b32_e32 v9, 0x7c00
	v_mov_b32_e32 v10, 0x7c00
	s_nor_b32 s7, s1, s3
	s_and_saveexec_b32 s28, s7
	s_cbranch_execz .LBB229_26
; %bb.25:
	v_lshlrev_b64 v[19:20], 1, v[2:3]
	v_add_co_u32 v19, s7, v17, v19
	v_add_co_ci_u32_e64 v20, null, v18, v20, s7
	flat_load_ushort v10, v[19:20] offset:256
.LBB229_26:
	s_or_b32 exec_lo, exec_lo, s28
	s_nor_b32 s3, s2, s3
	s_and_saveexec_b32 s7, s3
	s_cbranch_execz .LBB229_28
; %bb.27:
	v_lshlrev_b64 v[19:20], 1, v[2:3]
	v_add_co_u32 v17, s3, v17, v19
	v_add_co_ci_u32_e64 v18, null, v18, v20, s3
	flat_load_ushort v9, v[17:18] offset:384
.LBB229_28:
	s_or_b32 exec_lo, exec_lo, s7
	v_lshlrev_b32_e32 v17, 3, v11
	v_lshlrev_b32_e32 v46, 3, v0
	v_lshl_or_b32 v11, v5, 3, v4
	v_lshlrev_b32_e32 v45, 3, v1
	s_load_dwordx2 s[16:17], s[16:17], 0x0
	v_lshl_add_u32 v47, v44, 1, v17
	v_add_nc_u32_e32 v28, 0x1000, v46
	s_waitcnt vmcnt(0)
	ds_write_b16 v11, v13 offset:4096
	s_cmp_lt_i32 s14, 9
	s_waitcnt lgkmcnt(0)
	ds_write_b16 v47, v12
	ds_write_b16 v47, v15 offset:512
	ds_write_b16 v47, v14 offset:1024
	;; [unrolled: 1-line block ×3, first 2 shown]
	s_waitcnt lgkmcnt(0)
	s_barrier
	buffer_gl0_inv
	ds_read2_b64 v[12:15], v28 offset1:8
	ds_read2_b64 v[16:19], v45 offset1:32
	ds_read2_b64 v[20:23], v28 offset0:16 offset1:24
	ds_read2_b64 v[24:27], v28 offset0:32 offset1:40
	;; [unrolled: 1-line block ×4, first 2 shown]
	s_waitcnt lgkmcnt(4)
	v_pk_add_f16 v36, v12, v16
	v_pk_add_f16 v37, v14, v16
	s_waitcnt lgkmcnt(3)
	v_pk_add_f16 v38, v20, v16
	v_pk_add_f16 v39, v22, v16
	s_waitcnt lgkmcnt(2)
	v_pk_add_f16 v40, v24, v16
	v_pk_add_f16 v41, v26, v16
	s_waitcnt lgkmcnt(1)
	v_pk_add_f16 v42, v28, v16
	v_pk_add_f16 v48, v30, v16
	v_pk_add_f16 v49, v12, v18
	v_pk_add_f16 v50, v14, v18
	;; [unrolled: 1-line block ×24, first 2 shown]
	s_waitcnt lgkmcnt(0)
	v_pk_add_f16 v73, v12, v32
	v_pk_add_f16 v74, v14, v32
	;; [unrolled: 1-line block ×13, first 2 shown]
	ds_read2_b64 v[16:19], v45 offset0:128 offset1:160
	v_pk_add_f16 v112, v26, v34
	v_pk_add_f16 v113, v28, v34
	;; [unrolled: 1-line block ×19, first 2 shown]
	ds_read2_b64 v[32:35], v45 offset0:192 offset1:224
	s_waitcnt lgkmcnt(1)
	v_pk_add_f16 v127, v12, v16
	v_pk_add_f16 v128, v14, v16
	;; [unrolled: 1-line block ×32, first 2 shown]
	s_waitcnt lgkmcnt(0)
	v_pk_add_f16 v155, v12, v32
	v_pk_add_f16 v156, v14, v32
	;; [unrolled: 1-line block ×31, first 2 shown]
	v_pk_min_f16 v36, 0x7c00, v36 op_sel_hi:[0,1]
	v_pk_add_f16 v31, v31, v35
	v_pk_min_f16 v35, 0x7c00, v40 op_sel_hi:[0,1]
	v_pk_min_f16 v37, 0x7c00, v37 op_sel_hi:[0,1]
	;; [unrolled: 1-line block ×3, first 2 shown]
	v_pk_min_f16 v119, v36, v57
	v_pk_min_f16 v36, 0x7c00, v41 op_sel_hi:[0,1]
	v_pk_min_f16 v109, v35, v61
	v_pk_min_f16 v35, 0x7c00, v50 op_sel_hi:[0,1]
	v_pk_min_f16 v39, 0x7c00, v39 op_sel_hi:[0,1]
	v_pk_min_f16 v116, v37, v58
	v_pk_min_f16 v111, v38, v59
	v_pk_min_f16 v37, 0x7c00, v42 op_sel_hi:[0,1]
	v_pk_min_f16 v38, 0x7c00, v48 op_sel_hi:[0,1]
	v_pk_min_f16 v108, v36, v62
	v_pk_min_f16 v36, 0x7c00, v51 op_sel_hi:[0,1]
	v_pk_min_f16 v104, v35, v66
	v_pk_min_f16 v35, 0x7c00, v55 op_sel_hi:[0,1]
	v_pk_min_f16 v110, v39, v60
	v_pk_min_f16 v39, 0x7c00, v49 op_sel_hi:[0,1]
	v_pk_min_f16 v107, v37, v63
	v_pk_min_f16 v106, v38, v64
	v_pk_min_f16 v37, 0x7c00, v52 op_sel_hi:[0,1]
	v_pk_min_f16 v38, 0x7c00, v53 op_sel_hi:[0,1]
	v_pk_min_f16 v103, v36, v67
	v_pk_min_f16 v36, 0x7c00, v56 op_sel_hi:[0,1]
	v_pk_min_f16 v99, v35, v71
	v_pk_min_f16 v35, 0x7c00, v76 op_sel_hi:[0,1]
	v_pk_min_f16 v105, v39, v65
	;; [unrolled: 10-line block ×3, first 2 shown]
	v_pk_min_f16 v39, 0x7c00, v75 op_sel_hi:[0,1]
	v_pk_min_f16 v97, v37, v86
	v_pk_min_f16 v96, v38, v87
	v_pk_min_f16 v37, 0x7c00, v78 op_sel_hi:[0,1]
	v_pk_min_f16 v38, 0x7c00, v79 op_sel_hi:[0,1]
	v_pk_min_f16 v93, v36, v90
	v_pk_min_f16 v36, 0x7c00, v82 op_sel_hi:[0,1]
	v_pk_min_f16 v89, v35, v118
	v_pk_min_f16 v35, 0x7c00, v112 op_sel_hi:[0,1]
	v_pk_min_f16 v16, 0x7c00, v16 op_sel_hi:[0,1]
	v_pk_min_f16 v95, v39, v88
	v_pk_min_f16 v39, 0x7c00, v80 op_sel_hi:[0,1]
	v_pk_min_f16 v92, v37, v91
	v_pk_min_f16 v91, v38, v115
	v_pk_min_f16 v37, 0x7c00, v83 op_sel_hi:[0,1]
	v_pk_min_f16 v38, 0x7c00, v84 op_sel_hi:[0,1]
	v_pk_min_f16 v88, v36, v120
	v_pk_min_f16 v36, 0x7c00, v113 op_sel_hi:[0,1]
	v_pk_min_f16 v84, v35, v124
	;; [unrolled: 2-line block ×5, first 2 shown]
	v_pk_min_f16 v86, v38, v122
	v_pk_min_f16 v37, 0x7c00, v114 op_sel_hi:[0,1]
	v_pk_min_f16 v38, 0x7c00, v127 op_sel_hi:[0,1]
	v_pk_min_f16 v83, v36, v125
	v_pk_min_f16 v36, 0x7c00, v130 op_sel_hi:[0,1]
	v_pk_min_f16 v79, v35, v143
	v_pk_min_f16 v35, 0x7c00, v134 op_sel_hi:[0,1]
	v_pk_min_f16 v17, 0x7c00, v139 op_sel_hi:[0,1]
	;; [unrolled: 1-line block ×3, first 2 shown]
	v_pk_min_f16 v67, v16, v152
	v_pk_min_f16 v16, 0x7c00, v156 op_sel_hi:[0,1]
	v_pk_min_f16 v85, v39, v123
	v_pk_min_f16 v39, 0x7c00, v128 op_sel_hi:[0,1]
	v_pk_min_f16 v82, v37, v126
	v_pk_min_f16 v81, v38, v141
	v_pk_min_f16 v37, 0x7c00, v131 op_sel_hi:[0,1]
	v_pk_min_f16 v38, 0x7c00, v132 op_sel_hi:[0,1]
	v_pk_min_f16 v78, v36, v144
	v_pk_min_f16 v36, 0x7c00, v135 op_sel_hi:[0,1]
	v_pk_min_f16 v72, v35, v148
	v_pk_min_f16 v35, 0x7c00, v140 op_sel_hi:[0,1]
	v_pk_min_f16 v66, v17, v153
	v_pk_min_f16 v64, v18, v19
	v_pk_min_f16 v17, 0x7c00, v159 op_sel_hi:[0,1]
	v_pk_min_f16 v18, 0x7c00, v160 op_sel_hi:[0,1]
	v_pk_min_f16 v62, v16, v158
	v_pk_min_f16 v16, 0x7c00, v167 op_sel_hi:[0,1]
	v_pk_min_f16 v12, 0x7c00, v12 op_sel_hi:[0,1]
	v_pk_min_f16 v14, 0x7c00, v14 op_sel_hi:[0,1]
	v_pk_min_f16 v80, v39, v142
	v_pk_min_f16 v39, 0x7c00, v133 op_sel_hi:[0,1]
	v_pk_min_f16 v77, v37, v145
	v_pk_min_f16 v75, v38, v146
	v_pk_min_f16 v37, 0x7c00, v136 op_sel_hi:[0,1]
	v_pk_min_f16 v38, 0x7c00, v137 op_sel_hi:[0,1]
	v_pk_min_f16 v71, v36, v149
	v_pk_min_f16 v36, 0x7c00, v155 op_sel_hi:[0,1]
	v_pk_min_f16 v65, v35, v154
	v_pk_min_f16 v19, 0x7c00, v163 op_sel_hi:[0,1]
	v_pk_min_f16 v35, 0x7c00, v164 op_sel_hi:[0,1]
	v_pk_min_f16 v61, v17, v161
	v_pk_min_f16 v60, v18, v162
	v_pk_min_f16 v17, 0x7c00, v32 op_sel_hi:[0,1]
	v_pk_min_f16 v18, 0x7c00, v20 op_sel_hi:[0,1]
	v_pk_min_f16 v57, v16, v34
	v_pk_min_f16 v55, v12, v13
	;; [unrolled: 1-line block ×3, first 2 shown]
	v_pk_min_f16 v12, 0x7c00, v22 op_sel_hi:[0,1]
	v_pk_min_f16 v13, 0x7c00, v24 op_sel_hi:[0,1]
	v_pk_min_f16 v14, 0x7c00, v26 op_sel_hi:[0,1]
	v_pk_min_f16 v15, 0x7c00, v28 op_sel_hi:[0,1]
	v_pk_min_f16 v16, 0x7c00, v30 op_sel_hi:[0,1]
	v_pk_min_f16 v74, v39, v147
	v_pk_min_f16 v70, v37, v150
	;; [unrolled: 1-line block ×13, first 2 shown]
	ds_write_b16 v11, v6 offset:4608
	ds_write_b16 v47, v8 offset:2048
	;; [unrolled: 1-line block ×5, first 2 shown]
	s_waitcnt lgkmcnt(0)
	s_barrier
	buffer_gl0_inv
	s_cbranch_scc1 .LBB229_51
; %bb.29:
	v_lshl_add_u32 v5, s6, 6, v5
	s_lshl_b32 s3, s27, 6
	v_add_nc_u32_e32 v7, 8, v44
	v_add_nc_u32_e32 v9, 12, v44
	v_lshlrev_b64 v[2:3], 1, v[2:3]
	v_subrev_nc_u32_e32 v5, s3, v5
	v_add_nc_u32_e32 v68, 0x1000, v11
	v_mad_i64_i32 v[7:8], null, v7, s20, 0
	v_mad_i64_i32 v[9:10], null, v9, s20, 0
	;; [unrolled: 1-line block ×3, first 2 shown]
	v_or_b32_e32 v76, 0x1000, v46
	v_add_nc_u32_e32 v112, 0x1200, v11
	v_lshlrev_b64 v[37:38], 1, v[7:8]
	v_add_nc_u32_e32 v113, 0x800, v47
	v_lshlrev_b64 v[39:40], 1, v[9:10]
	v_lshl_add_u32 v114, v0, 3, 0x1200
	v_lshlrev_b64 v[5:6], 1, v[5:6]
	v_lshl_or_b32 v115, v1, 3, 0x800
	s_add_i32 s7, s14, -8
	v_add_co_u32 v4, s3, v5, v4
	v_add_co_ci_u32_e64 v5, null, 0, v6, s3
	v_add_co_u32 v4, s3, s8, v4
	v_add_co_ci_u32_e64 v5, null, s9, v5, s3
	s_lshl_b64 s[8:9], s[20:21], 4
	v_add_co_u32 v41, s3, v4, 16
	v_add_co_ci_u32_e64 v42, null, 0, v5, s3
	v_add_co_u32 v117, s3, s18, v2
	v_add_co_ci_u32_e64 v118, null, s19, v3, s3
	s_mov_b32 s18, 0
	s_branch .LBB229_31
.LBB229_30:                             ;   in Loop: Header=BB229_31 Depth=1
	s_or_b32 exec_lo, exec_lo, s6
	v_pk_add_f16 v14, v6, v33
	v_pk_max_f16 v15, v119, v119
	v_pk_add_f16 v16, v8, v33
	v_pk_max_f16 v116, v116, v116
	;; [unrolled: 2-line block ×3, first 2 shown]
	v_pk_min_f16 v14, v15, v14
	v_pk_max_f16 v15, v111, v111
	v_pk_add_f16 v111, v4, v33
	v_pk_add_f16 v125, v17, v33
	v_pk_max_f16 v109, v109, v109
	v_pk_add_f16 v126, v19, v33
	v_pk_min_f16 v16, v116, v16
	v_pk_min_f16 v15, v15, v119
	;; [unrolled: 1-line block ×3, first 2 shown]
	v_pk_add_f16 v111, v21, v33
	v_pk_max_f16 v107, v107, v107
	v_pk_add_f16 v33, v23, v33
	v_pk_max_f16 v106, v106, v106
	;; [unrolled: 2-line block ×4, first 2 shown]
	v_pk_min_f16 v109, v109, v125
	v_pk_add_f16 v125, v2, v35
	v_pk_min_f16 v107, v107, v111
	v_pk_min_f16 v33, v106, v33
	;; [unrolled: 1-line block ×4, first 2 shown]
	v_pk_add_f16 v106, v4, v35
	v_pk_max_f16 v102, v102, v102
	v_pk_add_f16 v111, v17, v35
	v_pk_add_f16 v116, v19, v35
	;; [unrolled: 1-line block ×4, first 2 shown]
	v_pk_max_f16 v98, v98, v98
	v_pk_max_f16 v101, v101, v101
	;; [unrolled: 1-line block ×4, first 2 shown]
	v_pk_min_f16 v102, v102, v106
	v_pk_min_f16 v35, v98, v35
	v_pk_add_f16 v98, v6, v29
	v_pk_max_f16 v97, v97, v97
	v_pk_add_f16 v106, v8, v29
	v_pk_max_f16 v96, v96, v96
	v_pk_min_f16 v101, v101, v111
	v_pk_min_f16 v100, v100, v116
	;; [unrolled: 1-line block ×3, first 2 shown]
	v_pk_add_f16 v111, v2, v29
	v_pk_max_f16 v95, v95, v95
	v_pk_add_f16 v116, v4, v29
	v_pk_max_f16 v94, v94, v94
	v_pk_add_f16 v119, v17, v29
	v_pk_min_f16 v97, v97, v98
	v_pk_min_f16 v96, v96, v106
	v_pk_add_f16 v98, v19, v29
	v_pk_max_f16 v92, v92, v92
	v_pk_add_f16 v106, v21, v29
	v_pk_add_f16 v29, v23, v29
	v_pk_max_f16 v90, v90, v90
	v_pk_min_f16 v95, v95, v111
	v_pk_min_f16 v94, v94, v116
	v_pk_max_f16 v91, v91, v91
	v_pk_add_f16 v111, v6, v31
	v_pk_max_f16 v89, v89, v89
	v_pk_add_f16 v116, v8, v31
	v_pk_max_f16 v88, v88, v88
	v_pk_min_f16 v92, v92, v98
	v_pk_min_f16 v29, v90, v29
	v_pk_add_f16 v90, v2, v31
	v_pk_max_f16 v87, v87, v87
	v_pk_add_f16 v98, v4, v31
	v_pk_max_f16 v86, v86, v86
	v_pk_min_f16 v91, v91, v106
	v_pk_min_f16 v89, v89, v111
	;; [unrolled: 1-line block ×3, first 2 shown]
	v_pk_add_f16 v106, v17, v31
	v_pk_max_f16 v85, v85, v85
	v_pk_add_f16 v111, v19, v31
	v_pk_max_f16 v84, v84, v84
	v_pk_add_f16 v116, v21, v31
	v_pk_min_f16 v87, v87, v90
	v_pk_min_f16 v86, v86, v98
	v_pk_add_f16 v31, v23, v31
	v_pk_max_f16 v82, v82, v82
	v_pk_add_f16 v90, v6, v10
	v_pk_max_f16 v81, v81, v81
	;; [unrolled: 2-line block ×3, first 2 shown]
	v_pk_min_f16 v85, v85, v106
	v_pk_min_f16 v84, v84, v111
	v_pk_add_f16 v106, v2, v10
	v_pk_max_f16 v79, v79, v79
	v_pk_add_f16 v111, v4, v10
	v_pk_min_f16 v31, v82, v31
	v_pk_min_f16 v81, v81, v90
	;; [unrolled: 1-line block ×3, first 2 shown]
	v_pk_add_f16 v82, v17, v10
	v_pk_max_f16 v77, v77, v77
	v_pk_add_f16 v90, v19, v10
	v_pk_add_f16 v98, v21, v10
	;; [unrolled: 1-line block ×3, first 2 shown]
	v_pk_max_f16 v73, v73, v73
	v_pk_min_f16 v79, v79, v106
	v_pk_max_f16 v75, v75, v75
	v_pk_max_f16 v74, v74, v74
	v_pk_add_f16 v106, v6, v12
	v_pk_max_f16 v72, v72, v72
	v_pk_min_f16 v77, v77, v82
	v_pk_min_f16 v10, v73, v10
	v_pk_add_f16 v73, v8, v12
	v_pk_max_f16 v71, v71, v71
	v_pk_add_f16 v82, v2, v12
	v_pk_max_f16 v70, v70, v70
	v_pk_min_f16 v75, v75, v90
	v_pk_min_f16 v74, v74, v98
	;; [unrolled: 1-line block ×3, first 2 shown]
	v_pk_add_f16 v90, v4, v12
	v_pk_add_f16 v98, v17, v12
	v_pk_max_f16 v67, v67, v67
	v_pk_add_f16 v106, v19, v12
	v_pk_min_f16 v71, v71, v73
	v_pk_min_f16 v70, v70, v82
	v_pk_add_f16 v73, v21, v12
	v_pk_max_f16 v65, v65, v65
	v_pk_add_f16 v12, v23, v12
	v_pk_max_f16 v64, v64, v64
	;; [unrolled: 2-line block ×3, first 2 shown]
	v_pk_max_f16 v69, v69, v69
	v_pk_min_f16 v67, v67, v98
	v_pk_add_f16 v98, v2, v25
	v_pk_min_f16 v65, v65, v73
	v_pk_min_f16 v12, v64, v12
	;; [unrolled: 1-line block ×3, first 2 shown]
	v_pk_add_f16 v64, v4, v25
	v_pk_add_f16 v73, v17, v25
	v_pk_max_f16 v59, v59, v59
	v_pk_add_f16 v82, v19, v25
	v_pk_max_f16 v58, v58, v58
	;; [unrolled: 2-line block ×4, first 2 shown]
	v_pk_min_f16 v69, v69, v90
	v_pk_add_f16 v90, v8, v25
	v_pk_max_f16 v62, v62, v62
	v_pk_max_f16 v61, v61, v61
	v_pk_min_f16 v59, v59, v73
	v_pk_min_f16 v58, v58, v82
	;; [unrolled: 1-line block ×4, first 2 shown]
	v_pk_add_f16 v2, v19, v27
	v_pk_max_f16 v4, v50, v50
	v_pk_max_f16 v83, v83, v83
	v_pk_min_f16 v62, v62, v90
	v_pk_min_f16 v61, v61, v98
	v_pk_max_f16 v60, v60, v60
	v_pk_add_f16 v90, v21, v25
	v_pk_max_f16 v57, v57, v57
	v_pk_add_f16 v17, v17, v27
	v_pk_max_f16 v51, v51, v51
	v_pk_min_f16 v98, v4, v2
	v_pk_add_f16 v2, v3, v34
	v_pk_add_f16 v4, v5, v34
	v_pk_max_f16 v108, v108, v108
	v_pk_min_f16 v83, v83, v116
	v_pk_max_f16 v78, v78, v78
	v_pk_max_f16 v66, v66, v66
	v_pk_add_f16 v25, v23, v25
	v_pk_min_f16 v60, v60, v64
	v_pk_min_f16 v64, v57, v90
	v_pk_add_f16 v6, v6, v27
	v_pk_add_f16 v8, v8, v27
	v_pk_min_f16 v90, v51, v17
	v_pk_add_f16 v17, v21, v27
	v_pk_add_f16 v21, v23, v27
	v_pk_max_f16 v23, v48, v48
	v_pk_add_f16 v27, v7, v34
	v_pk_add_f16 v48, v9, v34
	v_pk_min_f16 v116, v15, v2
	v_pk_min_f16 v110, v110, v4
	v_pk_add_f16 v2, v24, v34
	v_pk_add_f16 v4, v7, v36
	v_pk_min_f16 v108, v108, v126
	v_pk_max_f16 v103, v103, v103
	v_pk_min_f16 v78, v78, v111
	v_pk_min_f16 v66, v66, v106
	;; [unrolled: 1-line block ×4, first 2 shown]
	v_pk_add_f16 v14, v18, v34
	v_pk_add_f16 v16, v20, v34
	v_pk_min_f16 v129, v33, v2
	v_pk_min_f16 v105, v105, v4
	v_pk_add_f16 v2, v18, v36
	v_pk_add_f16 v4, v20, v36
	v_pk_min_f16 v103, v103, v125
	v_pk_min_f16 v109, v109, v14
	;; [unrolled: 1-line block ×3, first 2 shown]
	v_pk_add_f16 v14, v9, v36
	v_pk_add_f16 v15, v3, v36
	;; [unrolled: 1-line block ×3, first 2 shown]
	v_pk_min_f16 v101, v101, v2
	v_pk_min_f16 v100, v100, v4
	v_pk_add_f16 v2, v9, v30
	v_pk_add_f16 v4, v3, v30
	v_pk_max_f16 v93, v93, v93
	v_pk_min_f16 v104, v104, v14
	v_pk_min_f16 v103, v103, v15
	;; [unrolled: 1-line block ×3, first 2 shown]
	v_pk_add_f16 v14, v22, v36
	v_pk_add_f16 v15, v24, v36
	;; [unrolled: 1-line block ×3, first 2 shown]
	v_pk_min_f16 v96, v96, v2
	v_pk_min_f16 v95, v95, v4
	v_pk_add_f16 v2, v22, v30
	v_pk_add_f16 v4, v24, v30
	v_pk_min_f16 v93, v93, v119
	v_pk_min_f16 v99, v99, v14
	;; [unrolled: 1-line block ×4, first 2 shown]
	v_pk_add_f16 v14, v5, v30
	v_pk_add_f16 v15, v18, v30
	;; [unrolled: 1-line block ×3, first 2 shown]
	v_pk_min_f16 v91, v91, v2
	v_pk_min_f16 v131, v29, v4
	v_pk_add_f16 v2, v5, v32
	v_pk_add_f16 v4, v18, v32
	v_pk_min_f16 v94, v94, v14
	v_pk_min_f16 v93, v93, v15
	;; [unrolled: 1-line block ×3, first 2 shown]
	v_pk_add_f16 v14, v7, v32
	v_pk_add_f16 v15, v9, v32
	;; [unrolled: 1-line block ×3, first 2 shown]
	v_pk_min_f16 v86, v86, v2
	v_pk_min_f16 v85, v85, v4
	v_pk_add_f16 v2, v7, v11
	v_pk_add_f16 v4, v9, v11
	v_pk_min_f16 v89, v89, v14
	v_pk_min_f16 v88, v88, v15
	;; [unrolled: 1-line block ×3, first 2 shown]
	v_pk_add_f16 v14, v20, v32
	v_pk_add_f16 v15, v22, v32
	;; [unrolled: 1-line block ×3, first 2 shown]
	v_pk_min_f16 v81, v81, v2
	v_pk_min_f16 v80, v80, v4
	v_pk_add_f16 v2, v20, v11
	v_pk_add_f16 v4, v22, v11
	v_pk_max_f16 v54, v54, v54
	v_pk_min_f16 v84, v84, v14
	v_pk_min_f16 v83, v83, v15
	;; [unrolled: 1-line block ×3, first 2 shown]
	v_pk_add_f16 v14, v3, v11
	v_pk_add_f16 v15, v5, v11
	;; [unrolled: 1-line block ×4, first 2 shown]
	v_pk_min_f16 v75, v75, v2
	v_pk_min_f16 v74, v74, v4
	v_pk_add_f16 v2, v3, v13
	v_pk_add_f16 v4, v5, v13
	v_pk_max_f16 v56, v56, v56
	v_pk_min_f16 v8, v54, v8
	v_pk_max_f16 v19, v49, v49
	v_pk_min_f16 v79, v79, v14
	v_pk_add_f16 v14, v7, v13
	v_pk_min_f16 v133, v10, v11
	v_pk_add_f16 v11, v20, v13
	v_pk_min_f16 v57, v70, v2
	v_pk_min_f16 v54, v69, v4
	v_pk_add_f16 v2, v24, v13
	v_pk_add_f16 v4, v7, v26
	v_pk_min_f16 v25, v56, v25
	v_pk_max_f16 v55, v55, v55
	v_pk_min_f16 v19, v19, v17
	v_pk_add_f16 v17, v22, v34
	v_pk_min_f16 v78, v78, v15
	v_pk_add_f16 v15, v9, v13
	;; [unrolled: 2-line block ×3, first 2 shown]
	v_pk_add_f16 v14, v22, v13
	v_pk_min_f16 v52, v66, v11
	v_pk_add_f16 v11, v3, v26
	v_pk_add_f16 v13, v5, v26
	v_pk_min_f16 v51, v12, v2
	v_pk_min_f16 v49, v63, v4
	v_pk_add_f16 v2, v18, v26
	v_pk_add_f16 v4, v20, v26
	v_pk_min_f16 v6, v55, v6
	v_pk_min_f16 v107, v107, v17
	;; [unrolled: 1-line block ×6, first 2 shown]
	v_pk_add_f16 v10, v9, v26
	v_pk_min_f16 v36, v61, v11
	v_pk_min_f16 v32, v60, v13
	;; [unrolled: 1-line block ×4, first 2 shown]
	ds_read2_b64 v[14:17], v76 offset1:8
	ds_read2_b64 v[58:61], v45 offset1:32
	v_pk_min_f16 v48, v62, v10
	v_pk_add_f16 v10, v22, v26
	v_pk_add_f16 v11, v24, v26
	v_pk_min_f16 v21, v23, v21
	v_pk_add_f16 v7, v7, v28
	v_pk_add_f16 v2, v9, v28
	v_pk_min_f16 v29, v64, v10
	v_pk_min_f16 v25, v25, v11
	ds_read2_b64 v[10:13], v76 offset0:16 offset1:24
	v_pk_add_f16 v26, v3, v28
	v_pk_add_f16 v27, v5, v28
	;; [unrolled: 1-line block ×6, first 2 shown]
	v_pk_min_f16 v23, v6, v7
	v_pk_min_f16 v35, v8, v2
	ds_read2_b64 v[6:9], v76 offset0:32 offset1:40
	v_pk_min_f16 v24, v19, v22
	v_pk_min_f16 v22, v21, v28
	s_waitcnt lgkmcnt(2)
	v_pk_add_f16 v28, v14, v58
	v_pk_max_f16 v106, v106, v106
	v_pk_add_f16 v119, v15, v59
	ds_read2_b64 v[2:5], v76 offset0:48 offset1:56
	v_pk_max_f16 v110, v110, v110
	v_pk_add_f16 v66, v16, v58
	v_pk_min_f16 v28, v106, v28
	v_pk_max_f16 v111, v111, v111
	s_waitcnt lgkmcnt(2)
	v_pk_add_f16 v67, v10, v58
	v_pk_add_f16 v69, v12, v58
	;; [unrolled: 1-line block ×3, first 2 shown]
	v_pk_min_f16 v119, v28, v119
	v_pk_max_f16 v28, v116, v116
	v_pk_add_f16 v106, v17, v59
	v_pk_min_f16 v66, v111, v66
	v_pk_min_f16 v30, v82, v27
	v_pk_add_f16 v82, v16, v60
	v_pk_min_f16 v28, v28, v67
	v_pk_min_f16 v67, v110, v69
	s_waitcnt lgkmcnt(1)
	v_pk_add_f16 v71, v8, v58
	v_pk_add_f16 v149, v9, v59
	;; [unrolled: 1-line block ×3, first 2 shown]
	v_pk_min_f16 v116, v66, v106
	v_pk_min_f16 v110, v67, v147
	v_pk_max_f16 v67, v108, v108
	s_waitcnt lgkmcnt(0)
	v_pk_add_f16 v72, v2, v58
	v_pk_add_f16 v58, v4, v58
	v_pk_max_f16 v106, v107, v107
	v_pk_add_f16 v146, v11, v59
	v_pk_min_f16 v67, v67, v71
	v_pk_add_f16 v148, v7, v59
	v_pk_add_f16 v150, v3, v59
	;; [unrolled: 1-line block ×3, first 2 shown]
	v_pk_min_f16 v72, v106, v72
	v_pk_min_f16 v108, v67, v149
	v_pk_max_f16 v67, v129, v129
	v_pk_max_f16 v104, v104, v104
	v_pk_min_f16 v34, v73, v26
	v_pk_add_f16 v73, v14, v60
	v_pk_add_f16 v152, v17, v61
	v_pk_min_f16 v58, v67, v58
	v_pk_min_f16 v107, v72, v150
	v_pk_max_f16 v72, v105, v105
	v_pk_min_f16 v26, v98, v20
	ds_read2_b64 v[62:65], v45 offset0:64 offset1:96
	v_pk_min_f16 v106, v58, v59
	v_pk_min_f16 v59, v104, v82
	v_pk_add_f16 v98, v12, v60
	v_pk_add_f16 v151, v15, v61
	v_pk_min_f16 v72, v72, v73
	v_pk_min_f16 v27, v90, v18
	;; [unrolled: 1-line block ×3, first 2 shown]
	v_pk_max_f16 v59, v102, v102
	v_pk_add_f16 v90, v10, v60
	v_pk_add_f16 v154, v13, v61
	v_pk_min_f16 v105, v72, v151
	v_pk_max_f16 v72, v103, v103
	v_pk_min_f16 v59, v59, v98
	v_pk_add_f16 v134, v6, v60
	v_pk_add_f16 v135, v8, v60
	;; [unrolled: 1-line block ×3, first 2 shown]
	v_pk_min_f16 v72, v72, v90
	v_pk_max_f16 v73, v101, v101
	v_pk_min_f16 v102, v59, v154
	v_pk_max_f16 v59, v100, v100
	ds_read2_b64 v[125:128], v45 offset0:128 offset1:160
	ds_read2_b64 v[18:21], v45 offset0:192 offset1:224
	v_pk_add_f16 v136, v2, v60
	v_pk_add_f16 v155, v7, v61
	;; [unrolled: 1-line block ×3, first 2 shown]
	v_pk_min_f16 v103, v72, v153
	v_pk_min_f16 v72, v73, v134
	v_pk_max_f16 v73, v99, v99
	v_pk_min_f16 v59, v59, v135
	v_pk_add_f16 v60, v4, v60
	s_waitcnt lgkmcnt(2)
	v_pk_add_f16 v137, v14, v62
	v_pk_add_f16 v157, v3, v61
	v_pk_min_f16 v101, v72, v155
	v_pk_min_f16 v72, v73, v136
	v_pk_max_f16 v73, v130, v130
	v_pk_min_f16 v100, v59, v156
	v_pk_max_f16 v59, v97, v97
	v_pk_add_f16 v138, v16, v62
	v_pk_add_f16 v139, v10, v62
	;; [unrolled: 1-line block ×3, first 2 shown]
	v_pk_min_f16 v111, v28, v146
	v_pk_max_f16 v28, v109, v109
	v_pk_min_f16 v99, v72, v157
	v_pk_min_f16 v60, v73, v60
	v_pk_max_f16 v72, v96, v96
	v_pk_max_f16 v73, v95, v95
	v_pk_min_f16 v59, v59, v137
	v_pk_add_f16 v82, v15, v63
	v_pk_add_f16 v140, v12, v62
	v_pk_min_f16 v28, v28, v70
	v_pk_min_f16 v72, v72, v138
	;; [unrolled: 1-line block ×3, first 2 shown]
	v_pk_add_f16 v90, v17, v63
	v_pk_min_f16 v98, v60, v61
	v_pk_add_f16 v60, v11, v63
	v_pk_min_f16 v97, v59, v82
	v_pk_max_f16 v59, v94, v94
	v_pk_add_f16 v141, v6, v62
	v_pk_add_f16 v142, v8, v62
	;; [unrolled: 1-line block ×12, first 2 shown]
	s_waitcnt lgkmcnt(1)
	v_pk_add_f16 v66, v14, v125
	v_pk_add_f16 v69, v16, v125
	;; [unrolled: 1-line block ×6, first 2 shown]
	v_pk_min_f16 v109, v28, v148
	v_pk_add_f16 v28, v2, v125
	v_pk_add_f16 v125, v4, v125
	;; [unrolled: 1-line block ×10, first 2 shown]
	s_waitcnt lgkmcnt(0)
	v_pk_add_f16 v152, v14, v18
	v_pk_add_f16 v163, v16, v18
	;; [unrolled: 1-line block ×13, first 2 shown]
	v_pk_min_f16 v96, v72, v90
	v_pk_add_f16 v8, v8, v20
	v_pk_min_f16 v95, v73, v60
	v_pk_add_f16 v2, v2, v20
	v_pk_min_f16 v59, v59, v140
	v_pk_max_f16 v61, v92, v92
	v_pk_add_f16 v72, v13, v63
	v_pk_max_f16 v73, v91, v91
	v_pk_add_f16 v4, v4, v20
	;; [unrolled: 2-line block ×3, first 2 shown]
	v_pk_min_f16 v61, v61, v142
	v_pk_add_f16 v90, v9, v63
	v_pk_min_f16 v73, v73, v143
	v_pk_add_f16 v91, v3, v63
	;; [unrolled: 2-line block ×3, first 2 shown]
	v_pk_min_f16 v20, v20, v62
	v_pk_max_f16 v63, v87, v87
	v_pk_max_f16 v60, v93, v93
	v_pk_min_f16 v92, v61, v90
	v_pk_min_f16 v91, v73, v91
	v_pk_add_f16 v73, v11, v65
	v_pk_min_f16 v63, v63, v158
	v_pk_min_f16 v90, v20, v59
	v_pk_max_f16 v20, v86, v86
	v_pk_min_f16 v60, v60, v141
	v_pk_add_f16 v59, v13, v65
	v_pk_min_f16 v87, v63, v73
	v_pk_max_f16 v63, v83, v83
	v_pk_min_f16 v20, v20, v159
	v_pk_min_f16 v93, v60, v82
	v_pk_max_f16 v60, v89, v89
	v_pk_max_f16 v61, v88, v88
	v_pk_add_f16 v73, v3, v65
	v_pk_min_f16 v63, v63, v162
	v_pk_min_f16 v86, v20, v59
	v_pk_max_f16 v20, v132, v132
	v_pk_add_f16 v62, v15, v65
	v_pk_min_f16 v60, v60, v144
	v_pk_add_f16 v72, v17, v65
	v_pk_min_f16 v61, v61, v145
	v_pk_min_f16 v83, v63, v73
	v_pk_add_f16 v59, v5, v65
	v_pk_min_f16 v20, v20, v64
	v_pk_max_f16 v63, v79, v79
	v_pk_min_f16 v89, v60, v62
	v_pk_min_f16 v88, v61, v72
	v_pk_add_f16 v62, v7, v65
	v_pk_add_f16 v72, v9, v65
	;; [unrolled: 1-line block ×3, first 2 shown]
	v_pk_min_f16 v63, v63, v146
	v_pk_min_f16 v82, v20, v59
	v_pk_max_f16 v20, v78, v78
	v_pk_add_f16 v59, v13, v126
	v_pk_max_f16 v61, v84, v84
	v_pk_min_f16 v79, v63, v65
	v_pk_max_f16 v63, v74, v74
	v_pk_min_f16 v20, v20, v147
	v_pk_add_f16 v65, v3, v126
	v_pk_max_f16 v60, v85, v85
	v_pk_min_f16 v61, v61, v161
	v_pk_min_f16 v28, v63, v28
	;; [unrolled: 1-line block ×3, first 2 shown]
	v_pk_max_f16 v20, v133, v133
	v_pk_min_f16 v60, v60, v160
	v_pk_min_f16 v84, v61, v72
	;; [unrolled: 1-line block ×3, first 2 shown]
	v_pk_add_f16 v28, v5, v126
	v_pk_min_f16 v20, v20, v125
	v_pk_max_f16 v61, v80, v80
	v_pk_min_f16 v85, v60, v62
	v_pk_max_f16 v60, v81, v81
	v_pk_add_f16 v64, v17, v126
	v_pk_min_f16 v73, v20, v28
	v_pk_max_f16 v20, v54, v54
	v_pk_min_f16 v61, v61, v69
	v_pk_add_f16 v28, v13, v128
	v_pk_add_f16 v62, v15, v126
	v_pk_min_f16 v60, v60, v66
	v_pk_min_f16 v20, v20, v149
	;; [unrolled: 1-line block ×3, first 2 shown]
	v_pk_max_f16 v61, v75, v75
	v_pk_add_f16 v64, v9, v126
	v_pk_min_f16 v81, v60, v62
	v_pk_min_f16 v69, v20, v28
	v_pk_max_f16 v20, v51, v51
	v_pk_max_f16 v60, v77, v77
	v_pk_min_f16 v61, v61, v71
	v_pk_add_f16 v28, v5, v128
	v_pk_add_f16 v62, v7, v126
	v_pk_min_f16 v20, v20, v127
	v_pk_min_f16 v60, v60, v70
	;; [unrolled: 1-line block ×3, first 2 shown]
	v_pk_max_f16 v56, v56, v56
	v_pk_max_f16 v55, v55, v55
	v_pk_min_f16 v64, v20, v28
	v_pk_max_f16 v20, v32, v32
	v_pk_min_f16 v77, v60, v62
	v_pk_add_f16 v59, v15, v128
	v_pk_min_f16 v56, v56, v129
	v_pk_add_f16 v60, v17, v128
	v_pk_min_f16 v55, v55, v148
	v_pk_max_f16 v52, v52, v52
	v_pk_max_f16 v50, v50, v50
	v_pk_add_f16 v28, v13, v19
	v_pk_min_f16 v20, v20, v134
	v_pk_min_f16 v72, v56, v59
	;; [unrolled: 1-line block ×3, first 2 shown]
	v_pk_max_f16 v53, v53, v53
	v_pk_add_f16 v55, v9, v128
	v_pk_min_f16 v52, v52, v150
	v_pk_add_f16 v56, v3, v128
	v_pk_min_f16 v50, v50, v151
	v_pk_min_f16 v60, v20, v28
	v_pk_max_f16 v20, v25, v25
	v_pk_max_f16 v23, v23, v23
	;; [unrolled: 1-line block ×4, first 2 shown]
	v_pk_add_f16 v61, v11, v128
	v_pk_add_f16 v54, v7, v128
	v_pk_min_f16 v53, v53, v58
	v_pk_min_f16 v66, v52, v55
	;; [unrolled: 1-line block ×3, first 2 shown]
	v_pk_add_f16 v50, v15, v19
	v_pk_add_f16 v52, v11, v19
	;; [unrolled: 1-line block ×3, first 2 shown]
	v_pk_min_f16 v14, v23, v14
	v_pk_add_f16 v11, v11, v21
	v_pk_min_f16 v10, v25, v10
	v_pk_min_f16 v57, v57, v67
	;; [unrolled: 1-line block ×3, first 2 shown]
	v_pk_max_f16 v48, v48, v48
	v_pk_max_f16 v36, v36, v36
	v_pk_min_f16 v55, v14, v15
	v_pk_max_f16 v14, v30, v30
	v_pk_min_f16 v53, v10, v11
	v_pk_max_f16 v10, v27, v27
	v_pk_max_f16 v49, v49, v49
	v_pk_add_f16 v51, v17, v19
	v_pk_min_f16 v48, v48, v163
	v_pk_min_f16 v36, v36, v153
	v_pk_max_f16 v32, v33, v33
	v_pk_max_f16 v31, v31, v31
	;; [unrolled: 1-line block ×3, first 2 shown]
	v_pk_min_f16 v18, v20, v18
	v_pk_max_f16 v20, v35, v35
	v_pk_add_f16 v11, v13, v21
	v_pk_min_f16 v12, v14, v12
	v_pk_max_f16 v13, v26, v26
	v_pk_min_f16 v6, v10, v6
	v_pk_max_f16 v10, v24, v24
	v_pk_max_f16 v14, v22, v22
	v_pk_min_f16 v70, v57, v61
	v_pk_min_f16 v49, v49, v152
	v_pk_min_f16 v62, v48, v51
	v_pk_min_f16 v61, v36, v52
	v_pk_add_f16 v33, v7, v19
	v_pk_min_f16 v32, v32, v154
	v_pk_add_f16 v36, v9, v19
	v_pk_min_f16 v31, v31, v155
	;; [unrolled: 2-line block ×3, first 2 shown]
	v_pk_add_f16 v19, v5, v19
	v_pk_add_f16 v17, v17, v21
	v_pk_min_f16 v16, v20, v16
	v_pk_add_f16 v7, v7, v21
	v_pk_add_f16 v9, v9, v21
	v_pk_min_f16 v8, v13, v8
	v_pk_add_f16 v3, v3, v21
	v_pk_min_f16 v2, v10, v2
	v_pk_add_f16 v5, v5, v21
	v_pk_min_f16 v4, v14, v4
	v_add_co_u32 v41, s3, v41, 16
	v_add_co_ci_u32_e64 v42, null, 0, v42, s3
	v_add_co_u32 v117, s3, v117, s8
	v_pk_min_f16 v63, v49, v50
	v_pk_min_f16 v59, v32, v33
	;; [unrolled: 1-line block ×11, first 2 shown]
	v_add_co_ci_u32_e64 v118, null, s9, v118, s3
	s_add_i32 s18, s18, 8
	s_waitcnt vmcnt(0)
	ds_write_b16 v112, v120
	ds_write_b16 v113, v122
	ds_write_b16 v113, v121 offset:512
	ds_write_b16 v113, v124 offset:1024
	;; [unrolled: 1-line block ×3, first 2 shown]
	s_cmp_ge_i32 s18, s7
	s_waitcnt lgkmcnt(0)
	s_barrier
	buffer_gl0_inv
	s_cbranch_scc1 .LBB229_51
.LBB229_31:                             ; =>This Inner Loop Header: Depth=1
	v_add_nc_u32_e32 v15, s18, v43
	v_mov_b32_e32 v121, 0x7c00
	v_mov_b32_e32 v16, 0x7c00
	v_add_nc_u32_e32 v2, 8, v15
	v_cmp_gt_i32_e64 s3, s14, v2
	s_and_b32 s6, s3, s25
	s_and_saveexec_b32 s3, s6
	s_cbranch_execz .LBB229_33
; %bb.32:                               ;   in Loop: Header=BB229_31 Depth=1
	flat_load_ushort v16, v[41:42]
.LBB229_33:                             ;   in Loop: Header=BB229_31 Depth=1
	s_or_b32 exec_lo, exec_lo, s3
	v_add_nc_u32_e32 v14, s18, v44
	v_add_nc_u32_e32 v2, 8, v14
	v_cmp_le_i32_e64 s3, s14, v2
	s_nor_b32 s6, vcc_lo, s3
	s_and_saveexec_b32 s19, s6
	s_cbranch_execz .LBB229_35
; %bb.34:                               ;   in Loop: Header=BB229_31 Depth=1
	v_add_co_u32 v2, s6, v117, v37
	v_add_co_ci_u32_e64 v3, null, v118, v38, s6
	flat_load_ushort v121, v[2:3]
.LBB229_35:                             ;   in Loop: Header=BB229_31 Depth=1
	s_or_b32 exec_lo, exec_lo, s19
	v_mov_b32_e32 v122, 0x7c00
	v_mov_b32_e32 v123, 0x7c00
	s_nor_b32 s6, s0, s3
	s_and_saveexec_b32 s19, s6
	s_cbranch_execz .LBB229_37
; %bb.36:                               ;   in Loop: Header=BB229_31 Depth=1
	v_add_co_u32 v2, s6, v117, v37
	v_add_co_ci_u32_e64 v3, null, v118, v38, s6
	flat_load_ushort v123, v[2:3] offset:128
.LBB229_37:                             ;   in Loop: Header=BB229_31 Depth=1
	s_or_b32 exec_lo, exec_lo, s19
	s_nor_b32 s6, s1, s3
	s_and_saveexec_b32 s19, s6
	s_cbranch_execz .LBB229_39
; %bb.38:                               ;   in Loop: Header=BB229_31 Depth=1
	v_add_co_u32 v2, s6, v117, v37
	v_add_co_ci_u32_e64 v3, null, v118, v38, s6
	flat_load_ushort v122, v[2:3] offset:256
.LBB229_39:                             ;   in Loop: Header=BB229_31 Depth=1
	s_or_b32 exec_lo, exec_lo, s19
	v_mov_b32_e32 v120, 0x7c00
	v_mov_b32_e32 v124, 0x7c00
	s_nor_b32 s3, s2, s3
	s_and_saveexec_b32 s6, s3
	s_cbranch_execz .LBB229_41
; %bb.40:                               ;   in Loop: Header=BB229_31 Depth=1
	v_add_co_u32 v2, s3, v117, v37
	v_add_co_ci_u32_e64 v3, null, v118, v38, s3
	flat_load_ushort v124, v[2:3] offset:384
.LBB229_41:                             ;   in Loop: Header=BB229_31 Depth=1
	s_or_b32 exec_lo, exec_lo, s6
	ds_read2_b64 v[6:9], v114 offset1:8
	ds_read2_b64 v[2:5], v114 offset0:16 offset1:24
	ds_read2_b64 v[17:20], v114 offset0:32 offset1:40
	;; [unrolled: 1-line block ×3, first 2 shown]
	ds_read2_b64 v[33:36], v115 offset1:32
	ds_read2_b64 v[29:32], v115 offset0:64 offset1:96
	ds_read2_b64 v[10:13], v115 offset0:128 offset1:160
	;; [unrolled: 1-line block ×3, first 2 shown]
	v_add_nc_u32_e32 v15, 12, v15
	s_waitcnt vmcnt(0) lgkmcnt(8)
	ds_write_b16 v68, v16
	ds_write_b16 v47, v121
	ds_write_b16 v47, v123 offset:512
	ds_write_b16 v47, v122 offset:1024
	;; [unrolled: 1-line block ×3, first 2 shown]
	s_waitcnt lgkmcnt(0)
	s_barrier
	v_cmp_gt_i32_e64 s3, s14, v15
	buffer_gl0_inv
	s_and_b32 s6, s3, s25
	s_and_saveexec_b32 s3, s6
	s_cbranch_execz .LBB229_43
; %bb.42:                               ;   in Loop: Header=BB229_31 Depth=1
	flat_load_ushort v120, v[41:42] offset:8
.LBB229_43:                             ;   in Loop: Header=BB229_31 Depth=1
	s_or_b32 exec_lo, exec_lo, s3
	v_add_nc_u32_e32 v14, 12, v14
	v_mov_b32_e32 v121, 0x7c00
	v_mov_b32_e32 v122, 0x7c00
	v_cmp_le_i32_e64 s3, s14, v14
	s_nor_b32 s6, vcc_lo, s3
	s_and_saveexec_b32 s19, s6
	s_cbranch_execz .LBB229_45
; %bb.44:                               ;   in Loop: Header=BB229_31 Depth=1
	v_add_co_u32 v14, s6, v117, v39
	v_add_co_ci_u32_e64 v15, null, v118, v40, s6
	flat_load_ushort v122, v[14:15]
.LBB229_45:                             ;   in Loop: Header=BB229_31 Depth=1
	s_or_b32 exec_lo, exec_lo, s19
	s_nor_b32 s6, s0, s3
	s_and_saveexec_b32 s19, s6
	s_cbranch_execz .LBB229_47
; %bb.46:                               ;   in Loop: Header=BB229_31 Depth=1
	v_add_co_u32 v14, s6, v117, v39
	v_add_co_ci_u32_e64 v15, null, v118, v40, s6
	flat_load_ushort v121, v[14:15] offset:128
.LBB229_47:                             ;   in Loop: Header=BB229_31 Depth=1
	s_or_b32 exec_lo, exec_lo, s19
	v_mov_b32_e32 v123, 0x7c00
	v_mov_b32_e32 v124, 0x7c00
	s_nor_b32 s6, s1, s3
	s_and_saveexec_b32 s19, s6
	s_cbranch_execz .LBB229_49
; %bb.48:                               ;   in Loop: Header=BB229_31 Depth=1
	v_add_co_u32 v14, s6, v117, v39
	v_add_co_ci_u32_e64 v15, null, v118, v40, s6
	flat_load_ushort v124, v[14:15] offset:256
.LBB229_49:                             ;   in Loop: Header=BB229_31 Depth=1
	s_or_b32 exec_lo, exec_lo, s19
	s_nor_b32 s3, s2, s3
	s_and_saveexec_b32 s6, s3
	s_cbranch_execz .LBB229_30
; %bb.50:                               ;   in Loop: Header=BB229_31 Depth=1
	v_add_co_u32 v14, s3, v117, v39
	v_add_co_ci_u32_e64 v15, null, v118, v40, s3
	flat_load_ushort v123, v[14:15] offset:384
	s_branch .LBB229_30
.LBB229_51:
	s_clause 0x2
	s_load_dword s14, s[4:5], 0x50
	s_load_dword s9, s[4:5], 0x68
	s_load_dwordx2 s[2:3], s[4:5], 0x70
	v_add_nc_u32_e32 v2, 0x1000, v46
	v_add_nc_u32_e32 v76, s24, v1
	;; [unrolled: 1-line block ×4, first 2 shown]
	ds_read2_b64 v[16:19], v2 offset0:64 offset1:72
	ds_read2_b64 v[12:15], v2 offset0:80 offset1:88
	;; [unrolled: 1-line block ×4, first 2 shown]
	ds_read2_b64 v[28:31], v4 offset1:32
	ds_read2_b64 v[24:27], v4 offset0:64 offset1:96
	ds_read2_b64 v[20:23], v4 offset0:128 offset1:160
	;; [unrolled: 1-line block ×3, first 2 shown]
	v_cmp_gt_i32_e64 s0, s12, v32
	v_cmp_gt_i32_e64 s8, s13, v76
	v_ashrrev_i32_e32 v33, 31, v32
	v_cndmask_b32_e64 v68, 0, 1, s22
	s_waitcnt lgkmcnt(0)
	v_mad_i64_i32 v[34:35], null, v76, s14, 0
	v_mad_i64_i32 v[36:37], null, v76, s9, 0
	s_lshl_b64 s[2:3], s[2:3], 1
	s_add_u32 s16, s16, s2
	s_addc_u32 s17, s17, s3
	v_lshlrev_b64 v[34:35], 1, v[34:35]
	s_and_b32 s2, s0, s8
	v_lshlrev_b64 v[36:37], 1, v[36:37]
	v_add_co_u32 v114, vcc_lo, s10, v34
	v_add_co_ci_u32_e64 v115, null, s11, v35, vcc_lo
	v_add_co_u32 v112, vcc_lo, s16, v36
	v_add_co_ci_u32_e64 v113, null, s17, v37, vcc_lo
	s_and_saveexec_b32 s1, s2
	s_cbranch_execz .LBB229_56
; %bb.52:
	s_andn2_b32 vcc_lo, exec_lo, s22
	s_cbranch_vccnz .LBB229_54
; %bb.53:
	v_lshlrev_b64 v[34:35], 1, v[32:33]
	v_add_co_u32 v34, vcc_lo, v114, v34
	v_add_co_ci_u32_e64 v35, null, v115, v35, vcc_lo
	flat_load_ushort v34, v[34:35]
	s_waitcnt vmcnt(0) lgkmcnt(0)
	v_mul_f16_e32 v34, s15, v34
	v_cvt_f32_f16_e32 v34, v34
	s_branch .LBB229_55
.LBB229_54:
	v_mov_b32_e32 v34, 0
.LBB229_55:
	v_pk_add_f16 v35, v16, v28
	v_pk_add_f16 v36, v17, v29
	v_max_f16_e32 v37, v119, v119
	v_lshrrev_b32_e32 v38, 16, v119
	v_max_f32_e32 v34, v34, v34
	v_lshrrev_b32_e32 v39, 16, v35
	v_lshrrev_b32_e32 v40, 16, v36
	v_min_f16_e32 v35, v37, v35
	v_min3_f16 v37, v38, v39, v40
	v_min3_f16 v35, v35, v36, v37
	v_cvt_f32_f16_e32 v35, v35
	v_min_f32_e32 v36, v34, v35
	v_lshlrev_b64 v[34:35], 1, v[32:33]
	v_cvt_f16_f32_e32 v36, v36
	v_add_co_u32 v34, vcc_lo, v112, v34
	v_add_co_ci_u32_e64 v35, null, v113, v35, vcc_lo
	flat_store_short v[34:35], v36
.LBB229_56:
	s_or_b32 exec_lo, exec_lo, s1
	v_add_nc_u32_e32 v34, 8, v32
	v_cmp_gt_i32_e64 s1, s12, v34
	v_ashrrev_i32_e32 v35, 31, v34
	s_and_b32 s3, s1, s8
	s_and_saveexec_b32 s2, s3
	s_cbranch_execz .LBB229_61
; %bb.57:
	v_cmp_ne_u32_e32 vcc_lo, 1, v68
	s_cbranch_vccnz .LBB229_59
; %bb.58:
	v_lshlrev_b64 v[36:37], 1, v[34:35]
	v_add_co_u32 v36, vcc_lo, v114, v36
	v_add_co_ci_u32_e64 v37, null, v115, v37, vcc_lo
	flat_load_ushort v36, v[36:37]
	s_waitcnt vmcnt(0) lgkmcnt(0)
	v_mul_f16_e32 v36, s15, v36
	v_cvt_f32_f16_e32 v36, v36
	s_branch .LBB229_60
.LBB229_59:
	v_mov_b32_e32 v36, 0
.LBB229_60:
	v_pk_add_f16 v37, v18, v28
	v_pk_add_f16 v38, v19, v29
	v_max_f16_e32 v39, v116, v116
	v_lshrrev_b32_e32 v40, 16, v116
	v_max_f32_e32 v36, v36, v36
	v_lshrrev_b32_e32 v41, 16, v37
	v_lshrrev_b32_e32 v42, 16, v38
	v_min_f16_e32 v37, v39, v37
	v_min3_f16 v39, v40, v41, v42
	v_min3_f16 v37, v37, v38, v39
	v_cvt_f32_f16_e32 v37, v37
	v_min_f32_e32 v38, v36, v37
	v_lshlrev_b64 v[36:37], 1, v[34:35]
	v_cvt_f16_f32_e32 v38, v38
	v_add_co_u32 v36, vcc_lo, v112, v36
	v_add_co_ci_u32_e64 v37, null, v113, v37, vcc_lo
	flat_store_short v[36:37], v38
.LBB229_61:
	s_or_b32 exec_lo, exec_lo, s2
	v_add_nc_u32_e32 v36, 16, v32
	v_cmp_gt_i32_e64 s2, s12, v36
	v_ashrrev_i32_e32 v37, 31, v36
	s_and_b32 s4, s2, s8
	s_and_saveexec_b32 s3, s4
	s_cbranch_execz .LBB229_66
; %bb.62:
	v_cmp_ne_u32_e32 vcc_lo, 1, v68
	s_cbranch_vccnz .LBB229_64
; %bb.63:
	v_lshlrev_b64 v[38:39], 1, v[36:37]
	v_add_co_u32 v38, vcc_lo, v114, v38
	v_add_co_ci_u32_e64 v39, null, v115, v39, vcc_lo
	flat_load_ushort v38, v[38:39]
	s_waitcnt vmcnt(0) lgkmcnt(0)
	v_mul_f16_e32 v38, s15, v38
	v_cvt_f32_f16_e32 v38, v38
	s_branch .LBB229_65
.LBB229_64:
	v_mov_b32_e32 v38, 0
.LBB229_65:
	v_pk_add_f16 v39, v12, v28
	v_pk_add_f16 v40, v13, v29
	v_max_f16_e32 v41, v111, v111
	v_lshrrev_b32_e32 v42, 16, v111
	v_max_f32_e32 v38, v38, v38
	v_lshrrev_b32_e32 v43, 16, v39
	v_lshrrev_b32_e32 v44, 16, v40
	v_min_f16_e32 v39, v41, v39
	v_min3_f16 v41, v42, v43, v44
	v_min3_f16 v39, v39, v40, v41
	v_cvt_f32_f16_e32 v39, v39
	v_min_f32_e32 v40, v38, v39
	v_lshlrev_b64 v[38:39], 1, v[36:37]
	v_cvt_f16_f32_e32 v40, v40
	v_add_co_u32 v38, vcc_lo, v112, v38
	v_add_co_ci_u32_e64 v39, null, v113, v39, vcc_lo
	flat_store_short v[38:39], v40
.LBB229_66:
	;; [unrolled: 40-line block ×6, first 2 shown]
	s_or_b32 exec_lo, exec_lo, s7
	v_add_nc_u32_e32 v46, 56, v32
	v_cmp_gt_i32_e64 s7, s12, v46
	v_ashrrev_i32_e32 v47, 31, v46
	s_and_b32 s12, s7, s8
	s_and_saveexec_b32 s8, s12
	s_cbranch_execz .LBB229_91
; %bb.87:
	v_cmp_ne_u32_e32 vcc_lo, 1, v68
	s_cbranch_vccnz .LBB229_89
; %bb.88:
	v_lshlrev_b64 v[107:108], 1, v[46:47]
	v_add_co_u32 v107, vcc_lo, v114, v107
	v_add_co_ci_u32_e64 v108, null, v115, v108, vcc_lo
	flat_load_ushort v107, v[107:108]
	s_waitcnt vmcnt(0) lgkmcnt(0)
	v_mul_f16_e32 v107, s15, v107
	v_cvt_f32_f16_e32 v107, v107
	s_branch .LBB229_90
.LBB229_89:
	v_mov_b32_e32 v107, 0
.LBB229_90:
	v_pk_add_f16 v28, v2, v28
	v_pk_add_f16 v29, v3, v29
	v_max_f16_e32 v108, v106, v106
	v_lshrrev_b32_e32 v106, 16, v106
	v_lshrrev_b32_e32 v109, 16, v28
	;; [unrolled: 1-line block ×3, first 2 shown]
	v_min_f16_e32 v28, v108, v28
	v_min3_f16 v106, v106, v109, v110
	v_min3_f16 v28, v28, v29, v106
	v_max_f32_e32 v29, v107, v107
	v_cvt_f32_f16_e32 v28, v28
	v_min_f32_e32 v106, v29, v28
	v_lshlrev_b64 v[28:29], 1, v[46:47]
	v_cvt_f16_f32_e32 v106, v106
	v_add_co_u32 v28, vcc_lo, v112, v28
	v_add_co_ci_u32_e64 v29, null, v113, v29, vcc_lo
	flat_store_short v[28:29], v106
.LBB229_91:
	s_or_b32 exec_lo, exec_lo, s8
	v_add_nc_u32_e32 v108, 32, v76
	v_mad_i64_i32 v[28:29], null, v108, s14, 0
	v_mad_i64_i32 v[106:107], null, v108, s9, 0
	v_cmp_gt_i32_e64 s8, s13, v108
	v_lshlrev_b64 v[28:29], 1, v[28:29]
	s_and_b32 s18, s0, s8
	v_lshlrev_b64 v[108:109], 1, v[106:107]
	v_add_co_u32 v106, vcc_lo, s10, v28
	v_add_co_ci_u32_e64 v107, null, s11, v29, vcc_lo
	v_add_co_u32 v28, vcc_lo, s16, v108
	v_add_co_ci_u32_e64 v29, null, s17, v109, vcc_lo
	s_and_saveexec_b32 s12, s18
	s_cbranch_execnz .LBB229_99
; %bb.92:
	s_or_b32 exec_lo, exec_lo, s12
	s_and_b32 s18, s1, s8
	s_and_saveexec_b32 s12, s18
	s_cbranch_execnz .LBB229_103
.LBB229_93:
	s_or_b32 exec_lo, exec_lo, s12
	s_and_b32 s18, s2, s8
	s_and_saveexec_b32 s12, s18
	s_cbranch_execnz .LBB229_107
.LBB229_94:
	s_or_b32 exec_lo, exec_lo, s12
	s_and_b32 s18, s3, s8
	s_and_saveexec_b32 s12, s18
	s_cbranch_execnz .LBB229_111
.LBB229_95:
	s_or_b32 exec_lo, exec_lo, s12
	s_and_b32 s18, s4, s8
	s_and_saveexec_b32 s12, s18
	s_cbranch_execnz .LBB229_115
.LBB229_96:
	s_or_b32 exec_lo, exec_lo, s12
	s_and_b32 s18, s5, s8
	s_and_saveexec_b32 s12, s18
	s_cbranch_execnz .LBB229_119
.LBB229_97:
	s_or_b32 exec_lo, exec_lo, s12
	s_and_b32 s18, s6, s8
	s_and_saveexec_b32 s12, s18
	s_cbranch_execnz .LBB229_123
.LBB229_98:
	s_or_b32 exec_lo, exec_lo, s12
	s_and_b32 s12, s7, s8
	s_and_saveexec_b32 s8, s12
	s_cbranch_execnz .LBB229_127
	s_branch .LBB229_131
.LBB229_99:
	v_cmp_ne_u32_e32 vcc_lo, 1, v68
	s_cbranch_vccnz .LBB229_101
; %bb.100:
	v_lshlrev_b64 v[108:109], 1, v[32:33]
	v_add_co_u32 v108, vcc_lo, v106, v108
	v_add_co_ci_u32_e64 v109, null, v107, v109, vcc_lo
	flat_load_ushort v108, v[108:109]
	s_waitcnt vmcnt(0) lgkmcnt(0)
	v_mul_f16_e32 v108, s15, v108
	v_cvt_f32_f16_e32 v108, v108
	s_branch .LBB229_102
.LBB229_101:
	v_mov_b32_e32 v108, 0
.LBB229_102:
	v_pk_add_f16 v109, v16, v30
	v_pk_add_f16 v110, v17, v31
	v_max_f16_e32 v111, v105, v105
	v_lshrrev_b32_e32 v105, 16, v105
	v_max_f32_e32 v108, v108, v108
	v_lshrrev_b32_e32 v112, 16, v109
	v_lshrrev_b32_e32 v113, 16, v110
	v_min_f16_e32 v109, v111, v109
	v_min3_f16 v105, v105, v112, v113
	v_min3_f16 v105, v109, v110, v105
	v_cvt_f32_f16_e32 v105, v105
	v_min_f32_e32 v105, v108, v105
	v_lshlrev_b64 v[108:109], 1, v[32:33]
	v_cvt_f16_f32_e32 v105, v105
	v_add_co_u32 v108, vcc_lo, v28, v108
	v_add_co_ci_u32_e64 v109, null, v29, v109, vcc_lo
	flat_store_short v[108:109], v105
	s_or_b32 exec_lo, exec_lo, s12
	s_and_b32 s18, s1, s8
	s_and_saveexec_b32 s12, s18
	s_cbranch_execz .LBB229_93
.LBB229_103:
	v_cmp_ne_u32_e32 vcc_lo, 1, v68
	s_cbranch_vccnz .LBB229_105
; %bb.104:
	v_lshlrev_b64 v[108:109], 1, v[34:35]
	v_add_co_u32 v108, vcc_lo, v106, v108
	v_add_co_ci_u32_e64 v109, null, v107, v109, vcc_lo
	flat_load_ushort v105, v[108:109]
	s_waitcnt vmcnt(0) lgkmcnt(0)
	v_mul_f16_e32 v105, s15, v105
	v_cvt_f32_f16_e32 v105, v105
	s_branch .LBB229_106
.LBB229_105:
	v_mov_b32_e32 v105, 0
.LBB229_106:
	v_pk_add_f16 v108, v18, v30
	v_pk_add_f16 v109, v19, v31
	v_max_f16_e32 v110, v104, v104
	v_lshrrev_b32_e32 v104, 16, v104
	v_max_f32_e32 v105, v105, v105
	v_lshrrev_b32_e32 v111, 16, v108
	v_lshrrev_b32_e32 v112, 16, v109
	v_min_f16_e32 v108, v110, v108
	v_min3_f16 v104, v104, v111, v112
	v_min3_f16 v104, v108, v109, v104
	v_cvt_f32_f16_e32 v104, v104
	v_min_f32_e32 v108, v105, v104
	v_lshlrev_b64 v[104:105], 1, v[34:35]
	v_cvt_f16_f32_e32 v108, v108
	v_add_co_u32 v104, vcc_lo, v28, v104
	v_add_co_ci_u32_e64 v105, null, v29, v105, vcc_lo
	flat_store_short v[104:105], v108
	s_or_b32 exec_lo, exec_lo, s12
	s_and_b32 s18, s2, s8
	s_and_saveexec_b32 s12, s18
	s_cbranch_execz .LBB229_94
.LBB229_107:
	v_cmp_ne_u32_e32 vcc_lo, 1, v68
	s_cbranch_vccnz .LBB229_109
; %bb.108:
	v_lshlrev_b64 v[104:105], 1, v[36:37]
	v_add_co_u32 v104, vcc_lo, v106, v104
	v_add_co_ci_u32_e64 v105, null, v107, v105, vcc_lo
	flat_load_ushort v104, v[104:105]
	s_waitcnt vmcnt(0) lgkmcnt(0)
	v_mul_f16_e32 v104, s15, v104
	v_cvt_f32_f16_e32 v104, v104
	s_branch .LBB229_110
.LBB229_109:
	v_mov_b32_e32 v104, 0
.LBB229_110:
	v_pk_add_f16 v105, v12, v30
	v_pk_add_f16 v108, v13, v31
	v_max_f16_e32 v109, v103, v103
	v_lshrrev_b32_e32 v103, 16, v103
	v_max_f32_e32 v104, v104, v104
	v_lshrrev_b32_e32 v110, 16, v105
	v_lshrrev_b32_e32 v111, 16, v108
	v_min_f16_e32 v105, v109, v105
	v_min3_f16 v103, v103, v110, v111
	v_min3_f16 v103, v105, v108, v103
	v_cvt_f32_f16_e32 v103, v103
	v_min_f32_e32 v105, v104, v103
	v_lshlrev_b64 v[103:104], 1, v[36:37]
	v_cvt_f16_f32_e32 v105, v105
	v_add_co_u32 v103, vcc_lo, v28, v103
	v_add_co_ci_u32_e64 v104, null, v29, v104, vcc_lo
	flat_store_short v[103:104], v105
	s_or_b32 exec_lo, exec_lo, s12
	s_and_b32 s18, s3, s8
	s_and_saveexec_b32 s12, s18
	s_cbranch_execz .LBB229_95
.LBB229_111:
	v_cmp_ne_u32_e32 vcc_lo, 1, v68
	s_cbranch_vccnz .LBB229_113
; %bb.112:
	v_lshlrev_b64 v[103:104], 1, v[38:39]
	v_add_co_u32 v103, vcc_lo, v106, v103
	v_add_co_ci_u32_e64 v104, null, v107, v104, vcc_lo
	flat_load_ushort v103, v[103:104]
	s_waitcnt vmcnt(0) lgkmcnt(0)
	v_mul_f16_e32 v103, s15, v103
	v_cvt_f32_f16_e32 v103, v103
	s_branch .LBB229_114
.LBB229_113:
	v_mov_b32_e32 v103, 0
.LBB229_114:
	v_pk_add_f16 v104, v14, v30
	v_pk_add_f16 v105, v15, v31
	v_max_f16_e32 v108, v102, v102
	v_lshrrev_b32_e32 v102, 16, v102
	v_max_f32_e32 v103, v103, v103
	v_lshrrev_b32_e32 v109, 16, v104
	v_lshrrev_b32_e32 v110, 16, v105
	v_min_f16_e32 v104, v108, v104
	v_min3_f16 v102, v102, v109, v110
	v_min3_f16 v102, v104, v105, v102
	v_cvt_f32_f16_e32 v102, v102
	v_min_f32_e32 v104, v103, v102
	v_lshlrev_b64 v[102:103], 1, v[38:39]
	v_cvt_f16_f32_e32 v104, v104
	v_add_co_u32 v102, vcc_lo, v28, v102
	v_add_co_ci_u32_e64 v103, null, v29, v103, vcc_lo
	flat_store_short v[102:103], v104
	s_or_b32 exec_lo, exec_lo, s12
	s_and_b32 s18, s4, s8
	s_and_saveexec_b32 s12, s18
	s_cbranch_execz .LBB229_96
.LBB229_115:
	v_cmp_ne_u32_e32 vcc_lo, 1, v68
	s_cbranch_vccnz .LBB229_117
; %bb.116:
	v_lshlrev_b64 v[102:103], 1, v[40:41]
	v_add_co_u32 v102, vcc_lo, v106, v102
	v_add_co_ci_u32_e64 v103, null, v107, v103, vcc_lo
	flat_load_ushort v102, v[102:103]
	s_waitcnt vmcnt(0) lgkmcnt(0)
	v_mul_f16_e32 v102, s15, v102
	v_cvt_f32_f16_e32 v102, v102
	s_branch .LBB229_118
.LBB229_117:
	v_mov_b32_e32 v102, 0
.LBB229_118:
	v_pk_add_f16 v103, v8, v30
	v_pk_add_f16 v104, v9, v31
	v_max_f16_e32 v105, v101, v101
	v_lshrrev_b32_e32 v101, 16, v101
	v_max_f32_e32 v102, v102, v102
	v_lshrrev_b32_e32 v108, 16, v103
	v_lshrrev_b32_e32 v109, 16, v104
	v_min_f16_e32 v103, v105, v103
	v_min3_f16 v101, v101, v108, v109
	v_min3_f16 v101, v103, v104, v101
	v_cvt_f32_f16_e32 v101, v101
	v_min_f32_e32 v103, v102, v101
	v_lshlrev_b64 v[101:102], 1, v[40:41]
	v_cvt_f16_f32_e32 v103, v103
	v_add_co_u32 v101, vcc_lo, v28, v101
	v_add_co_ci_u32_e64 v102, null, v29, v102, vcc_lo
	flat_store_short v[101:102], v103
	s_or_b32 exec_lo, exec_lo, s12
	s_and_b32 s18, s5, s8
	s_and_saveexec_b32 s12, s18
	s_cbranch_execz .LBB229_97
.LBB229_119:
	v_cmp_ne_u32_e32 vcc_lo, 1, v68
	s_cbranch_vccnz .LBB229_121
; %bb.120:
	v_lshlrev_b64 v[101:102], 1, v[42:43]
	v_add_co_u32 v101, vcc_lo, v106, v101
	v_add_co_ci_u32_e64 v102, null, v107, v102, vcc_lo
	flat_load_ushort v101, v[101:102]
	s_waitcnt vmcnt(0) lgkmcnt(0)
	v_mul_f16_e32 v101, s15, v101
	v_cvt_f32_f16_e32 v101, v101
	s_branch .LBB229_122
.LBB229_121:
	v_mov_b32_e32 v101, 0
.LBB229_122:
	v_pk_add_f16 v102, v10, v30
	v_pk_add_f16 v103, v11, v31
	v_max_f16_e32 v104, v100, v100
	v_lshrrev_b32_e32 v100, 16, v100
	v_max_f32_e32 v101, v101, v101
	v_lshrrev_b32_e32 v105, 16, v102
	v_lshrrev_b32_e32 v108, 16, v103
	v_min_f16_e32 v102, v104, v102
	v_min3_f16 v100, v100, v105, v108
	v_min3_f16 v100, v102, v103, v100
	v_cvt_f32_f16_e32 v100, v100
	v_min_f32_e32 v102, v101, v100
	v_lshlrev_b64 v[100:101], 1, v[42:43]
	v_cvt_f16_f32_e32 v102, v102
	v_add_co_u32 v100, vcc_lo, v28, v100
	v_add_co_ci_u32_e64 v101, null, v29, v101, vcc_lo
	flat_store_short v[100:101], v102
	s_or_b32 exec_lo, exec_lo, s12
	s_and_b32 s18, s6, s8
	s_and_saveexec_b32 s12, s18
	s_cbranch_execz .LBB229_98
.LBB229_123:
	v_cmp_ne_u32_e32 vcc_lo, 1, v68
	s_cbranch_vccnz .LBB229_125
; %bb.124:
	v_lshlrev_b64 v[100:101], 1, v[44:45]
	v_add_co_u32 v100, vcc_lo, v106, v100
	v_add_co_ci_u32_e64 v101, null, v107, v101, vcc_lo
	flat_load_ushort v100, v[100:101]
	s_waitcnt vmcnt(0) lgkmcnt(0)
	v_mul_f16_e32 v100, s15, v100
	v_cvt_f32_f16_e32 v100, v100
	s_branch .LBB229_126
.LBB229_125:
	v_mov_b32_e32 v100, 0
.LBB229_126:
	v_pk_add_f16 v101, v0, v30
	v_pk_add_f16 v102, v1, v31
	v_max_f16_e32 v103, v99, v99
	v_lshrrev_b32_e32 v99, 16, v99
	v_max_f32_e32 v100, v100, v100
	v_lshrrev_b32_e32 v104, 16, v101
	v_lshrrev_b32_e32 v105, 16, v102
	v_min_f16_e32 v101, v103, v101
	v_min3_f16 v99, v99, v104, v105
	v_min3_f16 v99, v101, v102, v99
	v_cvt_f32_f16_e32 v99, v99
	v_min_f32_e32 v101, v100, v99
	v_lshlrev_b64 v[99:100], 1, v[44:45]
	v_cvt_f16_f32_e32 v101, v101
	v_add_co_u32 v99, vcc_lo, v28, v99
	v_add_co_ci_u32_e64 v100, null, v29, v100, vcc_lo
	flat_store_short v[99:100], v101
	s_or_b32 exec_lo, exec_lo, s12
	s_and_b32 s12, s7, s8
	s_and_saveexec_b32 s8, s12
	s_cbranch_execz .LBB229_131
.LBB229_127:
	v_cmp_ne_u32_e32 vcc_lo, 1, v68
	s_cbranch_vccnz .LBB229_129
; %bb.128:
	v_lshlrev_b64 v[99:100], 1, v[46:47]
	v_add_co_u32 v99, vcc_lo, v106, v99
	v_add_co_ci_u32_e64 v100, null, v107, v100, vcc_lo
	flat_load_ushort v99, v[99:100]
	s_waitcnt vmcnt(0) lgkmcnt(0)
	v_mul_f16_e32 v99, s15, v99
	v_cvt_f32_f16_e32 v99, v99
	s_branch .LBB229_130
.LBB229_129:
	v_mov_b32_e32 v99, 0
.LBB229_130:
	v_pk_add_f16 v30, v2, v30
	v_pk_add_f16 v31, v3, v31
	v_max_f16_e32 v100, v98, v98
	v_lshrrev_b32_e32 v98, 16, v98
	v_lshrrev_b32_e32 v101, 16, v30
	;; [unrolled: 1-line block ×3, first 2 shown]
	v_min_f16_e32 v30, v100, v30
	v_min3_f16 v98, v98, v101, v102
	v_min3_f16 v30, v30, v31, v98
	v_max_f32_e32 v31, v99, v99
	v_cvt_f32_f16_e32 v30, v30
	v_min_f32_e32 v98, v31, v30
	v_lshlrev_b64 v[30:31], 1, v[46:47]
	v_cvt_f16_f32_e32 v98, v98
	v_add_co_u32 v28, vcc_lo, v28, v30
	v_add_co_ci_u32_e64 v29, null, v29, v31, vcc_lo
	flat_store_short v[28:29], v98
.LBB229_131:
	s_or_b32 exec_lo, exec_lo, s8
	v_add_nc_u32_e32 v98, 64, v76
	v_mad_i64_i32 v[28:29], null, v98, s14, 0
	v_mad_i64_i32 v[30:31], null, v98, s9, 0
	v_cmp_gt_i32_e64 s8, s13, v98
	v_lshlrev_b64 v[28:29], 1, v[28:29]
	s_and_b32 s18, s0, s8
	v_lshlrev_b64 v[98:99], 1, v[30:31]
	v_add_co_u32 v30, vcc_lo, s10, v28
	v_add_co_ci_u32_e64 v31, null, s11, v29, vcc_lo
	v_add_co_u32 v28, vcc_lo, s16, v98
	v_add_co_ci_u32_e64 v29, null, s17, v99, vcc_lo
	s_and_saveexec_b32 s12, s18
	s_cbranch_execnz .LBB229_139
; %bb.132:
	s_or_b32 exec_lo, exec_lo, s12
	s_and_b32 s18, s1, s8
	s_and_saveexec_b32 s12, s18
	s_cbranch_execnz .LBB229_143
.LBB229_133:
	s_or_b32 exec_lo, exec_lo, s12
	s_and_b32 s18, s2, s8
	s_and_saveexec_b32 s12, s18
	s_cbranch_execnz .LBB229_147
.LBB229_134:
	s_or_b32 exec_lo, exec_lo, s12
	s_and_b32 s18, s3, s8
	s_and_saveexec_b32 s12, s18
	s_cbranch_execnz .LBB229_151
.LBB229_135:
	s_or_b32 exec_lo, exec_lo, s12
	s_and_b32 s18, s4, s8
	s_and_saveexec_b32 s12, s18
	s_cbranch_execnz .LBB229_155
.LBB229_136:
	s_or_b32 exec_lo, exec_lo, s12
	s_and_b32 s18, s5, s8
	s_and_saveexec_b32 s12, s18
	s_cbranch_execnz .LBB229_159
.LBB229_137:
	s_or_b32 exec_lo, exec_lo, s12
	s_and_b32 s18, s6, s8
	s_and_saveexec_b32 s12, s18
	s_cbranch_execnz .LBB229_163
.LBB229_138:
	s_or_b32 exec_lo, exec_lo, s12
	s_and_b32 s12, s7, s8
	s_and_saveexec_b32 s8, s12
	s_cbranch_execnz .LBB229_167
	s_branch .LBB229_171
.LBB229_139:
	v_cmp_ne_u32_e32 vcc_lo, 1, v68
	s_cbranch_vccnz .LBB229_141
; %bb.140:
	v_lshlrev_b64 v[98:99], 1, v[32:33]
	v_add_co_u32 v98, vcc_lo, v30, v98
	v_add_co_ci_u32_e64 v99, null, v31, v99, vcc_lo
	flat_load_ushort v98, v[98:99]
	s_waitcnt vmcnt(0) lgkmcnt(0)
	v_mul_f16_e32 v98, s15, v98
	v_cvt_f32_f16_e32 v98, v98
	s_branch .LBB229_142
.LBB229_141:
	v_mov_b32_e32 v98, 0
.LBB229_142:
	v_pk_add_f16 v99, v16, v24
	v_pk_add_f16 v100, v17, v25
	v_max_f16_e32 v101, v97, v97
	v_lshrrev_b32_e32 v97, 16, v97
	v_max_f32_e32 v98, v98, v98
	v_lshrrev_b32_e32 v102, 16, v99
	v_lshrrev_b32_e32 v103, 16, v100
	v_min_f16_e32 v99, v101, v99
	v_min3_f16 v97, v97, v102, v103
	v_min3_f16 v97, v99, v100, v97
	v_cvt_f32_f16_e32 v97, v97
	v_min_f32_e32 v99, v98, v97
	v_lshlrev_b64 v[97:98], 1, v[32:33]
	v_cvt_f16_f32_e32 v99, v99
	v_add_co_u32 v97, vcc_lo, v28, v97
	v_add_co_ci_u32_e64 v98, null, v29, v98, vcc_lo
	flat_store_short v[97:98], v99
	s_or_b32 exec_lo, exec_lo, s12
	s_and_b32 s18, s1, s8
	s_and_saveexec_b32 s12, s18
	s_cbranch_execz .LBB229_133
.LBB229_143:
	v_cmp_ne_u32_e32 vcc_lo, 1, v68
	s_cbranch_vccnz .LBB229_145
; %bb.144:
	v_lshlrev_b64 v[97:98], 1, v[34:35]
	v_add_co_u32 v97, vcc_lo, v30, v97
	v_add_co_ci_u32_e64 v98, null, v31, v98, vcc_lo
	flat_load_ushort v97, v[97:98]
	s_waitcnt vmcnt(0) lgkmcnt(0)
	v_mul_f16_e32 v97, s15, v97
	v_cvt_f32_f16_e32 v97, v97
	s_branch .LBB229_146
.LBB229_145:
	v_mov_b32_e32 v97, 0
.LBB229_146:
	v_pk_add_f16 v98, v18, v24
	v_pk_add_f16 v99, v19, v25
	v_max_f16_e32 v100, v96, v96
	v_lshrrev_b32_e32 v96, 16, v96
	v_max_f32_e32 v97, v97, v97
	v_lshrrev_b32_e32 v101, 16, v98
	v_lshrrev_b32_e32 v102, 16, v99
	v_min_f16_e32 v98, v100, v98
	v_min3_f16 v96, v96, v101, v102
	v_min3_f16 v96, v98, v99, v96
	v_cvt_f32_f16_e32 v96, v96
	v_min_f32_e32 v98, v97, v96
	v_lshlrev_b64 v[96:97], 1, v[34:35]
	v_cvt_f16_f32_e32 v98, v98
	v_add_co_u32 v96, vcc_lo, v28, v96
	v_add_co_ci_u32_e64 v97, null, v29, v97, vcc_lo
	flat_store_short v[96:97], v98
	s_or_b32 exec_lo, exec_lo, s12
	s_and_b32 s18, s2, s8
	s_and_saveexec_b32 s12, s18
	s_cbranch_execz .LBB229_134
.LBB229_147:
	v_cmp_ne_u32_e32 vcc_lo, 1, v68
	s_cbranch_vccnz .LBB229_149
; %bb.148:
	v_lshlrev_b64 v[96:97], 1, v[36:37]
	v_add_co_u32 v96, vcc_lo, v30, v96
	v_add_co_ci_u32_e64 v97, null, v31, v97, vcc_lo
	flat_load_ushort v96, v[96:97]
	s_waitcnt vmcnt(0) lgkmcnt(0)
	v_mul_f16_e32 v96, s15, v96
	v_cvt_f32_f16_e32 v96, v96
	s_branch .LBB229_150
.LBB229_149:
	v_mov_b32_e32 v96, 0
.LBB229_150:
	v_pk_add_f16 v97, v12, v24
	v_pk_add_f16 v98, v13, v25
	v_max_f16_e32 v99, v95, v95
	v_lshrrev_b32_e32 v95, 16, v95
	v_max_f32_e32 v96, v96, v96
	v_lshrrev_b32_e32 v100, 16, v97
	v_lshrrev_b32_e32 v101, 16, v98
	v_min_f16_e32 v97, v99, v97
	v_min3_f16 v95, v95, v100, v101
	v_min3_f16 v95, v97, v98, v95
	v_cvt_f32_f16_e32 v95, v95
	v_min_f32_e32 v97, v96, v95
	v_lshlrev_b64 v[95:96], 1, v[36:37]
	v_cvt_f16_f32_e32 v97, v97
	v_add_co_u32 v95, vcc_lo, v28, v95
	v_add_co_ci_u32_e64 v96, null, v29, v96, vcc_lo
	flat_store_short v[95:96], v97
	s_or_b32 exec_lo, exec_lo, s12
	s_and_b32 s18, s3, s8
	s_and_saveexec_b32 s12, s18
	s_cbranch_execz .LBB229_135
.LBB229_151:
	v_cmp_ne_u32_e32 vcc_lo, 1, v68
	s_cbranch_vccnz .LBB229_153
; %bb.152:
	v_lshlrev_b64 v[95:96], 1, v[38:39]
	v_add_co_u32 v95, vcc_lo, v30, v95
	v_add_co_ci_u32_e64 v96, null, v31, v96, vcc_lo
	flat_load_ushort v95, v[95:96]
	s_waitcnt vmcnt(0) lgkmcnt(0)
	v_mul_f16_e32 v95, s15, v95
	v_cvt_f32_f16_e32 v95, v95
	s_branch .LBB229_154
.LBB229_153:
	v_mov_b32_e32 v95, 0
.LBB229_154:
	v_pk_add_f16 v96, v14, v24
	v_pk_add_f16 v97, v15, v25
	v_max_f16_e32 v98, v94, v94
	v_lshrrev_b32_e32 v94, 16, v94
	v_max_f32_e32 v95, v95, v95
	v_lshrrev_b32_e32 v99, 16, v96
	v_lshrrev_b32_e32 v100, 16, v97
	v_min_f16_e32 v96, v98, v96
	v_min3_f16 v94, v94, v99, v100
	v_min3_f16 v94, v96, v97, v94
	v_cvt_f32_f16_e32 v94, v94
	v_min_f32_e32 v96, v95, v94
	v_lshlrev_b64 v[94:95], 1, v[38:39]
	v_cvt_f16_f32_e32 v96, v96
	v_add_co_u32 v94, vcc_lo, v28, v94
	v_add_co_ci_u32_e64 v95, null, v29, v95, vcc_lo
	flat_store_short v[94:95], v96
	s_or_b32 exec_lo, exec_lo, s12
	s_and_b32 s18, s4, s8
	s_and_saveexec_b32 s12, s18
	s_cbranch_execz .LBB229_136
.LBB229_155:
	v_cmp_ne_u32_e32 vcc_lo, 1, v68
	s_cbranch_vccnz .LBB229_157
; %bb.156:
	v_lshlrev_b64 v[94:95], 1, v[40:41]
	v_add_co_u32 v94, vcc_lo, v30, v94
	v_add_co_ci_u32_e64 v95, null, v31, v95, vcc_lo
	flat_load_ushort v94, v[94:95]
	s_waitcnt vmcnt(0) lgkmcnt(0)
	v_mul_f16_e32 v94, s15, v94
	v_cvt_f32_f16_e32 v94, v94
	s_branch .LBB229_158
.LBB229_157:
	v_mov_b32_e32 v94, 0
.LBB229_158:
	v_pk_add_f16 v95, v8, v24
	v_pk_add_f16 v96, v9, v25
	v_max_f16_e32 v97, v93, v93
	v_lshrrev_b32_e32 v93, 16, v93
	v_max_f32_e32 v94, v94, v94
	v_lshrrev_b32_e32 v98, 16, v95
	v_lshrrev_b32_e32 v99, 16, v96
	v_min_f16_e32 v95, v97, v95
	v_min3_f16 v93, v93, v98, v99
	v_min3_f16 v93, v95, v96, v93
	v_cvt_f32_f16_e32 v93, v93
	v_min_f32_e32 v95, v94, v93
	v_lshlrev_b64 v[93:94], 1, v[40:41]
	v_cvt_f16_f32_e32 v95, v95
	v_add_co_u32 v93, vcc_lo, v28, v93
	v_add_co_ci_u32_e64 v94, null, v29, v94, vcc_lo
	flat_store_short v[93:94], v95
	s_or_b32 exec_lo, exec_lo, s12
	s_and_b32 s18, s5, s8
	s_and_saveexec_b32 s12, s18
	s_cbranch_execz .LBB229_137
.LBB229_159:
	v_cmp_ne_u32_e32 vcc_lo, 1, v68
	s_cbranch_vccnz .LBB229_161
; %bb.160:
	v_lshlrev_b64 v[93:94], 1, v[42:43]
	v_add_co_u32 v93, vcc_lo, v30, v93
	v_add_co_ci_u32_e64 v94, null, v31, v94, vcc_lo
	flat_load_ushort v93, v[93:94]
	s_waitcnt vmcnt(0) lgkmcnt(0)
	v_mul_f16_e32 v93, s15, v93
	v_cvt_f32_f16_e32 v93, v93
	s_branch .LBB229_162
.LBB229_161:
	v_mov_b32_e32 v93, 0
.LBB229_162:
	v_pk_add_f16 v94, v10, v24
	v_pk_add_f16 v95, v11, v25
	v_max_f16_e32 v96, v92, v92
	v_lshrrev_b32_e32 v92, 16, v92
	v_max_f32_e32 v93, v93, v93
	v_lshrrev_b32_e32 v97, 16, v94
	v_lshrrev_b32_e32 v98, 16, v95
	v_min_f16_e32 v94, v96, v94
	v_min3_f16 v92, v92, v97, v98
	v_min3_f16 v92, v94, v95, v92
	v_cvt_f32_f16_e32 v92, v92
	v_min_f32_e32 v94, v93, v92
	v_lshlrev_b64 v[92:93], 1, v[42:43]
	v_cvt_f16_f32_e32 v94, v94
	v_add_co_u32 v92, vcc_lo, v28, v92
	v_add_co_ci_u32_e64 v93, null, v29, v93, vcc_lo
	flat_store_short v[92:93], v94
	s_or_b32 exec_lo, exec_lo, s12
	s_and_b32 s18, s6, s8
	s_and_saveexec_b32 s12, s18
	s_cbranch_execz .LBB229_138
.LBB229_163:
	v_cmp_ne_u32_e32 vcc_lo, 1, v68
	s_cbranch_vccnz .LBB229_165
; %bb.164:
	v_lshlrev_b64 v[92:93], 1, v[44:45]
	v_add_co_u32 v92, vcc_lo, v30, v92
	v_add_co_ci_u32_e64 v93, null, v31, v93, vcc_lo
	flat_load_ushort v92, v[92:93]
	s_waitcnt vmcnt(0) lgkmcnt(0)
	v_mul_f16_e32 v92, s15, v92
	v_cvt_f32_f16_e32 v92, v92
	s_branch .LBB229_166
.LBB229_165:
	v_mov_b32_e32 v92, 0
.LBB229_166:
	v_pk_add_f16 v93, v0, v24
	v_pk_add_f16 v94, v1, v25
	v_max_f16_e32 v95, v91, v91
	v_lshrrev_b32_e32 v91, 16, v91
	v_max_f32_e32 v92, v92, v92
	v_lshrrev_b32_e32 v96, 16, v93
	v_lshrrev_b32_e32 v97, 16, v94
	v_min_f16_e32 v93, v95, v93
	v_min3_f16 v91, v91, v96, v97
	v_min3_f16 v91, v93, v94, v91
	v_cvt_f32_f16_e32 v91, v91
	v_min_f32_e32 v93, v92, v91
	v_lshlrev_b64 v[91:92], 1, v[44:45]
	v_cvt_f16_f32_e32 v93, v93
	v_add_co_u32 v91, vcc_lo, v28, v91
	v_add_co_ci_u32_e64 v92, null, v29, v92, vcc_lo
	flat_store_short v[91:92], v93
	s_or_b32 exec_lo, exec_lo, s12
	s_and_b32 s12, s7, s8
	s_and_saveexec_b32 s8, s12
	s_cbranch_execz .LBB229_171
.LBB229_167:
	v_cmp_ne_u32_e32 vcc_lo, 1, v68
	s_cbranch_vccnz .LBB229_169
; %bb.168:
	v_lshlrev_b64 v[91:92], 1, v[46:47]
	v_add_co_u32 v30, vcc_lo, v30, v91
	v_add_co_ci_u32_e64 v31, null, v31, v92, vcc_lo
	flat_load_ushort v30, v[30:31]
	s_waitcnt vmcnt(0) lgkmcnt(0)
	v_mul_f16_e32 v30, s15, v30
	v_cvt_f32_f16_e32 v30, v30
	s_branch .LBB229_170
.LBB229_169:
	v_mov_b32_e32 v30, 0
.LBB229_170:
	v_pk_add_f16 v24, v2, v24
	v_pk_add_f16 v25, v3, v25
	v_max_f16_e32 v31, v90, v90
	v_lshrrev_b32_e32 v90, 16, v90
	v_lshrrev_b32_e32 v91, 16, v24
	v_lshrrev_b32_e32 v92, 16, v25
	v_min_f16_e32 v24, v31, v24
	v_min3_f16 v31, v90, v91, v92
	v_min3_f16 v24, v24, v25, v31
	v_max_f32_e32 v25, v30, v30
	v_cvt_f32_f16_e32 v24, v24
	v_min_f32_e32 v30, v25, v24
	v_lshlrev_b64 v[24:25], 1, v[46:47]
	v_cvt_f16_f32_e32 v30, v30
	v_add_co_u32 v24, vcc_lo, v28, v24
	v_add_co_ci_u32_e64 v25, null, v29, v25, vcc_lo
	flat_store_short v[24:25], v30
.LBB229_171:
	s_or_b32 exec_lo, exec_lo, s8
	v_add_nc_u32_e32 v30, 0x60, v76
	v_mad_i64_i32 v[24:25], null, v30, s14, 0
	v_mad_i64_i32 v[28:29], null, v30, s9, 0
	v_cmp_gt_i32_e64 s8, s13, v30
	v_lshlrev_b64 v[24:25], 1, v[24:25]
	s_and_b32 s18, s0, s8
	v_lshlrev_b64 v[30:31], 1, v[28:29]
	v_add_co_u32 v28, vcc_lo, s10, v24
	v_add_co_ci_u32_e64 v29, null, s11, v25, vcc_lo
	v_add_co_u32 v24, vcc_lo, s16, v30
	v_add_co_ci_u32_e64 v25, null, s17, v31, vcc_lo
	s_and_saveexec_b32 s12, s18
	s_cbranch_execnz .LBB229_179
; %bb.172:
	s_or_b32 exec_lo, exec_lo, s12
	s_and_b32 s18, s1, s8
	s_and_saveexec_b32 s12, s18
	s_cbranch_execnz .LBB229_183
.LBB229_173:
	s_or_b32 exec_lo, exec_lo, s12
	s_and_b32 s18, s2, s8
	s_and_saveexec_b32 s12, s18
	s_cbranch_execnz .LBB229_187
.LBB229_174:
	s_or_b32 exec_lo, exec_lo, s12
	s_and_b32 s18, s3, s8
	s_and_saveexec_b32 s12, s18
	s_cbranch_execnz .LBB229_191
.LBB229_175:
	s_or_b32 exec_lo, exec_lo, s12
	s_and_b32 s18, s4, s8
	s_and_saveexec_b32 s12, s18
	s_cbranch_execnz .LBB229_195
.LBB229_176:
	s_or_b32 exec_lo, exec_lo, s12
	s_and_b32 s18, s5, s8
	s_and_saveexec_b32 s12, s18
	s_cbranch_execnz .LBB229_199
.LBB229_177:
	s_or_b32 exec_lo, exec_lo, s12
	s_and_b32 s18, s6, s8
	s_and_saveexec_b32 s12, s18
	s_cbranch_execnz .LBB229_203
.LBB229_178:
	s_or_b32 exec_lo, exec_lo, s12
	s_and_b32 s12, s7, s8
	s_and_saveexec_b32 s8, s12
	s_cbranch_execnz .LBB229_207
	s_branch .LBB229_211
.LBB229_179:
	v_cmp_ne_u32_e32 vcc_lo, 1, v68
	s_cbranch_vccnz .LBB229_181
; %bb.180:
	v_lshlrev_b64 v[30:31], 1, v[32:33]
	v_add_co_u32 v30, vcc_lo, v28, v30
	v_add_co_ci_u32_e64 v31, null, v29, v31, vcc_lo
	flat_load_ushort v30, v[30:31]
	s_waitcnt vmcnt(0) lgkmcnt(0)
	v_mul_f16_e32 v30, s15, v30
	v_cvt_f32_f16_e32 v30, v30
	s_branch .LBB229_182
.LBB229_181:
	v_mov_b32_e32 v30, 0
.LBB229_182:
	v_pk_add_f16 v31, v16, v26
	v_pk_add_f16 v90, v17, v27
	v_max_f16_e32 v91, v89, v89
	v_lshrrev_b32_e32 v89, 16, v89
	v_max_f32_e32 v30, v30, v30
	v_lshrrev_b32_e32 v92, 16, v31
	v_lshrrev_b32_e32 v93, 16, v90
	v_min_f16_e32 v31, v91, v31
	v_min3_f16 v89, v89, v92, v93
	v_min3_f16 v31, v31, v90, v89
	v_cvt_f32_f16_e32 v31, v31
	v_min_f32_e32 v89, v30, v31
	v_lshlrev_b64 v[30:31], 1, v[32:33]
	v_cvt_f16_f32_e32 v89, v89
	v_add_co_u32 v30, vcc_lo, v24, v30
	v_add_co_ci_u32_e64 v31, null, v25, v31, vcc_lo
	flat_store_short v[30:31], v89
	s_or_b32 exec_lo, exec_lo, s12
	s_and_b32 s18, s1, s8
	s_and_saveexec_b32 s12, s18
	s_cbranch_execz .LBB229_173
.LBB229_183:
	v_cmp_ne_u32_e32 vcc_lo, 1, v68
	s_cbranch_vccnz .LBB229_185
; %bb.184:
	v_lshlrev_b64 v[30:31], 1, v[34:35]
	v_add_co_u32 v30, vcc_lo, v28, v30
	v_add_co_ci_u32_e64 v31, null, v29, v31, vcc_lo
	flat_load_ushort v30, v[30:31]
	s_waitcnt vmcnt(0) lgkmcnt(0)
	v_mul_f16_e32 v30, s15, v30
	v_cvt_f32_f16_e32 v30, v30
	s_branch .LBB229_186
.LBB229_185:
	v_mov_b32_e32 v30, 0
.LBB229_186:
	v_pk_add_f16 v31, v18, v26
	v_pk_add_f16 v89, v19, v27
	v_max_f16_e32 v90, v88, v88
	v_lshrrev_b32_e32 v88, 16, v88
	v_max_f32_e32 v30, v30, v30
	v_lshrrev_b32_e32 v91, 16, v31
	v_lshrrev_b32_e32 v92, 16, v89
	v_min_f16_e32 v31, v90, v31
	v_min3_f16 v88, v88, v91, v92
	v_min3_f16 v31, v31, v89, v88
	v_cvt_f32_f16_e32 v31, v31
	v_min_f32_e32 v88, v30, v31
	v_lshlrev_b64 v[30:31], 1, v[34:35]
	v_cvt_f16_f32_e32 v88, v88
	v_add_co_u32 v30, vcc_lo, v24, v30
	v_add_co_ci_u32_e64 v31, null, v25, v31, vcc_lo
	flat_store_short v[30:31], v88
	s_or_b32 exec_lo, exec_lo, s12
	s_and_b32 s18, s2, s8
	s_and_saveexec_b32 s12, s18
	s_cbranch_execz .LBB229_174
.LBB229_187:
	v_cmp_ne_u32_e32 vcc_lo, 1, v68
	s_cbranch_vccnz .LBB229_189
; %bb.188:
	v_lshlrev_b64 v[30:31], 1, v[36:37]
	v_add_co_u32 v30, vcc_lo, v28, v30
	v_add_co_ci_u32_e64 v31, null, v29, v31, vcc_lo
	flat_load_ushort v30, v[30:31]
	s_waitcnt vmcnt(0) lgkmcnt(0)
	v_mul_f16_e32 v30, s15, v30
	v_cvt_f32_f16_e32 v30, v30
	s_branch .LBB229_190
.LBB229_189:
	v_mov_b32_e32 v30, 0
.LBB229_190:
	v_pk_add_f16 v31, v12, v26
	v_pk_add_f16 v88, v13, v27
	v_max_f16_e32 v89, v87, v87
	v_lshrrev_b32_e32 v87, 16, v87
	v_max_f32_e32 v30, v30, v30
	v_lshrrev_b32_e32 v90, 16, v31
	v_lshrrev_b32_e32 v91, 16, v88
	v_min_f16_e32 v31, v89, v31
	v_min3_f16 v87, v87, v90, v91
	v_min3_f16 v31, v31, v88, v87
	v_cvt_f32_f16_e32 v31, v31
	v_min_f32_e32 v87, v30, v31
	v_lshlrev_b64 v[30:31], 1, v[36:37]
	v_cvt_f16_f32_e32 v87, v87
	v_add_co_u32 v30, vcc_lo, v24, v30
	v_add_co_ci_u32_e64 v31, null, v25, v31, vcc_lo
	flat_store_short v[30:31], v87
	s_or_b32 exec_lo, exec_lo, s12
	s_and_b32 s18, s3, s8
	s_and_saveexec_b32 s12, s18
	s_cbranch_execz .LBB229_175
.LBB229_191:
	v_cmp_ne_u32_e32 vcc_lo, 1, v68
	s_cbranch_vccnz .LBB229_193
; %bb.192:
	v_lshlrev_b64 v[30:31], 1, v[38:39]
	v_add_co_u32 v30, vcc_lo, v28, v30
	v_add_co_ci_u32_e64 v31, null, v29, v31, vcc_lo
	flat_load_ushort v30, v[30:31]
	s_waitcnt vmcnt(0) lgkmcnt(0)
	v_mul_f16_e32 v30, s15, v30
	v_cvt_f32_f16_e32 v30, v30
	s_branch .LBB229_194
.LBB229_193:
	v_mov_b32_e32 v30, 0
.LBB229_194:
	v_pk_add_f16 v31, v14, v26
	v_pk_add_f16 v87, v15, v27
	v_max_f16_e32 v88, v86, v86
	v_lshrrev_b32_e32 v86, 16, v86
	v_max_f32_e32 v30, v30, v30
	v_lshrrev_b32_e32 v89, 16, v31
	v_lshrrev_b32_e32 v90, 16, v87
	v_min_f16_e32 v31, v88, v31
	v_min3_f16 v86, v86, v89, v90
	v_min3_f16 v31, v31, v87, v86
	v_cvt_f32_f16_e32 v31, v31
	v_min_f32_e32 v86, v30, v31
	v_lshlrev_b64 v[30:31], 1, v[38:39]
	v_cvt_f16_f32_e32 v86, v86
	v_add_co_u32 v30, vcc_lo, v24, v30
	v_add_co_ci_u32_e64 v31, null, v25, v31, vcc_lo
	flat_store_short v[30:31], v86
	s_or_b32 exec_lo, exec_lo, s12
	s_and_b32 s18, s4, s8
	s_and_saveexec_b32 s12, s18
	s_cbranch_execz .LBB229_176
.LBB229_195:
	v_cmp_ne_u32_e32 vcc_lo, 1, v68
	s_cbranch_vccnz .LBB229_197
; %bb.196:
	v_lshlrev_b64 v[30:31], 1, v[40:41]
	v_add_co_u32 v30, vcc_lo, v28, v30
	v_add_co_ci_u32_e64 v31, null, v29, v31, vcc_lo
	flat_load_ushort v30, v[30:31]
	s_waitcnt vmcnt(0) lgkmcnt(0)
	v_mul_f16_e32 v30, s15, v30
	v_cvt_f32_f16_e32 v30, v30
	s_branch .LBB229_198
.LBB229_197:
	v_mov_b32_e32 v30, 0
.LBB229_198:
	v_pk_add_f16 v31, v8, v26
	v_pk_add_f16 v86, v9, v27
	v_max_f16_e32 v87, v85, v85
	v_lshrrev_b32_e32 v85, 16, v85
	v_max_f32_e32 v30, v30, v30
	v_lshrrev_b32_e32 v88, 16, v31
	v_lshrrev_b32_e32 v89, 16, v86
	v_min_f16_e32 v31, v87, v31
	v_min3_f16 v85, v85, v88, v89
	v_min3_f16 v31, v31, v86, v85
	v_cvt_f32_f16_e32 v31, v31
	v_min_f32_e32 v85, v30, v31
	v_lshlrev_b64 v[30:31], 1, v[40:41]
	v_cvt_f16_f32_e32 v85, v85
	v_add_co_u32 v30, vcc_lo, v24, v30
	v_add_co_ci_u32_e64 v31, null, v25, v31, vcc_lo
	flat_store_short v[30:31], v85
	s_or_b32 exec_lo, exec_lo, s12
	s_and_b32 s18, s5, s8
	s_and_saveexec_b32 s12, s18
	s_cbranch_execz .LBB229_177
.LBB229_199:
	v_cmp_ne_u32_e32 vcc_lo, 1, v68
	s_cbranch_vccnz .LBB229_201
; %bb.200:
	v_lshlrev_b64 v[30:31], 1, v[42:43]
	v_add_co_u32 v30, vcc_lo, v28, v30
	v_add_co_ci_u32_e64 v31, null, v29, v31, vcc_lo
	flat_load_ushort v30, v[30:31]
	s_waitcnt vmcnt(0) lgkmcnt(0)
	v_mul_f16_e32 v30, s15, v30
	v_cvt_f32_f16_e32 v30, v30
	s_branch .LBB229_202
.LBB229_201:
	v_mov_b32_e32 v30, 0
.LBB229_202:
	v_pk_add_f16 v31, v10, v26
	v_pk_add_f16 v85, v11, v27
	v_max_f16_e32 v86, v84, v84
	v_lshrrev_b32_e32 v84, 16, v84
	v_max_f32_e32 v30, v30, v30
	v_lshrrev_b32_e32 v87, 16, v31
	v_lshrrev_b32_e32 v88, 16, v85
	v_min_f16_e32 v31, v86, v31
	v_min3_f16 v84, v84, v87, v88
	v_min3_f16 v31, v31, v85, v84
	v_cvt_f32_f16_e32 v31, v31
	v_min_f32_e32 v84, v30, v31
	v_lshlrev_b64 v[30:31], 1, v[42:43]
	v_cvt_f16_f32_e32 v84, v84
	v_add_co_u32 v30, vcc_lo, v24, v30
	v_add_co_ci_u32_e64 v31, null, v25, v31, vcc_lo
	flat_store_short v[30:31], v84
	s_or_b32 exec_lo, exec_lo, s12
	s_and_b32 s18, s6, s8
	s_and_saveexec_b32 s12, s18
	s_cbranch_execz .LBB229_178
.LBB229_203:
	v_cmp_ne_u32_e32 vcc_lo, 1, v68
	s_cbranch_vccnz .LBB229_205
; %bb.204:
	v_lshlrev_b64 v[30:31], 1, v[44:45]
	v_add_co_u32 v30, vcc_lo, v28, v30
	v_add_co_ci_u32_e64 v31, null, v29, v31, vcc_lo
	flat_load_ushort v30, v[30:31]
	s_waitcnt vmcnt(0) lgkmcnt(0)
	v_mul_f16_e32 v30, s15, v30
	v_cvt_f32_f16_e32 v30, v30
	s_branch .LBB229_206
.LBB229_205:
	v_mov_b32_e32 v30, 0
.LBB229_206:
	v_pk_add_f16 v31, v0, v26
	v_pk_add_f16 v84, v1, v27
	v_max_f16_e32 v85, v83, v83
	v_lshrrev_b32_e32 v83, 16, v83
	v_max_f32_e32 v30, v30, v30
	v_lshrrev_b32_e32 v86, 16, v31
	v_lshrrev_b32_e32 v87, 16, v84
	v_min_f16_e32 v31, v85, v31
	v_min3_f16 v83, v83, v86, v87
	v_min3_f16 v31, v31, v84, v83
	v_cvt_f32_f16_e32 v31, v31
	v_min_f32_e32 v83, v30, v31
	v_lshlrev_b64 v[30:31], 1, v[44:45]
	v_cvt_f16_f32_e32 v83, v83
	v_add_co_u32 v30, vcc_lo, v24, v30
	v_add_co_ci_u32_e64 v31, null, v25, v31, vcc_lo
	flat_store_short v[30:31], v83
	s_or_b32 exec_lo, exec_lo, s12
	s_and_b32 s12, s7, s8
	s_and_saveexec_b32 s8, s12
	s_cbranch_execz .LBB229_211
.LBB229_207:
	v_cmp_ne_u32_e32 vcc_lo, 1, v68
	s_cbranch_vccnz .LBB229_209
; %bb.208:
	v_lshlrev_b64 v[30:31], 1, v[46:47]
	v_add_co_u32 v28, vcc_lo, v28, v30
	v_add_co_ci_u32_e64 v29, null, v29, v31, vcc_lo
	flat_load_ushort v28, v[28:29]
	s_waitcnt vmcnt(0) lgkmcnt(0)
	v_mul_f16_e32 v28, s15, v28
	v_cvt_f32_f16_e32 v28, v28
	s_branch .LBB229_210
.LBB229_209:
	v_mov_b32_e32 v28, 0
.LBB229_210:
	v_pk_add_f16 v26, v2, v26
	v_pk_add_f16 v27, v3, v27
	v_max_f16_e32 v29, v82, v82
	v_lshrrev_b32_e32 v30, 16, v82
	v_lshrrev_b32_e32 v31, 16, v26
	;; [unrolled: 1-line block ×3, first 2 shown]
	v_min_f16_e32 v26, v29, v26
	v_min3_f16 v29, v30, v31, v82
	v_min3_f16 v26, v26, v27, v29
	v_max_f32_e32 v27, v28, v28
	v_cvt_f32_f16_e32 v26, v26
	v_min_f32_e32 v28, v27, v26
	v_lshlrev_b64 v[26:27], 1, v[46:47]
	v_cvt_f16_f32_e32 v28, v28
	v_add_co_u32 v24, vcc_lo, v24, v26
	v_add_co_ci_u32_e64 v25, null, v25, v27, vcc_lo
	flat_store_short v[24:25], v28
.LBB229_211:
	s_or_b32 exec_lo, exec_lo, s8
	v_add_nc_u32_e32 v28, 0x80, v76
	v_mad_i64_i32 v[24:25], null, v28, s14, 0
	v_mad_i64_i32 v[26:27], null, v28, s9, 0
	v_cmp_gt_i32_e64 s8, s13, v28
	v_lshlrev_b64 v[24:25], 1, v[24:25]
	s_and_b32 s18, s0, s8
	v_lshlrev_b64 v[28:29], 1, v[26:27]
	v_add_co_u32 v26, vcc_lo, s10, v24
	v_add_co_ci_u32_e64 v27, null, s11, v25, vcc_lo
	v_add_co_u32 v24, vcc_lo, s16, v28
	v_add_co_ci_u32_e64 v25, null, s17, v29, vcc_lo
	s_and_saveexec_b32 s12, s18
	s_cbranch_execnz .LBB229_219
; %bb.212:
	s_or_b32 exec_lo, exec_lo, s12
	s_and_b32 s18, s1, s8
	s_and_saveexec_b32 s12, s18
	s_cbranch_execnz .LBB229_223
.LBB229_213:
	s_or_b32 exec_lo, exec_lo, s12
	s_and_b32 s18, s2, s8
	s_and_saveexec_b32 s12, s18
	s_cbranch_execnz .LBB229_227
.LBB229_214:
	s_or_b32 exec_lo, exec_lo, s12
	s_and_b32 s18, s3, s8
	s_and_saveexec_b32 s12, s18
	s_cbranch_execnz .LBB229_231
.LBB229_215:
	s_or_b32 exec_lo, exec_lo, s12
	s_and_b32 s18, s4, s8
	s_and_saveexec_b32 s12, s18
	s_cbranch_execnz .LBB229_235
.LBB229_216:
	s_or_b32 exec_lo, exec_lo, s12
	s_and_b32 s18, s5, s8
	s_and_saveexec_b32 s12, s18
	s_cbranch_execnz .LBB229_239
.LBB229_217:
	s_or_b32 exec_lo, exec_lo, s12
	s_and_b32 s18, s6, s8
	s_and_saveexec_b32 s12, s18
	s_cbranch_execnz .LBB229_243
.LBB229_218:
	s_or_b32 exec_lo, exec_lo, s12
	s_and_b32 s12, s7, s8
	s_and_saveexec_b32 s8, s12
	s_cbranch_execnz .LBB229_247
	s_branch .LBB229_251
.LBB229_219:
	v_cmp_ne_u32_e32 vcc_lo, 1, v68
	s_cbranch_vccnz .LBB229_221
; %bb.220:
	v_lshlrev_b64 v[28:29], 1, v[32:33]
	v_add_co_u32 v28, vcc_lo, v26, v28
	v_add_co_ci_u32_e64 v29, null, v27, v29, vcc_lo
	flat_load_ushort v28, v[28:29]
	s_waitcnt vmcnt(0) lgkmcnt(0)
	v_mul_f16_e32 v28, s15, v28
	v_cvt_f32_f16_e32 v28, v28
	s_branch .LBB229_222
.LBB229_221:
	v_mov_b32_e32 v28, 0
.LBB229_222:
	v_pk_add_f16 v29, v16, v20
	v_pk_add_f16 v30, v17, v21
	v_max_f16_e32 v31, v81, v81
	v_lshrrev_b32_e32 v81, 16, v81
	v_max_f32_e32 v28, v28, v28
	v_lshrrev_b32_e32 v82, 16, v29
	v_lshrrev_b32_e32 v83, 16, v30
	v_min_f16_e32 v29, v31, v29
	v_min3_f16 v31, v81, v82, v83
	v_min3_f16 v29, v29, v30, v31
	v_cvt_f32_f16_e32 v29, v29
	v_min_f32_e32 v30, v28, v29
	v_lshlrev_b64 v[28:29], 1, v[32:33]
	v_cvt_f16_f32_e32 v30, v30
	v_add_co_u32 v28, vcc_lo, v24, v28
	v_add_co_ci_u32_e64 v29, null, v25, v29, vcc_lo
	flat_store_short v[28:29], v30
	s_or_b32 exec_lo, exec_lo, s12
	s_and_b32 s18, s1, s8
	s_and_saveexec_b32 s12, s18
	s_cbranch_execz .LBB229_213
.LBB229_223:
	v_cmp_ne_u32_e32 vcc_lo, 1, v68
	s_cbranch_vccnz .LBB229_225
; %bb.224:
	v_lshlrev_b64 v[28:29], 1, v[34:35]
	v_add_co_u32 v28, vcc_lo, v26, v28
	v_add_co_ci_u32_e64 v29, null, v27, v29, vcc_lo
	flat_load_ushort v28, v[28:29]
	s_waitcnt vmcnt(0) lgkmcnt(0)
	v_mul_f16_e32 v28, s15, v28
	v_cvt_f32_f16_e32 v28, v28
	s_branch .LBB229_226
.LBB229_225:
	v_mov_b32_e32 v28, 0
.LBB229_226:
	v_pk_add_f16 v29, v18, v20
	v_pk_add_f16 v30, v19, v21
	v_max_f16_e32 v31, v80, v80
	v_lshrrev_b32_e32 v80, 16, v80
	v_max_f32_e32 v28, v28, v28
	v_lshrrev_b32_e32 v81, 16, v29
	v_lshrrev_b32_e32 v82, 16, v30
	v_min_f16_e32 v29, v31, v29
	v_min3_f16 v31, v80, v81, v82
	v_min3_f16 v29, v29, v30, v31
	v_cvt_f32_f16_e32 v29, v29
	v_min_f32_e32 v30, v28, v29
	v_lshlrev_b64 v[28:29], 1, v[34:35]
	v_cvt_f16_f32_e32 v30, v30
	v_add_co_u32 v28, vcc_lo, v24, v28
	v_add_co_ci_u32_e64 v29, null, v25, v29, vcc_lo
	flat_store_short v[28:29], v30
	s_or_b32 exec_lo, exec_lo, s12
	s_and_b32 s18, s2, s8
	s_and_saveexec_b32 s12, s18
	s_cbranch_execz .LBB229_214
.LBB229_227:
	v_cmp_ne_u32_e32 vcc_lo, 1, v68
	s_cbranch_vccnz .LBB229_229
; %bb.228:
	v_lshlrev_b64 v[28:29], 1, v[36:37]
	v_add_co_u32 v28, vcc_lo, v26, v28
	v_add_co_ci_u32_e64 v29, null, v27, v29, vcc_lo
	flat_load_ushort v28, v[28:29]
	s_waitcnt vmcnt(0) lgkmcnt(0)
	v_mul_f16_e32 v28, s15, v28
	v_cvt_f32_f16_e32 v28, v28
	s_branch .LBB229_230
.LBB229_229:
	v_mov_b32_e32 v28, 0
.LBB229_230:
	v_pk_add_f16 v29, v12, v20
	v_pk_add_f16 v30, v13, v21
	v_max_f16_e32 v31, v79, v79
	v_lshrrev_b32_e32 v79, 16, v79
	v_max_f32_e32 v28, v28, v28
	v_lshrrev_b32_e32 v80, 16, v29
	v_lshrrev_b32_e32 v81, 16, v30
	v_min_f16_e32 v29, v31, v29
	v_min3_f16 v31, v79, v80, v81
	v_min3_f16 v29, v29, v30, v31
	v_cvt_f32_f16_e32 v29, v29
	v_min_f32_e32 v30, v28, v29
	v_lshlrev_b64 v[28:29], 1, v[36:37]
	v_cvt_f16_f32_e32 v30, v30
	v_add_co_u32 v28, vcc_lo, v24, v28
	v_add_co_ci_u32_e64 v29, null, v25, v29, vcc_lo
	flat_store_short v[28:29], v30
	s_or_b32 exec_lo, exec_lo, s12
	s_and_b32 s18, s3, s8
	s_and_saveexec_b32 s12, s18
	s_cbranch_execz .LBB229_215
.LBB229_231:
	v_cmp_ne_u32_e32 vcc_lo, 1, v68
	s_cbranch_vccnz .LBB229_233
; %bb.232:
	v_lshlrev_b64 v[28:29], 1, v[38:39]
	v_add_co_u32 v28, vcc_lo, v26, v28
	v_add_co_ci_u32_e64 v29, null, v27, v29, vcc_lo
	flat_load_ushort v28, v[28:29]
	s_waitcnt vmcnt(0) lgkmcnt(0)
	v_mul_f16_e32 v28, s15, v28
	v_cvt_f32_f16_e32 v28, v28
	s_branch .LBB229_234
.LBB229_233:
	v_mov_b32_e32 v28, 0
.LBB229_234:
	v_pk_add_f16 v29, v14, v20
	v_pk_add_f16 v30, v15, v21
	v_max_f16_e32 v31, v78, v78
	v_lshrrev_b32_e32 v78, 16, v78
	v_max_f32_e32 v28, v28, v28
	v_lshrrev_b32_e32 v79, 16, v29
	v_lshrrev_b32_e32 v80, 16, v30
	v_min_f16_e32 v29, v31, v29
	v_min3_f16 v31, v78, v79, v80
	v_min3_f16 v29, v29, v30, v31
	v_cvt_f32_f16_e32 v29, v29
	v_min_f32_e32 v30, v28, v29
	v_lshlrev_b64 v[28:29], 1, v[38:39]
	v_cvt_f16_f32_e32 v30, v30
	v_add_co_u32 v28, vcc_lo, v24, v28
	v_add_co_ci_u32_e64 v29, null, v25, v29, vcc_lo
	flat_store_short v[28:29], v30
	s_or_b32 exec_lo, exec_lo, s12
	s_and_b32 s18, s4, s8
	s_and_saveexec_b32 s12, s18
	s_cbranch_execz .LBB229_216
.LBB229_235:
	v_cmp_ne_u32_e32 vcc_lo, 1, v68
	s_cbranch_vccnz .LBB229_237
; %bb.236:
	v_lshlrev_b64 v[28:29], 1, v[40:41]
	v_add_co_u32 v28, vcc_lo, v26, v28
	v_add_co_ci_u32_e64 v29, null, v27, v29, vcc_lo
	flat_load_ushort v28, v[28:29]
	s_waitcnt vmcnt(0) lgkmcnt(0)
	v_mul_f16_e32 v28, s15, v28
	v_cvt_f32_f16_e32 v28, v28
	s_branch .LBB229_238
.LBB229_237:
	v_mov_b32_e32 v28, 0
.LBB229_238:
	v_pk_add_f16 v29, v8, v20
	v_pk_add_f16 v30, v9, v21
	v_max_f16_e32 v31, v77, v77
	v_lshrrev_b32_e32 v77, 16, v77
	v_max_f32_e32 v28, v28, v28
	v_lshrrev_b32_e32 v78, 16, v29
	v_lshrrev_b32_e32 v79, 16, v30
	v_min_f16_e32 v29, v31, v29
	v_min3_f16 v31, v77, v78, v79
	v_min3_f16 v29, v29, v30, v31
	v_cvt_f32_f16_e32 v29, v29
	v_min_f32_e32 v30, v28, v29
	v_lshlrev_b64 v[28:29], 1, v[40:41]
	v_cvt_f16_f32_e32 v30, v30
	v_add_co_u32 v28, vcc_lo, v24, v28
	v_add_co_ci_u32_e64 v29, null, v25, v29, vcc_lo
	flat_store_short v[28:29], v30
	s_or_b32 exec_lo, exec_lo, s12
	s_and_b32 s18, s5, s8
	s_and_saveexec_b32 s12, s18
	s_cbranch_execz .LBB229_217
.LBB229_239:
	v_cmp_ne_u32_e32 vcc_lo, 1, v68
	s_cbranch_vccnz .LBB229_241
; %bb.240:
	v_lshlrev_b64 v[28:29], 1, v[42:43]
	v_add_co_u32 v28, vcc_lo, v26, v28
	v_add_co_ci_u32_e64 v29, null, v27, v29, vcc_lo
	flat_load_ushort v28, v[28:29]
	s_waitcnt vmcnt(0) lgkmcnt(0)
	v_mul_f16_e32 v28, s15, v28
	v_cvt_f32_f16_e32 v28, v28
	s_branch .LBB229_242
.LBB229_241:
	v_mov_b32_e32 v28, 0
.LBB229_242:
	v_pk_add_f16 v29, v10, v20
	v_pk_add_f16 v30, v11, v21
	v_max_f16_e32 v31, v75, v75
	v_lshrrev_b32_e32 v75, 16, v75
	v_max_f32_e32 v28, v28, v28
	v_lshrrev_b32_e32 v77, 16, v29
	v_lshrrev_b32_e32 v78, 16, v30
	v_min_f16_e32 v29, v31, v29
	v_min3_f16 v31, v75, v77, v78
	v_min3_f16 v29, v29, v30, v31
	v_cvt_f32_f16_e32 v29, v29
	v_min_f32_e32 v30, v28, v29
	v_lshlrev_b64 v[28:29], 1, v[42:43]
	v_cvt_f16_f32_e32 v30, v30
	v_add_co_u32 v28, vcc_lo, v24, v28
	v_add_co_ci_u32_e64 v29, null, v25, v29, vcc_lo
	flat_store_short v[28:29], v30
	s_or_b32 exec_lo, exec_lo, s12
	s_and_b32 s18, s6, s8
	s_and_saveexec_b32 s12, s18
	s_cbranch_execz .LBB229_218
.LBB229_243:
	v_cmp_ne_u32_e32 vcc_lo, 1, v68
	s_cbranch_vccnz .LBB229_245
; %bb.244:
	v_lshlrev_b64 v[28:29], 1, v[44:45]
	v_add_co_u32 v28, vcc_lo, v26, v28
	v_add_co_ci_u32_e64 v29, null, v27, v29, vcc_lo
	flat_load_ushort v28, v[28:29]
	s_waitcnt vmcnt(0) lgkmcnt(0)
	v_mul_f16_e32 v28, s15, v28
	v_cvt_f32_f16_e32 v28, v28
	s_branch .LBB229_246
.LBB229_245:
	v_mov_b32_e32 v28, 0
.LBB229_246:
	v_pk_add_f16 v29, v0, v20
	v_pk_add_f16 v30, v1, v21
	v_max_f16_e32 v31, v74, v74
	v_lshrrev_b32_e32 v74, 16, v74
	v_max_f32_e32 v28, v28, v28
	v_lshrrev_b32_e32 v75, 16, v29
	v_lshrrev_b32_e32 v77, 16, v30
	v_min_f16_e32 v29, v31, v29
	v_min3_f16 v31, v74, v75, v77
	v_min3_f16 v29, v29, v30, v31
	v_cvt_f32_f16_e32 v29, v29
	v_min_f32_e32 v30, v28, v29
	v_lshlrev_b64 v[28:29], 1, v[44:45]
	v_cvt_f16_f32_e32 v30, v30
	v_add_co_u32 v28, vcc_lo, v24, v28
	v_add_co_ci_u32_e64 v29, null, v25, v29, vcc_lo
	flat_store_short v[28:29], v30
	s_or_b32 exec_lo, exec_lo, s12
	s_and_b32 s12, s7, s8
	s_and_saveexec_b32 s8, s12
	s_cbranch_execz .LBB229_251
.LBB229_247:
	v_cmp_ne_u32_e32 vcc_lo, 1, v68
	s_cbranch_vccnz .LBB229_249
; %bb.248:
	v_lshlrev_b64 v[28:29], 1, v[46:47]
	v_add_co_u32 v26, vcc_lo, v26, v28
	v_add_co_ci_u32_e64 v27, null, v27, v29, vcc_lo
	flat_load_ushort v26, v[26:27]
	s_waitcnt vmcnt(0) lgkmcnt(0)
	v_mul_f16_e32 v26, s15, v26
	v_cvt_f32_f16_e32 v26, v26
	s_branch .LBB229_250
.LBB229_249:
	v_mov_b32_e32 v26, 0
.LBB229_250:
	v_pk_add_f16 v20, v2, v20
	v_pk_add_f16 v21, v3, v21
	v_max_f16_e32 v27, v73, v73
	v_lshrrev_b32_e32 v28, 16, v73
	v_lshrrev_b32_e32 v29, 16, v20
	;; [unrolled: 1-line block ×3, first 2 shown]
	v_min_f16_e32 v20, v27, v20
	v_min3_f16 v27, v28, v29, v30
	v_min3_f16 v20, v20, v21, v27
	v_max_f32_e32 v21, v26, v26
	v_cvt_f32_f16_e32 v20, v20
	v_min_f32_e32 v26, v21, v20
	v_lshlrev_b64 v[20:21], 1, v[46:47]
	v_cvt_f16_f32_e32 v26, v26
	v_add_co_u32 v20, vcc_lo, v24, v20
	v_add_co_ci_u32_e64 v21, null, v25, v21, vcc_lo
	flat_store_short v[20:21], v26
.LBB229_251:
	s_or_b32 exec_lo, exec_lo, s8
	v_add_nc_u32_e32 v26, 0xa0, v76
	v_mad_i64_i32 v[20:21], null, v26, s14, 0
	v_mad_i64_i32 v[24:25], null, v26, s9, 0
	v_cmp_gt_i32_e64 s8, s13, v26
	v_lshlrev_b64 v[20:21], 1, v[20:21]
	s_and_b32 s18, s0, s8
	v_lshlrev_b64 v[26:27], 1, v[24:25]
	v_add_co_u32 v24, vcc_lo, s10, v20
	v_add_co_ci_u32_e64 v25, null, s11, v21, vcc_lo
	v_add_co_u32 v20, vcc_lo, s16, v26
	v_add_co_ci_u32_e64 v21, null, s17, v27, vcc_lo
	s_and_saveexec_b32 s12, s18
	s_cbranch_execnz .LBB229_259
; %bb.252:
	s_or_b32 exec_lo, exec_lo, s12
	s_and_b32 s18, s1, s8
	s_and_saveexec_b32 s12, s18
	s_cbranch_execnz .LBB229_263
.LBB229_253:
	s_or_b32 exec_lo, exec_lo, s12
	s_and_b32 s18, s2, s8
	s_and_saveexec_b32 s12, s18
	s_cbranch_execnz .LBB229_267
.LBB229_254:
	s_or_b32 exec_lo, exec_lo, s12
	s_and_b32 s18, s3, s8
	s_and_saveexec_b32 s12, s18
	s_cbranch_execnz .LBB229_271
.LBB229_255:
	s_or_b32 exec_lo, exec_lo, s12
	s_and_b32 s18, s4, s8
	s_and_saveexec_b32 s12, s18
	s_cbranch_execnz .LBB229_275
.LBB229_256:
	s_or_b32 exec_lo, exec_lo, s12
	s_and_b32 s18, s5, s8
	s_and_saveexec_b32 s12, s18
	s_cbranch_execnz .LBB229_279
.LBB229_257:
	s_or_b32 exec_lo, exec_lo, s12
	s_and_b32 s18, s6, s8
	s_and_saveexec_b32 s12, s18
	s_cbranch_execnz .LBB229_283
.LBB229_258:
	s_or_b32 exec_lo, exec_lo, s12
	s_and_b32 s12, s7, s8
	s_and_saveexec_b32 s8, s12
	s_cbranch_execnz .LBB229_287
	s_branch .LBB229_291
.LBB229_259:
	v_cmp_ne_u32_e32 vcc_lo, 1, v68
	s_cbranch_vccnz .LBB229_261
; %bb.260:
	v_lshlrev_b64 v[26:27], 1, v[32:33]
	v_add_co_u32 v26, vcc_lo, v24, v26
	v_add_co_ci_u32_e64 v27, null, v25, v27, vcc_lo
	flat_load_ushort v26, v[26:27]
	s_waitcnt vmcnt(0) lgkmcnt(0)
	v_mul_f16_e32 v26, s15, v26
	v_cvt_f32_f16_e32 v26, v26
	s_branch .LBB229_262
.LBB229_261:
	v_mov_b32_e32 v26, 0
.LBB229_262:
	v_pk_add_f16 v27, v16, v22
	v_pk_add_f16 v28, v17, v23
	v_max_f16_e32 v29, v72, v72
	v_lshrrev_b32_e32 v30, 16, v72
	v_max_f32_e32 v26, v26, v26
	v_lshrrev_b32_e32 v31, 16, v27
	v_lshrrev_b32_e32 v72, 16, v28
	v_min_f16_e32 v27, v29, v27
	v_min3_f16 v29, v30, v31, v72
	v_min3_f16 v27, v27, v28, v29
	v_cvt_f32_f16_e32 v27, v27
	v_min_f32_e32 v28, v26, v27
	v_lshlrev_b64 v[26:27], 1, v[32:33]
	v_cvt_f16_f32_e32 v28, v28
	v_add_co_u32 v26, vcc_lo, v20, v26
	v_add_co_ci_u32_e64 v27, null, v21, v27, vcc_lo
	flat_store_short v[26:27], v28
	s_or_b32 exec_lo, exec_lo, s12
	s_and_b32 s18, s1, s8
	s_and_saveexec_b32 s12, s18
	s_cbranch_execz .LBB229_253
.LBB229_263:
	v_cmp_ne_u32_e32 vcc_lo, 1, v68
	s_cbranch_vccnz .LBB229_265
; %bb.264:
	v_lshlrev_b64 v[26:27], 1, v[34:35]
	v_add_co_u32 v26, vcc_lo, v24, v26
	v_add_co_ci_u32_e64 v27, null, v25, v27, vcc_lo
	flat_load_ushort v26, v[26:27]
	s_waitcnt vmcnt(0) lgkmcnt(0)
	v_mul_f16_e32 v26, s15, v26
	v_cvt_f32_f16_e32 v26, v26
	s_branch .LBB229_266
.LBB229_265:
	v_mov_b32_e32 v26, 0
.LBB229_266:
	v_pk_add_f16 v27, v18, v22
	v_pk_add_f16 v28, v19, v23
	v_max_f16_e32 v29, v71, v71
	v_lshrrev_b32_e32 v30, 16, v71
	v_max_f32_e32 v26, v26, v26
	v_lshrrev_b32_e32 v31, 16, v27
	v_lshrrev_b32_e32 v71, 16, v28
	v_min_f16_e32 v27, v29, v27
	v_min3_f16 v29, v30, v31, v71
	v_min3_f16 v27, v27, v28, v29
	v_cvt_f32_f16_e32 v27, v27
	v_min_f32_e32 v28, v26, v27
	v_lshlrev_b64 v[26:27], 1, v[34:35]
	v_cvt_f16_f32_e32 v28, v28
	v_add_co_u32 v26, vcc_lo, v20, v26
	v_add_co_ci_u32_e64 v27, null, v21, v27, vcc_lo
	flat_store_short v[26:27], v28
	s_or_b32 exec_lo, exec_lo, s12
	s_and_b32 s18, s2, s8
	s_and_saveexec_b32 s12, s18
	s_cbranch_execz .LBB229_254
.LBB229_267:
	v_cmp_ne_u32_e32 vcc_lo, 1, v68
	s_cbranch_vccnz .LBB229_269
; %bb.268:
	v_lshlrev_b64 v[26:27], 1, v[36:37]
	v_add_co_u32 v26, vcc_lo, v24, v26
	v_add_co_ci_u32_e64 v27, null, v25, v27, vcc_lo
	flat_load_ushort v26, v[26:27]
	s_waitcnt vmcnt(0) lgkmcnt(0)
	v_mul_f16_e32 v26, s15, v26
	v_cvt_f32_f16_e32 v26, v26
	s_branch .LBB229_270
.LBB229_269:
	v_mov_b32_e32 v26, 0
.LBB229_270:
	v_pk_add_f16 v27, v12, v22
	v_pk_add_f16 v28, v13, v23
	v_max_f16_e32 v29, v70, v70
	v_lshrrev_b32_e32 v30, 16, v70
	v_max_f32_e32 v26, v26, v26
	v_lshrrev_b32_e32 v31, 16, v27
	v_lshrrev_b32_e32 v70, 16, v28
	v_min_f16_e32 v27, v29, v27
	v_min3_f16 v29, v30, v31, v70
	v_min3_f16 v27, v27, v28, v29
	v_cvt_f32_f16_e32 v27, v27
	v_min_f32_e32 v28, v26, v27
	v_lshlrev_b64 v[26:27], 1, v[36:37]
	v_cvt_f16_f32_e32 v28, v28
	v_add_co_u32 v26, vcc_lo, v20, v26
	v_add_co_ci_u32_e64 v27, null, v21, v27, vcc_lo
	flat_store_short v[26:27], v28
	s_or_b32 exec_lo, exec_lo, s12
	s_and_b32 s18, s3, s8
	s_and_saveexec_b32 s12, s18
	s_cbranch_execz .LBB229_255
.LBB229_271:
	v_cmp_ne_u32_e32 vcc_lo, 1, v68
	s_cbranch_vccnz .LBB229_273
; %bb.272:
	v_lshlrev_b64 v[26:27], 1, v[38:39]
	v_add_co_u32 v26, vcc_lo, v24, v26
	v_add_co_ci_u32_e64 v27, null, v25, v27, vcc_lo
	flat_load_ushort v26, v[26:27]
	s_waitcnt vmcnt(0) lgkmcnt(0)
	v_mul_f16_e32 v26, s15, v26
	v_cvt_f32_f16_e32 v26, v26
	s_branch .LBB229_274
.LBB229_273:
	v_mov_b32_e32 v26, 0
.LBB229_274:
	v_pk_add_f16 v27, v14, v22
	v_pk_add_f16 v28, v15, v23
	v_max_f16_e32 v29, v69, v69
	v_lshrrev_b32_e32 v30, 16, v69
	v_max_f32_e32 v26, v26, v26
	v_lshrrev_b32_e32 v31, 16, v27
	v_lshrrev_b32_e32 v69, 16, v28
	v_min_f16_e32 v27, v29, v27
	v_min3_f16 v29, v30, v31, v69
	v_min3_f16 v27, v27, v28, v29
	v_cvt_f32_f16_e32 v27, v27
	v_min_f32_e32 v28, v26, v27
	v_lshlrev_b64 v[26:27], 1, v[38:39]
	v_cvt_f16_f32_e32 v28, v28
	v_add_co_u32 v26, vcc_lo, v20, v26
	v_add_co_ci_u32_e64 v27, null, v21, v27, vcc_lo
	flat_store_short v[26:27], v28
	s_or_b32 exec_lo, exec_lo, s12
	s_and_b32 s18, s4, s8
	s_and_saveexec_b32 s12, s18
	s_cbranch_execz .LBB229_256
.LBB229_275:
	v_cmp_ne_u32_e32 vcc_lo, 1, v68
	s_cbranch_vccnz .LBB229_277
; %bb.276:
	v_lshlrev_b64 v[26:27], 1, v[40:41]
	v_add_co_u32 v26, vcc_lo, v24, v26
	v_add_co_ci_u32_e64 v27, null, v25, v27, vcc_lo
	flat_load_ushort v26, v[26:27]
	s_waitcnt vmcnt(0) lgkmcnt(0)
	v_mul_f16_e32 v26, s15, v26
	v_cvt_f32_f16_e32 v26, v26
	s_branch .LBB229_278
.LBB229_277:
	v_mov_b32_e32 v26, 0
.LBB229_278:
	v_pk_add_f16 v27, v8, v22
	v_pk_add_f16 v28, v9, v23
	v_max_f16_e32 v29, v67, v67
	v_lshrrev_b32_e32 v30, 16, v67
	v_max_f32_e32 v26, v26, v26
	v_lshrrev_b32_e32 v31, 16, v27
	v_lshrrev_b32_e32 v67, 16, v28
	v_min_f16_e32 v27, v29, v27
	v_min3_f16 v29, v30, v31, v67
	v_min3_f16 v27, v27, v28, v29
	v_cvt_f32_f16_e32 v27, v27
	v_min_f32_e32 v28, v26, v27
	v_lshlrev_b64 v[26:27], 1, v[40:41]
	v_cvt_f16_f32_e32 v28, v28
	v_add_co_u32 v26, vcc_lo, v20, v26
	v_add_co_ci_u32_e64 v27, null, v21, v27, vcc_lo
	flat_store_short v[26:27], v28
	s_or_b32 exec_lo, exec_lo, s12
	s_and_b32 s18, s5, s8
	s_and_saveexec_b32 s12, s18
	s_cbranch_execz .LBB229_257
.LBB229_279:
	v_cmp_ne_u32_e32 vcc_lo, 1, v68
	s_cbranch_vccnz .LBB229_281
; %bb.280:
	v_lshlrev_b64 v[26:27], 1, v[42:43]
	v_add_co_u32 v26, vcc_lo, v24, v26
	v_add_co_ci_u32_e64 v27, null, v25, v27, vcc_lo
	flat_load_ushort v26, v[26:27]
	s_waitcnt vmcnt(0) lgkmcnt(0)
	v_mul_f16_e32 v26, s15, v26
	v_cvt_f32_f16_e32 v26, v26
	s_branch .LBB229_282
.LBB229_281:
	v_mov_b32_e32 v26, 0
.LBB229_282:
	v_pk_add_f16 v27, v10, v22
	v_pk_add_f16 v28, v11, v23
	v_max_f16_e32 v29, v66, v66
	v_lshrrev_b32_e32 v30, 16, v66
	v_max_f32_e32 v26, v26, v26
	v_lshrrev_b32_e32 v31, 16, v27
	v_lshrrev_b32_e32 v66, 16, v28
	v_min_f16_e32 v27, v29, v27
	v_min3_f16 v29, v30, v31, v66
	v_min3_f16 v27, v27, v28, v29
	v_cvt_f32_f16_e32 v27, v27
	v_min_f32_e32 v28, v26, v27
	v_lshlrev_b64 v[26:27], 1, v[42:43]
	v_cvt_f16_f32_e32 v28, v28
	v_add_co_u32 v26, vcc_lo, v20, v26
	v_add_co_ci_u32_e64 v27, null, v21, v27, vcc_lo
	flat_store_short v[26:27], v28
	s_or_b32 exec_lo, exec_lo, s12
	s_and_b32 s18, s6, s8
	s_and_saveexec_b32 s12, s18
	s_cbranch_execz .LBB229_258
.LBB229_283:
	v_cmp_ne_u32_e32 vcc_lo, 1, v68
	s_cbranch_vccnz .LBB229_285
; %bb.284:
	v_lshlrev_b64 v[26:27], 1, v[44:45]
	v_add_co_u32 v26, vcc_lo, v24, v26
	v_add_co_ci_u32_e64 v27, null, v25, v27, vcc_lo
	flat_load_ushort v26, v[26:27]
	s_waitcnt vmcnt(0) lgkmcnt(0)
	v_mul_f16_e32 v26, s15, v26
	v_cvt_f32_f16_e32 v26, v26
	s_branch .LBB229_286
.LBB229_285:
	v_mov_b32_e32 v26, 0
.LBB229_286:
	v_pk_add_f16 v27, v0, v22
	v_pk_add_f16 v28, v1, v23
	v_max_f16_e32 v29, v65, v65
	v_lshrrev_b32_e32 v30, 16, v65
	v_max_f32_e32 v26, v26, v26
	v_lshrrev_b32_e32 v31, 16, v27
	v_lshrrev_b32_e32 v65, 16, v28
	v_min_f16_e32 v27, v29, v27
	v_min3_f16 v29, v30, v31, v65
	v_min3_f16 v27, v27, v28, v29
	v_cvt_f32_f16_e32 v27, v27
	v_min_f32_e32 v28, v26, v27
	v_lshlrev_b64 v[26:27], 1, v[44:45]
	v_cvt_f16_f32_e32 v28, v28
	v_add_co_u32 v26, vcc_lo, v20, v26
	v_add_co_ci_u32_e64 v27, null, v21, v27, vcc_lo
	flat_store_short v[26:27], v28
	s_or_b32 exec_lo, exec_lo, s12
	s_and_b32 s12, s7, s8
	s_and_saveexec_b32 s8, s12
	s_cbranch_execz .LBB229_291
.LBB229_287:
	v_cmp_ne_u32_e32 vcc_lo, 1, v68
	s_cbranch_vccnz .LBB229_289
; %bb.288:
	v_lshlrev_b64 v[26:27], 1, v[46:47]
	v_add_co_u32 v24, vcc_lo, v24, v26
	v_add_co_ci_u32_e64 v25, null, v25, v27, vcc_lo
	flat_load_ushort v24, v[24:25]
	s_waitcnt vmcnt(0) lgkmcnt(0)
	v_mul_f16_e32 v24, s15, v24
	v_cvt_f32_f16_e32 v24, v24
	s_branch .LBB229_290
.LBB229_289:
	v_mov_b32_e32 v24, 0
.LBB229_290:
	v_pk_add_f16 v22, v2, v22
	v_pk_add_f16 v23, v3, v23
	v_max_f16_e32 v25, v64, v64
	v_lshrrev_b32_e32 v26, 16, v64
	v_lshrrev_b32_e32 v27, 16, v22
	;; [unrolled: 1-line block ×3, first 2 shown]
	v_min_f16_e32 v22, v25, v22
	v_min3_f16 v25, v26, v27, v28
	v_min3_f16 v22, v22, v23, v25
	v_max_f32_e32 v23, v24, v24
	v_cvt_f32_f16_e32 v22, v22
	v_min_f32_e32 v24, v23, v22
	v_lshlrev_b64 v[22:23], 1, v[46:47]
	v_cvt_f16_f32_e32 v24, v24
	v_add_co_u32 v20, vcc_lo, v20, v22
	v_add_co_ci_u32_e64 v21, null, v21, v23, vcc_lo
	flat_store_short v[20:21], v24
.LBB229_291:
	s_or_b32 exec_lo, exec_lo, s8
	v_add_nc_u32_e32 v24, 0xc0, v76
	v_mad_i64_i32 v[20:21], null, v24, s14, 0
	v_mad_i64_i32 v[22:23], null, v24, s9, 0
	v_cmp_gt_i32_e64 s8, s13, v24
	v_lshlrev_b64 v[20:21], 1, v[20:21]
	s_and_b32 s18, s0, s8
	v_lshlrev_b64 v[24:25], 1, v[22:23]
	v_add_co_u32 v22, vcc_lo, s10, v20
	v_add_co_ci_u32_e64 v23, null, s11, v21, vcc_lo
	v_add_co_u32 v20, vcc_lo, s16, v24
	v_add_co_ci_u32_e64 v21, null, s17, v25, vcc_lo
	s_and_saveexec_b32 s12, s18
	s_cbranch_execnz .LBB229_299
; %bb.292:
	s_or_b32 exec_lo, exec_lo, s12
	s_and_b32 s18, s1, s8
	s_and_saveexec_b32 s12, s18
	s_cbranch_execnz .LBB229_303
.LBB229_293:
	s_or_b32 exec_lo, exec_lo, s12
	s_and_b32 s18, s2, s8
	s_and_saveexec_b32 s12, s18
	s_cbranch_execnz .LBB229_307
.LBB229_294:
	s_or_b32 exec_lo, exec_lo, s12
	s_and_b32 s18, s3, s8
	s_and_saveexec_b32 s12, s18
	s_cbranch_execnz .LBB229_311
.LBB229_295:
	s_or_b32 exec_lo, exec_lo, s12
	s_and_b32 s18, s4, s8
	s_and_saveexec_b32 s12, s18
	s_cbranch_execnz .LBB229_315
.LBB229_296:
	s_or_b32 exec_lo, exec_lo, s12
	s_and_b32 s18, s5, s8
	s_and_saveexec_b32 s12, s18
	s_cbranch_execnz .LBB229_319
.LBB229_297:
	s_or_b32 exec_lo, exec_lo, s12
	s_and_b32 s18, s6, s8
	s_and_saveexec_b32 s12, s18
	s_cbranch_execnz .LBB229_323
.LBB229_298:
	s_or_b32 exec_lo, exec_lo, s12
	s_and_b32 s12, s7, s8
	s_and_saveexec_b32 s8, s12
	s_cbranch_execnz .LBB229_327
	s_branch .LBB229_331
.LBB229_299:
	v_cmp_ne_u32_e32 vcc_lo, 1, v68
	s_cbranch_vccnz .LBB229_301
; %bb.300:
	v_lshlrev_b64 v[24:25], 1, v[32:33]
	v_add_co_u32 v24, vcc_lo, v22, v24
	v_add_co_ci_u32_e64 v25, null, v23, v25, vcc_lo
	flat_load_ushort v24, v[24:25]
	s_waitcnt vmcnt(0) lgkmcnt(0)
	v_mul_f16_e32 v24, s15, v24
	v_cvt_f32_f16_e32 v24, v24
	s_branch .LBB229_302
.LBB229_301:
	v_mov_b32_e32 v24, 0
.LBB229_302:
	v_pk_add_f16 v25, v16, v4
	v_pk_add_f16 v26, v17, v5
	v_max_f16_e32 v27, v63, v63
	v_lshrrev_b32_e32 v28, 16, v63
	v_max_f32_e32 v24, v24, v24
	v_lshrrev_b32_e32 v29, 16, v25
	v_lshrrev_b32_e32 v30, 16, v26
	v_min_f16_e32 v25, v27, v25
	v_min3_f16 v27, v28, v29, v30
	v_min3_f16 v25, v25, v26, v27
	v_cvt_f32_f16_e32 v25, v25
	v_min_f32_e32 v26, v24, v25
	v_lshlrev_b64 v[24:25], 1, v[32:33]
	v_cvt_f16_f32_e32 v26, v26
	v_add_co_u32 v24, vcc_lo, v20, v24
	v_add_co_ci_u32_e64 v25, null, v21, v25, vcc_lo
	flat_store_short v[24:25], v26
	s_or_b32 exec_lo, exec_lo, s12
	s_and_b32 s18, s1, s8
	s_and_saveexec_b32 s12, s18
	s_cbranch_execz .LBB229_293
.LBB229_303:
	v_cmp_ne_u32_e32 vcc_lo, 1, v68
	s_cbranch_vccnz .LBB229_305
; %bb.304:
	v_lshlrev_b64 v[24:25], 1, v[34:35]
	v_add_co_u32 v24, vcc_lo, v22, v24
	v_add_co_ci_u32_e64 v25, null, v23, v25, vcc_lo
	flat_load_ushort v24, v[24:25]
	s_waitcnt vmcnt(0) lgkmcnt(0)
	v_mul_f16_e32 v24, s15, v24
	v_cvt_f32_f16_e32 v24, v24
	s_branch .LBB229_306
.LBB229_305:
	v_mov_b32_e32 v24, 0
.LBB229_306:
	v_pk_add_f16 v25, v18, v4
	v_pk_add_f16 v26, v19, v5
	v_max_f16_e32 v27, v62, v62
	v_lshrrev_b32_e32 v28, 16, v62
	v_max_f32_e32 v24, v24, v24
	v_lshrrev_b32_e32 v29, 16, v25
	v_lshrrev_b32_e32 v30, 16, v26
	v_min_f16_e32 v25, v27, v25
	v_min3_f16 v27, v28, v29, v30
	v_min3_f16 v25, v25, v26, v27
	v_cvt_f32_f16_e32 v25, v25
	v_min_f32_e32 v26, v24, v25
	v_lshlrev_b64 v[24:25], 1, v[34:35]
	v_cvt_f16_f32_e32 v26, v26
	v_add_co_u32 v24, vcc_lo, v20, v24
	v_add_co_ci_u32_e64 v25, null, v21, v25, vcc_lo
	flat_store_short v[24:25], v26
	s_or_b32 exec_lo, exec_lo, s12
	s_and_b32 s18, s2, s8
	s_and_saveexec_b32 s12, s18
	s_cbranch_execz .LBB229_294
.LBB229_307:
	v_cmp_ne_u32_e32 vcc_lo, 1, v68
	s_cbranch_vccnz .LBB229_309
; %bb.308:
	v_lshlrev_b64 v[24:25], 1, v[36:37]
	v_add_co_u32 v24, vcc_lo, v22, v24
	v_add_co_ci_u32_e64 v25, null, v23, v25, vcc_lo
	flat_load_ushort v24, v[24:25]
	s_waitcnt vmcnt(0) lgkmcnt(0)
	v_mul_f16_e32 v24, s15, v24
	v_cvt_f32_f16_e32 v24, v24
	s_branch .LBB229_310
.LBB229_309:
	v_mov_b32_e32 v24, 0
.LBB229_310:
	v_pk_add_f16 v25, v12, v4
	v_pk_add_f16 v26, v13, v5
	v_max_f16_e32 v27, v61, v61
	v_lshrrev_b32_e32 v28, 16, v61
	v_max_f32_e32 v24, v24, v24
	v_lshrrev_b32_e32 v29, 16, v25
	v_lshrrev_b32_e32 v30, 16, v26
	v_min_f16_e32 v25, v27, v25
	v_min3_f16 v27, v28, v29, v30
	v_min3_f16 v25, v25, v26, v27
	v_cvt_f32_f16_e32 v25, v25
	v_min_f32_e32 v26, v24, v25
	v_lshlrev_b64 v[24:25], 1, v[36:37]
	v_cvt_f16_f32_e32 v26, v26
	v_add_co_u32 v24, vcc_lo, v20, v24
	v_add_co_ci_u32_e64 v25, null, v21, v25, vcc_lo
	flat_store_short v[24:25], v26
	s_or_b32 exec_lo, exec_lo, s12
	s_and_b32 s18, s3, s8
	s_and_saveexec_b32 s12, s18
	s_cbranch_execz .LBB229_295
.LBB229_311:
	v_cmp_ne_u32_e32 vcc_lo, 1, v68
	s_cbranch_vccnz .LBB229_313
; %bb.312:
	v_lshlrev_b64 v[24:25], 1, v[38:39]
	v_add_co_u32 v24, vcc_lo, v22, v24
	v_add_co_ci_u32_e64 v25, null, v23, v25, vcc_lo
	flat_load_ushort v24, v[24:25]
	s_waitcnt vmcnt(0) lgkmcnt(0)
	v_mul_f16_e32 v24, s15, v24
	v_cvt_f32_f16_e32 v24, v24
	s_branch .LBB229_314
.LBB229_313:
	v_mov_b32_e32 v24, 0
.LBB229_314:
	v_pk_add_f16 v25, v14, v4
	v_pk_add_f16 v26, v15, v5
	v_max_f16_e32 v27, v60, v60
	v_lshrrev_b32_e32 v28, 16, v60
	v_max_f32_e32 v24, v24, v24
	v_lshrrev_b32_e32 v29, 16, v25
	v_lshrrev_b32_e32 v30, 16, v26
	v_min_f16_e32 v25, v27, v25
	v_min3_f16 v27, v28, v29, v30
	v_min3_f16 v25, v25, v26, v27
	v_cvt_f32_f16_e32 v25, v25
	v_min_f32_e32 v26, v24, v25
	v_lshlrev_b64 v[24:25], 1, v[38:39]
	v_cvt_f16_f32_e32 v26, v26
	v_add_co_u32 v24, vcc_lo, v20, v24
	v_add_co_ci_u32_e64 v25, null, v21, v25, vcc_lo
	flat_store_short v[24:25], v26
	s_or_b32 exec_lo, exec_lo, s12
	s_and_b32 s18, s4, s8
	s_and_saveexec_b32 s12, s18
	s_cbranch_execz .LBB229_296
.LBB229_315:
	v_cmp_ne_u32_e32 vcc_lo, 1, v68
	s_cbranch_vccnz .LBB229_317
; %bb.316:
	v_lshlrev_b64 v[24:25], 1, v[40:41]
	v_add_co_u32 v24, vcc_lo, v22, v24
	v_add_co_ci_u32_e64 v25, null, v23, v25, vcc_lo
	flat_load_ushort v24, v[24:25]
	s_waitcnt vmcnt(0) lgkmcnt(0)
	v_mul_f16_e32 v24, s15, v24
	v_cvt_f32_f16_e32 v24, v24
	s_branch .LBB229_318
.LBB229_317:
	v_mov_b32_e32 v24, 0
.LBB229_318:
	v_pk_add_f16 v25, v8, v4
	v_pk_add_f16 v26, v9, v5
	v_max_f16_e32 v27, v59, v59
	v_lshrrev_b32_e32 v28, 16, v59
	v_max_f32_e32 v24, v24, v24
	v_lshrrev_b32_e32 v29, 16, v25
	v_lshrrev_b32_e32 v30, 16, v26
	v_min_f16_e32 v25, v27, v25
	v_min3_f16 v27, v28, v29, v30
	v_min3_f16 v25, v25, v26, v27
	v_cvt_f32_f16_e32 v25, v25
	v_min_f32_e32 v26, v24, v25
	v_lshlrev_b64 v[24:25], 1, v[40:41]
	v_cvt_f16_f32_e32 v26, v26
	v_add_co_u32 v24, vcc_lo, v20, v24
	v_add_co_ci_u32_e64 v25, null, v21, v25, vcc_lo
	flat_store_short v[24:25], v26
	s_or_b32 exec_lo, exec_lo, s12
	s_and_b32 s18, s5, s8
	s_and_saveexec_b32 s12, s18
	s_cbranch_execz .LBB229_297
.LBB229_319:
	v_cmp_ne_u32_e32 vcc_lo, 1, v68
	s_cbranch_vccnz .LBB229_321
; %bb.320:
	v_lshlrev_b64 v[24:25], 1, v[42:43]
	v_add_co_u32 v24, vcc_lo, v22, v24
	v_add_co_ci_u32_e64 v25, null, v23, v25, vcc_lo
	flat_load_ushort v24, v[24:25]
	s_waitcnt vmcnt(0) lgkmcnt(0)
	v_mul_f16_e32 v24, s15, v24
	v_cvt_f32_f16_e32 v24, v24
	s_branch .LBB229_322
.LBB229_321:
	v_mov_b32_e32 v24, 0
.LBB229_322:
	v_pk_add_f16 v25, v10, v4
	v_pk_add_f16 v26, v11, v5
	v_max_f16_e32 v27, v58, v58
	v_lshrrev_b32_e32 v28, 16, v58
	v_max_f32_e32 v24, v24, v24
	v_lshrrev_b32_e32 v29, 16, v25
	v_lshrrev_b32_e32 v30, 16, v26
	v_min_f16_e32 v25, v27, v25
	v_min3_f16 v27, v28, v29, v30
	v_min3_f16 v25, v25, v26, v27
	v_cvt_f32_f16_e32 v25, v25
	v_min_f32_e32 v26, v24, v25
	v_lshlrev_b64 v[24:25], 1, v[42:43]
	v_cvt_f16_f32_e32 v26, v26
	v_add_co_u32 v24, vcc_lo, v20, v24
	v_add_co_ci_u32_e64 v25, null, v21, v25, vcc_lo
	flat_store_short v[24:25], v26
	s_or_b32 exec_lo, exec_lo, s12
	s_and_b32 s18, s6, s8
	s_and_saveexec_b32 s12, s18
	s_cbranch_execz .LBB229_298
.LBB229_323:
	v_cmp_ne_u32_e32 vcc_lo, 1, v68
	s_cbranch_vccnz .LBB229_325
; %bb.324:
	v_lshlrev_b64 v[24:25], 1, v[44:45]
	v_add_co_u32 v24, vcc_lo, v22, v24
	v_add_co_ci_u32_e64 v25, null, v23, v25, vcc_lo
	flat_load_ushort v24, v[24:25]
	s_waitcnt vmcnt(0) lgkmcnt(0)
	v_mul_f16_e32 v24, s15, v24
	v_cvt_f32_f16_e32 v24, v24
	s_branch .LBB229_326
.LBB229_325:
	v_mov_b32_e32 v24, 0
.LBB229_326:
	v_pk_add_f16 v25, v0, v4
	v_pk_add_f16 v26, v1, v5
	v_max_f16_e32 v27, v57, v57
	v_lshrrev_b32_e32 v28, 16, v57
	v_max_f32_e32 v24, v24, v24
	v_lshrrev_b32_e32 v29, 16, v25
	v_lshrrev_b32_e32 v30, 16, v26
	v_min_f16_e32 v25, v27, v25
	v_min3_f16 v27, v28, v29, v30
	v_min3_f16 v25, v25, v26, v27
	v_cvt_f32_f16_e32 v25, v25
	v_min_f32_e32 v26, v24, v25
	v_lshlrev_b64 v[24:25], 1, v[44:45]
	v_cvt_f16_f32_e32 v26, v26
	v_add_co_u32 v24, vcc_lo, v20, v24
	v_add_co_ci_u32_e64 v25, null, v21, v25, vcc_lo
	flat_store_short v[24:25], v26
	s_or_b32 exec_lo, exec_lo, s12
	s_and_b32 s12, s7, s8
	s_and_saveexec_b32 s8, s12
	s_cbranch_execz .LBB229_331
.LBB229_327:
	v_cmp_ne_u32_e32 vcc_lo, 1, v68
	s_cbranch_vccnz .LBB229_329
; %bb.328:
	v_lshlrev_b64 v[24:25], 1, v[46:47]
	v_add_co_u32 v22, vcc_lo, v22, v24
	v_add_co_ci_u32_e64 v23, null, v23, v25, vcc_lo
	flat_load_ushort v22, v[22:23]
	s_waitcnt vmcnt(0) lgkmcnt(0)
	v_mul_f16_e32 v22, s15, v22
	v_cvt_f32_f16_e32 v22, v22
	s_branch .LBB229_330
.LBB229_329:
	v_mov_b32_e32 v22, 0
.LBB229_330:
	v_pk_add_f16 v4, v2, v4
	v_pk_add_f16 v5, v3, v5
	v_max_f16_e32 v23, v56, v56
	v_lshrrev_b32_e32 v24, 16, v56
	v_lshrrev_b32_e32 v25, 16, v4
	;; [unrolled: 1-line block ×3, first 2 shown]
	v_min_f16_e32 v4, v23, v4
	v_min3_f16 v23, v24, v25, v26
	v_min3_f16 v4, v4, v5, v23
	v_max_f32_e32 v5, v22, v22
	v_cvt_f32_f16_e32 v4, v4
	v_min_f32_e32 v22, v5, v4
	v_lshlrev_b64 v[4:5], 1, v[46:47]
	v_cvt_f16_f32_e32 v22, v22
	v_add_co_u32 v4, vcc_lo, v20, v4
	v_add_co_ci_u32_e64 v5, null, v21, v5, vcc_lo
	flat_store_short v[4:5], v22
.LBB229_331:
	s_or_b32 exec_lo, exec_lo, s8
	v_add_nc_u32_e32 v22, 0xe0, v76
	v_mad_i64_i32 v[4:5], null, v22, s14, 0
	v_mad_i64_i32 v[20:21], null, v22, s9, 0
	v_cmp_gt_i32_e64 s8, s13, v22
	v_lshlrev_b64 v[4:5], 1, v[4:5]
	s_and_b32 s9, s0, s8
	v_lshlrev_b64 v[20:21], 1, v[20:21]
	v_add_co_u32 v22, vcc_lo, s10, v4
	v_add_co_ci_u32_e64 v23, null, s11, v5, vcc_lo
	v_add_co_u32 v20, vcc_lo, s16, v20
	v_add_co_ci_u32_e64 v21, null, s17, v21, vcc_lo
	s_and_saveexec_b32 s0, s9
	s_cbranch_execnz .LBB229_340
; %bb.332:
	s_or_b32 exec_lo, exec_lo, s0
	s_and_b32 s1, s1, s8
	s_and_saveexec_b32 s0, s1
	s_cbranch_execnz .LBB229_344
.LBB229_333:
	s_or_b32 exec_lo, exec_lo, s0
	s_and_b32 s1, s2, s8
	s_and_saveexec_b32 s0, s1
	s_cbranch_execnz .LBB229_348
.LBB229_334:
	s_or_b32 exec_lo, exec_lo, s0
	s_and_b32 s1, s3, s8
	s_and_saveexec_b32 s0, s1
	s_cbranch_execnz .LBB229_352
.LBB229_335:
	s_or_b32 exec_lo, exec_lo, s0
	s_and_b32 s1, s4, s8
	s_and_saveexec_b32 s0, s1
	s_cbranch_execnz .LBB229_356
.LBB229_336:
	s_or_b32 exec_lo, exec_lo, s0
	s_and_b32 s1, s5, s8
	s_and_saveexec_b32 s0, s1
	s_cbranch_execnz .LBB229_360
.LBB229_337:
	s_or_b32 exec_lo, exec_lo, s0
	s_and_b32 s1, s6, s8
	s_and_saveexec_b32 s0, s1
	s_cbranch_execnz .LBB229_364
.LBB229_338:
	s_or_b32 exec_lo, exec_lo, s0
	s_and_b32 s0, s7, s8
	s_and_saveexec_b32 s1, s0
	s_cbranch_execnz .LBB229_368
.LBB229_339:
	s_endpgm
.LBB229_340:
	v_cmp_ne_u32_e32 vcc_lo, 1, v68
	v_lshlrev_b64 v[4:5], 1, v[32:33]
	s_cbranch_vccnz .LBB229_342
; %bb.341:
	v_add_co_u32 v24, vcc_lo, v22, v4
	v_add_co_ci_u32_e64 v25, null, v23, v5, vcc_lo
	flat_load_ushort v24, v[24:25]
	s_waitcnt vmcnt(0) lgkmcnt(0)
	v_mul_f16_e32 v24, s15, v24
	v_cvt_f32_f16_e32 v24, v24
	s_branch .LBB229_343
.LBB229_342:
	v_mov_b32_e32 v24, 0
.LBB229_343:
	v_pk_add_f16 v16, v16, v6
	v_pk_add_f16 v17, v17, v7
	v_max_f16_e32 v25, v55, v55
	v_lshrrev_b32_e32 v26, 16, v55
	v_add_co_u32 v4, vcc_lo, v20, v4
	v_lshrrev_b32_e32 v27, 16, v16
	v_lshrrev_b32_e32 v28, 16, v17
	v_min_f16_e32 v16, v25, v16
	v_add_co_ci_u32_e64 v5, null, v21, v5, vcc_lo
	v_min3_f16 v25, v26, v27, v28
	v_min3_f16 v16, v16, v17, v25
	v_max_f32_e32 v17, v24, v24
	v_cvt_f32_f16_e32 v16, v16
	v_min_f32_e32 v16, v17, v16
	v_cvt_f16_f32_e32 v16, v16
	flat_store_short v[4:5], v16
	s_or_b32 exec_lo, exec_lo, s0
	s_and_b32 s1, s1, s8
	s_and_saveexec_b32 s0, s1
	s_cbranch_execz .LBB229_333
.LBB229_344:
	v_cmp_ne_u32_e32 vcc_lo, 1, v68
	v_lshlrev_b64 v[4:5], 1, v[34:35]
	s_cbranch_vccnz .LBB229_346
; %bb.345:
	v_add_co_u32 v16, vcc_lo, v22, v4
	v_add_co_ci_u32_e64 v17, null, v23, v5, vcc_lo
	flat_load_ushort v16, v[16:17]
	s_waitcnt vmcnt(0) lgkmcnt(0)
	v_mul_f16_e32 v16, s15, v16
	v_cvt_f32_f16_e32 v16, v16
	s_branch .LBB229_347
.LBB229_346:
	v_mov_b32_e32 v16, 0
.LBB229_347:
	v_pk_add_f16 v17, v18, v6
	v_pk_add_f16 v18, v19, v7
	v_max_f16_e32 v19, v54, v54
	v_lshrrev_b32_e32 v24, 16, v54
	v_max_f32_e32 v16, v16, v16
	v_lshrrev_b32_e32 v25, 16, v17
	v_lshrrev_b32_e32 v26, 16, v18
	v_min_f16_e32 v17, v19, v17
	v_add_co_u32 v4, vcc_lo, v20, v4
	v_add_co_ci_u32_e64 v5, null, v21, v5, vcc_lo
	v_min3_f16 v19, v24, v25, v26
	v_min3_f16 v17, v17, v18, v19
	v_cvt_f32_f16_e32 v17, v17
	v_min_f32_e32 v16, v16, v17
	v_cvt_f16_f32_e32 v16, v16
	flat_store_short v[4:5], v16
	s_or_b32 exec_lo, exec_lo, s0
	s_and_b32 s1, s2, s8
	s_and_saveexec_b32 s0, s1
	s_cbranch_execz .LBB229_334
.LBB229_348:
	v_cmp_ne_u32_e32 vcc_lo, 1, v68
	v_lshlrev_b64 v[4:5], 1, v[36:37]
	s_cbranch_vccnz .LBB229_350
; %bb.349:
	v_add_co_u32 v16, vcc_lo, v22, v4
	v_add_co_ci_u32_e64 v17, null, v23, v5, vcc_lo
	flat_load_ushort v16, v[16:17]
	s_waitcnt vmcnt(0) lgkmcnt(0)
	v_mul_f16_e32 v16, s15, v16
	v_cvt_f32_f16_e32 v16, v16
	s_branch .LBB229_351
.LBB229_350:
	v_mov_b32_e32 v16, 0
.LBB229_351:
	v_pk_add_f16 v12, v12, v6
	v_pk_add_f16 v13, v13, v7
	v_max_f16_e32 v17, v53, v53
	v_lshrrev_b32_e32 v18, 16, v53
	v_add_co_u32 v4, vcc_lo, v20, v4
	v_lshrrev_b32_e32 v19, 16, v12
	v_lshrrev_b32_e32 v24, 16, v13
	v_min_f16_e32 v12, v17, v12
	v_add_co_ci_u32_e64 v5, null, v21, v5, vcc_lo
	v_min3_f16 v17, v18, v19, v24
	v_min3_f16 v12, v12, v13, v17
	v_max_f32_e32 v13, v16, v16
	v_cvt_f32_f16_e32 v12, v12
	v_min_f32_e32 v12, v13, v12
	v_cvt_f16_f32_e32 v12, v12
	flat_store_short v[4:5], v12
	s_or_b32 exec_lo, exec_lo, s0
	s_and_b32 s1, s3, s8
	s_and_saveexec_b32 s0, s1
	s_cbranch_execz .LBB229_335
.LBB229_352:
	v_cmp_ne_u32_e32 vcc_lo, 1, v68
	v_lshlrev_b64 v[4:5], 1, v[38:39]
	s_cbranch_vccnz .LBB229_354
; %bb.353:
	v_add_co_u32 v12, vcc_lo, v22, v4
	v_add_co_ci_u32_e64 v13, null, v23, v5, vcc_lo
	flat_load_ushort v12, v[12:13]
	s_waitcnt vmcnt(0) lgkmcnt(0)
	v_mul_f16_e32 v12, s15, v12
	v_cvt_f32_f16_e32 v12, v12
	s_branch .LBB229_355
.LBB229_354:
	v_mov_b32_e32 v12, 0
.LBB229_355:
	v_pk_add_f16 v13, v14, v6
	v_pk_add_f16 v14, v15, v7
	v_max_f16_e32 v15, v52, v52
	v_lshrrev_b32_e32 v16, 16, v52
	v_max_f32_e32 v12, v12, v12
	v_lshrrev_b32_e32 v17, 16, v13
	v_lshrrev_b32_e32 v18, 16, v14
	v_min_f16_e32 v13, v15, v13
	v_add_co_u32 v4, vcc_lo, v20, v4
	v_add_co_ci_u32_e64 v5, null, v21, v5, vcc_lo
	v_min3_f16 v15, v16, v17, v18
	v_min3_f16 v13, v13, v14, v15
	v_cvt_f32_f16_e32 v13, v13
	v_min_f32_e32 v12, v12, v13
	v_cvt_f16_f32_e32 v12, v12
	flat_store_short v[4:5], v12
	s_or_b32 exec_lo, exec_lo, s0
	s_and_b32 s1, s4, s8
	s_and_saveexec_b32 s0, s1
	s_cbranch_execz .LBB229_336
.LBB229_356:
	v_cmp_ne_u32_e32 vcc_lo, 1, v68
	v_lshlrev_b64 v[4:5], 1, v[40:41]
	s_cbranch_vccnz .LBB229_358
; %bb.357:
	v_add_co_u32 v12, vcc_lo, v22, v4
	v_add_co_ci_u32_e64 v13, null, v23, v5, vcc_lo
	flat_load_ushort v12, v[12:13]
	s_waitcnt vmcnt(0) lgkmcnt(0)
	v_mul_f16_e32 v12, s15, v12
	v_cvt_f32_f16_e32 v12, v12
	s_branch .LBB229_359
.LBB229_358:
	v_mov_b32_e32 v12, 0
.LBB229_359:
	v_pk_add_f16 v8, v8, v6
	v_pk_add_f16 v9, v9, v7
	v_max_f16_e32 v13, v51, v51
	v_lshrrev_b32_e32 v14, 16, v51
	v_add_co_u32 v4, vcc_lo, v20, v4
	v_lshrrev_b32_e32 v15, 16, v8
	v_lshrrev_b32_e32 v16, 16, v9
	v_min_f16_e32 v8, v13, v8
	v_add_co_ci_u32_e64 v5, null, v21, v5, vcc_lo
	v_min3_f16 v13, v14, v15, v16
	v_min3_f16 v8, v8, v9, v13
	v_max_f32_e32 v9, v12, v12
	v_cvt_f32_f16_e32 v8, v8
	v_min_f32_e32 v8, v9, v8
	v_cvt_f16_f32_e32 v8, v8
	flat_store_short v[4:5], v8
	s_or_b32 exec_lo, exec_lo, s0
	s_and_b32 s1, s5, s8
	s_and_saveexec_b32 s0, s1
	s_cbranch_execz .LBB229_337
.LBB229_360:
	v_cmp_ne_u32_e32 vcc_lo, 1, v68
	v_lshlrev_b64 v[4:5], 1, v[42:43]
	s_cbranch_vccnz .LBB229_362
; %bb.361:
	v_add_co_u32 v8, vcc_lo, v22, v4
	v_add_co_ci_u32_e64 v9, null, v23, v5, vcc_lo
	flat_load_ushort v8, v[8:9]
	s_waitcnt vmcnt(0) lgkmcnt(0)
	v_mul_f16_e32 v8, s15, v8
	v_cvt_f32_f16_e32 v8, v8
	s_branch .LBB229_363
.LBB229_362:
	v_mov_b32_e32 v8, 0
.LBB229_363:
	v_pk_add_f16 v9, v10, v6
	v_pk_add_f16 v10, v11, v7
	v_max_f16_e32 v11, v50, v50
	v_lshrrev_b32_e32 v12, 16, v50
	v_max_f32_e32 v8, v8, v8
	v_lshrrev_b32_e32 v13, 16, v9
	v_lshrrev_b32_e32 v14, 16, v10
	v_min_f16_e32 v9, v11, v9
	v_add_co_u32 v4, vcc_lo, v20, v4
	v_add_co_ci_u32_e64 v5, null, v21, v5, vcc_lo
	v_min3_f16 v11, v12, v13, v14
	v_min3_f16 v9, v9, v10, v11
	v_cvt_f32_f16_e32 v9, v9
	v_min_f32_e32 v8, v8, v9
	v_cvt_f16_f32_e32 v8, v8
	flat_store_short v[4:5], v8
	s_or_b32 exec_lo, exec_lo, s0
	s_and_b32 s1, s6, s8
	s_and_saveexec_b32 s0, s1
	s_cbranch_execz .LBB229_338
.LBB229_364:
	v_cmp_ne_u32_e32 vcc_lo, 1, v68
	v_lshlrev_b64 v[4:5], 1, v[44:45]
	s_cbranch_vccnz .LBB229_366
; %bb.365:
	v_add_co_u32 v8, vcc_lo, v22, v4
	v_add_co_ci_u32_e64 v9, null, v23, v5, vcc_lo
	flat_load_ushort v8, v[8:9]
	s_waitcnt vmcnt(0) lgkmcnt(0)
	v_mul_f16_e32 v8, s15, v8
	v_cvt_f32_f16_e32 v8, v8
	s_branch .LBB229_367
.LBB229_366:
	v_mov_b32_e32 v8, 0
.LBB229_367:
	v_pk_add_f16 v0, v0, v6
	v_pk_add_f16 v1, v1, v7
	v_max_f16_e32 v9, v49, v49
	v_lshrrev_b32_e32 v10, 16, v49
	v_lshrrev_b32_e32 v11, 16, v0
	;; [unrolled: 1-line block ×3, first 2 shown]
	v_min_f16_e32 v0, v9, v0
	v_min3_f16 v9, v10, v11, v12
	v_min3_f16 v0, v0, v1, v9
	v_max_f32_e32 v1, v8, v8
	v_cvt_f32_f16_e32 v0, v0
	v_min_f32_e32 v0, v1, v0
	v_cvt_f16_f32_e32 v8, v0
	v_add_co_u32 v0, vcc_lo, v20, v4
	v_add_co_ci_u32_e64 v1, null, v21, v5, vcc_lo
	flat_store_short v[0:1], v8
	s_or_b32 exec_lo, exec_lo, s0
	s_and_b32 s0, s7, s8
	s_and_saveexec_b32 s1, s0
	s_cbranch_execz .LBB229_339
.LBB229_368:
	v_cmp_ne_u32_e32 vcc_lo, 1, v68
	v_lshlrev_b64 v[0:1], 1, v[46:47]
	s_cbranch_vccnz .LBB229_370
; %bb.369:
	v_add_co_u32 v4, vcc_lo, v22, v0
	v_add_co_ci_u32_e64 v5, null, v23, v1, vcc_lo
	flat_load_ushort v4, v[4:5]
	s_waitcnt vmcnt(0) lgkmcnt(0)
	v_mul_f16_e32 v4, s15, v4
	v_cvt_f32_f16_e32 v4, v4
	s_branch .LBB229_371
.LBB229_370:
	v_mov_b32_e32 v4, 0
.LBB229_371:
	v_pk_add_f16 v2, v2, v6
	v_pk_add_f16 v3, v3, v7
	v_max_f16_e32 v5, v48, v48
	v_lshrrev_b32_e32 v6, 16, v48
	v_add_co_u32 v0, vcc_lo, v20, v0
	v_lshrrev_b32_e32 v7, 16, v2
	v_lshrrev_b32_e32 v8, 16, v3
	v_min_f16_e32 v2, v5, v2
	v_add_co_ci_u32_e64 v1, null, v21, v1, vcc_lo
	v_min3_f16 v5, v6, v7, v8
	v_min3_f16 v2, v2, v3, v5
	v_max_f32_e32 v3, v4, v4
	v_cvt_f32_f16_e32 v2, v2
	v_min_f32_e32 v2, v3, v2
	v_cvt_f16_f32_e32 v2, v2
	flat_store_short v[0:1], v2
	s_endpgm
	.section	.rodata,"a",@progbits
	.p2align	6, 0x0
	.amdhsa_kernel _ZN12_GLOBAL__N_120geam_min_plus_kernelIDF16_Dv2_DF16_S1_Li8ELi32ELi64ELi256ELi4ELi4ELi64ELi64ELi4ELc84ELc84ELb1ELb1ELb1EDF16_KPKDF16_KPDF16_EEviiiT16_PT17_ilS9_ilS7_S9_ilPT18_ili26rocblas_geam_ex_operation_
		.amdhsa_group_segment_fixed_size 5120
		.amdhsa_private_segment_fixed_size 0
		.amdhsa_kernarg_size 128
		.amdhsa_user_sgpr_count 6
		.amdhsa_user_sgpr_private_segment_buffer 1
		.amdhsa_user_sgpr_dispatch_ptr 0
		.amdhsa_user_sgpr_queue_ptr 0
		.amdhsa_user_sgpr_kernarg_segment_ptr 1
		.amdhsa_user_sgpr_dispatch_id 0
		.amdhsa_user_sgpr_flat_scratch_init 0
		.amdhsa_user_sgpr_private_segment_size 0
		.amdhsa_wavefront_size32 1
		.amdhsa_uses_dynamic_stack 0
		.amdhsa_system_sgpr_private_segment_wavefront_offset 0
		.amdhsa_system_sgpr_workgroup_id_x 1
		.amdhsa_system_sgpr_workgroup_id_y 0
		.amdhsa_system_sgpr_workgroup_id_z 1
		.amdhsa_system_sgpr_workgroup_info 0
		.amdhsa_system_vgpr_workitem_id 1
		.amdhsa_next_free_vgpr 168
		.amdhsa_next_free_sgpr 29
		.amdhsa_reserve_vcc 1
		.amdhsa_reserve_flat_scratch 0
		.amdhsa_float_round_mode_32 0
		.amdhsa_float_round_mode_16_64 0
		.amdhsa_float_denorm_mode_32 3
		.amdhsa_float_denorm_mode_16_64 3
		.amdhsa_dx10_clamp 1
		.amdhsa_ieee_mode 1
		.amdhsa_fp16_overflow 0
		.amdhsa_workgroup_processor_mode 1
		.amdhsa_memory_ordered 1
		.amdhsa_forward_progress 1
		.amdhsa_shared_vgpr_count 0
		.amdhsa_exception_fp_ieee_invalid_op 0
		.amdhsa_exception_fp_denorm_src 0
		.amdhsa_exception_fp_ieee_div_zero 0
		.amdhsa_exception_fp_ieee_overflow 0
		.amdhsa_exception_fp_ieee_underflow 0
		.amdhsa_exception_fp_ieee_inexact 0
		.amdhsa_exception_int_div_zero 0
	.end_amdhsa_kernel
	.section	.text._ZN12_GLOBAL__N_120geam_min_plus_kernelIDF16_Dv2_DF16_S1_Li8ELi32ELi64ELi256ELi4ELi4ELi64ELi64ELi4ELc84ELc84ELb1ELb1ELb1EDF16_KPKDF16_KPDF16_EEviiiT16_PT17_ilS9_ilS7_S9_ilPT18_ili26rocblas_geam_ex_operation_,"axG",@progbits,_ZN12_GLOBAL__N_120geam_min_plus_kernelIDF16_Dv2_DF16_S1_Li8ELi32ELi64ELi256ELi4ELi4ELi64ELi64ELi4ELc84ELc84ELb1ELb1ELb1EDF16_KPKDF16_KPDF16_EEviiiT16_PT17_ilS9_ilS7_S9_ilPT18_ili26rocblas_geam_ex_operation_,comdat
.Lfunc_end229:
	.size	_ZN12_GLOBAL__N_120geam_min_plus_kernelIDF16_Dv2_DF16_S1_Li8ELi32ELi64ELi256ELi4ELi4ELi64ELi64ELi4ELc84ELc84ELb1ELb1ELb1EDF16_KPKDF16_KPDF16_EEviiiT16_PT17_ilS9_ilS7_S9_ilPT18_ili26rocblas_geam_ex_operation_, .Lfunc_end229-_ZN12_GLOBAL__N_120geam_min_plus_kernelIDF16_Dv2_DF16_S1_Li8ELi32ELi64ELi256ELi4ELi4ELi64ELi64ELi4ELc84ELc84ELb1ELb1ELb1EDF16_KPKDF16_KPDF16_EEviiiT16_PT17_ilS9_ilS7_S9_ilPT18_ili26rocblas_geam_ex_operation_
                                        ; -- End function
	.set _ZN12_GLOBAL__N_120geam_min_plus_kernelIDF16_Dv2_DF16_S1_Li8ELi32ELi64ELi256ELi4ELi4ELi64ELi64ELi4ELc84ELc84ELb1ELb1ELb1EDF16_KPKDF16_KPDF16_EEviiiT16_PT17_ilS9_ilS7_S9_ilPT18_ili26rocblas_geam_ex_operation_.num_vgpr, 168
	.set _ZN12_GLOBAL__N_120geam_min_plus_kernelIDF16_Dv2_DF16_S1_Li8ELi32ELi64ELi256ELi4ELi4ELi64ELi64ELi4ELc84ELc84ELb1ELb1ELb1EDF16_KPKDF16_KPDF16_EEviiiT16_PT17_ilS9_ilS7_S9_ilPT18_ili26rocblas_geam_ex_operation_.num_agpr, 0
	.set _ZN12_GLOBAL__N_120geam_min_plus_kernelIDF16_Dv2_DF16_S1_Li8ELi32ELi64ELi256ELi4ELi4ELi64ELi64ELi4ELc84ELc84ELb1ELb1ELb1EDF16_KPKDF16_KPDF16_EEviiiT16_PT17_ilS9_ilS7_S9_ilPT18_ili26rocblas_geam_ex_operation_.numbered_sgpr, 29
	.set _ZN12_GLOBAL__N_120geam_min_plus_kernelIDF16_Dv2_DF16_S1_Li8ELi32ELi64ELi256ELi4ELi4ELi64ELi64ELi4ELc84ELc84ELb1ELb1ELb1EDF16_KPKDF16_KPDF16_EEviiiT16_PT17_ilS9_ilS7_S9_ilPT18_ili26rocblas_geam_ex_operation_.num_named_barrier, 0
	.set _ZN12_GLOBAL__N_120geam_min_plus_kernelIDF16_Dv2_DF16_S1_Li8ELi32ELi64ELi256ELi4ELi4ELi64ELi64ELi4ELc84ELc84ELb1ELb1ELb1EDF16_KPKDF16_KPDF16_EEviiiT16_PT17_ilS9_ilS7_S9_ilPT18_ili26rocblas_geam_ex_operation_.private_seg_size, 0
	.set _ZN12_GLOBAL__N_120geam_min_plus_kernelIDF16_Dv2_DF16_S1_Li8ELi32ELi64ELi256ELi4ELi4ELi64ELi64ELi4ELc84ELc84ELb1ELb1ELb1EDF16_KPKDF16_KPDF16_EEviiiT16_PT17_ilS9_ilS7_S9_ilPT18_ili26rocblas_geam_ex_operation_.uses_vcc, 1
	.set _ZN12_GLOBAL__N_120geam_min_plus_kernelIDF16_Dv2_DF16_S1_Li8ELi32ELi64ELi256ELi4ELi4ELi64ELi64ELi4ELc84ELc84ELb1ELb1ELb1EDF16_KPKDF16_KPDF16_EEviiiT16_PT17_ilS9_ilS7_S9_ilPT18_ili26rocblas_geam_ex_operation_.uses_flat_scratch, 0
	.set _ZN12_GLOBAL__N_120geam_min_plus_kernelIDF16_Dv2_DF16_S1_Li8ELi32ELi64ELi256ELi4ELi4ELi64ELi64ELi4ELc84ELc84ELb1ELb1ELb1EDF16_KPKDF16_KPDF16_EEviiiT16_PT17_ilS9_ilS7_S9_ilPT18_ili26rocblas_geam_ex_operation_.has_dyn_sized_stack, 0
	.set _ZN12_GLOBAL__N_120geam_min_plus_kernelIDF16_Dv2_DF16_S1_Li8ELi32ELi64ELi256ELi4ELi4ELi64ELi64ELi4ELc84ELc84ELb1ELb1ELb1EDF16_KPKDF16_KPDF16_EEviiiT16_PT17_ilS9_ilS7_S9_ilPT18_ili26rocblas_geam_ex_operation_.has_recursion, 0
	.set _ZN12_GLOBAL__N_120geam_min_plus_kernelIDF16_Dv2_DF16_S1_Li8ELi32ELi64ELi256ELi4ELi4ELi64ELi64ELi4ELc84ELc84ELb1ELb1ELb1EDF16_KPKDF16_KPDF16_EEviiiT16_PT17_ilS9_ilS7_S9_ilPT18_ili26rocblas_geam_ex_operation_.has_indirect_call, 0
	.section	.AMDGPU.csdata,"",@progbits
; Kernel info:
; codeLenInByte = 22920
; TotalNumSgprs: 31
; NumVgprs: 168
; ScratchSize: 0
; MemoryBound: 0
; FloatMode: 240
; IeeeMode: 1
; LDSByteSize: 5120 bytes/workgroup (compile time only)
; SGPRBlocks: 0
; VGPRBlocks: 20
; NumSGPRsForWavesPerEU: 31
; NumVGPRsForWavesPerEU: 168
; Occupancy: 5
; WaveLimiterHint : 1
; COMPUTE_PGM_RSRC2:SCRATCH_EN: 0
; COMPUTE_PGM_RSRC2:USER_SGPR: 6
; COMPUTE_PGM_RSRC2:TRAP_HANDLER: 0
; COMPUTE_PGM_RSRC2:TGID_X_EN: 1
; COMPUTE_PGM_RSRC2:TGID_Y_EN: 0
; COMPUTE_PGM_RSRC2:TGID_Z_EN: 1
; COMPUTE_PGM_RSRC2:TIDIG_COMP_CNT: 1
	.section	.text._ZN12_GLOBAL__N_120geam_min_plus_kernelIDF16_Dv2_DF16_S1_Li8ELi32ELi64ELi256ELi4ELi4ELi64ELi64ELi4ELc84ELc84ELb0ELb1ELb1EDF16_KPKDF16_KPDF16_EEviiiT16_PT17_ilS9_ilS7_S9_ilPT18_ili26rocblas_geam_ex_operation_,"axG",@progbits,_ZN12_GLOBAL__N_120geam_min_plus_kernelIDF16_Dv2_DF16_S1_Li8ELi32ELi64ELi256ELi4ELi4ELi64ELi64ELi4ELc84ELc84ELb0ELb1ELb1EDF16_KPKDF16_KPDF16_EEviiiT16_PT17_ilS9_ilS7_S9_ilPT18_ili26rocblas_geam_ex_operation_,comdat
	.globl	_ZN12_GLOBAL__N_120geam_min_plus_kernelIDF16_Dv2_DF16_S1_Li8ELi32ELi64ELi256ELi4ELi4ELi64ELi64ELi4ELc84ELc84ELb0ELb1ELb1EDF16_KPKDF16_KPDF16_EEviiiT16_PT17_ilS9_ilS7_S9_ilPT18_ili26rocblas_geam_ex_operation_ ; -- Begin function _ZN12_GLOBAL__N_120geam_min_plus_kernelIDF16_Dv2_DF16_S1_Li8ELi32ELi64ELi256ELi4ELi4ELi64ELi64ELi4ELc84ELc84ELb0ELb1ELb1EDF16_KPKDF16_KPDF16_EEviiiT16_PT17_ilS9_ilS7_S9_ilPT18_ili26rocblas_geam_ex_operation_
	.p2align	8
	.type	_ZN12_GLOBAL__N_120geam_min_plus_kernelIDF16_Dv2_DF16_S1_Li8ELi32ELi64ELi256ELi4ELi4ELi64ELi64ELi4ELc84ELc84ELb0ELb1ELb1EDF16_KPKDF16_KPDF16_EEviiiT16_PT17_ilS9_ilS7_S9_ilPT18_ili26rocblas_geam_ex_operation_,@function
_ZN12_GLOBAL__N_120geam_min_plus_kernelIDF16_Dv2_DF16_S1_Li8ELi32ELi64ELi256ELi4ELi4ELi64ELi64ELi4ELc84ELc84ELb0ELb1ELb1EDF16_KPKDF16_KPDF16_EEviiiT16_PT17_ilS9_ilS7_S9_ilPT18_ili26rocblas_geam_ex_operation_: ; @_ZN12_GLOBAL__N_120geam_min_plus_kernelIDF16_Dv2_DF16_S1_Li8ELi32ELi64ELi256ELi4ELi4ELi64ELi64ELi4ELc84ELc84ELb0ELb1ELb1EDF16_KPKDF16_KPDF16_EEviiiT16_PT17_ilS9_ilS7_S9_ilPT18_ili26rocblas_geam_ex_operation_
; %bb.0:
	s_clause 0x1
	s_load_dwordx4 s[12:15], s[4:5], 0x0
	s_load_dwordx4 s[0:3], s[4:5], 0x20
	s_mov_b32 s16, s7
	s_mov_b32 s17, 0
	s_waitcnt lgkmcnt(0)
	v_cmp_eq_f16_e64 s7, s15, 0
	s_and_b32 vcc_lo, exec_lo, s7
	s_cbranch_vccnz .LBB230_3
; %bb.1:
	s_load_dwordx2 s[8:9], s[4:5], 0x10
	s_lshl_b64 s[10:11], s[16:17], 3
	s_waitcnt lgkmcnt(0)
	s_add_u32 s8, s8, s10
	s_addc_u32 s9, s9, s11
	s_lshl_b64 s[0:1], s[0:1], 1
	s_load_dwordx2 s[8:9], s[8:9], 0x0
	s_waitcnt lgkmcnt(0)
	s_add_u32 s18, s8, s0
	s_addc_u32 s19, s9, s1
	s_andn2_b32 vcc_lo, exec_lo, s7
	s_cbranch_vccnz .LBB230_4
.LBB230_2:
	s_mov_b32 s21, 0
	s_mov_b32 s20, s16
	;; [unrolled: 1-line block ×3, first 2 shown]
	s_mov_b64 s[10:11], 0
	s_andn2_b32 vcc_lo, exec_lo, s0
	s_mov_b64 s[8:9], 0
	s_cbranch_vccz .LBB230_5
	s_branch .LBB230_6
.LBB230_3:
	s_mov_b64 s[18:19], 0
	s_andn2_b32 vcc_lo, exec_lo, s7
	s_cbranch_vccz .LBB230_2
.LBB230_4:
	s_mov_b64 s[20:21], s[16:17]
	s_mov_b64 s[10:11], 0
	;; [unrolled: 1-line block ×3, first 2 shown]
.LBB230_5:
	s_lshl_b64 s[0:1], s[16:17], 3
	s_load_dwordx2 s[8:9], s[4:5], 0x38
	s_add_u32 s0, s2, s0
	s_addc_u32 s1, s3, s1
	s_load_dwordx2 s[0:1], s[0:1], 0x0
	s_waitcnt lgkmcnt(0)
	s_lshl_b64 s[2:3], s[8:9], 1
	s_add_u32 s8, s0, s2
	s_addc_u32 s9, s1, s3
.LBB230_6:
	s_clause 0x1
	s_load_dword s22, s[4:5], 0x40
	s_load_dwordx4 s[0:3], s[4:5], 0x58
	s_waitcnt lgkmcnt(0)
	v_cmp_eq_f16_e64 s7, s22, 0
	v_cmp_neq_f16_e64 s23, s22, 0
	s_and_b32 vcc_lo, exec_lo, s7
	s_cbranch_vccnz .LBB230_8
; %bb.7:
	s_load_dwordx2 s[10:11], s[4:5], 0x48
	s_lshl_b64 s[16:17], s[20:21], 3
	s_waitcnt lgkmcnt(0)
	s_add_u32 s10, s10, s16
	s_addc_u32 s11, s11, s17
	s_lshl_b64 s[0:1], s[0:1], 1
	s_load_dwordx2 s[10:11], s[10:11], 0x0
	s_waitcnt lgkmcnt(0)
	s_add_u32 s10, s10, s0
	s_addc_u32 s11, s11, s1
.LBB230_8:
	s_lshl_b64 s[0:1], s[20:21], 3
	s_load_dword s26, s[4:5], 0x18
	s_add_u32 s16, s2, s0
	s_addc_u32 s17, s3, s1
	s_add_i32 s0, s12, -1
	v_and_b32_e32 v70, 3, v0
	s_ashr_i32 s1, s0, 31
	v_cmp_eq_f16_e64 s24, s15, 0
	s_lshr_b32 s1, s1, 26
                                        ; implicit-def: $vgpr18
	s_add_i32 s0, s0, s1
	s_ashr_i32 s0, s0, 6
	s_add_i32 s2, s0, 1
	s_not_b32 s0, s0
	v_cvt_f32_u32_e32 v2, s2
	v_rcp_iflag_f32_e32 v2, v2
	v_mul_f32_e32 v2, 0x4f7ffffe, v2
	v_cvt_u32_f32_e32 v2, v2
	v_readfirstlane_b32 s1, v2
	v_lshl_add_u32 v2, v1, 3, v0
	s_mul_i32 s0, s0, s1
	v_lshrrev_b32_e32 v16, 2, v2
	s_mul_hi_u32 s0, s1, s0
	s_add_i32 s1, s1, s0
	s_mul_hi_u32 s0, s6, s1
	s_mul_i32 s1, s0, s2
	s_add_i32 s3, s0, 1
	s_sub_i32 s1, s6, s1
	s_sub_i32 s7, s1, s2
	s_cmp_ge_u32 s1, s2
	s_cselect_b32 s0, s3, s0
	s_cselect_b32 s1, s7, s1
	s_add_i32 s3, s0, 1
	s_cmp_ge_u32 s1, s2
	s_cselect_b32 s1, s3, s0
	s_mul_i32 s0, s1, s2
	s_sub_i32 s0, s6, s0
                                        ; implicit-def: $sgpr6
	s_lshl_b32 s20, s0, 6
	v_cmp_le_i32_e64 s0, s14, v70
	v_add_nc_u32_e32 v10, s20, v16
	v_cmp_le_i32_e32 vcc_lo, s12, v10
	s_or_b32 s2, s0, vcc_lo
	s_nor_b32 s0, s24, s2
	s_and_saveexec_b32 s3, s0
	s_xor_b32 s3, exec_lo, s3
	s_cbranch_execz .LBB230_10
; %bb.9:
	s_waitcnt lgkmcnt(0)
	v_mad_i64_i32 v[3:4], null, v10, s26, 0
	s_add_i32 s6, s14, -1
	v_min_u32_e32 v5, s6, v70
	v_lshlrev_b64 v[3:4], 1, v[3:4]
	v_lshlrev_b32_e32 v5, 1, v5
	v_add_co_u32 v3, s0, s18, v3
	v_add_co_ci_u32_e64 v4, null, s19, v4, s0
	v_add_co_u32 v3, s0, v3, v5
	v_add_co_ci_u32_e64 v4, null, 0, v4, s0
	flat_load_ushort v3, v[3:4]
	s_waitcnt vmcnt(0) lgkmcnt(0)
	v_mul_f16_e32 v18, s15, v3
.LBB230_10:
	s_or_saveexec_b32 s0, s3
	v_mov_b32_e32 v3, s6
	s_xor_b32 exec_lo, exec_lo, s0
; %bb.11:
	s_add_i32 s3, s14, -1
	v_cndmask_b32_e64 v18, 0, 0x7c00, s2
	v_mov_b32_e32 v3, s3
; %bb.12:
	s_or_b32 exec_lo, exec_lo, s0
	s_load_dword s25, s[4:5], 0x30
	v_lshrrev_b32_e32 v77, 6, v2
	v_and_b32_e32 v19, 63, v2
	s_lshl_b32 s21, s1, 8
	v_min_i32_e32 v3, v77, v3
	v_or_b32_e32 v2, s21, v19
	v_cmp_le_i32_e64 s6, s14, v77
	v_cmp_le_i32_e64 s0, s13, v2
	s_or_b32 s2, s0, s6
	v_cndmask_b32_e64 v20, 0, 0x7c00, s2
	s_waitcnt lgkmcnt(0)
	v_mad_i64_i32 v[3:4], null, v3, s25, 0
	v_lshlrev_b64 v[3:4], 1, v[3:4]
	v_add_co_u32 v11, s1, s8, v3
	v_add_co_ci_u32_e64 v12, null, s9, v4, s1
	v_ashrrev_i32_e32 v3, 31, v2
	s_nor_b32 s1, s24, s2
	s_and_saveexec_b32 s2, s1
	s_cbranch_execz .LBB230_14
; %bb.13:
	v_lshlrev_b64 v[4:5], 1, v[2:3]
	v_add_co_u32 v4, s1, v11, v4
	v_add_co_ci_u32_e64 v5, null, v12, v5, s1
	flat_load_ushort v4, v[4:5]
	s_waitcnt vmcnt(0) lgkmcnt(0)
	v_mul_f16_e32 v20, s15, v4
.LBB230_14:
	s_or_b32 exec_lo, exec_lo, s2
	v_or_b32_e32 v4, 64, v2
	s_add_i32 s7, s13, -1
	v_cmp_le_i32_e64 s1, s13, v4
	v_min_i32_e32 v4, s7, v4
	s_or_b32 s2, s1, s6
	v_ashrrev_i32_e32 v5, 31, v4
	v_cndmask_b32_e64 v21, 0, 0x7c00, s2
	s_nor_b32 s2, s2, s24
	s_and_saveexec_b32 s3, s2
	s_cbranch_execz .LBB230_16
; %bb.15:
	v_lshlrev_b64 v[6:7], 1, v[4:5]
	v_add_co_u32 v6, s2, v11, v6
	v_add_co_ci_u32_e64 v7, null, v12, v7, s2
	flat_load_ushort v6, v[6:7]
	s_waitcnt vmcnt(0) lgkmcnt(0)
	v_mul_f16_e32 v21, s15, v6
.LBB230_16:
	s_or_b32 exec_lo, exec_lo, s3
	v_or_b32_e32 v6, 0x80, v2
	v_cmp_le_i32_e64 s2, s13, v6
	v_min_i32_e32 v6, s7, v6
	s_or_b32 s3, s2, s6
	v_ashrrev_i32_e32 v7, 31, v6
	v_cndmask_b32_e64 v22, 0, 0x7c00, s3
	s_nor_b32 s3, s3, s24
	s_and_saveexec_b32 s27, s3
	s_cbranch_execz .LBB230_18
; %bb.17:
	v_lshlrev_b64 v[8:9], 1, v[6:7]
	v_add_co_u32 v8, s3, v11, v8
	v_add_co_ci_u32_e64 v9, null, v12, v9, s3
	flat_load_ushort v8, v[8:9]
	s_waitcnt vmcnt(0) lgkmcnt(0)
	v_mul_f16_e32 v22, s15, v8
.LBB230_18:
	s_or_b32 exec_lo, exec_lo, s27
	v_or_b32_e32 v8, 0xc0, v2
	;; [unrolled: 18-line block ×3, first 2 shown]
                                        ; implicit-def: $vgpr11
                                        ; implicit-def: $sgpr28
	v_cmp_le_i32_e64 s6, s14, v12
	s_or_b32 s7, s6, vcc_lo
	s_nor_b32 s6, s24, s7
	s_and_saveexec_b32 s27, s6
	s_xor_b32 s27, exec_lo, s27
	s_cbranch_execz .LBB230_22
; %bb.21:
	v_mad_i64_i32 v[13:14], null, v10, s26, 0
	s_add_i32 s28, s14, -1
	v_min_u32_e32 v15, s28, v12
	v_lshlrev_b64 v[11:12], 1, v[13:14]
	v_lshlrev_b32_e32 v13, 1, v15
	v_add_co_u32 v11, s6, s18, v11
	v_add_co_ci_u32_e64 v12, null, s19, v12, s6
	v_add_co_u32 v11, s6, v11, v13
	v_add_co_ci_u32_e64 v12, null, 0, v12, s6
	flat_load_ushort v11, v[11:12]
	s_waitcnt vmcnt(0) lgkmcnt(0)
	v_mul_f16_e32 v11, s15, v11
.LBB230_22:
	s_or_saveexec_b32 s6, s27
	v_mov_b32_e32 v12, s28
	s_xor_b32 exec_lo, exec_lo, s6
; %bb.23:
	s_add_i32 s27, s14, -1
	v_cndmask_b32_e64 v11, 0, 0x7c00, s7
	v_mov_b32_e32 v12, s27
; %bb.24:
	s_or_b32 exec_lo, exec_lo, s6
	v_add_nc_u32_e32 v14, 4, v77
	v_min_i32_e32 v12, v14, v12
	v_cmp_le_i32_e64 s6, s14, v14
	v_mad_i64_i32 v[12:13], null, v12, s25, 0
	v_lshlrev_b64 v[12:13], 1, v[12:13]
	v_add_co_u32 v14, s7, s8, v12
	v_add_co_ci_u32_e64 v24, null, s9, v13, s7
	s_or_b32 s7, s0, s6
	v_cndmask_b32_e64 v12, 0, 0x7c00, s7
	s_nor_b32 s7, s24, s7
	s_and_saveexec_b32 s27, s7
	s_cbranch_execz .LBB230_26
; %bb.25:
	v_lshlrev_b64 v[12:13], 1, v[2:3]
	v_add_co_u32 v12, s7, v14, v12
	v_add_co_ci_u32_e64 v13, null, v24, v13, s7
	flat_load_ushort v12, v[12:13]
	s_waitcnt vmcnt(0) lgkmcnt(0)
	v_mul_f16_e32 v12, s15, v12
.LBB230_26:
	s_or_b32 exec_lo, exec_lo, s27
	s_or_b32 s7, s1, s6
	v_cndmask_b32_e64 v13, 0, 0x7c00, s7
	s_nor_b32 s7, s7, s24
	s_and_saveexec_b32 s27, s7
	s_cbranch_execz .LBB230_28
; %bb.27:
	v_lshlrev_b64 v[25:26], 1, v[4:5]
	v_add_co_u32 v25, s7, v14, v25
	v_add_co_ci_u32_e64 v26, null, v24, v26, s7
	flat_load_ushort v13, v[25:26]
	s_waitcnt vmcnt(0) lgkmcnt(0)
	v_mul_f16_e32 v13, s15, v13
.LBB230_28:
	s_or_b32 exec_lo, exec_lo, s27
	;; [unrolled: 14-line block ×4, first 2 shown]
	v_lshlrev_b32_e32 v14, 1, v70
	v_lshlrev_b32_e32 v97, 3, v0
	v_lshlrev_b32_e32 v19, 3, v19
	v_lshlrev_b32_e32 v96, 3, v1
	s_load_dwordx2 s[16:17], s[16:17], 0x0
	v_lshl_or_b32 v16, v16, 3, v14
	v_add_nc_u32_e32 v34, 0x1000, v97
	v_lshl_add_u32 v102, v77, 1, v19
	s_cmp_lt_i32 s14, 9
	ds_write_b16 v16, v18 offset:4096
	ds_write_b16 v102, v20
	ds_write_b16 v102, v21 offset:512
	ds_write_b16 v102, v22 offset:1024
	;; [unrolled: 1-line block ×3, first 2 shown]
	s_waitcnt lgkmcnt(0)
	s_barrier
	buffer_gl0_inv
	ds_read2_b64 v[18:21], v34 offset1:8
	ds_read2_b64 v[22:25], v96 offset1:32
	ds_read2_b64 v[26:29], v34 offset0:16 offset1:24
	ds_read2_b64 v[30:33], v34 offset0:32 offset1:40
	ds_read2_b64 v[34:37], v34 offset0:48 offset1:56
	ds_read2_b64 v[38:41], v96 offset0:64 offset1:96
	s_waitcnt lgkmcnt(4)
	v_pk_add_f16 v42, v18, v22
	v_pk_add_f16 v43, v20, v22
	s_waitcnt lgkmcnt(3)
	v_pk_add_f16 v44, v26, v22
	v_pk_add_f16 v45, v28, v22
	;; [unrolled: 3-line block ×4, first 2 shown]
	v_pk_add_f16 v50, v18, v24
	v_pk_add_f16 v51, v20, v24
	v_pk_add_f16 v52, v26, v24
	v_pk_add_f16 v53, v28, v24
	v_pk_add_f16 v54, v30, v24
	v_pk_add_f16 v55, v32, v24
	v_pk_add_f16 v56, v34, v24
	v_pk_add_f16 v57, v36, v24
	v_pk_add_f16 v58, v19, v23
	v_pk_add_f16 v59, v21, v23
	v_pk_add_f16 v60, v27, v23
	v_pk_add_f16 v61, v29, v23
	v_pk_add_f16 v62, v31, v23
	v_pk_add_f16 v63, v33, v23
	v_pk_add_f16 v64, v35, v23
	v_pk_add_f16 v65, v37, v23
	v_pk_add_f16 v66, v19, v25
	v_pk_add_f16 v67, v21, v25
	v_pk_add_f16 v68, v27, v25
	v_pk_add_f16 v69, v29, v25
	v_pk_add_f16 v71, v31, v25
	v_pk_add_f16 v72, v33, v25
	v_pk_add_f16 v73, v35, v25
	v_pk_add_f16 v74, v37, v25
	s_waitcnt lgkmcnt(0)
	v_pk_add_f16 v75, v18, v38
	v_pk_add_f16 v76, v20, v38
	;; [unrolled: 1-line block ×13, first 2 shown]
	ds_read2_b64 v[22:25], v96 offset0:128 offset1:160
	v_pk_add_f16 v114, v32, v40
	v_pk_add_f16 v115, v34, v40
	;; [unrolled: 1-line block ×19, first 2 shown]
	ds_read2_b64 v[38:41], v96 offset0:192 offset1:224
	s_waitcnt lgkmcnt(1)
	v_pk_add_f16 v131, v18, v22
	v_pk_add_f16 v132, v20, v22
	;; [unrolled: 1-line block ×32, first 2 shown]
	s_waitcnt lgkmcnt(0)
	v_pk_add_f16 v159, v18, v38
	v_pk_add_f16 v160, v20, v38
	;; [unrolled: 1-line block ×31, first 2 shown]
	v_pk_min_f16 v42, 0x7c00, v42 op_sel_hi:[0,1]
	v_pk_add_f16 v37, v37, v41
	v_pk_min_f16 v41, 0x7c00, v46 op_sel_hi:[0,1]
	v_pk_min_f16 v43, 0x7c00, v43 op_sel_hi:[0,1]
	;; [unrolled: 1-line block ×4, first 2 shown]
	v_pk_min_f16 v122, v42, v58
	v_pk_min_f16 v42, 0x7c00, v47 op_sel_hi:[0,1]
	v_pk_min_f16 v112, v41, v62
	v_pk_min_f16 v41, 0x7c00, v51 op_sel_hi:[0,1]
	v_pk_min_f16 v121, v43, v59
	v_pk_min_f16 v120, v44, v60
	v_pk_min_f16 v113, v45, v61
	v_pk_min_f16 v43, 0x7c00, v48 op_sel_hi:[0,1]
	v_pk_min_f16 v44, 0x7c00, v49 op_sel_hi:[0,1]
	v_pk_min_f16 v45, 0x7c00, v50 op_sel_hi:[0,1]
	v_pk_min_f16 v111, v42, v63
	v_pk_min_f16 v42, 0x7c00, v52 op_sel_hi:[0,1]
	v_pk_min_f16 v107, v41, v67
	v_pk_min_f16 v41, 0x7c00, v56 op_sel_hi:[0,1]
	v_pk_min_f16 v110, v43, v64
	v_pk_min_f16 v109, v44, v65
	v_pk_min_f16 v108, v45, v66
	v_pk_min_f16 v43, 0x7c00, v53 op_sel_hi:[0,1]
	v_pk_min_f16 v44, 0x7c00, v54 op_sel_hi:[0,1]
	v_pk_min_f16 v45, 0x7c00, v55 op_sel_hi:[0,1]
	;; [unrolled: 10-line block ×4, first 2 shown]
	v_pk_min_f16 v93, v42, v93
	v_pk_min_f16 v42, 0x7c00, v85 op_sel_hi:[0,1]
	v_pk_min_f16 v89, v41, v123
	v_pk_min_f16 v41, 0x7c00, v114 op_sel_hi:[0,1]
	v_pk_min_f16 v22, 0x7c00, v22 op_sel_hi:[0,1]
	v_pk_min_f16 v92, v43, v117
	v_pk_min_f16 v91, v44, v118
	v_pk_min_f16 v90, v45, v119
	v_pk_min_f16 v43, 0x7c00, v86 op_sel_hi:[0,1]
	v_pk_min_f16 v44, 0x7c00, v87 op_sel_hi:[0,1]
	;; [unrolled: 1-line block ×3, first 2 shown]
	v_pk_min_f16 v88, v42, v124
	v_pk_min_f16 v42, 0x7c00, v115 op_sel_hi:[0,1]
	v_pk_min_f16 v84, v41, v128
	v_pk_min_f16 v41, 0x7c00, v133 op_sel_hi:[0,1]
	;; [unrolled: 2-line block ×3, first 2 shown]
	v_pk_min_f16 v87, v43, v125
	v_pk_min_f16 v86, v44, v126
	v_pk_min_f16 v43, 0x7c00, v116 op_sel_hi:[0,1]
	v_pk_min_f16 v44, 0x7c00, v131 op_sel_hi:[0,1]
	v_pk_min_f16 v83, v42, v129
	v_pk_min_f16 v42, 0x7c00, v134 op_sel_hi:[0,1]
	v_pk_min_f16 v79, v41, v147
	v_pk_min_f16 v41, 0x7c00, v138 op_sel_hi:[0,1]
	v_pk_min_f16 v23, 0x7c00, v143 op_sel_hi:[0,1]
	v_pk_min_f16 v24, 0x7c00, v24 op_sel_hi:[0,1]
	v_pk_min_f16 v67, v22, v156
	v_pk_min_f16 v22, 0x7c00, v160 op_sel_hi:[0,1]
	v_pk_min_f16 v85, v45, v127
	v_pk_min_f16 v45, 0x7c00, v132 op_sel_hi:[0,1]
	v_pk_min_f16 v82, v43, v130
	v_pk_min_f16 v81, v44, v145
	v_pk_min_f16 v43, 0x7c00, v135 op_sel_hi:[0,1]
	v_pk_min_f16 v44, 0x7c00, v136 op_sel_hi:[0,1]
	v_pk_min_f16 v78, v42, v148
	v_pk_min_f16 v42, 0x7c00, v139 op_sel_hi:[0,1]
	v_pk_min_f16 v72, v41, v152
	v_pk_min_f16 v41, 0x7c00, v144 op_sel_hi:[0,1]
	v_pk_min_f16 v66, v23, v157
	v_pk_min_f16 v64, v24, v25
	v_pk_min_f16 v23, 0x7c00, v163 op_sel_hi:[0,1]
	v_pk_min_f16 v24, 0x7c00, v164 op_sel_hi:[0,1]
	v_pk_min_f16 v62, v22, v162
	v_pk_min_f16 v22, 0x7c00, v171 op_sel_hi:[0,1]
	v_pk_min_f16 v18, 0x7c00, v18 op_sel_hi:[0,1]
	;; [unrolled: 1-line block ×3, first 2 shown]
	v_pk_min_f16 v80, v45, v146
	v_pk_min_f16 v45, 0x7c00, v137 op_sel_hi:[0,1]
	v_pk_min_f16 v76, v43, v149
	v_pk_min_f16 v75, v44, v150
	v_pk_min_f16 v43, 0x7c00, v140 op_sel_hi:[0,1]
	v_pk_min_f16 v44, 0x7c00, v141 op_sel_hi:[0,1]
	v_pk_min_f16 v71, v42, v153
	v_pk_min_f16 v42, 0x7c00, v159 op_sel_hi:[0,1]
	v_pk_min_f16 v65, v41, v158
	v_pk_min_f16 v25, 0x7c00, v167 op_sel_hi:[0,1]
	v_pk_min_f16 v41, 0x7c00, v168 op_sel_hi:[0,1]
	v_pk_min_f16 v61, v23, v165
	v_pk_min_f16 v60, v24, v166
	v_pk_min_f16 v23, 0x7c00, v38 op_sel_hi:[0,1]
	v_pk_min_f16 v24, 0x7c00, v26 op_sel_hi:[0,1]
	v_pk_min_f16 v57, v22, v40
	v_pk_min_f16 v55, v18, v19
	;; [unrolled: 1-line block ×3, first 2 shown]
	v_pk_min_f16 v18, 0x7c00, v28 op_sel_hi:[0,1]
	v_pk_min_f16 v19, 0x7c00, v30 op_sel_hi:[0,1]
	;; [unrolled: 1-line block ×5, first 2 shown]
	v_pk_min_f16 v74, v45, v151
	v_pk_min_f16 v69, v43, v154
	;; [unrolled: 1-line block ×13, first 2 shown]
	ds_write_b16 v16, v11 offset:4608
	ds_write_b16 v102, v12 offset:2048
	;; [unrolled: 1-line block ×5, first 2 shown]
	s_waitcnt lgkmcnt(0)
	s_barrier
	buffer_gl0_inv
	s_cbranch_scc1 .LBB230_59
; %bb.33:
	v_mad_i64_i32 v[10:11], null, s26, v10, 0
	v_lshlrev_b64 v[38:39], 1, v[2:3]
	v_lshlrev_b64 v[40:41], 1, v[4:5]
	;; [unrolled: 1-line block ×4, first 2 shown]
	v_add_nc_u32_e32 v114, 0x1000, v16
	v_or_b32_e32 v115, 0x1000, v97
	v_lshlrev_b64 v[10:11], 1, v[10:11]
	v_add_nc_u32_e32 v116, 0x1200, v16
	v_add_nc_u32_e32 v117, 0x800, v102
	v_lshl_add_u32 v118, v0, 3, 0x1200
	v_lshl_or_b32 v119, v1, 3, 0x800
	s_mov_b32 s26, 0
	v_add_co_u32 v2, s6, v10, v14
	v_add_co_ci_u32_e64 v3, null, 0, v11, s6
	v_add_co_u32 v2, s6, s18, v2
	v_add_co_ci_u32_e64 v3, null, s19, v3, s6
	s_add_i32 s18, s14, -8
	v_add_co_u32 v46, s6, v2, 24
	v_add_co_ci_u32_e64 v47, null, 0, v3, s6
	s_add_i32 s19, s14, -1
	s_branch .LBB230_35
.LBB230_34:                             ;   in Loop: Header=BB230_35 Depth=1
	s_or_b32 exec_lo, exec_lo, s7
	v_pk_add_f16 v6, v17, v34
	v_pk_max_f16 v7, v122, v122
	v_pk_add_f16 v8, v19, v34
	v_pk_max_f16 v21, v121, v121
	;; [unrolled: 2-line block ×3, first 2 shown]
	v_pk_min_f16 v6, v7, v6
	v_pk_max_f16 v7, v120, v120
	v_pk_add_f16 v120, v4, v34
	v_pk_add_f16 v122, v9, v34
	v_pk_max_f16 v112, v112, v112
	v_pk_add_f16 v128, v11, v34
	v_pk_min_f16 v8, v21, v8
	v_pk_min_f16 v7, v7, v121
	;; [unrolled: 1-line block ×3, first 2 shown]
	v_pk_add_f16 v113, v13, v34
	v_pk_max_f16 v110, v110, v110
	v_pk_add_f16 v34, v15, v34
	v_pk_max_f16 v109, v109, v109
	;; [unrolled: 2-line block ×4, first 2 shown]
	v_pk_min_f16 v112, v112, v122
	v_pk_add_f16 v122, v2, v36
	v_pk_min_f16 v110, v110, v113
	v_pk_min_f16 v34, v109, v34
	;; [unrolled: 1-line block ×4, first 2 shown]
	v_pk_add_f16 v109, v4, v36
	v_pk_max_f16 v105, v105, v105
	v_pk_add_f16 v113, v9, v36
	v_pk_add_f16 v120, v11, v36
	;; [unrolled: 1-line block ×4, first 2 shown]
	v_pk_max_f16 v100, v100, v100
	v_pk_max_f16 v104, v104, v104
	;; [unrolled: 1-line block ×4, first 2 shown]
	v_pk_min_f16 v105, v105, v109
	v_pk_min_f16 v36, v100, v36
	v_pk_add_f16 v100, v17, v30
	v_pk_max_f16 v99, v99, v99
	v_pk_add_f16 v109, v19, v30
	v_pk_max_f16 v98, v98, v98
	v_pk_min_f16 v104, v104, v113
	v_pk_min_f16 v103, v103, v120
	;; [unrolled: 1-line block ×3, first 2 shown]
	v_pk_add_f16 v113, v2, v30
	v_pk_max_f16 v95, v95, v95
	v_pk_add_f16 v120, v4, v30
	v_pk_max_f16 v94, v94, v94
	v_pk_add_f16 v121, v9, v30
	v_pk_min_f16 v99, v99, v100
	v_pk_min_f16 v98, v98, v109
	v_pk_add_f16 v100, v11, v30
	v_pk_max_f16 v92, v92, v92
	v_pk_add_f16 v109, v13, v30
	v_pk_add_f16 v30, v15, v30
	v_pk_max_f16 v90, v90, v90
	v_pk_min_f16 v95, v95, v113
	v_pk_min_f16 v94, v94, v120
	v_pk_max_f16 v91, v91, v91
	v_pk_add_f16 v113, v17, v32
	v_pk_max_f16 v89, v89, v89
	v_pk_add_f16 v120, v19, v32
	v_pk_max_f16 v88, v88, v88
	v_pk_min_f16 v92, v92, v100
	v_pk_min_f16 v30, v90, v30
	v_pk_add_f16 v90, v2, v32
	v_pk_max_f16 v87, v87, v87
	v_pk_add_f16 v100, v4, v32
	v_pk_max_f16 v86, v86, v86
	v_pk_min_f16 v91, v91, v109
	v_pk_min_f16 v89, v89, v113
	;; [unrolled: 1-line block ×3, first 2 shown]
	v_pk_add_f16 v109, v9, v32
	v_pk_max_f16 v85, v85, v85
	v_pk_add_f16 v113, v11, v32
	v_pk_max_f16 v84, v84, v84
	v_pk_add_f16 v120, v13, v32
	v_pk_min_f16 v87, v87, v90
	v_pk_min_f16 v86, v86, v100
	v_pk_add_f16 v32, v15, v32
	v_pk_max_f16 v82, v82, v82
	v_pk_add_f16 v90, v17, v26
	v_pk_max_f16 v81, v81, v81
	;; [unrolled: 2-line block ×3, first 2 shown]
	v_pk_min_f16 v85, v85, v109
	v_pk_min_f16 v84, v84, v113
	v_pk_add_f16 v109, v2, v26
	v_pk_max_f16 v79, v79, v79
	v_pk_add_f16 v113, v4, v26
	v_pk_min_f16 v32, v82, v32
	v_pk_min_f16 v81, v81, v90
	;; [unrolled: 1-line block ×3, first 2 shown]
	v_pk_add_f16 v82, v9, v26
	v_pk_add_f16 v90, v11, v26
	;; [unrolled: 1-line block ×4, first 2 shown]
	v_pk_max_f16 v73, v73, v73
	v_pk_min_f16 v79, v79, v109
	v_pk_max_f16 v76, v76, v76
	v_pk_max_f16 v75, v75, v75
	;; [unrolled: 1-line block ×3, first 2 shown]
	v_pk_add_f16 v109, v17, v28
	v_pk_max_f16 v72, v72, v72
	v_pk_min_f16 v26, v73, v26
	v_pk_add_f16 v73, v19, v28
	v_pk_max_f16 v71, v71, v71
	v_pk_min_f16 v76, v76, v82
	v_pk_min_f16 v75, v75, v90
	;; [unrolled: 1-line block ×4, first 2 shown]
	v_pk_add_f16 v82, v2, v28
	v_pk_add_f16 v90, v4, v28
	;; [unrolled: 1-line block ×3, first 2 shown]
	v_pk_max_f16 v67, v67, v67
	v_pk_add_f16 v109, v11, v28
	v_pk_min_f16 v71, v71, v73
	v_pk_add_f16 v73, v13, v28
	v_pk_add_f16 v28, v15, v28
	v_pk_max_f16 v64, v64, v64
	v_pk_max_f16 v78, v78, v78
	;; [unrolled: 1-line block ×4, first 2 shown]
	v_pk_min_f16 v67, v67, v100
	v_pk_max_f16 v65, v65, v65
	v_pk_add_f16 v100, v2, v22
	v_pk_min_f16 v28, v64, v28
	v_pk_add_f16 v64, v4, v22
	v_pk_add_f16 v2, v2, v24
	v_pk_max_f16 v53, v53, v53
	v_pk_add_f16 v4, v4, v24
	v_pk_max_f16 v52, v52, v52
	v_pk_max_f16 v93, v93, v93
	;; [unrolled: 1-line block ×3, first 2 shown]
	v_pk_min_f16 v78, v78, v113
	v_pk_max_f16 v69, v69, v69
	v_pk_min_f16 v68, v68, v90
	v_pk_min_f16 v66, v66, v109
	v_pk_add_f16 v90, v19, v22
	v_pk_max_f16 v62, v62, v62
	v_pk_max_f16 v61, v61, v61
	v_pk_min_f16 v65, v65, v73
	v_pk_add_f16 v73, v9, v22
	v_pk_add_f16 v19, v19, v24
	v_pk_max_f16 v54, v54, v54
	v_pk_add_f16 v9, v9, v24
	v_pk_max_f16 v51, v51, v51
	v_pk_min_f16 v109, v53, v2
	v_pk_min_f16 v113, v52, v4
	v_pk_add_f16 v2, v11, v24
	v_pk_max_f16 v4, v50, v50
	v_pk_max_f16 v111, v111, v111
	v_pk_max_f16 v106, v106, v106
	v_pk_min_f16 v93, v93, v121
	v_pk_min_f16 v83, v83, v120
	;; [unrolled: 1-line block ×3, first 2 shown]
	v_pk_add_f16 v82, v17, v22
	v_pk_min_f16 v62, v62, v90
	v_pk_min_f16 v61, v61, v100
	v_pk_add_f16 v90, v13, v22
	v_pk_add_f16 v17, v17, v24
	v_pk_min_f16 v100, v54, v19
	v_pk_min_f16 v120, v51, v9
	v_pk_add_f16 v9, v13, v24
	v_pk_add_f16 v13, v15, v24
	;; [unrolled: 1-line block ×4, first 2 shown]
	v_pk_min_f16 v121, v4, v2
	v_pk_add_f16 v2, v3, v35
	v_pk_min_f16 v111, v111, v128
	v_pk_min_f16 v106, v106, v122
	;; [unrolled: 1-line block ×4, first 2 shown]
	v_pk_add_f16 v4, v5, v35
	v_pk_add_f16 v6, v10, v35
	;; [unrolled: 1-line block ×3, first 2 shown]
	v_pk_min_f16 v133, v7, v2
	v_pk_add_f16 v7, v3, v37
	v_pk_min_f16 v134, v21, v4
	v_pk_min_f16 v112, v112, v6
	v_pk_min_f16 v111, v111, v8
	v_pk_add_f16 v2, v16, v35
	v_pk_add_f16 v4, v18, v37
	v_pk_add_f16 v6, v20, v37
	v_pk_add_f16 v8, v5, v37
	v_pk_min_f16 v106, v106, v7
	v_pk_add_f16 v7, v16, v37
	v_pk_min_f16 v135, v34, v2
	v_pk_min_f16 v108, v108, v4
	v_pk_min_f16 v107, v107, v6
	v_pk_min_f16 v105, v105, v8
	v_pk_add_f16 v2, v10, v37
	v_pk_add_f16 v4, v12, v37
	v_pk_add_f16 v6, v14, v37
	v_pk_add_f16 v8, v18, v31
	v_pk_min_f16 v136, v36, v7
	v_pk_add_f16 v7, v10, v31
	v_pk_min_f16 v104, v104, v2
	;; [unrolled: 10-line block ×3, first 2 shown]
	v_pk_min_f16 v95, v95, v4
	v_pk_min_f16 v94, v94, v6
	v_pk_min_f16 v92, v92, v8
	v_pk_add_f16 v2, v14, v31
	v_pk_add_f16 v4, v16, v31
	;; [unrolled: 1-line block ×4, first 2 shown]
	v_pk_min_f16 v88, v88, v7
	v_pk_add_f16 v7, v14, v33
	v_pk_max_f16 v60, v60, v60
	v_pk_min_f16 v91, v91, v2
	v_pk_min_f16 v137, v30, v4
	;; [unrolled: 1-line block ×4, first 2 shown]
	v_pk_add_f16 v2, v5, v33
	v_pk_add_f16 v4, v10, v33
	;; [unrolled: 1-line block ×4, first 2 shown]
	v_pk_min_f16 v83, v83, v7
	v_pk_add_f16 v7, v5, v27
	v_pk_max_f16 v63, v63, v63
	v_pk_max_f16 v57, v57, v57
	v_pk_min_f16 v64, v60, v64
	v_pk_min_f16 v86, v86, v2
	;; [unrolled: 1-line block ×5, first 2 shown]
	v_pk_add_f16 v2, v18, v27
	v_pk_add_f16 v4, v20, v27
	;; [unrolled: 1-line block ×4, first 2 shown]
	v_pk_min_f16 v60, v78, v7
	v_pk_add_f16 v7, v18, v29
	v_pk_min_f16 v63, v63, v82
	v_pk_max_f16 v59, v59, v59
	v_pk_add_f16 v82, v11, v22
	v_pk_max_f16 v58, v58, v58
	v_pk_add_f16 v22, v15, v22
	v_pk_max_f16 v56, v56, v56
	v_pk_min_f16 v90, v57, v90
	v_pk_min_f16 v81, v81, v2
	;; [unrolled: 1-line block ×5, first 2 shown]
	v_pk_add_f16 v2, v12, v27
	v_pk_add_f16 v4, v14, v27
	;; [unrolled: 1-line block ×4, first 2 shown]
	v_pk_min_f16 v54, v72, v7
	v_pk_add_f16 v7, v12, v29
	v_pk_min_f16 v73, v59, v73
	v_pk_min_f16 v82, v58, v82
	;; [unrolled: 1-line block ×3, first 2 shown]
	v_pk_max_f16 v55, v55, v55
	v_pk_max_f16 v11, v49, v49
	v_pk_min_f16 v59, v75, v2
	v_pk_min_f16 v58, v74, v4
	;; [unrolled: 1-line block ×4, first 2 shown]
	v_pk_add_f16 v2, v3, v29
	v_pk_add_f16 v4, v5, v29
	;; [unrolled: 1-line block ×4, first 2 shown]
	v_pk_min_f16 v50, v66, v7
	v_pk_add_f16 v7, v3, v23
	v_pk_min_f16 v17, v55, v17
	v_pk_max_f16 v15, v48, v48
	v_pk_min_f16 v11, v11, v9
	v_pk_add_f16 v9, v14, v35
	v_pk_min_f16 v55, v69, v2
	v_pk_min_f16 v52, v68, v4
	;; [unrolled: 1-line block ×4, first 2 shown]
	v_pk_add_f16 v2, v16, v29
	v_pk_add_f16 v4, v18, v23
	;; [unrolled: 1-line block ×4, first 2 shown]
	v_pk_min_f16 v35, v61, v7
	v_pk_add_f16 v7, v16, v23
	v_pk_min_f16 v49, v28, v2
	v_pk_min_f16 v37, v63, v4
	;; [unrolled: 1-line block ×4, first 2 shown]
	v_pk_add_f16 v2, v10, v23
	v_pk_add_f16 v4, v12, v23
	;; [unrolled: 1-line block ×4, first 2 shown]
	v_pk_min_f16 v26, v22, v7
	ds_read2_b64 v[21:24], v115 offset1:8
	ds_read2_b64 v[61:64], v96 offset1:32
	v_pk_min_f16 v13, v15, v13
	v_pk_min_f16 v32, v73, v2
	v_pk_min_f16 v15, v17, v8
	v_pk_add_f16 v2, v20, v25
	ds_read2_b64 v[17:20], v115 offset0:16 offset1:24
	v_pk_min_f16 v110, v110, v9
	v_pk_min_f16 v28, v90, v6
	v_pk_add_f16 v27, v3, v25
	ds_read2_b64 v[6:9], v115 offset0:32 offset1:40
	v_pk_add_f16 v14, v14, v25
	v_pk_add_f16 v69, v16, v25
	;; [unrolled: 1-line block ×3, first 2 shown]
	v_pk_min_f16 v33, v109, v27
	v_pk_max_f16 v109, v122, v122
	v_pk_min_f16 v16, v11, v14
	v_pk_min_f16 v14, v13, v69
	;; [unrolled: 1-line block ×4, first 2 shown]
	v_pk_add_f16 v29, v5, v25
	s_waitcnt lgkmcnt(2)
	v_pk_add_f16 v69, v21, v61
	ds_read2_b64 v[2:5], v115 offset0:48 offset1:56
	v_pk_add_f16 v10, v10, v25
	v_pk_min_f16 v25, v121, v12
	v_pk_add_f16 v71, v23, v61
	s_waitcnt lgkmcnt(2)
	v_pk_add_f16 v72, v17, v61
	v_pk_max_f16 v121, v132, v132
	v_pk_min_f16 v69, v109, v69
	v_pk_max_f16 v109, v133, v133
	v_pk_min_f16 v27, v120, v10
	v_pk_add_f16 v120, v24, v62
	v_pk_add_f16 v152, v18, v62
	v_pk_min_f16 v71, v121, v71
	v_pk_min_f16 v72, v109, v72
	s_waitcnt lgkmcnt(1)
	v_pk_add_f16 v74, v6, v61
	v_pk_add_f16 v75, v8, v61
	v_pk_add_f16 v154, v7, v62
	v_pk_min_f16 v121, v71, v120
	v_pk_min_f16 v120, v72, v152
	v_pk_max_f16 v72, v112, v112
	v_pk_max_f16 v109, v111, v111
	s_waitcnt lgkmcnt(0)
	v_pk_add_f16 v76, v2, v61
	v_pk_add_f16 v155, v9, v62
	;; [unrolled: 1-line block ×3, first 2 shown]
	v_pk_min_f16 v72, v72, v74
	v_pk_min_f16 v75, v109, v75
	v_pk_add_f16 v61, v4, v61
	v_pk_add_f16 v78, v21, v63
	;; [unrolled: 1-line block ×3, first 2 shown]
	v_pk_min_f16 v112, v72, v154
	v_pk_max_f16 v72, v110, v110
	v_pk_min_f16 v111, v75, v155
	v_pk_max_f16 v75, v135, v135
	v_pk_add_f16 v100, v19, v63
	v_pk_add_f16 v157, v22, v64
	v_pk_min_f16 v72, v72, v76
	v_pk_max_f16 v76, v108, v108
	v_pk_min_f16 v61, v75, v61
	v_pk_max_f16 v75, v105, v105
	ds_read2_b64 v[65:68], v96 offset0:64 offset1:96
	v_pk_min_f16 v110, v72, v156
	v_pk_min_f16 v72, v76, v78
	v_pk_add_f16 v90, v17, v63
	v_pk_add_f16 v160, v20, v64
	v_pk_min_f16 v75, v75, v100
	v_pk_add_f16 v140, v8, v63
	v_pk_min_f16 v108, v72, v157
	v_pk_max_f16 v72, v106, v106
	v_pk_add_f16 v159, v18, v64
	v_pk_min_f16 v105, v75, v160
	v_pk_max_f16 v75, v103, v103
	ds_read2_b64 v[128:131], v96 offset0:128 offset1:160
	ds_read2_b64 v[10:13], v96 offset0:192 offset1:224
	v_pk_min_f16 v72, v72, v90
	v_pk_add_f16 v139, v6, v63
	v_pk_add_f16 v162, v9, v64
	v_pk_min_f16 v75, v75, v140
	v_pk_min_f16 v29, v113, v29
	;; [unrolled: 1-line block ×3, first 2 shown]
	v_pk_max_f16 v72, v104, v104
	v_pk_add_f16 v82, v23, v63
	v_pk_add_f16 v141, v2, v63
	;; [unrolled: 1-line block ×7, first 2 shown]
	v_pk_min_f16 v72, v72, v139
	v_pk_max_f16 v76, v101, v101
	v_pk_min_f16 v103, v75, v162
	v_pk_max_f16 v75, v136, v136
	s_waitcnt lgkmcnt(2)
	v_pk_add_f16 v144, v17, v65
	v_pk_add_f16 v158, v24, v64
	;; [unrolled: 1-line block ×4, first 2 shown]
	v_pk_max_f16 v71, v134, v134
	v_pk_min_f16 v109, v61, v62
	v_pk_max_f16 v61, v107, v107
	v_pk_min_f16 v104, v72, v161
	v_pk_min_f16 v72, v76, v141
	v_pk_min_f16 v63, v75, v63
	v_pk_max_f16 v76, v95, v95
	v_pk_add_f16 v143, v23, v65
	v_pk_add_f16 v145, v19, v65
	v_pk_min_f16 v71, v71, v73
	v_pk_min_f16 v61, v61, v82
	v_pk_max_f16 v75, v98, v98
	v_pk_min_f16 v76, v76, v144
	v_pk_min_f16 v100, v63, v64
	v_pk_add_f16 v63, v18, v66
	v_pk_max_f16 v64, v94, v94
	v_pk_add_f16 v142, v21, v65
	v_pk_add_f16 v146, v6, v65
	v_pk_add_f16 v147, v8, v65
	v_pk_add_f16 v148, v2, v65
	v_pk_add_f16 v65, v4, v65
	v_pk_add_f16 v149, v21, v67
	v_pk_add_f16 v150, v23, v67
	v_pk_add_f16 v151, v17, v67
	v_pk_add_f16 v164, v19, v67
	v_pk_add_f16 v165, v6, v67
	v_pk_add_f16 v132, v8, v67
	v_pk_add_f16 v166, v2, v67
	v_pk_add_f16 v67, v4, v67
	v_pk_min_f16 v122, v69, v113
	s_waitcnt lgkmcnt(1)
	v_pk_add_f16 v69, v21, v128
	v_pk_add_f16 v133, v23, v128
	;; [unrolled: 1-line block ×6, first 2 shown]
	v_pk_min_f16 v113, v71, v153
	v_pk_add_f16 v71, v2, v128
	v_pk_add_f16 v128, v4, v128
	;; [unrolled: 1-line block ×10, first 2 shown]
	s_waitcnt lgkmcnt(0)
	v_pk_add_f16 v157, v21, v10
	v_pk_add_f16 v168, v23, v10
	v_pk_min_f16 v107, v61, v158
	v_pk_add_f16 v61, v17, v10
	v_pk_add_f16 v158, v19, v10
	;; [unrolled: 1-line block ×12, first 2 shown]
	v_pk_min_f16 v75, v75, v143
	v_pk_add_f16 v82, v24, v66
	v_pk_add_f16 v2, v2, v12
	;; [unrolled: 1-line block ×3, first 2 shown]
	v_pk_min_f16 v95, v76, v63
	v_pk_add_f16 v12, v20, v66
	v_pk_max_f16 v63, v93, v93
	v_pk_min_f16 v64, v64, v145
	v_pk_min_f16 v98, v75, v82
	v_pk_add_f16 v75, v7, v66
	v_pk_min_f16 v101, v72, v163
	v_pk_min_f16 v63, v63, v146
	;; [unrolled: 1-line block ×3, first 2 shown]
	v_pk_max_f16 v12, v137, v137
	v_pk_max_f16 v72, v99, v99
	v_pk_add_f16 v78, v22, v66
	v_pk_min_f16 v93, v63, v75
	v_pk_add_f16 v63, v5, v66
	v_pk_min_f16 v12, v12, v65
	v_pk_min_f16 v72, v72, v142
	v_pk_max_f16 v76, v91, v91
	v_pk_max_f16 v64, v89, v89
	v_pk_add_f16 v82, v3, v66
	v_pk_min_f16 v90, v12, v63
	v_pk_max_f16 v12, v86, v86
	v_pk_add_f16 v63, v20, v68
	v_pk_min_f16 v99, v72, v78
	v_pk_add_f16 v78, v9, v66
	v_pk_min_f16 v76, v76, v148
	v_pk_min_f16 v12, v12, v164
	v_pk_add_f16 v66, v22, v68
	v_pk_min_f16 v64, v64, v149
	v_pk_max_f16 v72, v92, v92
	v_pk_min_f16 v91, v76, v82
	v_pk_min_f16 v86, v12, v63
	v_pk_max_f16 v12, v138, v138
	v_pk_add_f16 v63, v5, v68
	v_pk_max_f16 v65, v88, v88
	v_pk_min_f16 v89, v64, v66
	v_pk_max_f16 v64, v85, v85
	v_pk_min_f16 v12, v12, v67
	v_pk_min_f16 v72, v72, v147
	v_pk_add_f16 v75, v24, v68
	v_pk_min_f16 v65, v65, v150
	v_pk_add_f16 v66, v7, v68
	v_pk_min_f16 v82, v12, v63
	v_pk_max_f16 v12, v60, v60
	v_pk_min_f16 v64, v64, v165
	v_pk_add_f16 v60, v20, v129
	v_pk_min_f16 v92, v72, v78
	v_pk_min_f16 v88, v65, v75
	;; [unrolled: 1-line block ×3, first 2 shown]
	v_pk_max_f16 v65, v84, v84
	v_pk_min_f16 v85, v64, v66
	v_pk_max_f16 v64, v81, v81
	v_pk_max_f16 v72, v87, v87
	v_pk_min_f16 v78, v12, v60
	v_pk_max_f16 v12, v56, v56
	v_pk_add_f16 v75, v9, v68
	v_pk_min_f16 v65, v65, v132
	v_pk_add_f16 v66, v22, v129
	v_pk_min_f16 v64, v64, v69
	v_pk_max_f16 v57, v57, v57
	v_pk_max_f16 v59, v59, v59
	v_pk_add_f16 v56, v5, v129
	v_pk_min_f16 v12, v12, v128
	v_pk_add_f16 v76, v18, v68
	v_pk_min_f16 v72, v72, v151
	v_pk_min_f16 v84, v65, v75
	v_pk_max_f16 v65, v80, v80
	v_pk_max_f16 v67, v79, v79
	v_pk_min_f16 v81, v64, v66
	v_pk_min_f16 v57, v57, v73
	v_pk_add_f16 v64, v9, v129
	v_pk_min_f16 v59, v59, v74
	v_pk_max_f16 v55, v55, v55
	v_pk_min_f16 v73, v12, v56
	v_pk_max_f16 v12, v52, v52
	v_pk_min_f16 v87, v72, v76
	v_pk_add_f16 v76, v3, v68
	v_pk_add_f16 v68, v24, v129
	v_pk_min_f16 v65, v65, v133
	v_pk_add_f16 v69, v18, v129
	v_pk_min_f16 v67, v67, v134
	v_pk_max_f16 v58, v58, v58
	v_pk_min_f16 v75, v59, v64
	v_pk_add_f16 v59, v18, v131
	v_pk_min_f16 v55, v55, v154
	v_pk_add_f16 v52, v20, v131
	v_pk_min_f16 v12, v12, v155
	v_pk_max_f16 v48, v48, v48
	v_pk_max_f16 v72, v83, v83
	v_pk_min_f16 v80, v65, v68
	v_pk_min_f16 v79, v67, v69
	v_pk_add_f16 v65, v3, v129
	v_pk_min_f16 v58, v58, v71
	v_pk_min_f16 v69, v55, v59
	v_pk_add_f16 v55, v3, v131
	v_pk_min_f16 v48, v48, v62
	v_pk_min_f16 v68, v12, v52
	v_pk_max_f16 v12, v49, v49
	v_pk_min_f16 v72, v72, v166
	v_pk_add_f16 v63, v7, v129
	v_pk_min_f16 v74, v58, v65
	v_pk_max_f16 v54, v54, v54
	v_pk_max_f16 v53, v53, v53
	v_pk_min_f16 v65, v48, v55
	v_pk_add_f16 v48, v5, v131
	v_pk_min_f16 v12, v12, v130
	v_pk_min_f16 v83, v72, v76
	;; [unrolled: 1-line block ×3, first 2 shown]
	v_pk_add_f16 v57, v22, v131
	v_pk_min_f16 v54, v54, v153
	v_pk_add_f16 v58, v24, v131
	v_pk_min_f16 v53, v53, v135
	v_pk_max_f16 v51, v51, v51
	v_pk_max_f16 v50, v50, v50
	v_pk_min_f16 v64, v12, v48
	v_pk_max_f16 v12, v31, v31
	v_pk_min_f16 v72, v54, v57
	v_pk_min_f16 v71, v53, v58
	v_pk_add_f16 v53, v7, v131
	v_pk_min_f16 v51, v51, v156
	v_pk_add_f16 v54, v9, v131
	v_pk_min_f16 v50, v50, v167
	v_pk_max_f16 v37, v37, v37
	v_pk_max_f16 v36, v36, v36
	;; [unrolled: 1-line block ×3, first 2 shown]
	v_pk_add_f16 v31, v20, v11
	v_pk_min_f16 v12, v12, v158
	v_pk_min_f16 v67, v51, v53
	;; [unrolled: 1-line block ×3, first 2 shown]
	v_pk_add_f16 v49, v22, v11
	v_pk_min_f16 v37, v37, v157
	v_pk_add_f16 v50, v24, v11
	v_pk_min_f16 v36, v36, v168
	;; [unrolled: 2-line block ×3, first 2 shown]
	v_pk_min_f16 v60, v12, v31
	v_pk_max_f16 v12, v26, v26
	v_pk_min_f16 v63, v37, v49
	v_pk_min_f16 v62, v36, v50
	;; [unrolled: 1-line block ×3, first 2 shown]
	v_pk_add_f16 v35, v7, v11
	v_pk_add_f16 v36, v9, v11
	;; [unrolled: 1-line block ×4, first 2 shown]
	v_pk_max_f16 v15, v15, v15
	v_pk_min_f16 v10, v12, v10
	v_pk_max_f16 v12, v34, v34
	v_pk_add_f16 v22, v22, v13
	v_pk_max_f16 v32, v32, v32
	v_pk_min_f16 v15, v15, v21
	v_pk_min_f16 v56, v10, v11
	v_pk_max_f16 v11, v27, v27
	v_pk_max_f16 v30, v30, v30
	;; [unrolled: 1-line block ×4, first 2 shown]
	v_pk_add_f16 v21, v24, v13
	v_pk_min_f16 v12, v12, v23
	v_pk_min_f16 v55, v15, v22
	v_pk_max_f16 v10, v29, v29
	v_pk_max_f16 v15, v25, v25
	v_pk_min_f16 v6, v11, v6
	v_pk_max_f16 v11, v16, v16
	v_pk_max_f16 v14, v14, v14
	v_pk_min_f16 v32, v32, v159
	v_pk_min_f16 v30, v30, v160
	;; [unrolled: 1-line block ×3, first 2 shown]
	v_pk_add_f16 v18, v18, v13
	v_pk_min_f16 v17, v26, v17
	v_pk_min_f16 v54, v12, v21
	v_pk_add_f16 v12, v20, v13
	v_pk_min_f16 v10, v10, v19
	v_pk_add_f16 v7, v7, v13
	v_pk_add_f16 v9, v9, v13
	v_pk_min_f16 v8, v15, v8
	v_pk_add_f16 v3, v3, v13
	v_pk_min_f16 v2, v11, v2
	;; [unrolled: 2-line block ×3, first 2 shown]
	v_add_co_u32 v46, s6, v46, 16
	v_pk_min_f16 v59, v32, v35
	v_pk_min_f16 v58, v30, v36
	v_pk_min_f16 v57, v28, v37
	v_pk_min_f16 v53, v17, v18
	v_pk_min_f16 v52, v10, v12
	v_pk_min_f16 v51, v6, v7
	v_pk_min_f16 v50, v8, v9
	v_pk_min_f16 v49, v2, v3
	v_pk_min_f16 v48, v4, v5
	v_add_co_ci_u32_e64 v47, null, 0, v47, s6
	s_add_i32 s26, s26, 8
	ds_write_b16 v116, v123
	ds_write_b16 v117, v124
	ds_write_b16 v117, v125 offset:512
	ds_write_b16 v117, v126 offset:1024
	;; [unrolled: 1-line block ×3, first 2 shown]
	s_cmp_ge_i32 s26, s18
	s_waitcnt lgkmcnt(0)
	s_barrier
	buffer_gl0_inv
	s_cbranch_scc1 .LBB230_59
.LBB230_35:                             ; =>This Inner Loop Header: Depth=1
	v_add_nc_u32_e32 v7, s26, v70
                                        ; implicit-def: $vgpr8
	v_add_nc_u32_e32 v2, 8, v7
	v_cmp_le_i32_e64 s6, s14, v2
	s_or_b32 s7, s6, vcc_lo
	s_nor_b32 s6, s24, s7
	s_and_saveexec_b32 s27, s6
	s_xor_b32 s27, exec_lo, s27
	s_cbranch_execz .LBB230_37
; %bb.36:                               ;   in Loop: Header=BB230_35 Depth=1
	v_add_co_u32 v2, s6, -8, v46
	v_add_co_ci_u32_e64 v3, null, -1, v47, s6
	flat_load_ushort v2, v[2:3]
	s_waitcnt vmcnt(0) lgkmcnt(0)
	v_mul_f16_e32 v8, s15, v2
.LBB230_37:                             ;   in Loop: Header=BB230_35 Depth=1
	s_andn2_saveexec_b32 s6, s27
; %bb.38:                               ;   in Loop: Header=BB230_35 Depth=1
	v_cndmask_b32_e64 v8, 0, 0x7c00, s7
; %bb.39:                               ;   in Loop: Header=BB230_35 Depth=1
	s_or_b32 exec_lo, exec_lo, s6
	v_add_nc_u32_e32 v6, s26, v77
	v_add_nc_u32_e32 v4, 8, v6
	v_min_i32_e32 v2, s19, v4
	v_cmp_le_i32_e64 s6, s14, v4
	v_mad_i64_i32 v[2:3], null, v2, s25, 0
	v_lshlrev_b64 v[2:3], 1, v[2:3]
	v_add_co_u32 v2, s7, s8, v2
	v_add_co_ci_u32_e64 v3, null, s9, v3, s7
	s_or_b32 s7, s0, s6
	v_cndmask_b32_e64 v21, 0, 0x7c00, s7
	s_nor_b32 s7, s24, s7
	s_and_saveexec_b32 s27, s7
	s_cbranch_execz .LBB230_41
; %bb.40:                               ;   in Loop: Header=BB230_35 Depth=1
	v_add_co_u32 v4, s7, v2, v38
	v_add_co_ci_u32_e64 v5, null, v3, v39, s7
	flat_load_ushort v4, v[4:5]
	s_waitcnt vmcnt(0) lgkmcnt(0)
	v_mul_f16_e32 v21, s15, v4
.LBB230_41:                             ;   in Loop: Header=BB230_35 Depth=1
	s_or_b32 exec_lo, exec_lo, s27
	s_or_b32 s7, s1, s6
	v_cndmask_b32_e64 v123, 0, 0x7c00, s7
	s_nor_b32 s7, s7, s24
	s_and_saveexec_b32 s27, s7
	s_cbranch_execz .LBB230_43
; %bb.42:                               ;   in Loop: Header=BB230_35 Depth=1
	v_add_co_u32 v4, s7, v2, v40
	v_add_co_ci_u32_e64 v5, null, v3, v41, s7
	flat_load_ushort v4, v[4:5]
	s_waitcnt vmcnt(0) lgkmcnt(0)
	v_mul_f16_e32 v123, s15, v4
.LBB230_43:                             ;   in Loop: Header=BB230_35 Depth=1
	s_or_b32 exec_lo, exec_lo, s27
	;; [unrolled: 13-line block ×4, first 2 shown]
	ds_read2_b64 v[17:20], v118 offset1:8
	ds_read2_b64 v[2:5], v118 offset0:16 offset1:24
	ds_read2_b64 v[9:12], v118 offset0:32 offset1:40
	;; [unrolled: 1-line block ×3, first 2 shown]
	ds_read2_b64 v[34:37], v119 offset1:32
	ds_read2_b64 v[30:33], v119 offset0:64 offset1:96
	ds_read2_b64 v[26:29], v119 offset0:128 offset1:160
	;; [unrolled: 1-line block ×3, first 2 shown]
	v_add_nc_u32_e32 v7, 12, v7
	ds_write_b16 v114, v8
	ds_write_b16 v102, v21
	ds_write_b16 v102, v123 offset:512
	ds_write_b16 v102, v124 offset:1024
	;; [unrolled: 1-line block ×3, first 2 shown]
	s_waitcnt lgkmcnt(0)
	s_barrier
	v_cmp_le_i32_e64 s6, s14, v7
	buffer_gl0_inv
                                        ; implicit-def: $vgpr123
	s_or_b32 s6, s6, vcc_lo
	s_nor_b32 s7, s24, s6
	s_and_saveexec_b32 s27, s7
	s_xor_b32 s7, exec_lo, s27
	s_cbranch_execz .LBB230_49
; %bb.48:                               ;   in Loop: Header=BB230_35 Depth=1
	flat_load_ushort v7, v[46:47]
	s_waitcnt vmcnt(0) lgkmcnt(0)
	v_mul_f16_e32 v123, s15, v7
.LBB230_49:                             ;   in Loop: Header=BB230_35 Depth=1
	s_andn2_saveexec_b32 s7, s7
; %bb.50:                               ;   in Loop: Header=BB230_35 Depth=1
	v_cndmask_b32_e64 v123, 0, 0x7c00, s6
; %bb.51:                               ;   in Loop: Header=BB230_35 Depth=1
	s_or_b32 exec_lo, exec_lo, s7
	v_add_nc_u32_e32 v8, 12, v6
	v_min_i32_e32 v6, s19, v8
	v_cmp_le_i32_e64 s6, s14, v8
	v_mad_i64_i32 v[6:7], null, v6, s25, 0
	v_lshlrev_b64 v[6:7], 1, v[6:7]
	v_add_co_u32 v6, s7, s8, v6
	v_add_co_ci_u32_e64 v7, null, s9, v7, s7
	s_or_b32 s7, s0, s6
	v_cndmask_b32_e64 v124, 0, 0x7c00, s7
	s_nor_b32 s7, s24, s7
	s_and_saveexec_b32 s27, s7
	s_cbranch_execz .LBB230_53
; %bb.52:                               ;   in Loop: Header=BB230_35 Depth=1
	v_add_co_u32 v124, s7, v6, v38
	v_add_co_ci_u32_e64 v125, null, v7, v39, s7
	flat_load_ushort v8, v[124:125]
	s_waitcnt vmcnt(0) lgkmcnt(0)
	v_mul_f16_e32 v124, s15, v8
.LBB230_53:                             ;   in Loop: Header=BB230_35 Depth=1
	s_or_b32 exec_lo, exec_lo, s27
	s_or_b32 s7, s1, s6
	v_cndmask_b32_e64 v125, 0, 0x7c00, s7
	s_nor_b32 s7, s7, s24
	s_and_saveexec_b32 s27, s7
	s_cbranch_execz .LBB230_55
; %bb.54:                               ;   in Loop: Header=BB230_35 Depth=1
	v_add_co_u32 v125, s7, v6, v40
	v_add_co_ci_u32_e64 v126, null, v7, v41, s7
	flat_load_ushort v8, v[125:126]
	s_waitcnt vmcnt(0) lgkmcnt(0)
	v_mul_f16_e32 v125, s15, v8
.LBB230_55:                             ;   in Loop: Header=BB230_35 Depth=1
	s_or_b32 exec_lo, exec_lo, s27
	;; [unrolled: 13-line block ×3, first 2 shown]
	s_or_b32 s6, s3, s6
	v_cndmask_b32_e64 v127, 0, 0x7c00, s6
	s_nor_b32 s6, s6, s24
	s_and_saveexec_b32 s7, s6
	s_cbranch_execz .LBB230_34
; %bb.58:                               ;   in Loop: Header=BB230_35 Depth=1
	v_add_co_u32 v6, s6, v6, v44
	v_add_co_ci_u32_e64 v7, null, v7, v45, s6
	flat_load_ushort v6, v[6:7]
	s_waitcnt vmcnt(0) lgkmcnt(0)
	v_mul_f16_e32 v127, s15, v6
	s_branch .LBB230_34
.LBB230_59:
	s_clause 0x2
	s_load_dword s14, s[4:5], 0x50
	s_load_dword s9, s[4:5], 0x68
	s_load_dwordx2 s[2:3], s[4:5], 0x70
	v_add_nc_u32_e32 v2, 0x1000, v97
	v_add_nc_u32_e32 v77, s21, v1
	;; [unrolled: 1-line block ×4, first 2 shown]
	ds_read2_b64 v[16:19], v2 offset0:64 offset1:72
	ds_read2_b64 v[12:15], v2 offset0:80 offset1:88
	;; [unrolled: 1-line block ×4, first 2 shown]
	ds_read2_b64 v[28:31], v4 offset1:32
	ds_read2_b64 v[24:27], v4 offset0:64 offset1:96
	ds_read2_b64 v[20:23], v4 offset0:128 offset1:160
	;; [unrolled: 1-line block ×3, first 2 shown]
	v_cmp_gt_i32_e64 s0, s12, v32
	v_cmp_gt_i32_e64 s8, s13, v77
	v_ashrrev_i32_e32 v33, 31, v32
	v_cndmask_b32_e64 v70, 0, 1, s23
	s_waitcnt lgkmcnt(0)
	v_mad_i64_i32 v[34:35], null, v77, s14, 0
	v_mad_i64_i32 v[36:37], null, v77, s9, 0
	s_lshl_b64 s[2:3], s[2:3], 1
	s_add_u32 s15, s16, s2
	s_addc_u32 s16, s17, s3
	v_lshlrev_b64 v[34:35], 1, v[34:35]
	s_and_b32 s2, s0, s8
	v_lshlrev_b64 v[36:37], 1, v[36:37]
	v_add_co_u32 v102, vcc_lo, s10, v34
	v_add_co_ci_u32_e64 v114, null, s11, v35, vcc_lo
	v_add_co_u32 v96, vcc_lo, s15, v36
	v_add_co_ci_u32_e64 v97, null, s16, v37, vcc_lo
	s_and_saveexec_b32 s1, s2
	s_cbranch_execz .LBB230_64
; %bb.60:
	s_andn2_b32 vcc_lo, exec_lo, s23
	s_cbranch_vccnz .LBB230_62
; %bb.61:
	v_lshlrev_b64 v[34:35], 1, v[32:33]
	v_add_co_u32 v34, vcc_lo, v102, v34
	v_add_co_ci_u32_e64 v35, null, v114, v35, vcc_lo
	flat_load_ushort v34, v[34:35]
	s_waitcnt vmcnt(0) lgkmcnt(0)
	v_mul_f16_e32 v34, s22, v34
	v_cvt_f32_f16_e32 v34, v34
	s_branch .LBB230_63
.LBB230_62:
	v_mov_b32_e32 v34, 0
.LBB230_63:
	v_pk_add_f16 v35, v16, v28
	v_pk_add_f16 v36, v17, v29
	v_max_f16_e32 v37, v122, v122
	v_lshrrev_b32_e32 v38, 16, v122
	v_max_f32_e32 v34, v34, v34
	v_lshrrev_b32_e32 v39, 16, v35
	v_lshrrev_b32_e32 v40, 16, v36
	v_min_f16_e32 v35, v37, v35
	v_min3_f16 v37, v38, v39, v40
	v_min3_f16 v35, v35, v36, v37
	v_cvt_f32_f16_e32 v35, v35
	v_min_f32_e32 v36, v34, v35
	v_lshlrev_b64 v[34:35], 1, v[32:33]
	v_cvt_f16_f32_e32 v36, v36
	v_add_co_u32 v34, vcc_lo, v96, v34
	v_add_co_ci_u32_e64 v35, null, v97, v35, vcc_lo
	flat_store_short v[34:35], v36
.LBB230_64:
	s_or_b32 exec_lo, exec_lo, s1
	v_add_nc_u32_e32 v34, 8, v32
	v_cmp_gt_i32_e64 s1, s12, v34
	v_ashrrev_i32_e32 v35, 31, v34
	s_and_b32 s3, s1, s8
	s_and_saveexec_b32 s2, s3
	s_cbranch_execz .LBB230_69
; %bb.65:
	v_cmp_ne_u32_e32 vcc_lo, 1, v70
	s_cbranch_vccnz .LBB230_67
; %bb.66:
	v_lshlrev_b64 v[36:37], 1, v[34:35]
	v_add_co_u32 v36, vcc_lo, v102, v36
	v_add_co_ci_u32_e64 v37, null, v114, v37, vcc_lo
	flat_load_ushort v36, v[36:37]
	s_waitcnt vmcnt(0) lgkmcnt(0)
	v_mul_f16_e32 v36, s22, v36
	v_cvt_f32_f16_e32 v36, v36
	s_branch .LBB230_68
.LBB230_67:
	v_mov_b32_e32 v36, 0
.LBB230_68:
	v_pk_add_f16 v37, v18, v28
	v_pk_add_f16 v38, v19, v29
	v_max_f16_e32 v39, v121, v121
	v_lshrrev_b32_e32 v40, 16, v121
	v_max_f32_e32 v36, v36, v36
	v_lshrrev_b32_e32 v41, 16, v37
	v_lshrrev_b32_e32 v42, 16, v38
	v_min_f16_e32 v37, v39, v37
	v_min3_f16 v39, v40, v41, v42
	v_min3_f16 v37, v37, v38, v39
	v_cvt_f32_f16_e32 v37, v37
	v_min_f32_e32 v38, v36, v37
	v_lshlrev_b64 v[36:37], 1, v[34:35]
	v_cvt_f16_f32_e32 v38, v38
	v_add_co_u32 v36, vcc_lo, v96, v36
	v_add_co_ci_u32_e64 v37, null, v97, v37, vcc_lo
	flat_store_short v[36:37], v38
.LBB230_69:
	s_or_b32 exec_lo, exec_lo, s2
	v_add_nc_u32_e32 v36, 16, v32
	v_cmp_gt_i32_e64 s2, s12, v36
	v_ashrrev_i32_e32 v37, 31, v36
	s_and_b32 s4, s2, s8
	s_and_saveexec_b32 s3, s4
	s_cbranch_execz .LBB230_74
; %bb.70:
	v_cmp_ne_u32_e32 vcc_lo, 1, v70
	s_cbranch_vccnz .LBB230_72
; %bb.71:
	v_lshlrev_b64 v[38:39], 1, v[36:37]
	v_add_co_u32 v38, vcc_lo, v102, v38
	v_add_co_ci_u32_e64 v39, null, v114, v39, vcc_lo
	flat_load_ushort v38, v[38:39]
	s_waitcnt vmcnt(0) lgkmcnt(0)
	v_mul_f16_e32 v38, s22, v38
	v_cvt_f32_f16_e32 v38, v38
	s_branch .LBB230_73
.LBB230_72:
	v_mov_b32_e32 v38, 0
.LBB230_73:
	v_pk_add_f16 v39, v12, v28
	v_pk_add_f16 v40, v13, v29
	v_max_f16_e32 v41, v120, v120
	v_lshrrev_b32_e32 v42, 16, v120
	v_max_f32_e32 v38, v38, v38
	v_lshrrev_b32_e32 v43, 16, v39
	v_lshrrev_b32_e32 v44, 16, v40
	v_min_f16_e32 v39, v41, v39
	v_min3_f16 v41, v42, v43, v44
	v_min3_f16 v39, v39, v40, v41
	v_cvt_f32_f16_e32 v39, v39
	v_min_f32_e32 v40, v38, v39
	v_lshlrev_b64 v[38:39], 1, v[36:37]
	v_cvt_f16_f32_e32 v40, v40
	v_add_co_u32 v38, vcc_lo, v96, v38
	v_add_co_ci_u32_e64 v39, null, v97, v39, vcc_lo
	flat_store_short v[38:39], v40
.LBB230_74:
	;; [unrolled: 40-line block ×6, first 2 shown]
	s_or_b32 exec_lo, exec_lo, s7
	v_add_nc_u32_e32 v46, 56, v32
	v_cmp_gt_i32_e64 s7, s12, v46
	v_ashrrev_i32_e32 v47, 31, v46
	s_and_b32 s12, s7, s8
	s_and_saveexec_b32 s8, s12
	s_cbranch_execz .LBB230_99
; %bb.95:
	v_cmp_ne_u32_e32 vcc_lo, 1, v70
	s_cbranch_vccnz .LBB230_97
; %bb.96:
	v_lshlrev_b64 v[110:111], 1, v[46:47]
	v_add_co_u32 v110, vcc_lo, v102, v110
	v_add_co_ci_u32_e64 v111, null, v114, v111, vcc_lo
	flat_load_ushort v102, v[110:111]
	s_waitcnt vmcnt(0) lgkmcnt(0)
	v_mul_f16_e32 v102, s22, v102
	v_cvt_f32_f16_e32 v102, v102
	s_branch .LBB230_98
.LBB230_97:
	v_mov_b32_e32 v102, 0
.LBB230_98:
	v_pk_add_f16 v28, v2, v28
	v_pk_add_f16 v29, v3, v29
	v_max_f16_e32 v110, v109, v109
	v_lshrrev_b32_e32 v109, 16, v109
	v_lshrrev_b32_e32 v111, 16, v28
	;; [unrolled: 1-line block ×3, first 2 shown]
	v_min_f16_e32 v28, v110, v28
	v_min3_f16 v109, v109, v111, v112
	v_min3_f16 v28, v28, v29, v109
	v_max_f32_e32 v29, v102, v102
	v_cvt_f32_f16_e32 v28, v28
	v_min_f32_e32 v102, v29, v28
	v_lshlrev_b64 v[28:29], 1, v[46:47]
	v_cvt_f16_f32_e32 v102, v102
	v_add_co_u32 v28, vcc_lo, v96, v28
	v_add_co_ci_u32_e64 v29, null, v97, v29, vcc_lo
	flat_store_short v[28:29], v102
.LBB230_99:
	s_or_b32 exec_lo, exec_lo, s8
	v_add_nc_u32_e32 v102, 32, v77
	v_mad_i64_i32 v[28:29], null, v102, s14, 0
	v_mad_i64_i32 v[96:97], null, v102, s9, 0
	v_cmp_gt_i32_e64 s8, s13, v102
	v_lshlrev_b64 v[28:29], 1, v[28:29]
	s_and_b32 s17, s0, s8
	v_lshlrev_b64 v[109:110], 1, v[96:97]
	v_add_co_u32 v96, vcc_lo, s10, v28
	v_add_co_ci_u32_e64 v97, null, s11, v29, vcc_lo
	v_add_co_u32 v28, vcc_lo, s15, v109
	v_add_co_ci_u32_e64 v29, null, s16, v110, vcc_lo
	s_and_saveexec_b32 s12, s17
	s_cbranch_execnz .LBB230_107
; %bb.100:
	s_or_b32 exec_lo, exec_lo, s12
	s_and_b32 s17, s1, s8
	s_and_saveexec_b32 s12, s17
	s_cbranch_execnz .LBB230_111
.LBB230_101:
	s_or_b32 exec_lo, exec_lo, s12
	s_and_b32 s17, s2, s8
	s_and_saveexec_b32 s12, s17
	s_cbranch_execnz .LBB230_115
.LBB230_102:
	s_or_b32 exec_lo, exec_lo, s12
	s_and_b32 s17, s3, s8
	s_and_saveexec_b32 s12, s17
	s_cbranch_execnz .LBB230_119
.LBB230_103:
	s_or_b32 exec_lo, exec_lo, s12
	s_and_b32 s17, s4, s8
	s_and_saveexec_b32 s12, s17
	s_cbranch_execnz .LBB230_123
.LBB230_104:
	s_or_b32 exec_lo, exec_lo, s12
	s_and_b32 s17, s5, s8
	s_and_saveexec_b32 s12, s17
	s_cbranch_execnz .LBB230_127
.LBB230_105:
	s_or_b32 exec_lo, exec_lo, s12
	s_and_b32 s17, s6, s8
	s_and_saveexec_b32 s12, s17
	s_cbranch_execnz .LBB230_131
.LBB230_106:
	s_or_b32 exec_lo, exec_lo, s12
	s_and_b32 s12, s7, s8
	s_and_saveexec_b32 s8, s12
	s_cbranch_execnz .LBB230_135
	s_branch .LBB230_139
.LBB230_107:
	v_cmp_ne_u32_e32 vcc_lo, 1, v70
	s_cbranch_vccnz .LBB230_109
; %bb.108:
	v_lshlrev_b64 v[109:110], 1, v[32:33]
	v_add_co_u32 v109, vcc_lo, v96, v109
	v_add_co_ci_u32_e64 v110, null, v97, v110, vcc_lo
	flat_load_ushort v102, v[109:110]
	s_waitcnt vmcnt(0) lgkmcnt(0)
	v_mul_f16_e32 v102, s22, v102
	v_cvt_f32_f16_e32 v102, v102
	s_branch .LBB230_110
.LBB230_109:
	v_mov_b32_e32 v102, 0
.LBB230_110:
	v_pk_add_f16 v109, v16, v30
	v_pk_add_f16 v110, v17, v31
	v_max_f16_e32 v111, v108, v108
	v_lshrrev_b32_e32 v108, 16, v108
	v_max_f32_e32 v102, v102, v102
	v_lshrrev_b32_e32 v112, 16, v109
	v_lshrrev_b32_e32 v113, 16, v110
	v_min_f16_e32 v109, v111, v109
	v_min3_f16 v108, v108, v112, v113
	v_min3_f16 v108, v109, v110, v108
	v_cvt_f32_f16_e32 v108, v108
	v_min_f32_e32 v102, v102, v108
	v_lshlrev_b64 v[108:109], 1, v[32:33]
	v_cvt_f16_f32_e32 v102, v102
	v_add_co_u32 v108, vcc_lo, v28, v108
	v_add_co_ci_u32_e64 v109, null, v29, v109, vcc_lo
	flat_store_short v[108:109], v102
	s_or_b32 exec_lo, exec_lo, s12
	s_and_b32 s17, s1, s8
	s_and_saveexec_b32 s12, s17
	s_cbranch_execz .LBB230_101
.LBB230_111:
	v_cmp_ne_u32_e32 vcc_lo, 1, v70
	s_cbranch_vccnz .LBB230_113
; %bb.112:
	v_lshlrev_b64 v[108:109], 1, v[34:35]
	v_add_co_u32 v108, vcc_lo, v96, v108
	v_add_co_ci_u32_e64 v109, null, v97, v109, vcc_lo
	flat_load_ushort v102, v[108:109]
	s_waitcnt vmcnt(0) lgkmcnt(0)
	v_mul_f16_e32 v102, s22, v102
	v_cvt_f32_f16_e32 v102, v102
	s_branch .LBB230_114
.LBB230_113:
	v_mov_b32_e32 v102, 0
.LBB230_114:
	v_pk_add_f16 v108, v18, v30
	v_pk_add_f16 v109, v19, v31
	v_max_f16_e32 v110, v107, v107
	v_lshrrev_b32_e32 v107, 16, v107
	v_max_f32_e32 v102, v102, v102
	v_lshrrev_b32_e32 v111, 16, v108
	v_lshrrev_b32_e32 v112, 16, v109
	v_min_f16_e32 v108, v110, v108
	v_min3_f16 v107, v107, v111, v112
	v_min3_f16 v107, v108, v109, v107
	v_cvt_f32_f16_e32 v107, v107
	v_min_f32_e32 v102, v102, v107
	v_lshlrev_b64 v[107:108], 1, v[34:35]
	v_cvt_f16_f32_e32 v102, v102
	v_add_co_u32 v107, vcc_lo, v28, v107
	v_add_co_ci_u32_e64 v108, null, v29, v108, vcc_lo
	flat_store_short v[107:108], v102
	s_or_b32 exec_lo, exec_lo, s12
	s_and_b32 s17, s2, s8
	s_and_saveexec_b32 s12, s17
	s_cbranch_execz .LBB230_102
.LBB230_115:
	v_cmp_ne_u32_e32 vcc_lo, 1, v70
	s_cbranch_vccnz .LBB230_117
; %bb.116:
	v_lshlrev_b64 v[107:108], 1, v[36:37]
	v_add_co_u32 v107, vcc_lo, v96, v107
	v_add_co_ci_u32_e64 v108, null, v97, v108, vcc_lo
	flat_load_ushort v102, v[107:108]
	s_waitcnt vmcnt(0) lgkmcnt(0)
	v_mul_f16_e32 v102, s22, v102
	v_cvt_f32_f16_e32 v102, v102
	s_branch .LBB230_118
.LBB230_117:
	v_mov_b32_e32 v102, 0
.LBB230_118:
	v_pk_add_f16 v107, v12, v30
	v_pk_add_f16 v108, v13, v31
	v_max_f16_e32 v109, v106, v106
	v_lshrrev_b32_e32 v106, 16, v106
	v_max_f32_e32 v102, v102, v102
	v_lshrrev_b32_e32 v110, 16, v107
	v_lshrrev_b32_e32 v111, 16, v108
	v_min_f16_e32 v107, v109, v107
	v_min3_f16 v106, v106, v110, v111
	v_min3_f16 v106, v107, v108, v106
	v_cvt_f32_f16_e32 v106, v106
	v_min_f32_e32 v102, v102, v106
	v_lshlrev_b64 v[106:107], 1, v[36:37]
	v_cvt_f16_f32_e32 v102, v102
	v_add_co_u32 v106, vcc_lo, v28, v106
	v_add_co_ci_u32_e64 v107, null, v29, v107, vcc_lo
	flat_store_short v[106:107], v102
	s_or_b32 exec_lo, exec_lo, s12
	s_and_b32 s17, s3, s8
	s_and_saveexec_b32 s12, s17
	s_cbranch_execz .LBB230_103
.LBB230_119:
	v_cmp_ne_u32_e32 vcc_lo, 1, v70
	s_cbranch_vccnz .LBB230_121
; %bb.120:
	v_lshlrev_b64 v[106:107], 1, v[38:39]
	v_add_co_u32 v106, vcc_lo, v96, v106
	v_add_co_ci_u32_e64 v107, null, v97, v107, vcc_lo
	flat_load_ushort v102, v[106:107]
	s_waitcnt vmcnt(0) lgkmcnt(0)
	v_mul_f16_e32 v102, s22, v102
	v_cvt_f32_f16_e32 v102, v102
	s_branch .LBB230_122
.LBB230_121:
	v_mov_b32_e32 v102, 0
.LBB230_122:
	v_pk_add_f16 v106, v14, v30
	v_pk_add_f16 v107, v15, v31
	v_max_f16_e32 v108, v105, v105
	v_lshrrev_b32_e32 v105, 16, v105
	v_max_f32_e32 v102, v102, v102
	v_lshrrev_b32_e32 v109, 16, v106
	v_lshrrev_b32_e32 v110, 16, v107
	v_min_f16_e32 v106, v108, v106
	v_min3_f16 v105, v105, v109, v110
	v_min3_f16 v105, v106, v107, v105
	v_cvt_f32_f16_e32 v105, v105
	v_min_f32_e32 v102, v102, v105
	v_lshlrev_b64 v[105:106], 1, v[38:39]
	v_cvt_f16_f32_e32 v102, v102
	v_add_co_u32 v105, vcc_lo, v28, v105
	v_add_co_ci_u32_e64 v106, null, v29, v106, vcc_lo
	flat_store_short v[105:106], v102
	s_or_b32 exec_lo, exec_lo, s12
	s_and_b32 s17, s4, s8
	s_and_saveexec_b32 s12, s17
	s_cbranch_execz .LBB230_104
.LBB230_123:
	v_cmp_ne_u32_e32 vcc_lo, 1, v70
	s_cbranch_vccnz .LBB230_125
; %bb.124:
	v_lshlrev_b64 v[105:106], 1, v[40:41]
	v_add_co_u32 v105, vcc_lo, v96, v105
	v_add_co_ci_u32_e64 v106, null, v97, v106, vcc_lo
	flat_load_ushort v102, v[105:106]
	s_waitcnt vmcnt(0) lgkmcnt(0)
	v_mul_f16_e32 v102, s22, v102
	v_cvt_f32_f16_e32 v102, v102
	s_branch .LBB230_126
.LBB230_125:
	v_mov_b32_e32 v102, 0
.LBB230_126:
	v_pk_add_f16 v105, v8, v30
	v_pk_add_f16 v106, v9, v31
	v_max_f16_e32 v107, v104, v104
	v_lshrrev_b32_e32 v104, 16, v104
	v_max_f32_e32 v102, v102, v102
	v_lshrrev_b32_e32 v108, 16, v105
	v_lshrrev_b32_e32 v109, 16, v106
	v_min_f16_e32 v105, v107, v105
	v_min3_f16 v104, v104, v108, v109
	v_min3_f16 v104, v105, v106, v104
	v_cvt_f32_f16_e32 v104, v104
	v_min_f32_e32 v102, v102, v104
	v_lshlrev_b64 v[104:105], 1, v[40:41]
	v_cvt_f16_f32_e32 v102, v102
	v_add_co_u32 v104, vcc_lo, v28, v104
	v_add_co_ci_u32_e64 v105, null, v29, v105, vcc_lo
	flat_store_short v[104:105], v102
	s_or_b32 exec_lo, exec_lo, s12
	s_and_b32 s17, s5, s8
	s_and_saveexec_b32 s12, s17
	s_cbranch_execz .LBB230_105
.LBB230_127:
	v_cmp_ne_u32_e32 vcc_lo, 1, v70
	s_cbranch_vccnz .LBB230_129
; %bb.128:
	v_lshlrev_b64 v[104:105], 1, v[42:43]
	v_add_co_u32 v104, vcc_lo, v96, v104
	v_add_co_ci_u32_e64 v105, null, v97, v105, vcc_lo
	flat_load_ushort v102, v[104:105]
	s_waitcnt vmcnt(0) lgkmcnt(0)
	v_mul_f16_e32 v102, s22, v102
	v_cvt_f32_f16_e32 v102, v102
	s_branch .LBB230_130
.LBB230_129:
	v_mov_b32_e32 v102, 0
.LBB230_130:
	v_pk_add_f16 v104, v10, v30
	v_pk_add_f16 v105, v11, v31
	v_max_f16_e32 v106, v103, v103
	v_lshrrev_b32_e32 v103, 16, v103
	v_max_f32_e32 v102, v102, v102
	v_lshrrev_b32_e32 v107, 16, v104
	v_lshrrev_b32_e32 v108, 16, v105
	v_min_f16_e32 v104, v106, v104
	v_min3_f16 v103, v103, v107, v108
	v_min3_f16 v103, v104, v105, v103
	v_cvt_f32_f16_e32 v103, v103
	v_min_f32_e32 v104, v102, v103
	v_lshlrev_b64 v[102:103], 1, v[42:43]
	v_cvt_f16_f32_e32 v104, v104
	v_add_co_u32 v102, vcc_lo, v28, v102
	v_add_co_ci_u32_e64 v103, null, v29, v103, vcc_lo
	flat_store_short v[102:103], v104
	s_or_b32 exec_lo, exec_lo, s12
	s_and_b32 s17, s6, s8
	s_and_saveexec_b32 s12, s17
	s_cbranch_execz .LBB230_106
.LBB230_131:
	v_cmp_ne_u32_e32 vcc_lo, 1, v70
	s_cbranch_vccnz .LBB230_133
; %bb.132:
	v_lshlrev_b64 v[102:103], 1, v[44:45]
	v_add_co_u32 v102, vcc_lo, v96, v102
	v_add_co_ci_u32_e64 v103, null, v97, v103, vcc_lo
	flat_load_ushort v102, v[102:103]
	s_waitcnt vmcnt(0) lgkmcnt(0)
	v_mul_f16_e32 v102, s22, v102
	v_cvt_f32_f16_e32 v102, v102
	s_branch .LBB230_134
.LBB230_133:
	v_mov_b32_e32 v102, 0
.LBB230_134:
	v_pk_add_f16 v103, v0, v30
	v_pk_add_f16 v104, v1, v31
	v_max_f16_e32 v105, v101, v101
	v_lshrrev_b32_e32 v101, 16, v101
	v_max_f32_e32 v102, v102, v102
	v_lshrrev_b32_e32 v106, 16, v103
	v_lshrrev_b32_e32 v107, 16, v104
	v_min_f16_e32 v103, v105, v103
	v_min3_f16 v101, v101, v106, v107
	v_min3_f16 v101, v103, v104, v101
	v_cvt_f32_f16_e32 v101, v101
	v_min_f32_e32 v103, v102, v101
	v_lshlrev_b64 v[101:102], 1, v[44:45]
	v_cvt_f16_f32_e32 v103, v103
	v_add_co_u32 v101, vcc_lo, v28, v101
	v_add_co_ci_u32_e64 v102, null, v29, v102, vcc_lo
	flat_store_short v[101:102], v103
	s_or_b32 exec_lo, exec_lo, s12
	s_and_b32 s12, s7, s8
	s_and_saveexec_b32 s8, s12
	s_cbranch_execz .LBB230_139
.LBB230_135:
	v_cmp_ne_u32_e32 vcc_lo, 1, v70
	s_cbranch_vccnz .LBB230_137
; %bb.136:
	v_lshlrev_b64 v[101:102], 1, v[46:47]
	v_add_co_u32 v96, vcc_lo, v96, v101
	v_add_co_ci_u32_e64 v97, null, v97, v102, vcc_lo
	flat_load_ushort v96, v[96:97]
	s_waitcnt vmcnt(0) lgkmcnt(0)
	v_mul_f16_e32 v96, s22, v96
	v_cvt_f32_f16_e32 v96, v96
	s_branch .LBB230_138
.LBB230_137:
	v_mov_b32_e32 v96, 0
.LBB230_138:
	v_pk_add_f16 v30, v2, v30
	v_pk_add_f16 v31, v3, v31
	v_max_f16_e32 v97, v100, v100
	v_lshrrev_b32_e32 v100, 16, v100
	v_lshrrev_b32_e32 v101, 16, v30
	v_lshrrev_b32_e32 v102, 16, v31
	v_min_f16_e32 v30, v97, v30
	v_min3_f16 v97, v100, v101, v102
	v_min3_f16 v30, v30, v31, v97
	v_max_f32_e32 v31, v96, v96
	v_cvt_f32_f16_e32 v30, v30
	v_min_f32_e32 v96, v31, v30
	v_lshlrev_b64 v[30:31], 1, v[46:47]
	v_cvt_f16_f32_e32 v96, v96
	v_add_co_u32 v28, vcc_lo, v28, v30
	v_add_co_ci_u32_e64 v29, null, v29, v31, vcc_lo
	flat_store_short v[28:29], v96
.LBB230_139:
	s_or_b32 exec_lo, exec_lo, s8
	v_add_nc_u32_e32 v96, 64, v77
	v_mad_i64_i32 v[28:29], null, v96, s14, 0
	v_mad_i64_i32 v[30:31], null, v96, s9, 0
	v_cmp_gt_i32_e64 s8, s13, v96
	v_lshlrev_b64 v[28:29], 1, v[28:29]
	s_and_b32 s17, s0, s8
	v_lshlrev_b64 v[96:97], 1, v[30:31]
	v_add_co_u32 v30, vcc_lo, s10, v28
	v_add_co_ci_u32_e64 v31, null, s11, v29, vcc_lo
	v_add_co_u32 v28, vcc_lo, s15, v96
	v_add_co_ci_u32_e64 v29, null, s16, v97, vcc_lo
	s_and_saveexec_b32 s12, s17
	s_cbranch_execnz .LBB230_147
; %bb.140:
	s_or_b32 exec_lo, exec_lo, s12
	s_and_b32 s17, s1, s8
	s_and_saveexec_b32 s12, s17
	s_cbranch_execnz .LBB230_151
.LBB230_141:
	s_or_b32 exec_lo, exec_lo, s12
	s_and_b32 s17, s2, s8
	s_and_saveexec_b32 s12, s17
	s_cbranch_execnz .LBB230_155
.LBB230_142:
	s_or_b32 exec_lo, exec_lo, s12
	s_and_b32 s17, s3, s8
	s_and_saveexec_b32 s12, s17
	s_cbranch_execnz .LBB230_159
.LBB230_143:
	s_or_b32 exec_lo, exec_lo, s12
	s_and_b32 s17, s4, s8
	s_and_saveexec_b32 s12, s17
	s_cbranch_execnz .LBB230_163
.LBB230_144:
	s_or_b32 exec_lo, exec_lo, s12
	s_and_b32 s17, s5, s8
	s_and_saveexec_b32 s12, s17
	s_cbranch_execnz .LBB230_167
.LBB230_145:
	s_or_b32 exec_lo, exec_lo, s12
	s_and_b32 s17, s6, s8
	s_and_saveexec_b32 s12, s17
	s_cbranch_execnz .LBB230_171
.LBB230_146:
	s_or_b32 exec_lo, exec_lo, s12
	s_and_b32 s12, s7, s8
	s_and_saveexec_b32 s8, s12
	s_cbranch_execnz .LBB230_175
	s_branch .LBB230_179
.LBB230_147:
	v_cmp_ne_u32_e32 vcc_lo, 1, v70
	s_cbranch_vccnz .LBB230_149
; %bb.148:
	v_lshlrev_b64 v[96:97], 1, v[32:33]
	v_add_co_u32 v96, vcc_lo, v30, v96
	v_add_co_ci_u32_e64 v97, null, v31, v97, vcc_lo
	flat_load_ushort v96, v[96:97]
	s_waitcnt vmcnt(0) lgkmcnt(0)
	v_mul_f16_e32 v96, s22, v96
	v_cvt_f32_f16_e32 v96, v96
	s_branch .LBB230_150
.LBB230_149:
	v_mov_b32_e32 v96, 0
.LBB230_150:
	v_pk_add_f16 v97, v16, v24
	v_pk_add_f16 v100, v17, v25
	v_max_f16_e32 v101, v99, v99
	v_lshrrev_b32_e32 v99, 16, v99
	v_max_f32_e32 v96, v96, v96
	v_lshrrev_b32_e32 v102, 16, v97
	v_lshrrev_b32_e32 v103, 16, v100
	v_min_f16_e32 v97, v101, v97
	v_min3_f16 v99, v99, v102, v103
	v_min3_f16 v97, v97, v100, v99
	v_cvt_f32_f16_e32 v97, v97
	v_min_f32_e32 v99, v96, v97
	v_lshlrev_b64 v[96:97], 1, v[32:33]
	v_cvt_f16_f32_e32 v99, v99
	v_add_co_u32 v96, vcc_lo, v28, v96
	v_add_co_ci_u32_e64 v97, null, v29, v97, vcc_lo
	flat_store_short v[96:97], v99
	s_or_b32 exec_lo, exec_lo, s12
	s_and_b32 s17, s1, s8
	s_and_saveexec_b32 s12, s17
	s_cbranch_execz .LBB230_141
.LBB230_151:
	v_cmp_ne_u32_e32 vcc_lo, 1, v70
	s_cbranch_vccnz .LBB230_153
; %bb.152:
	v_lshlrev_b64 v[96:97], 1, v[34:35]
	v_add_co_u32 v96, vcc_lo, v30, v96
	v_add_co_ci_u32_e64 v97, null, v31, v97, vcc_lo
	flat_load_ushort v96, v[96:97]
	s_waitcnt vmcnt(0) lgkmcnt(0)
	v_mul_f16_e32 v96, s22, v96
	v_cvt_f32_f16_e32 v96, v96
	s_branch .LBB230_154
.LBB230_153:
	v_mov_b32_e32 v96, 0
.LBB230_154:
	v_pk_add_f16 v97, v18, v24
	v_pk_add_f16 v99, v19, v25
	v_max_f16_e32 v100, v98, v98
	v_lshrrev_b32_e32 v98, 16, v98
	v_max_f32_e32 v96, v96, v96
	v_lshrrev_b32_e32 v101, 16, v97
	v_lshrrev_b32_e32 v102, 16, v99
	v_min_f16_e32 v97, v100, v97
	v_min3_f16 v98, v98, v101, v102
	v_min3_f16 v97, v97, v99, v98
	v_cvt_f32_f16_e32 v97, v97
	v_min_f32_e32 v98, v96, v97
	v_lshlrev_b64 v[96:97], 1, v[34:35]
	v_cvt_f16_f32_e32 v98, v98
	v_add_co_u32 v96, vcc_lo, v28, v96
	v_add_co_ci_u32_e64 v97, null, v29, v97, vcc_lo
	flat_store_short v[96:97], v98
	s_or_b32 exec_lo, exec_lo, s12
	s_and_b32 s17, s2, s8
	s_and_saveexec_b32 s12, s17
	s_cbranch_execz .LBB230_142
.LBB230_155:
	v_cmp_ne_u32_e32 vcc_lo, 1, v70
	s_cbranch_vccnz .LBB230_157
; %bb.156:
	v_lshlrev_b64 v[96:97], 1, v[36:37]
	v_add_co_u32 v96, vcc_lo, v30, v96
	v_add_co_ci_u32_e64 v97, null, v31, v97, vcc_lo
	flat_load_ushort v96, v[96:97]
	s_waitcnt vmcnt(0) lgkmcnt(0)
	v_mul_f16_e32 v96, s22, v96
	v_cvt_f32_f16_e32 v96, v96
	s_branch .LBB230_158
.LBB230_157:
	v_mov_b32_e32 v96, 0
.LBB230_158:
	v_pk_add_f16 v97, v12, v24
	v_pk_add_f16 v98, v13, v25
	v_max_f16_e32 v99, v95, v95
	v_lshrrev_b32_e32 v95, 16, v95
	v_max_f32_e32 v96, v96, v96
	v_lshrrev_b32_e32 v100, 16, v97
	v_lshrrev_b32_e32 v101, 16, v98
	v_min_f16_e32 v97, v99, v97
	v_min3_f16 v95, v95, v100, v101
	v_min3_f16 v95, v97, v98, v95
	v_cvt_f32_f16_e32 v95, v95
	v_min_f32_e32 v97, v96, v95
	v_lshlrev_b64 v[95:96], 1, v[36:37]
	v_cvt_f16_f32_e32 v97, v97
	v_add_co_u32 v95, vcc_lo, v28, v95
	v_add_co_ci_u32_e64 v96, null, v29, v96, vcc_lo
	flat_store_short v[95:96], v97
	s_or_b32 exec_lo, exec_lo, s12
	s_and_b32 s17, s3, s8
	s_and_saveexec_b32 s12, s17
	s_cbranch_execz .LBB230_143
.LBB230_159:
	v_cmp_ne_u32_e32 vcc_lo, 1, v70
	s_cbranch_vccnz .LBB230_161
; %bb.160:
	v_lshlrev_b64 v[95:96], 1, v[38:39]
	v_add_co_u32 v95, vcc_lo, v30, v95
	v_add_co_ci_u32_e64 v96, null, v31, v96, vcc_lo
	flat_load_ushort v95, v[95:96]
	s_waitcnt vmcnt(0) lgkmcnt(0)
	v_mul_f16_e32 v95, s22, v95
	v_cvt_f32_f16_e32 v95, v95
	s_branch .LBB230_162
.LBB230_161:
	v_mov_b32_e32 v95, 0
.LBB230_162:
	v_pk_add_f16 v96, v14, v24
	v_pk_add_f16 v97, v15, v25
	v_max_f16_e32 v98, v94, v94
	v_lshrrev_b32_e32 v94, 16, v94
	v_max_f32_e32 v95, v95, v95
	v_lshrrev_b32_e32 v99, 16, v96
	v_lshrrev_b32_e32 v100, 16, v97
	v_min_f16_e32 v96, v98, v96
	v_min3_f16 v94, v94, v99, v100
	v_min3_f16 v94, v96, v97, v94
	v_cvt_f32_f16_e32 v94, v94
	v_min_f32_e32 v96, v95, v94
	v_lshlrev_b64 v[94:95], 1, v[38:39]
	v_cvt_f16_f32_e32 v96, v96
	v_add_co_u32 v94, vcc_lo, v28, v94
	v_add_co_ci_u32_e64 v95, null, v29, v95, vcc_lo
	flat_store_short v[94:95], v96
	s_or_b32 exec_lo, exec_lo, s12
	s_and_b32 s17, s4, s8
	s_and_saveexec_b32 s12, s17
	s_cbranch_execz .LBB230_144
.LBB230_163:
	v_cmp_ne_u32_e32 vcc_lo, 1, v70
	s_cbranch_vccnz .LBB230_165
; %bb.164:
	v_lshlrev_b64 v[94:95], 1, v[40:41]
	v_add_co_u32 v94, vcc_lo, v30, v94
	v_add_co_ci_u32_e64 v95, null, v31, v95, vcc_lo
	flat_load_ushort v94, v[94:95]
	s_waitcnt vmcnt(0) lgkmcnt(0)
	v_mul_f16_e32 v94, s22, v94
	v_cvt_f32_f16_e32 v94, v94
	s_branch .LBB230_166
.LBB230_165:
	v_mov_b32_e32 v94, 0
.LBB230_166:
	v_pk_add_f16 v95, v8, v24
	v_pk_add_f16 v96, v9, v25
	v_max_f16_e32 v97, v93, v93
	v_lshrrev_b32_e32 v93, 16, v93
	v_max_f32_e32 v94, v94, v94
	v_lshrrev_b32_e32 v98, 16, v95
	v_lshrrev_b32_e32 v99, 16, v96
	v_min_f16_e32 v95, v97, v95
	v_min3_f16 v93, v93, v98, v99
	v_min3_f16 v93, v95, v96, v93
	v_cvt_f32_f16_e32 v93, v93
	v_min_f32_e32 v95, v94, v93
	v_lshlrev_b64 v[93:94], 1, v[40:41]
	v_cvt_f16_f32_e32 v95, v95
	v_add_co_u32 v93, vcc_lo, v28, v93
	v_add_co_ci_u32_e64 v94, null, v29, v94, vcc_lo
	flat_store_short v[93:94], v95
	s_or_b32 exec_lo, exec_lo, s12
	s_and_b32 s17, s5, s8
	s_and_saveexec_b32 s12, s17
	s_cbranch_execz .LBB230_145
.LBB230_167:
	v_cmp_ne_u32_e32 vcc_lo, 1, v70
	s_cbranch_vccnz .LBB230_169
; %bb.168:
	v_lshlrev_b64 v[93:94], 1, v[42:43]
	v_add_co_u32 v93, vcc_lo, v30, v93
	v_add_co_ci_u32_e64 v94, null, v31, v94, vcc_lo
	flat_load_ushort v93, v[93:94]
	s_waitcnt vmcnt(0) lgkmcnt(0)
	v_mul_f16_e32 v93, s22, v93
	v_cvt_f32_f16_e32 v93, v93
	s_branch .LBB230_170
.LBB230_169:
	v_mov_b32_e32 v93, 0
.LBB230_170:
	v_pk_add_f16 v94, v10, v24
	v_pk_add_f16 v95, v11, v25
	v_max_f16_e32 v96, v92, v92
	v_lshrrev_b32_e32 v92, 16, v92
	v_max_f32_e32 v93, v93, v93
	v_lshrrev_b32_e32 v97, 16, v94
	v_lshrrev_b32_e32 v98, 16, v95
	v_min_f16_e32 v94, v96, v94
	v_min3_f16 v92, v92, v97, v98
	v_min3_f16 v92, v94, v95, v92
	v_cvt_f32_f16_e32 v92, v92
	v_min_f32_e32 v94, v93, v92
	v_lshlrev_b64 v[92:93], 1, v[42:43]
	v_cvt_f16_f32_e32 v94, v94
	v_add_co_u32 v92, vcc_lo, v28, v92
	v_add_co_ci_u32_e64 v93, null, v29, v93, vcc_lo
	flat_store_short v[92:93], v94
	s_or_b32 exec_lo, exec_lo, s12
	s_and_b32 s17, s6, s8
	s_and_saveexec_b32 s12, s17
	s_cbranch_execz .LBB230_146
.LBB230_171:
	v_cmp_ne_u32_e32 vcc_lo, 1, v70
	s_cbranch_vccnz .LBB230_173
; %bb.172:
	v_lshlrev_b64 v[92:93], 1, v[44:45]
	v_add_co_u32 v92, vcc_lo, v30, v92
	v_add_co_ci_u32_e64 v93, null, v31, v93, vcc_lo
	flat_load_ushort v92, v[92:93]
	s_waitcnt vmcnt(0) lgkmcnt(0)
	v_mul_f16_e32 v92, s22, v92
	v_cvt_f32_f16_e32 v92, v92
	s_branch .LBB230_174
.LBB230_173:
	v_mov_b32_e32 v92, 0
.LBB230_174:
	v_pk_add_f16 v93, v0, v24
	v_pk_add_f16 v94, v1, v25
	v_max_f16_e32 v95, v91, v91
	v_lshrrev_b32_e32 v91, 16, v91
	v_max_f32_e32 v92, v92, v92
	v_lshrrev_b32_e32 v96, 16, v93
	v_lshrrev_b32_e32 v97, 16, v94
	v_min_f16_e32 v93, v95, v93
	v_min3_f16 v91, v91, v96, v97
	v_min3_f16 v91, v93, v94, v91
	v_cvt_f32_f16_e32 v91, v91
	v_min_f32_e32 v93, v92, v91
	v_lshlrev_b64 v[91:92], 1, v[44:45]
	v_cvt_f16_f32_e32 v93, v93
	v_add_co_u32 v91, vcc_lo, v28, v91
	v_add_co_ci_u32_e64 v92, null, v29, v92, vcc_lo
	flat_store_short v[91:92], v93
	s_or_b32 exec_lo, exec_lo, s12
	s_and_b32 s12, s7, s8
	s_and_saveexec_b32 s8, s12
	s_cbranch_execz .LBB230_179
.LBB230_175:
	v_cmp_ne_u32_e32 vcc_lo, 1, v70
	s_cbranch_vccnz .LBB230_177
; %bb.176:
	v_lshlrev_b64 v[91:92], 1, v[46:47]
	v_add_co_u32 v30, vcc_lo, v30, v91
	v_add_co_ci_u32_e64 v31, null, v31, v92, vcc_lo
	flat_load_ushort v30, v[30:31]
	s_waitcnt vmcnt(0) lgkmcnt(0)
	v_mul_f16_e32 v30, s22, v30
	v_cvt_f32_f16_e32 v30, v30
	s_branch .LBB230_178
.LBB230_177:
	v_mov_b32_e32 v30, 0
.LBB230_178:
	v_pk_add_f16 v24, v2, v24
	v_pk_add_f16 v25, v3, v25
	v_max_f16_e32 v31, v90, v90
	v_lshrrev_b32_e32 v90, 16, v90
	v_lshrrev_b32_e32 v91, 16, v24
	v_lshrrev_b32_e32 v92, 16, v25
	v_min_f16_e32 v24, v31, v24
	v_min3_f16 v31, v90, v91, v92
	v_min3_f16 v24, v24, v25, v31
	v_max_f32_e32 v25, v30, v30
	v_cvt_f32_f16_e32 v24, v24
	v_min_f32_e32 v30, v25, v24
	v_lshlrev_b64 v[24:25], 1, v[46:47]
	v_cvt_f16_f32_e32 v30, v30
	v_add_co_u32 v24, vcc_lo, v28, v24
	v_add_co_ci_u32_e64 v25, null, v29, v25, vcc_lo
	flat_store_short v[24:25], v30
.LBB230_179:
	s_or_b32 exec_lo, exec_lo, s8
	v_add_nc_u32_e32 v30, 0x60, v77
	v_mad_i64_i32 v[24:25], null, v30, s14, 0
	v_mad_i64_i32 v[28:29], null, v30, s9, 0
	v_cmp_gt_i32_e64 s8, s13, v30
	v_lshlrev_b64 v[24:25], 1, v[24:25]
	s_and_b32 s17, s0, s8
	v_lshlrev_b64 v[30:31], 1, v[28:29]
	v_add_co_u32 v28, vcc_lo, s10, v24
	v_add_co_ci_u32_e64 v29, null, s11, v25, vcc_lo
	v_add_co_u32 v24, vcc_lo, s15, v30
	v_add_co_ci_u32_e64 v25, null, s16, v31, vcc_lo
	s_and_saveexec_b32 s12, s17
	s_cbranch_execnz .LBB230_187
; %bb.180:
	s_or_b32 exec_lo, exec_lo, s12
	s_and_b32 s17, s1, s8
	s_and_saveexec_b32 s12, s17
	s_cbranch_execnz .LBB230_191
.LBB230_181:
	s_or_b32 exec_lo, exec_lo, s12
	s_and_b32 s17, s2, s8
	s_and_saveexec_b32 s12, s17
	s_cbranch_execnz .LBB230_195
.LBB230_182:
	s_or_b32 exec_lo, exec_lo, s12
	s_and_b32 s17, s3, s8
	s_and_saveexec_b32 s12, s17
	s_cbranch_execnz .LBB230_199
.LBB230_183:
	s_or_b32 exec_lo, exec_lo, s12
	s_and_b32 s17, s4, s8
	s_and_saveexec_b32 s12, s17
	s_cbranch_execnz .LBB230_203
.LBB230_184:
	s_or_b32 exec_lo, exec_lo, s12
	s_and_b32 s17, s5, s8
	s_and_saveexec_b32 s12, s17
	s_cbranch_execnz .LBB230_207
.LBB230_185:
	s_or_b32 exec_lo, exec_lo, s12
	s_and_b32 s17, s6, s8
	s_and_saveexec_b32 s12, s17
	s_cbranch_execnz .LBB230_211
.LBB230_186:
	s_or_b32 exec_lo, exec_lo, s12
	s_and_b32 s12, s7, s8
	s_and_saveexec_b32 s8, s12
	s_cbranch_execnz .LBB230_215
	s_branch .LBB230_219
.LBB230_187:
	v_cmp_ne_u32_e32 vcc_lo, 1, v70
	s_cbranch_vccnz .LBB230_189
; %bb.188:
	v_lshlrev_b64 v[30:31], 1, v[32:33]
	v_add_co_u32 v30, vcc_lo, v28, v30
	v_add_co_ci_u32_e64 v31, null, v29, v31, vcc_lo
	flat_load_ushort v30, v[30:31]
	s_waitcnt vmcnt(0) lgkmcnt(0)
	v_mul_f16_e32 v30, s22, v30
	v_cvt_f32_f16_e32 v30, v30
	s_branch .LBB230_190
.LBB230_189:
	v_mov_b32_e32 v30, 0
.LBB230_190:
	v_pk_add_f16 v31, v16, v26
	v_pk_add_f16 v90, v17, v27
	v_max_f16_e32 v91, v89, v89
	v_lshrrev_b32_e32 v89, 16, v89
	v_max_f32_e32 v30, v30, v30
	v_lshrrev_b32_e32 v92, 16, v31
	v_lshrrev_b32_e32 v93, 16, v90
	v_min_f16_e32 v31, v91, v31
	v_min3_f16 v89, v89, v92, v93
	v_min3_f16 v31, v31, v90, v89
	v_cvt_f32_f16_e32 v31, v31
	v_min_f32_e32 v89, v30, v31
	v_lshlrev_b64 v[30:31], 1, v[32:33]
	v_cvt_f16_f32_e32 v89, v89
	v_add_co_u32 v30, vcc_lo, v24, v30
	v_add_co_ci_u32_e64 v31, null, v25, v31, vcc_lo
	flat_store_short v[30:31], v89
	s_or_b32 exec_lo, exec_lo, s12
	s_and_b32 s17, s1, s8
	s_and_saveexec_b32 s12, s17
	s_cbranch_execz .LBB230_181
.LBB230_191:
	v_cmp_ne_u32_e32 vcc_lo, 1, v70
	s_cbranch_vccnz .LBB230_193
; %bb.192:
	v_lshlrev_b64 v[30:31], 1, v[34:35]
	v_add_co_u32 v30, vcc_lo, v28, v30
	v_add_co_ci_u32_e64 v31, null, v29, v31, vcc_lo
	flat_load_ushort v30, v[30:31]
	s_waitcnt vmcnt(0) lgkmcnt(0)
	v_mul_f16_e32 v30, s22, v30
	v_cvt_f32_f16_e32 v30, v30
	s_branch .LBB230_194
.LBB230_193:
	v_mov_b32_e32 v30, 0
.LBB230_194:
	v_pk_add_f16 v31, v18, v26
	v_pk_add_f16 v89, v19, v27
	v_max_f16_e32 v90, v88, v88
	v_lshrrev_b32_e32 v88, 16, v88
	v_max_f32_e32 v30, v30, v30
	v_lshrrev_b32_e32 v91, 16, v31
	v_lshrrev_b32_e32 v92, 16, v89
	v_min_f16_e32 v31, v90, v31
	v_min3_f16 v88, v88, v91, v92
	v_min3_f16 v31, v31, v89, v88
	v_cvt_f32_f16_e32 v31, v31
	v_min_f32_e32 v88, v30, v31
	v_lshlrev_b64 v[30:31], 1, v[34:35]
	v_cvt_f16_f32_e32 v88, v88
	v_add_co_u32 v30, vcc_lo, v24, v30
	v_add_co_ci_u32_e64 v31, null, v25, v31, vcc_lo
	flat_store_short v[30:31], v88
	s_or_b32 exec_lo, exec_lo, s12
	s_and_b32 s17, s2, s8
	s_and_saveexec_b32 s12, s17
	s_cbranch_execz .LBB230_182
.LBB230_195:
	v_cmp_ne_u32_e32 vcc_lo, 1, v70
	s_cbranch_vccnz .LBB230_197
; %bb.196:
	v_lshlrev_b64 v[30:31], 1, v[36:37]
	v_add_co_u32 v30, vcc_lo, v28, v30
	v_add_co_ci_u32_e64 v31, null, v29, v31, vcc_lo
	flat_load_ushort v30, v[30:31]
	s_waitcnt vmcnt(0) lgkmcnt(0)
	v_mul_f16_e32 v30, s22, v30
	v_cvt_f32_f16_e32 v30, v30
	s_branch .LBB230_198
.LBB230_197:
	v_mov_b32_e32 v30, 0
.LBB230_198:
	v_pk_add_f16 v31, v12, v26
	v_pk_add_f16 v88, v13, v27
	v_max_f16_e32 v89, v87, v87
	v_lshrrev_b32_e32 v87, 16, v87
	v_max_f32_e32 v30, v30, v30
	v_lshrrev_b32_e32 v90, 16, v31
	v_lshrrev_b32_e32 v91, 16, v88
	v_min_f16_e32 v31, v89, v31
	v_min3_f16 v87, v87, v90, v91
	v_min3_f16 v31, v31, v88, v87
	v_cvt_f32_f16_e32 v31, v31
	v_min_f32_e32 v87, v30, v31
	v_lshlrev_b64 v[30:31], 1, v[36:37]
	v_cvt_f16_f32_e32 v87, v87
	v_add_co_u32 v30, vcc_lo, v24, v30
	v_add_co_ci_u32_e64 v31, null, v25, v31, vcc_lo
	flat_store_short v[30:31], v87
	s_or_b32 exec_lo, exec_lo, s12
	s_and_b32 s17, s3, s8
	s_and_saveexec_b32 s12, s17
	s_cbranch_execz .LBB230_183
.LBB230_199:
	v_cmp_ne_u32_e32 vcc_lo, 1, v70
	s_cbranch_vccnz .LBB230_201
; %bb.200:
	v_lshlrev_b64 v[30:31], 1, v[38:39]
	v_add_co_u32 v30, vcc_lo, v28, v30
	v_add_co_ci_u32_e64 v31, null, v29, v31, vcc_lo
	flat_load_ushort v30, v[30:31]
	s_waitcnt vmcnt(0) lgkmcnt(0)
	v_mul_f16_e32 v30, s22, v30
	v_cvt_f32_f16_e32 v30, v30
	s_branch .LBB230_202
.LBB230_201:
	v_mov_b32_e32 v30, 0
.LBB230_202:
	v_pk_add_f16 v31, v14, v26
	v_pk_add_f16 v87, v15, v27
	v_max_f16_e32 v88, v86, v86
	v_lshrrev_b32_e32 v86, 16, v86
	v_max_f32_e32 v30, v30, v30
	v_lshrrev_b32_e32 v89, 16, v31
	v_lshrrev_b32_e32 v90, 16, v87
	v_min_f16_e32 v31, v88, v31
	v_min3_f16 v86, v86, v89, v90
	v_min3_f16 v31, v31, v87, v86
	v_cvt_f32_f16_e32 v31, v31
	v_min_f32_e32 v86, v30, v31
	v_lshlrev_b64 v[30:31], 1, v[38:39]
	v_cvt_f16_f32_e32 v86, v86
	v_add_co_u32 v30, vcc_lo, v24, v30
	v_add_co_ci_u32_e64 v31, null, v25, v31, vcc_lo
	flat_store_short v[30:31], v86
	s_or_b32 exec_lo, exec_lo, s12
	s_and_b32 s17, s4, s8
	s_and_saveexec_b32 s12, s17
	s_cbranch_execz .LBB230_184
.LBB230_203:
	v_cmp_ne_u32_e32 vcc_lo, 1, v70
	s_cbranch_vccnz .LBB230_205
; %bb.204:
	v_lshlrev_b64 v[30:31], 1, v[40:41]
	v_add_co_u32 v30, vcc_lo, v28, v30
	v_add_co_ci_u32_e64 v31, null, v29, v31, vcc_lo
	flat_load_ushort v30, v[30:31]
	s_waitcnt vmcnt(0) lgkmcnt(0)
	v_mul_f16_e32 v30, s22, v30
	v_cvt_f32_f16_e32 v30, v30
	s_branch .LBB230_206
.LBB230_205:
	v_mov_b32_e32 v30, 0
.LBB230_206:
	v_pk_add_f16 v31, v8, v26
	v_pk_add_f16 v86, v9, v27
	v_max_f16_e32 v87, v85, v85
	v_lshrrev_b32_e32 v85, 16, v85
	v_max_f32_e32 v30, v30, v30
	v_lshrrev_b32_e32 v88, 16, v31
	v_lshrrev_b32_e32 v89, 16, v86
	v_min_f16_e32 v31, v87, v31
	v_min3_f16 v85, v85, v88, v89
	v_min3_f16 v31, v31, v86, v85
	v_cvt_f32_f16_e32 v31, v31
	v_min_f32_e32 v85, v30, v31
	v_lshlrev_b64 v[30:31], 1, v[40:41]
	v_cvt_f16_f32_e32 v85, v85
	v_add_co_u32 v30, vcc_lo, v24, v30
	v_add_co_ci_u32_e64 v31, null, v25, v31, vcc_lo
	flat_store_short v[30:31], v85
	s_or_b32 exec_lo, exec_lo, s12
	s_and_b32 s17, s5, s8
	s_and_saveexec_b32 s12, s17
	s_cbranch_execz .LBB230_185
.LBB230_207:
	v_cmp_ne_u32_e32 vcc_lo, 1, v70
	s_cbranch_vccnz .LBB230_209
; %bb.208:
	v_lshlrev_b64 v[30:31], 1, v[42:43]
	v_add_co_u32 v30, vcc_lo, v28, v30
	v_add_co_ci_u32_e64 v31, null, v29, v31, vcc_lo
	flat_load_ushort v30, v[30:31]
	s_waitcnt vmcnt(0) lgkmcnt(0)
	v_mul_f16_e32 v30, s22, v30
	v_cvt_f32_f16_e32 v30, v30
	s_branch .LBB230_210
.LBB230_209:
	v_mov_b32_e32 v30, 0
.LBB230_210:
	v_pk_add_f16 v31, v10, v26
	v_pk_add_f16 v85, v11, v27
	v_max_f16_e32 v86, v84, v84
	v_lshrrev_b32_e32 v84, 16, v84
	v_max_f32_e32 v30, v30, v30
	v_lshrrev_b32_e32 v87, 16, v31
	v_lshrrev_b32_e32 v88, 16, v85
	v_min_f16_e32 v31, v86, v31
	v_min3_f16 v84, v84, v87, v88
	v_min3_f16 v31, v31, v85, v84
	v_cvt_f32_f16_e32 v31, v31
	v_min_f32_e32 v84, v30, v31
	v_lshlrev_b64 v[30:31], 1, v[42:43]
	v_cvt_f16_f32_e32 v84, v84
	v_add_co_u32 v30, vcc_lo, v24, v30
	v_add_co_ci_u32_e64 v31, null, v25, v31, vcc_lo
	flat_store_short v[30:31], v84
	s_or_b32 exec_lo, exec_lo, s12
	s_and_b32 s17, s6, s8
	s_and_saveexec_b32 s12, s17
	s_cbranch_execz .LBB230_186
.LBB230_211:
	v_cmp_ne_u32_e32 vcc_lo, 1, v70
	s_cbranch_vccnz .LBB230_213
; %bb.212:
	v_lshlrev_b64 v[30:31], 1, v[44:45]
	v_add_co_u32 v30, vcc_lo, v28, v30
	v_add_co_ci_u32_e64 v31, null, v29, v31, vcc_lo
	flat_load_ushort v30, v[30:31]
	s_waitcnt vmcnt(0) lgkmcnt(0)
	v_mul_f16_e32 v30, s22, v30
	v_cvt_f32_f16_e32 v30, v30
	s_branch .LBB230_214
.LBB230_213:
	v_mov_b32_e32 v30, 0
.LBB230_214:
	v_pk_add_f16 v31, v0, v26
	v_pk_add_f16 v84, v1, v27
	v_max_f16_e32 v85, v83, v83
	v_lshrrev_b32_e32 v83, 16, v83
	v_max_f32_e32 v30, v30, v30
	v_lshrrev_b32_e32 v86, 16, v31
	v_lshrrev_b32_e32 v87, 16, v84
	v_min_f16_e32 v31, v85, v31
	v_min3_f16 v83, v83, v86, v87
	v_min3_f16 v31, v31, v84, v83
	v_cvt_f32_f16_e32 v31, v31
	v_min_f32_e32 v83, v30, v31
	v_lshlrev_b64 v[30:31], 1, v[44:45]
	v_cvt_f16_f32_e32 v83, v83
	v_add_co_u32 v30, vcc_lo, v24, v30
	v_add_co_ci_u32_e64 v31, null, v25, v31, vcc_lo
	flat_store_short v[30:31], v83
	s_or_b32 exec_lo, exec_lo, s12
	s_and_b32 s12, s7, s8
	s_and_saveexec_b32 s8, s12
	s_cbranch_execz .LBB230_219
.LBB230_215:
	v_cmp_ne_u32_e32 vcc_lo, 1, v70
	s_cbranch_vccnz .LBB230_217
; %bb.216:
	v_lshlrev_b64 v[30:31], 1, v[46:47]
	v_add_co_u32 v28, vcc_lo, v28, v30
	v_add_co_ci_u32_e64 v29, null, v29, v31, vcc_lo
	flat_load_ushort v28, v[28:29]
	s_waitcnt vmcnt(0) lgkmcnt(0)
	v_mul_f16_e32 v28, s22, v28
	v_cvt_f32_f16_e32 v28, v28
	s_branch .LBB230_218
.LBB230_217:
	v_mov_b32_e32 v28, 0
.LBB230_218:
	v_pk_add_f16 v26, v2, v26
	v_pk_add_f16 v27, v3, v27
	v_max_f16_e32 v29, v82, v82
	v_lshrrev_b32_e32 v30, 16, v82
	v_lshrrev_b32_e32 v31, 16, v26
	;; [unrolled: 1-line block ×3, first 2 shown]
	v_min_f16_e32 v26, v29, v26
	v_min3_f16 v29, v30, v31, v82
	v_min3_f16 v26, v26, v27, v29
	v_max_f32_e32 v27, v28, v28
	v_cvt_f32_f16_e32 v26, v26
	v_min_f32_e32 v28, v27, v26
	v_lshlrev_b64 v[26:27], 1, v[46:47]
	v_cvt_f16_f32_e32 v28, v28
	v_add_co_u32 v24, vcc_lo, v24, v26
	v_add_co_ci_u32_e64 v25, null, v25, v27, vcc_lo
	flat_store_short v[24:25], v28
.LBB230_219:
	s_or_b32 exec_lo, exec_lo, s8
	v_add_nc_u32_e32 v28, 0x80, v77
	v_mad_i64_i32 v[24:25], null, v28, s14, 0
	v_mad_i64_i32 v[26:27], null, v28, s9, 0
	v_cmp_gt_i32_e64 s8, s13, v28
	v_lshlrev_b64 v[24:25], 1, v[24:25]
	s_and_b32 s17, s0, s8
	v_lshlrev_b64 v[28:29], 1, v[26:27]
	v_add_co_u32 v26, vcc_lo, s10, v24
	v_add_co_ci_u32_e64 v27, null, s11, v25, vcc_lo
	v_add_co_u32 v24, vcc_lo, s15, v28
	v_add_co_ci_u32_e64 v25, null, s16, v29, vcc_lo
	s_and_saveexec_b32 s12, s17
	s_cbranch_execnz .LBB230_227
; %bb.220:
	s_or_b32 exec_lo, exec_lo, s12
	s_and_b32 s17, s1, s8
	s_and_saveexec_b32 s12, s17
	s_cbranch_execnz .LBB230_231
.LBB230_221:
	s_or_b32 exec_lo, exec_lo, s12
	s_and_b32 s17, s2, s8
	s_and_saveexec_b32 s12, s17
	s_cbranch_execnz .LBB230_235
.LBB230_222:
	s_or_b32 exec_lo, exec_lo, s12
	s_and_b32 s17, s3, s8
	s_and_saveexec_b32 s12, s17
	s_cbranch_execnz .LBB230_239
.LBB230_223:
	s_or_b32 exec_lo, exec_lo, s12
	s_and_b32 s17, s4, s8
	s_and_saveexec_b32 s12, s17
	s_cbranch_execnz .LBB230_243
.LBB230_224:
	s_or_b32 exec_lo, exec_lo, s12
	s_and_b32 s17, s5, s8
	s_and_saveexec_b32 s12, s17
	s_cbranch_execnz .LBB230_247
.LBB230_225:
	s_or_b32 exec_lo, exec_lo, s12
	s_and_b32 s17, s6, s8
	s_and_saveexec_b32 s12, s17
	s_cbranch_execnz .LBB230_251
.LBB230_226:
	s_or_b32 exec_lo, exec_lo, s12
	s_and_b32 s12, s7, s8
	s_and_saveexec_b32 s8, s12
	s_cbranch_execnz .LBB230_255
	s_branch .LBB230_259
.LBB230_227:
	v_cmp_ne_u32_e32 vcc_lo, 1, v70
	s_cbranch_vccnz .LBB230_229
; %bb.228:
	v_lshlrev_b64 v[28:29], 1, v[32:33]
	v_add_co_u32 v28, vcc_lo, v26, v28
	v_add_co_ci_u32_e64 v29, null, v27, v29, vcc_lo
	flat_load_ushort v28, v[28:29]
	s_waitcnt vmcnt(0) lgkmcnt(0)
	v_mul_f16_e32 v28, s22, v28
	v_cvt_f32_f16_e32 v28, v28
	s_branch .LBB230_230
.LBB230_229:
	v_mov_b32_e32 v28, 0
.LBB230_230:
	v_pk_add_f16 v29, v16, v20
	v_pk_add_f16 v30, v17, v21
	v_max_f16_e32 v31, v81, v81
	v_lshrrev_b32_e32 v81, 16, v81
	v_max_f32_e32 v28, v28, v28
	v_lshrrev_b32_e32 v82, 16, v29
	v_lshrrev_b32_e32 v83, 16, v30
	v_min_f16_e32 v29, v31, v29
	v_min3_f16 v31, v81, v82, v83
	v_min3_f16 v29, v29, v30, v31
	v_cvt_f32_f16_e32 v29, v29
	v_min_f32_e32 v30, v28, v29
	v_lshlrev_b64 v[28:29], 1, v[32:33]
	v_cvt_f16_f32_e32 v30, v30
	v_add_co_u32 v28, vcc_lo, v24, v28
	v_add_co_ci_u32_e64 v29, null, v25, v29, vcc_lo
	flat_store_short v[28:29], v30
	s_or_b32 exec_lo, exec_lo, s12
	s_and_b32 s17, s1, s8
	s_and_saveexec_b32 s12, s17
	s_cbranch_execz .LBB230_221
.LBB230_231:
	v_cmp_ne_u32_e32 vcc_lo, 1, v70
	s_cbranch_vccnz .LBB230_233
; %bb.232:
	v_lshlrev_b64 v[28:29], 1, v[34:35]
	v_add_co_u32 v28, vcc_lo, v26, v28
	v_add_co_ci_u32_e64 v29, null, v27, v29, vcc_lo
	flat_load_ushort v28, v[28:29]
	s_waitcnt vmcnt(0) lgkmcnt(0)
	v_mul_f16_e32 v28, s22, v28
	v_cvt_f32_f16_e32 v28, v28
	s_branch .LBB230_234
.LBB230_233:
	v_mov_b32_e32 v28, 0
.LBB230_234:
	v_pk_add_f16 v29, v18, v20
	v_pk_add_f16 v30, v19, v21
	v_max_f16_e32 v31, v80, v80
	v_lshrrev_b32_e32 v80, 16, v80
	v_max_f32_e32 v28, v28, v28
	v_lshrrev_b32_e32 v81, 16, v29
	v_lshrrev_b32_e32 v82, 16, v30
	v_min_f16_e32 v29, v31, v29
	v_min3_f16 v31, v80, v81, v82
	v_min3_f16 v29, v29, v30, v31
	v_cvt_f32_f16_e32 v29, v29
	v_min_f32_e32 v30, v28, v29
	v_lshlrev_b64 v[28:29], 1, v[34:35]
	v_cvt_f16_f32_e32 v30, v30
	v_add_co_u32 v28, vcc_lo, v24, v28
	v_add_co_ci_u32_e64 v29, null, v25, v29, vcc_lo
	flat_store_short v[28:29], v30
	s_or_b32 exec_lo, exec_lo, s12
	s_and_b32 s17, s2, s8
	s_and_saveexec_b32 s12, s17
	s_cbranch_execz .LBB230_222
.LBB230_235:
	v_cmp_ne_u32_e32 vcc_lo, 1, v70
	s_cbranch_vccnz .LBB230_237
; %bb.236:
	v_lshlrev_b64 v[28:29], 1, v[36:37]
	v_add_co_u32 v28, vcc_lo, v26, v28
	v_add_co_ci_u32_e64 v29, null, v27, v29, vcc_lo
	flat_load_ushort v28, v[28:29]
	s_waitcnt vmcnt(0) lgkmcnt(0)
	v_mul_f16_e32 v28, s22, v28
	v_cvt_f32_f16_e32 v28, v28
	s_branch .LBB230_238
.LBB230_237:
	v_mov_b32_e32 v28, 0
.LBB230_238:
	v_pk_add_f16 v29, v12, v20
	v_pk_add_f16 v30, v13, v21
	v_max_f16_e32 v31, v79, v79
	v_lshrrev_b32_e32 v79, 16, v79
	v_max_f32_e32 v28, v28, v28
	v_lshrrev_b32_e32 v80, 16, v29
	v_lshrrev_b32_e32 v81, 16, v30
	v_min_f16_e32 v29, v31, v29
	v_min3_f16 v31, v79, v80, v81
	v_min3_f16 v29, v29, v30, v31
	v_cvt_f32_f16_e32 v29, v29
	v_min_f32_e32 v30, v28, v29
	v_lshlrev_b64 v[28:29], 1, v[36:37]
	v_cvt_f16_f32_e32 v30, v30
	v_add_co_u32 v28, vcc_lo, v24, v28
	v_add_co_ci_u32_e64 v29, null, v25, v29, vcc_lo
	flat_store_short v[28:29], v30
	s_or_b32 exec_lo, exec_lo, s12
	s_and_b32 s17, s3, s8
	s_and_saveexec_b32 s12, s17
	s_cbranch_execz .LBB230_223
.LBB230_239:
	v_cmp_ne_u32_e32 vcc_lo, 1, v70
	s_cbranch_vccnz .LBB230_241
; %bb.240:
	v_lshlrev_b64 v[28:29], 1, v[38:39]
	v_add_co_u32 v28, vcc_lo, v26, v28
	v_add_co_ci_u32_e64 v29, null, v27, v29, vcc_lo
	flat_load_ushort v28, v[28:29]
	s_waitcnt vmcnt(0) lgkmcnt(0)
	v_mul_f16_e32 v28, s22, v28
	v_cvt_f32_f16_e32 v28, v28
	s_branch .LBB230_242
.LBB230_241:
	v_mov_b32_e32 v28, 0
.LBB230_242:
	v_pk_add_f16 v29, v14, v20
	v_pk_add_f16 v30, v15, v21
	v_max_f16_e32 v31, v78, v78
	v_lshrrev_b32_e32 v78, 16, v78
	v_max_f32_e32 v28, v28, v28
	v_lshrrev_b32_e32 v79, 16, v29
	v_lshrrev_b32_e32 v80, 16, v30
	v_min_f16_e32 v29, v31, v29
	v_min3_f16 v31, v78, v79, v80
	v_min3_f16 v29, v29, v30, v31
	v_cvt_f32_f16_e32 v29, v29
	v_min_f32_e32 v30, v28, v29
	v_lshlrev_b64 v[28:29], 1, v[38:39]
	v_cvt_f16_f32_e32 v30, v30
	v_add_co_u32 v28, vcc_lo, v24, v28
	v_add_co_ci_u32_e64 v29, null, v25, v29, vcc_lo
	flat_store_short v[28:29], v30
	s_or_b32 exec_lo, exec_lo, s12
	s_and_b32 s17, s4, s8
	s_and_saveexec_b32 s12, s17
	s_cbranch_execz .LBB230_224
.LBB230_243:
	v_cmp_ne_u32_e32 vcc_lo, 1, v70
	s_cbranch_vccnz .LBB230_245
; %bb.244:
	v_lshlrev_b64 v[28:29], 1, v[40:41]
	v_add_co_u32 v28, vcc_lo, v26, v28
	v_add_co_ci_u32_e64 v29, null, v27, v29, vcc_lo
	flat_load_ushort v28, v[28:29]
	s_waitcnt vmcnt(0) lgkmcnt(0)
	v_mul_f16_e32 v28, s22, v28
	v_cvt_f32_f16_e32 v28, v28
	s_branch .LBB230_246
.LBB230_245:
	v_mov_b32_e32 v28, 0
.LBB230_246:
	v_pk_add_f16 v29, v8, v20
	v_pk_add_f16 v30, v9, v21
	v_max_f16_e32 v31, v76, v76
	v_lshrrev_b32_e32 v76, 16, v76
	v_max_f32_e32 v28, v28, v28
	v_lshrrev_b32_e32 v78, 16, v29
	v_lshrrev_b32_e32 v79, 16, v30
	v_min_f16_e32 v29, v31, v29
	v_min3_f16 v31, v76, v78, v79
	v_min3_f16 v29, v29, v30, v31
	v_cvt_f32_f16_e32 v29, v29
	v_min_f32_e32 v30, v28, v29
	v_lshlrev_b64 v[28:29], 1, v[40:41]
	v_cvt_f16_f32_e32 v30, v30
	v_add_co_u32 v28, vcc_lo, v24, v28
	v_add_co_ci_u32_e64 v29, null, v25, v29, vcc_lo
	flat_store_short v[28:29], v30
	s_or_b32 exec_lo, exec_lo, s12
	s_and_b32 s17, s5, s8
	s_and_saveexec_b32 s12, s17
	s_cbranch_execz .LBB230_225
.LBB230_247:
	v_cmp_ne_u32_e32 vcc_lo, 1, v70
	s_cbranch_vccnz .LBB230_249
; %bb.248:
	v_lshlrev_b64 v[28:29], 1, v[42:43]
	v_add_co_u32 v28, vcc_lo, v26, v28
	v_add_co_ci_u32_e64 v29, null, v27, v29, vcc_lo
	flat_load_ushort v28, v[28:29]
	s_waitcnt vmcnt(0) lgkmcnt(0)
	v_mul_f16_e32 v28, s22, v28
	v_cvt_f32_f16_e32 v28, v28
	s_branch .LBB230_250
.LBB230_249:
	v_mov_b32_e32 v28, 0
.LBB230_250:
	v_pk_add_f16 v29, v10, v20
	v_pk_add_f16 v30, v11, v21
	v_max_f16_e32 v31, v75, v75
	v_lshrrev_b32_e32 v75, 16, v75
	v_max_f32_e32 v28, v28, v28
	v_lshrrev_b32_e32 v76, 16, v29
	v_lshrrev_b32_e32 v78, 16, v30
	v_min_f16_e32 v29, v31, v29
	v_min3_f16 v31, v75, v76, v78
	v_min3_f16 v29, v29, v30, v31
	v_cvt_f32_f16_e32 v29, v29
	v_min_f32_e32 v30, v28, v29
	v_lshlrev_b64 v[28:29], 1, v[42:43]
	v_cvt_f16_f32_e32 v30, v30
	v_add_co_u32 v28, vcc_lo, v24, v28
	v_add_co_ci_u32_e64 v29, null, v25, v29, vcc_lo
	flat_store_short v[28:29], v30
	s_or_b32 exec_lo, exec_lo, s12
	s_and_b32 s17, s6, s8
	s_and_saveexec_b32 s12, s17
	s_cbranch_execz .LBB230_226
.LBB230_251:
	v_cmp_ne_u32_e32 vcc_lo, 1, v70
	s_cbranch_vccnz .LBB230_253
; %bb.252:
	v_lshlrev_b64 v[28:29], 1, v[44:45]
	v_add_co_u32 v28, vcc_lo, v26, v28
	v_add_co_ci_u32_e64 v29, null, v27, v29, vcc_lo
	flat_load_ushort v28, v[28:29]
	s_waitcnt vmcnt(0) lgkmcnt(0)
	v_mul_f16_e32 v28, s22, v28
	v_cvt_f32_f16_e32 v28, v28
	s_branch .LBB230_254
.LBB230_253:
	v_mov_b32_e32 v28, 0
.LBB230_254:
	v_pk_add_f16 v29, v0, v20
	v_pk_add_f16 v30, v1, v21
	v_max_f16_e32 v31, v74, v74
	v_lshrrev_b32_e32 v74, 16, v74
	v_max_f32_e32 v28, v28, v28
	v_lshrrev_b32_e32 v75, 16, v29
	v_lshrrev_b32_e32 v76, 16, v30
	v_min_f16_e32 v29, v31, v29
	v_min3_f16 v31, v74, v75, v76
	v_min3_f16 v29, v29, v30, v31
	v_cvt_f32_f16_e32 v29, v29
	v_min_f32_e32 v30, v28, v29
	v_lshlrev_b64 v[28:29], 1, v[44:45]
	v_cvt_f16_f32_e32 v30, v30
	v_add_co_u32 v28, vcc_lo, v24, v28
	v_add_co_ci_u32_e64 v29, null, v25, v29, vcc_lo
	flat_store_short v[28:29], v30
	s_or_b32 exec_lo, exec_lo, s12
	s_and_b32 s12, s7, s8
	s_and_saveexec_b32 s8, s12
	s_cbranch_execz .LBB230_259
.LBB230_255:
	v_cmp_ne_u32_e32 vcc_lo, 1, v70
	s_cbranch_vccnz .LBB230_257
; %bb.256:
	v_lshlrev_b64 v[28:29], 1, v[46:47]
	v_add_co_u32 v26, vcc_lo, v26, v28
	v_add_co_ci_u32_e64 v27, null, v27, v29, vcc_lo
	flat_load_ushort v26, v[26:27]
	s_waitcnt vmcnt(0) lgkmcnt(0)
	v_mul_f16_e32 v26, s22, v26
	v_cvt_f32_f16_e32 v26, v26
	s_branch .LBB230_258
.LBB230_257:
	v_mov_b32_e32 v26, 0
.LBB230_258:
	v_pk_add_f16 v20, v2, v20
	v_pk_add_f16 v21, v3, v21
	v_max_f16_e32 v27, v73, v73
	v_lshrrev_b32_e32 v28, 16, v73
	v_lshrrev_b32_e32 v29, 16, v20
	;; [unrolled: 1-line block ×3, first 2 shown]
	v_min_f16_e32 v20, v27, v20
	v_min3_f16 v27, v28, v29, v30
	v_min3_f16 v20, v20, v21, v27
	v_max_f32_e32 v21, v26, v26
	v_cvt_f32_f16_e32 v20, v20
	v_min_f32_e32 v26, v21, v20
	v_lshlrev_b64 v[20:21], 1, v[46:47]
	v_cvt_f16_f32_e32 v26, v26
	v_add_co_u32 v20, vcc_lo, v24, v20
	v_add_co_ci_u32_e64 v21, null, v25, v21, vcc_lo
	flat_store_short v[20:21], v26
.LBB230_259:
	s_or_b32 exec_lo, exec_lo, s8
	v_add_nc_u32_e32 v26, 0xa0, v77
	v_mad_i64_i32 v[20:21], null, v26, s14, 0
	v_mad_i64_i32 v[24:25], null, v26, s9, 0
	v_cmp_gt_i32_e64 s8, s13, v26
	v_lshlrev_b64 v[20:21], 1, v[20:21]
	s_and_b32 s17, s0, s8
	v_lshlrev_b64 v[26:27], 1, v[24:25]
	v_add_co_u32 v24, vcc_lo, s10, v20
	v_add_co_ci_u32_e64 v25, null, s11, v21, vcc_lo
	v_add_co_u32 v20, vcc_lo, s15, v26
	v_add_co_ci_u32_e64 v21, null, s16, v27, vcc_lo
	s_and_saveexec_b32 s12, s17
	s_cbranch_execnz .LBB230_267
; %bb.260:
	s_or_b32 exec_lo, exec_lo, s12
	s_and_b32 s17, s1, s8
	s_and_saveexec_b32 s12, s17
	s_cbranch_execnz .LBB230_271
.LBB230_261:
	s_or_b32 exec_lo, exec_lo, s12
	s_and_b32 s17, s2, s8
	s_and_saveexec_b32 s12, s17
	s_cbranch_execnz .LBB230_275
.LBB230_262:
	s_or_b32 exec_lo, exec_lo, s12
	s_and_b32 s17, s3, s8
	s_and_saveexec_b32 s12, s17
	s_cbranch_execnz .LBB230_279
.LBB230_263:
	s_or_b32 exec_lo, exec_lo, s12
	s_and_b32 s17, s4, s8
	s_and_saveexec_b32 s12, s17
	s_cbranch_execnz .LBB230_283
.LBB230_264:
	s_or_b32 exec_lo, exec_lo, s12
	s_and_b32 s17, s5, s8
	s_and_saveexec_b32 s12, s17
	s_cbranch_execnz .LBB230_287
.LBB230_265:
	s_or_b32 exec_lo, exec_lo, s12
	s_and_b32 s17, s6, s8
	s_and_saveexec_b32 s12, s17
	s_cbranch_execnz .LBB230_291
.LBB230_266:
	s_or_b32 exec_lo, exec_lo, s12
	s_and_b32 s12, s7, s8
	s_and_saveexec_b32 s8, s12
	s_cbranch_execnz .LBB230_295
	s_branch .LBB230_299
.LBB230_267:
	v_cmp_ne_u32_e32 vcc_lo, 1, v70
	s_cbranch_vccnz .LBB230_269
; %bb.268:
	v_lshlrev_b64 v[26:27], 1, v[32:33]
	v_add_co_u32 v26, vcc_lo, v24, v26
	v_add_co_ci_u32_e64 v27, null, v25, v27, vcc_lo
	flat_load_ushort v26, v[26:27]
	s_waitcnt vmcnt(0) lgkmcnt(0)
	v_mul_f16_e32 v26, s22, v26
	v_cvt_f32_f16_e32 v26, v26
	s_branch .LBB230_270
.LBB230_269:
	v_mov_b32_e32 v26, 0
.LBB230_270:
	v_pk_add_f16 v27, v16, v22
	v_pk_add_f16 v28, v17, v23
	v_max_f16_e32 v29, v72, v72
	v_lshrrev_b32_e32 v30, 16, v72
	v_max_f32_e32 v26, v26, v26
	v_lshrrev_b32_e32 v31, 16, v27
	v_lshrrev_b32_e32 v72, 16, v28
	v_min_f16_e32 v27, v29, v27
	v_min3_f16 v29, v30, v31, v72
	v_min3_f16 v27, v27, v28, v29
	v_cvt_f32_f16_e32 v27, v27
	v_min_f32_e32 v28, v26, v27
	v_lshlrev_b64 v[26:27], 1, v[32:33]
	v_cvt_f16_f32_e32 v28, v28
	v_add_co_u32 v26, vcc_lo, v20, v26
	v_add_co_ci_u32_e64 v27, null, v21, v27, vcc_lo
	flat_store_short v[26:27], v28
	s_or_b32 exec_lo, exec_lo, s12
	s_and_b32 s17, s1, s8
	s_and_saveexec_b32 s12, s17
	s_cbranch_execz .LBB230_261
.LBB230_271:
	v_cmp_ne_u32_e32 vcc_lo, 1, v70
	s_cbranch_vccnz .LBB230_273
; %bb.272:
	v_lshlrev_b64 v[26:27], 1, v[34:35]
	v_add_co_u32 v26, vcc_lo, v24, v26
	v_add_co_ci_u32_e64 v27, null, v25, v27, vcc_lo
	flat_load_ushort v26, v[26:27]
	s_waitcnt vmcnt(0) lgkmcnt(0)
	v_mul_f16_e32 v26, s22, v26
	v_cvt_f32_f16_e32 v26, v26
	s_branch .LBB230_274
.LBB230_273:
	v_mov_b32_e32 v26, 0
.LBB230_274:
	v_pk_add_f16 v27, v18, v22
	v_pk_add_f16 v28, v19, v23
	v_max_f16_e32 v29, v71, v71
	v_lshrrev_b32_e32 v30, 16, v71
	v_max_f32_e32 v26, v26, v26
	v_lshrrev_b32_e32 v31, 16, v27
	v_lshrrev_b32_e32 v71, 16, v28
	v_min_f16_e32 v27, v29, v27
	v_min3_f16 v29, v30, v31, v71
	v_min3_f16 v27, v27, v28, v29
	v_cvt_f32_f16_e32 v27, v27
	v_min_f32_e32 v28, v26, v27
	v_lshlrev_b64 v[26:27], 1, v[34:35]
	v_cvt_f16_f32_e32 v28, v28
	v_add_co_u32 v26, vcc_lo, v20, v26
	v_add_co_ci_u32_e64 v27, null, v21, v27, vcc_lo
	flat_store_short v[26:27], v28
	s_or_b32 exec_lo, exec_lo, s12
	s_and_b32 s17, s2, s8
	s_and_saveexec_b32 s12, s17
	s_cbranch_execz .LBB230_262
.LBB230_275:
	v_cmp_ne_u32_e32 vcc_lo, 1, v70
	s_cbranch_vccnz .LBB230_277
; %bb.276:
	v_lshlrev_b64 v[26:27], 1, v[36:37]
	v_add_co_u32 v26, vcc_lo, v24, v26
	v_add_co_ci_u32_e64 v27, null, v25, v27, vcc_lo
	flat_load_ushort v26, v[26:27]
	s_waitcnt vmcnt(0) lgkmcnt(0)
	v_mul_f16_e32 v26, s22, v26
	v_cvt_f32_f16_e32 v26, v26
	s_branch .LBB230_278
.LBB230_277:
	v_mov_b32_e32 v26, 0
.LBB230_278:
	v_pk_add_f16 v27, v12, v22
	v_pk_add_f16 v28, v13, v23
	v_max_f16_e32 v29, v69, v69
	v_lshrrev_b32_e32 v30, 16, v69
	v_max_f32_e32 v26, v26, v26
	v_lshrrev_b32_e32 v31, 16, v27
	v_lshrrev_b32_e32 v69, 16, v28
	v_min_f16_e32 v27, v29, v27
	v_min3_f16 v29, v30, v31, v69
	v_min3_f16 v27, v27, v28, v29
	v_cvt_f32_f16_e32 v27, v27
	v_min_f32_e32 v28, v26, v27
	v_lshlrev_b64 v[26:27], 1, v[36:37]
	v_cvt_f16_f32_e32 v28, v28
	v_add_co_u32 v26, vcc_lo, v20, v26
	v_add_co_ci_u32_e64 v27, null, v21, v27, vcc_lo
	flat_store_short v[26:27], v28
	s_or_b32 exec_lo, exec_lo, s12
	s_and_b32 s17, s3, s8
	s_and_saveexec_b32 s12, s17
	s_cbranch_execz .LBB230_263
.LBB230_279:
	v_cmp_ne_u32_e32 vcc_lo, 1, v70
	s_cbranch_vccnz .LBB230_281
; %bb.280:
	v_lshlrev_b64 v[26:27], 1, v[38:39]
	v_add_co_u32 v26, vcc_lo, v24, v26
	v_add_co_ci_u32_e64 v27, null, v25, v27, vcc_lo
	flat_load_ushort v26, v[26:27]
	s_waitcnt vmcnt(0) lgkmcnt(0)
	v_mul_f16_e32 v26, s22, v26
	v_cvt_f32_f16_e32 v26, v26
	s_branch .LBB230_282
.LBB230_281:
	v_mov_b32_e32 v26, 0
.LBB230_282:
	v_pk_add_f16 v27, v14, v22
	v_pk_add_f16 v28, v15, v23
	v_max_f16_e32 v29, v68, v68
	v_lshrrev_b32_e32 v30, 16, v68
	v_max_f32_e32 v26, v26, v26
	v_lshrrev_b32_e32 v31, 16, v27
	v_lshrrev_b32_e32 v68, 16, v28
	v_min_f16_e32 v27, v29, v27
	v_min3_f16 v29, v30, v31, v68
	v_min3_f16 v27, v27, v28, v29
	v_cvt_f32_f16_e32 v27, v27
	v_min_f32_e32 v28, v26, v27
	v_lshlrev_b64 v[26:27], 1, v[38:39]
	v_cvt_f16_f32_e32 v28, v28
	v_add_co_u32 v26, vcc_lo, v20, v26
	v_add_co_ci_u32_e64 v27, null, v21, v27, vcc_lo
	flat_store_short v[26:27], v28
	s_or_b32 exec_lo, exec_lo, s12
	s_and_b32 s17, s4, s8
	s_and_saveexec_b32 s12, s17
	s_cbranch_execz .LBB230_264
.LBB230_283:
	v_cmp_ne_u32_e32 vcc_lo, 1, v70
	s_cbranch_vccnz .LBB230_285
; %bb.284:
	v_lshlrev_b64 v[26:27], 1, v[40:41]
	v_add_co_u32 v26, vcc_lo, v24, v26
	v_add_co_ci_u32_e64 v27, null, v25, v27, vcc_lo
	flat_load_ushort v26, v[26:27]
	s_waitcnt vmcnt(0) lgkmcnt(0)
	v_mul_f16_e32 v26, s22, v26
	v_cvt_f32_f16_e32 v26, v26
	s_branch .LBB230_286
.LBB230_285:
	v_mov_b32_e32 v26, 0
.LBB230_286:
	v_pk_add_f16 v27, v8, v22
	v_pk_add_f16 v28, v9, v23
	v_max_f16_e32 v29, v67, v67
	v_lshrrev_b32_e32 v30, 16, v67
	v_max_f32_e32 v26, v26, v26
	v_lshrrev_b32_e32 v31, 16, v27
	v_lshrrev_b32_e32 v67, 16, v28
	v_min_f16_e32 v27, v29, v27
	v_min3_f16 v29, v30, v31, v67
	v_min3_f16 v27, v27, v28, v29
	v_cvt_f32_f16_e32 v27, v27
	v_min_f32_e32 v28, v26, v27
	v_lshlrev_b64 v[26:27], 1, v[40:41]
	v_cvt_f16_f32_e32 v28, v28
	v_add_co_u32 v26, vcc_lo, v20, v26
	v_add_co_ci_u32_e64 v27, null, v21, v27, vcc_lo
	flat_store_short v[26:27], v28
	s_or_b32 exec_lo, exec_lo, s12
	s_and_b32 s17, s5, s8
	s_and_saveexec_b32 s12, s17
	s_cbranch_execz .LBB230_265
.LBB230_287:
	v_cmp_ne_u32_e32 vcc_lo, 1, v70
	s_cbranch_vccnz .LBB230_289
; %bb.288:
	v_lshlrev_b64 v[26:27], 1, v[42:43]
	v_add_co_u32 v26, vcc_lo, v24, v26
	v_add_co_ci_u32_e64 v27, null, v25, v27, vcc_lo
	flat_load_ushort v26, v[26:27]
	s_waitcnt vmcnt(0) lgkmcnt(0)
	v_mul_f16_e32 v26, s22, v26
	v_cvt_f32_f16_e32 v26, v26
	s_branch .LBB230_290
.LBB230_289:
	v_mov_b32_e32 v26, 0
.LBB230_290:
	v_pk_add_f16 v27, v10, v22
	v_pk_add_f16 v28, v11, v23
	v_max_f16_e32 v29, v66, v66
	v_lshrrev_b32_e32 v30, 16, v66
	v_max_f32_e32 v26, v26, v26
	v_lshrrev_b32_e32 v31, 16, v27
	v_lshrrev_b32_e32 v66, 16, v28
	v_min_f16_e32 v27, v29, v27
	v_min3_f16 v29, v30, v31, v66
	v_min3_f16 v27, v27, v28, v29
	v_cvt_f32_f16_e32 v27, v27
	v_min_f32_e32 v28, v26, v27
	v_lshlrev_b64 v[26:27], 1, v[42:43]
	v_cvt_f16_f32_e32 v28, v28
	v_add_co_u32 v26, vcc_lo, v20, v26
	v_add_co_ci_u32_e64 v27, null, v21, v27, vcc_lo
	flat_store_short v[26:27], v28
	s_or_b32 exec_lo, exec_lo, s12
	s_and_b32 s17, s6, s8
	s_and_saveexec_b32 s12, s17
	s_cbranch_execz .LBB230_266
.LBB230_291:
	v_cmp_ne_u32_e32 vcc_lo, 1, v70
	s_cbranch_vccnz .LBB230_293
; %bb.292:
	v_lshlrev_b64 v[26:27], 1, v[44:45]
	v_add_co_u32 v26, vcc_lo, v24, v26
	v_add_co_ci_u32_e64 v27, null, v25, v27, vcc_lo
	flat_load_ushort v26, v[26:27]
	s_waitcnt vmcnt(0) lgkmcnt(0)
	v_mul_f16_e32 v26, s22, v26
	v_cvt_f32_f16_e32 v26, v26
	s_branch .LBB230_294
.LBB230_293:
	v_mov_b32_e32 v26, 0
.LBB230_294:
	v_pk_add_f16 v27, v0, v22
	v_pk_add_f16 v28, v1, v23
	v_max_f16_e32 v29, v65, v65
	v_lshrrev_b32_e32 v30, 16, v65
	v_max_f32_e32 v26, v26, v26
	v_lshrrev_b32_e32 v31, 16, v27
	v_lshrrev_b32_e32 v65, 16, v28
	v_min_f16_e32 v27, v29, v27
	v_min3_f16 v29, v30, v31, v65
	v_min3_f16 v27, v27, v28, v29
	v_cvt_f32_f16_e32 v27, v27
	v_min_f32_e32 v28, v26, v27
	v_lshlrev_b64 v[26:27], 1, v[44:45]
	v_cvt_f16_f32_e32 v28, v28
	v_add_co_u32 v26, vcc_lo, v20, v26
	v_add_co_ci_u32_e64 v27, null, v21, v27, vcc_lo
	flat_store_short v[26:27], v28
	s_or_b32 exec_lo, exec_lo, s12
	s_and_b32 s12, s7, s8
	s_and_saveexec_b32 s8, s12
	s_cbranch_execz .LBB230_299
.LBB230_295:
	v_cmp_ne_u32_e32 vcc_lo, 1, v70
	s_cbranch_vccnz .LBB230_297
; %bb.296:
	v_lshlrev_b64 v[26:27], 1, v[46:47]
	v_add_co_u32 v24, vcc_lo, v24, v26
	v_add_co_ci_u32_e64 v25, null, v25, v27, vcc_lo
	flat_load_ushort v24, v[24:25]
	s_waitcnt vmcnt(0) lgkmcnt(0)
	v_mul_f16_e32 v24, s22, v24
	v_cvt_f32_f16_e32 v24, v24
	s_branch .LBB230_298
.LBB230_297:
	v_mov_b32_e32 v24, 0
.LBB230_298:
	v_pk_add_f16 v22, v2, v22
	v_pk_add_f16 v23, v3, v23
	v_max_f16_e32 v25, v64, v64
	v_lshrrev_b32_e32 v26, 16, v64
	v_lshrrev_b32_e32 v27, 16, v22
	v_lshrrev_b32_e32 v28, 16, v23
	v_min_f16_e32 v22, v25, v22
	v_min3_f16 v25, v26, v27, v28
	v_min3_f16 v22, v22, v23, v25
	v_max_f32_e32 v23, v24, v24
	v_cvt_f32_f16_e32 v22, v22
	v_min_f32_e32 v24, v23, v22
	v_lshlrev_b64 v[22:23], 1, v[46:47]
	v_cvt_f16_f32_e32 v24, v24
	v_add_co_u32 v20, vcc_lo, v20, v22
	v_add_co_ci_u32_e64 v21, null, v21, v23, vcc_lo
	flat_store_short v[20:21], v24
.LBB230_299:
	s_or_b32 exec_lo, exec_lo, s8
	v_add_nc_u32_e32 v24, 0xc0, v77
	v_mad_i64_i32 v[20:21], null, v24, s14, 0
	v_mad_i64_i32 v[22:23], null, v24, s9, 0
	v_cmp_gt_i32_e64 s8, s13, v24
	v_lshlrev_b64 v[20:21], 1, v[20:21]
	s_and_b32 s17, s0, s8
	v_lshlrev_b64 v[24:25], 1, v[22:23]
	v_add_co_u32 v22, vcc_lo, s10, v20
	v_add_co_ci_u32_e64 v23, null, s11, v21, vcc_lo
	v_add_co_u32 v20, vcc_lo, s15, v24
	v_add_co_ci_u32_e64 v21, null, s16, v25, vcc_lo
	s_and_saveexec_b32 s12, s17
	s_cbranch_execnz .LBB230_307
; %bb.300:
	s_or_b32 exec_lo, exec_lo, s12
	s_and_b32 s17, s1, s8
	s_and_saveexec_b32 s12, s17
	s_cbranch_execnz .LBB230_311
.LBB230_301:
	s_or_b32 exec_lo, exec_lo, s12
	s_and_b32 s17, s2, s8
	s_and_saveexec_b32 s12, s17
	s_cbranch_execnz .LBB230_315
.LBB230_302:
	s_or_b32 exec_lo, exec_lo, s12
	s_and_b32 s17, s3, s8
	s_and_saveexec_b32 s12, s17
	s_cbranch_execnz .LBB230_319
.LBB230_303:
	s_or_b32 exec_lo, exec_lo, s12
	s_and_b32 s17, s4, s8
	s_and_saveexec_b32 s12, s17
	s_cbranch_execnz .LBB230_323
.LBB230_304:
	s_or_b32 exec_lo, exec_lo, s12
	s_and_b32 s17, s5, s8
	s_and_saveexec_b32 s12, s17
	s_cbranch_execnz .LBB230_327
.LBB230_305:
	s_or_b32 exec_lo, exec_lo, s12
	s_and_b32 s17, s6, s8
	s_and_saveexec_b32 s12, s17
	s_cbranch_execnz .LBB230_331
.LBB230_306:
	s_or_b32 exec_lo, exec_lo, s12
	s_and_b32 s12, s7, s8
	s_and_saveexec_b32 s8, s12
	s_cbranch_execnz .LBB230_335
	s_branch .LBB230_339
.LBB230_307:
	v_cmp_ne_u32_e32 vcc_lo, 1, v70
	s_cbranch_vccnz .LBB230_309
; %bb.308:
	v_lshlrev_b64 v[24:25], 1, v[32:33]
	v_add_co_u32 v24, vcc_lo, v22, v24
	v_add_co_ci_u32_e64 v25, null, v23, v25, vcc_lo
	flat_load_ushort v24, v[24:25]
	s_waitcnt vmcnt(0) lgkmcnt(0)
	v_mul_f16_e32 v24, s22, v24
	v_cvt_f32_f16_e32 v24, v24
	s_branch .LBB230_310
.LBB230_309:
	v_mov_b32_e32 v24, 0
.LBB230_310:
	v_pk_add_f16 v25, v16, v4
	v_pk_add_f16 v26, v17, v5
	v_max_f16_e32 v27, v63, v63
	v_lshrrev_b32_e32 v28, 16, v63
	v_max_f32_e32 v24, v24, v24
	v_lshrrev_b32_e32 v29, 16, v25
	v_lshrrev_b32_e32 v30, 16, v26
	v_min_f16_e32 v25, v27, v25
	v_min3_f16 v27, v28, v29, v30
	v_min3_f16 v25, v25, v26, v27
	v_cvt_f32_f16_e32 v25, v25
	v_min_f32_e32 v26, v24, v25
	v_lshlrev_b64 v[24:25], 1, v[32:33]
	v_cvt_f16_f32_e32 v26, v26
	v_add_co_u32 v24, vcc_lo, v20, v24
	v_add_co_ci_u32_e64 v25, null, v21, v25, vcc_lo
	flat_store_short v[24:25], v26
	s_or_b32 exec_lo, exec_lo, s12
	s_and_b32 s17, s1, s8
	s_and_saveexec_b32 s12, s17
	s_cbranch_execz .LBB230_301
.LBB230_311:
	v_cmp_ne_u32_e32 vcc_lo, 1, v70
	s_cbranch_vccnz .LBB230_313
; %bb.312:
	v_lshlrev_b64 v[24:25], 1, v[34:35]
	v_add_co_u32 v24, vcc_lo, v22, v24
	v_add_co_ci_u32_e64 v25, null, v23, v25, vcc_lo
	flat_load_ushort v24, v[24:25]
	s_waitcnt vmcnt(0) lgkmcnt(0)
	v_mul_f16_e32 v24, s22, v24
	v_cvt_f32_f16_e32 v24, v24
	s_branch .LBB230_314
.LBB230_313:
	v_mov_b32_e32 v24, 0
.LBB230_314:
	v_pk_add_f16 v25, v18, v4
	v_pk_add_f16 v26, v19, v5
	v_max_f16_e32 v27, v62, v62
	v_lshrrev_b32_e32 v28, 16, v62
	v_max_f32_e32 v24, v24, v24
	v_lshrrev_b32_e32 v29, 16, v25
	v_lshrrev_b32_e32 v30, 16, v26
	v_min_f16_e32 v25, v27, v25
	v_min3_f16 v27, v28, v29, v30
	v_min3_f16 v25, v25, v26, v27
	v_cvt_f32_f16_e32 v25, v25
	v_min_f32_e32 v26, v24, v25
	v_lshlrev_b64 v[24:25], 1, v[34:35]
	v_cvt_f16_f32_e32 v26, v26
	v_add_co_u32 v24, vcc_lo, v20, v24
	v_add_co_ci_u32_e64 v25, null, v21, v25, vcc_lo
	flat_store_short v[24:25], v26
	s_or_b32 exec_lo, exec_lo, s12
	s_and_b32 s17, s2, s8
	s_and_saveexec_b32 s12, s17
	s_cbranch_execz .LBB230_302
.LBB230_315:
	v_cmp_ne_u32_e32 vcc_lo, 1, v70
	s_cbranch_vccnz .LBB230_317
; %bb.316:
	v_lshlrev_b64 v[24:25], 1, v[36:37]
	v_add_co_u32 v24, vcc_lo, v22, v24
	v_add_co_ci_u32_e64 v25, null, v23, v25, vcc_lo
	flat_load_ushort v24, v[24:25]
	s_waitcnt vmcnt(0) lgkmcnt(0)
	v_mul_f16_e32 v24, s22, v24
	v_cvt_f32_f16_e32 v24, v24
	s_branch .LBB230_318
.LBB230_317:
	v_mov_b32_e32 v24, 0
.LBB230_318:
	v_pk_add_f16 v25, v12, v4
	v_pk_add_f16 v26, v13, v5
	v_max_f16_e32 v27, v61, v61
	v_lshrrev_b32_e32 v28, 16, v61
	v_max_f32_e32 v24, v24, v24
	v_lshrrev_b32_e32 v29, 16, v25
	v_lshrrev_b32_e32 v30, 16, v26
	v_min_f16_e32 v25, v27, v25
	v_min3_f16 v27, v28, v29, v30
	v_min3_f16 v25, v25, v26, v27
	v_cvt_f32_f16_e32 v25, v25
	v_min_f32_e32 v26, v24, v25
	v_lshlrev_b64 v[24:25], 1, v[36:37]
	v_cvt_f16_f32_e32 v26, v26
	v_add_co_u32 v24, vcc_lo, v20, v24
	v_add_co_ci_u32_e64 v25, null, v21, v25, vcc_lo
	flat_store_short v[24:25], v26
	s_or_b32 exec_lo, exec_lo, s12
	s_and_b32 s17, s3, s8
	s_and_saveexec_b32 s12, s17
	s_cbranch_execz .LBB230_303
.LBB230_319:
	v_cmp_ne_u32_e32 vcc_lo, 1, v70
	s_cbranch_vccnz .LBB230_321
; %bb.320:
	v_lshlrev_b64 v[24:25], 1, v[38:39]
	v_add_co_u32 v24, vcc_lo, v22, v24
	v_add_co_ci_u32_e64 v25, null, v23, v25, vcc_lo
	flat_load_ushort v24, v[24:25]
	s_waitcnt vmcnt(0) lgkmcnt(0)
	v_mul_f16_e32 v24, s22, v24
	v_cvt_f32_f16_e32 v24, v24
	s_branch .LBB230_322
.LBB230_321:
	v_mov_b32_e32 v24, 0
.LBB230_322:
	v_pk_add_f16 v25, v14, v4
	v_pk_add_f16 v26, v15, v5
	v_max_f16_e32 v27, v60, v60
	v_lshrrev_b32_e32 v28, 16, v60
	v_max_f32_e32 v24, v24, v24
	v_lshrrev_b32_e32 v29, 16, v25
	v_lshrrev_b32_e32 v30, 16, v26
	v_min_f16_e32 v25, v27, v25
	v_min3_f16 v27, v28, v29, v30
	v_min3_f16 v25, v25, v26, v27
	v_cvt_f32_f16_e32 v25, v25
	v_min_f32_e32 v26, v24, v25
	v_lshlrev_b64 v[24:25], 1, v[38:39]
	v_cvt_f16_f32_e32 v26, v26
	v_add_co_u32 v24, vcc_lo, v20, v24
	v_add_co_ci_u32_e64 v25, null, v21, v25, vcc_lo
	flat_store_short v[24:25], v26
	s_or_b32 exec_lo, exec_lo, s12
	s_and_b32 s17, s4, s8
	s_and_saveexec_b32 s12, s17
	s_cbranch_execz .LBB230_304
.LBB230_323:
	v_cmp_ne_u32_e32 vcc_lo, 1, v70
	s_cbranch_vccnz .LBB230_325
; %bb.324:
	v_lshlrev_b64 v[24:25], 1, v[40:41]
	v_add_co_u32 v24, vcc_lo, v22, v24
	v_add_co_ci_u32_e64 v25, null, v23, v25, vcc_lo
	flat_load_ushort v24, v[24:25]
	s_waitcnt vmcnt(0) lgkmcnt(0)
	v_mul_f16_e32 v24, s22, v24
	v_cvt_f32_f16_e32 v24, v24
	s_branch .LBB230_326
.LBB230_325:
	v_mov_b32_e32 v24, 0
.LBB230_326:
	v_pk_add_f16 v25, v8, v4
	v_pk_add_f16 v26, v9, v5
	v_max_f16_e32 v27, v59, v59
	v_lshrrev_b32_e32 v28, 16, v59
	v_max_f32_e32 v24, v24, v24
	v_lshrrev_b32_e32 v29, 16, v25
	v_lshrrev_b32_e32 v30, 16, v26
	v_min_f16_e32 v25, v27, v25
	v_min3_f16 v27, v28, v29, v30
	v_min3_f16 v25, v25, v26, v27
	v_cvt_f32_f16_e32 v25, v25
	v_min_f32_e32 v26, v24, v25
	v_lshlrev_b64 v[24:25], 1, v[40:41]
	v_cvt_f16_f32_e32 v26, v26
	v_add_co_u32 v24, vcc_lo, v20, v24
	v_add_co_ci_u32_e64 v25, null, v21, v25, vcc_lo
	flat_store_short v[24:25], v26
	s_or_b32 exec_lo, exec_lo, s12
	s_and_b32 s17, s5, s8
	s_and_saveexec_b32 s12, s17
	s_cbranch_execz .LBB230_305
.LBB230_327:
	v_cmp_ne_u32_e32 vcc_lo, 1, v70
	s_cbranch_vccnz .LBB230_329
; %bb.328:
	v_lshlrev_b64 v[24:25], 1, v[42:43]
	v_add_co_u32 v24, vcc_lo, v22, v24
	v_add_co_ci_u32_e64 v25, null, v23, v25, vcc_lo
	flat_load_ushort v24, v[24:25]
	s_waitcnt vmcnt(0) lgkmcnt(0)
	v_mul_f16_e32 v24, s22, v24
	v_cvt_f32_f16_e32 v24, v24
	s_branch .LBB230_330
.LBB230_329:
	v_mov_b32_e32 v24, 0
.LBB230_330:
	v_pk_add_f16 v25, v10, v4
	v_pk_add_f16 v26, v11, v5
	v_max_f16_e32 v27, v58, v58
	v_lshrrev_b32_e32 v28, 16, v58
	v_max_f32_e32 v24, v24, v24
	v_lshrrev_b32_e32 v29, 16, v25
	v_lshrrev_b32_e32 v30, 16, v26
	v_min_f16_e32 v25, v27, v25
	v_min3_f16 v27, v28, v29, v30
	v_min3_f16 v25, v25, v26, v27
	v_cvt_f32_f16_e32 v25, v25
	v_min_f32_e32 v26, v24, v25
	v_lshlrev_b64 v[24:25], 1, v[42:43]
	v_cvt_f16_f32_e32 v26, v26
	v_add_co_u32 v24, vcc_lo, v20, v24
	v_add_co_ci_u32_e64 v25, null, v21, v25, vcc_lo
	flat_store_short v[24:25], v26
	s_or_b32 exec_lo, exec_lo, s12
	s_and_b32 s17, s6, s8
	s_and_saveexec_b32 s12, s17
	s_cbranch_execz .LBB230_306
.LBB230_331:
	v_cmp_ne_u32_e32 vcc_lo, 1, v70
	s_cbranch_vccnz .LBB230_333
; %bb.332:
	v_lshlrev_b64 v[24:25], 1, v[44:45]
	v_add_co_u32 v24, vcc_lo, v22, v24
	v_add_co_ci_u32_e64 v25, null, v23, v25, vcc_lo
	flat_load_ushort v24, v[24:25]
	s_waitcnt vmcnt(0) lgkmcnt(0)
	v_mul_f16_e32 v24, s22, v24
	v_cvt_f32_f16_e32 v24, v24
	s_branch .LBB230_334
.LBB230_333:
	v_mov_b32_e32 v24, 0
.LBB230_334:
	v_pk_add_f16 v25, v0, v4
	v_pk_add_f16 v26, v1, v5
	v_max_f16_e32 v27, v57, v57
	v_lshrrev_b32_e32 v28, 16, v57
	v_max_f32_e32 v24, v24, v24
	v_lshrrev_b32_e32 v29, 16, v25
	v_lshrrev_b32_e32 v30, 16, v26
	v_min_f16_e32 v25, v27, v25
	v_min3_f16 v27, v28, v29, v30
	v_min3_f16 v25, v25, v26, v27
	v_cvt_f32_f16_e32 v25, v25
	v_min_f32_e32 v26, v24, v25
	v_lshlrev_b64 v[24:25], 1, v[44:45]
	v_cvt_f16_f32_e32 v26, v26
	v_add_co_u32 v24, vcc_lo, v20, v24
	v_add_co_ci_u32_e64 v25, null, v21, v25, vcc_lo
	flat_store_short v[24:25], v26
	s_or_b32 exec_lo, exec_lo, s12
	s_and_b32 s12, s7, s8
	s_and_saveexec_b32 s8, s12
	s_cbranch_execz .LBB230_339
.LBB230_335:
	v_cmp_ne_u32_e32 vcc_lo, 1, v70
	s_cbranch_vccnz .LBB230_337
; %bb.336:
	v_lshlrev_b64 v[24:25], 1, v[46:47]
	v_add_co_u32 v22, vcc_lo, v22, v24
	v_add_co_ci_u32_e64 v23, null, v23, v25, vcc_lo
	flat_load_ushort v22, v[22:23]
	s_waitcnt vmcnt(0) lgkmcnt(0)
	v_mul_f16_e32 v22, s22, v22
	v_cvt_f32_f16_e32 v22, v22
	s_branch .LBB230_338
.LBB230_337:
	v_mov_b32_e32 v22, 0
.LBB230_338:
	v_pk_add_f16 v4, v2, v4
	v_pk_add_f16 v5, v3, v5
	v_max_f16_e32 v23, v56, v56
	v_lshrrev_b32_e32 v24, 16, v56
	v_lshrrev_b32_e32 v25, 16, v4
	v_lshrrev_b32_e32 v26, 16, v5
	v_min_f16_e32 v4, v23, v4
	v_min3_f16 v23, v24, v25, v26
	v_min3_f16 v4, v4, v5, v23
	v_max_f32_e32 v5, v22, v22
	v_cvt_f32_f16_e32 v4, v4
	v_min_f32_e32 v22, v5, v4
	v_lshlrev_b64 v[4:5], 1, v[46:47]
	v_cvt_f16_f32_e32 v22, v22
	v_add_co_u32 v4, vcc_lo, v20, v4
	v_add_co_ci_u32_e64 v5, null, v21, v5, vcc_lo
	flat_store_short v[4:5], v22
.LBB230_339:
	s_or_b32 exec_lo, exec_lo, s8
	v_add_nc_u32_e32 v22, 0xe0, v77
	v_mad_i64_i32 v[4:5], null, v22, s14, 0
	v_mad_i64_i32 v[20:21], null, v22, s9, 0
	v_cmp_gt_i32_e64 s8, s13, v22
	v_lshlrev_b64 v[4:5], 1, v[4:5]
	s_and_b32 s9, s0, s8
	v_lshlrev_b64 v[20:21], 1, v[20:21]
	v_add_co_u32 v22, vcc_lo, s10, v4
	v_add_co_ci_u32_e64 v23, null, s11, v5, vcc_lo
	v_add_co_u32 v20, vcc_lo, s15, v20
	v_add_co_ci_u32_e64 v21, null, s16, v21, vcc_lo
	s_and_saveexec_b32 s0, s9
	s_cbranch_execnz .LBB230_348
; %bb.340:
	s_or_b32 exec_lo, exec_lo, s0
	s_and_b32 s1, s1, s8
	s_and_saveexec_b32 s0, s1
	s_cbranch_execnz .LBB230_352
.LBB230_341:
	s_or_b32 exec_lo, exec_lo, s0
	s_and_b32 s1, s2, s8
	s_and_saveexec_b32 s0, s1
	s_cbranch_execnz .LBB230_356
.LBB230_342:
	s_or_b32 exec_lo, exec_lo, s0
	s_and_b32 s1, s3, s8
	s_and_saveexec_b32 s0, s1
	s_cbranch_execnz .LBB230_360
.LBB230_343:
	s_or_b32 exec_lo, exec_lo, s0
	s_and_b32 s1, s4, s8
	s_and_saveexec_b32 s0, s1
	s_cbranch_execnz .LBB230_364
.LBB230_344:
	s_or_b32 exec_lo, exec_lo, s0
	s_and_b32 s1, s5, s8
	s_and_saveexec_b32 s0, s1
	s_cbranch_execnz .LBB230_368
.LBB230_345:
	s_or_b32 exec_lo, exec_lo, s0
	s_and_b32 s1, s6, s8
	s_and_saveexec_b32 s0, s1
	s_cbranch_execnz .LBB230_372
.LBB230_346:
	s_or_b32 exec_lo, exec_lo, s0
	s_and_b32 s0, s7, s8
	s_and_saveexec_b32 s1, s0
	s_cbranch_execnz .LBB230_376
.LBB230_347:
	s_endpgm
.LBB230_348:
	v_cmp_ne_u32_e32 vcc_lo, 1, v70
	v_lshlrev_b64 v[4:5], 1, v[32:33]
	s_cbranch_vccnz .LBB230_350
; %bb.349:
	v_add_co_u32 v24, vcc_lo, v22, v4
	v_add_co_ci_u32_e64 v25, null, v23, v5, vcc_lo
	flat_load_ushort v24, v[24:25]
	s_waitcnt vmcnt(0) lgkmcnt(0)
	v_mul_f16_e32 v24, s22, v24
	v_cvt_f32_f16_e32 v24, v24
	s_branch .LBB230_351
.LBB230_350:
	v_mov_b32_e32 v24, 0
.LBB230_351:
	v_pk_add_f16 v16, v16, v6
	v_pk_add_f16 v17, v17, v7
	v_max_f16_e32 v25, v55, v55
	v_lshrrev_b32_e32 v26, 16, v55
	v_add_co_u32 v4, vcc_lo, v20, v4
	v_lshrrev_b32_e32 v27, 16, v16
	v_lshrrev_b32_e32 v28, 16, v17
	v_min_f16_e32 v16, v25, v16
	v_add_co_ci_u32_e64 v5, null, v21, v5, vcc_lo
	v_min3_f16 v25, v26, v27, v28
	v_min3_f16 v16, v16, v17, v25
	v_max_f32_e32 v17, v24, v24
	v_cvt_f32_f16_e32 v16, v16
	v_min_f32_e32 v16, v17, v16
	v_cvt_f16_f32_e32 v16, v16
	flat_store_short v[4:5], v16
	s_or_b32 exec_lo, exec_lo, s0
	s_and_b32 s1, s1, s8
	s_and_saveexec_b32 s0, s1
	s_cbranch_execz .LBB230_341
.LBB230_352:
	v_cmp_ne_u32_e32 vcc_lo, 1, v70
	v_lshlrev_b64 v[4:5], 1, v[34:35]
	s_cbranch_vccnz .LBB230_354
; %bb.353:
	v_add_co_u32 v16, vcc_lo, v22, v4
	v_add_co_ci_u32_e64 v17, null, v23, v5, vcc_lo
	flat_load_ushort v16, v[16:17]
	s_waitcnt vmcnt(0) lgkmcnt(0)
	v_mul_f16_e32 v16, s22, v16
	v_cvt_f32_f16_e32 v16, v16
	s_branch .LBB230_355
.LBB230_354:
	v_mov_b32_e32 v16, 0
.LBB230_355:
	v_pk_add_f16 v17, v18, v6
	v_pk_add_f16 v18, v19, v7
	v_max_f16_e32 v19, v54, v54
	v_lshrrev_b32_e32 v24, 16, v54
	v_max_f32_e32 v16, v16, v16
	v_lshrrev_b32_e32 v25, 16, v17
	v_lshrrev_b32_e32 v26, 16, v18
	v_min_f16_e32 v17, v19, v17
	v_add_co_u32 v4, vcc_lo, v20, v4
	v_add_co_ci_u32_e64 v5, null, v21, v5, vcc_lo
	v_min3_f16 v19, v24, v25, v26
	v_min3_f16 v17, v17, v18, v19
	v_cvt_f32_f16_e32 v17, v17
	v_min_f32_e32 v16, v16, v17
	v_cvt_f16_f32_e32 v16, v16
	flat_store_short v[4:5], v16
	s_or_b32 exec_lo, exec_lo, s0
	s_and_b32 s1, s2, s8
	s_and_saveexec_b32 s0, s1
	s_cbranch_execz .LBB230_342
.LBB230_356:
	v_cmp_ne_u32_e32 vcc_lo, 1, v70
	v_lshlrev_b64 v[4:5], 1, v[36:37]
	s_cbranch_vccnz .LBB230_358
; %bb.357:
	v_add_co_u32 v16, vcc_lo, v22, v4
	v_add_co_ci_u32_e64 v17, null, v23, v5, vcc_lo
	flat_load_ushort v16, v[16:17]
	s_waitcnt vmcnt(0) lgkmcnt(0)
	v_mul_f16_e32 v16, s22, v16
	v_cvt_f32_f16_e32 v16, v16
	s_branch .LBB230_359
.LBB230_358:
	v_mov_b32_e32 v16, 0
.LBB230_359:
	v_pk_add_f16 v12, v12, v6
	v_pk_add_f16 v13, v13, v7
	v_max_f16_e32 v17, v53, v53
	v_lshrrev_b32_e32 v18, 16, v53
	v_add_co_u32 v4, vcc_lo, v20, v4
	v_lshrrev_b32_e32 v19, 16, v12
	v_lshrrev_b32_e32 v24, 16, v13
	v_min_f16_e32 v12, v17, v12
	v_add_co_ci_u32_e64 v5, null, v21, v5, vcc_lo
	v_min3_f16 v17, v18, v19, v24
	v_min3_f16 v12, v12, v13, v17
	v_max_f32_e32 v13, v16, v16
	v_cvt_f32_f16_e32 v12, v12
	v_min_f32_e32 v12, v13, v12
	v_cvt_f16_f32_e32 v12, v12
	flat_store_short v[4:5], v12
	s_or_b32 exec_lo, exec_lo, s0
	s_and_b32 s1, s3, s8
	s_and_saveexec_b32 s0, s1
	s_cbranch_execz .LBB230_343
.LBB230_360:
	v_cmp_ne_u32_e32 vcc_lo, 1, v70
	v_lshlrev_b64 v[4:5], 1, v[38:39]
	s_cbranch_vccnz .LBB230_362
; %bb.361:
	v_add_co_u32 v12, vcc_lo, v22, v4
	v_add_co_ci_u32_e64 v13, null, v23, v5, vcc_lo
	flat_load_ushort v12, v[12:13]
	s_waitcnt vmcnt(0) lgkmcnt(0)
	v_mul_f16_e32 v12, s22, v12
	v_cvt_f32_f16_e32 v12, v12
	s_branch .LBB230_363
.LBB230_362:
	v_mov_b32_e32 v12, 0
.LBB230_363:
	v_pk_add_f16 v13, v14, v6
	v_pk_add_f16 v14, v15, v7
	v_max_f16_e32 v15, v52, v52
	v_lshrrev_b32_e32 v16, 16, v52
	v_max_f32_e32 v12, v12, v12
	v_lshrrev_b32_e32 v17, 16, v13
	v_lshrrev_b32_e32 v18, 16, v14
	v_min_f16_e32 v13, v15, v13
	v_add_co_u32 v4, vcc_lo, v20, v4
	v_add_co_ci_u32_e64 v5, null, v21, v5, vcc_lo
	v_min3_f16 v15, v16, v17, v18
	v_min3_f16 v13, v13, v14, v15
	v_cvt_f32_f16_e32 v13, v13
	v_min_f32_e32 v12, v12, v13
	v_cvt_f16_f32_e32 v12, v12
	flat_store_short v[4:5], v12
	s_or_b32 exec_lo, exec_lo, s0
	s_and_b32 s1, s4, s8
	s_and_saveexec_b32 s0, s1
	s_cbranch_execz .LBB230_344
.LBB230_364:
	v_cmp_ne_u32_e32 vcc_lo, 1, v70
	v_lshlrev_b64 v[4:5], 1, v[40:41]
	s_cbranch_vccnz .LBB230_366
; %bb.365:
	v_add_co_u32 v12, vcc_lo, v22, v4
	v_add_co_ci_u32_e64 v13, null, v23, v5, vcc_lo
	flat_load_ushort v12, v[12:13]
	s_waitcnt vmcnt(0) lgkmcnt(0)
	v_mul_f16_e32 v12, s22, v12
	v_cvt_f32_f16_e32 v12, v12
	s_branch .LBB230_367
.LBB230_366:
	v_mov_b32_e32 v12, 0
.LBB230_367:
	v_pk_add_f16 v8, v8, v6
	v_pk_add_f16 v9, v9, v7
	v_max_f16_e32 v13, v51, v51
	v_lshrrev_b32_e32 v14, 16, v51
	v_add_co_u32 v4, vcc_lo, v20, v4
	v_lshrrev_b32_e32 v15, 16, v8
	v_lshrrev_b32_e32 v16, 16, v9
	v_min_f16_e32 v8, v13, v8
	v_add_co_ci_u32_e64 v5, null, v21, v5, vcc_lo
	v_min3_f16 v13, v14, v15, v16
	v_min3_f16 v8, v8, v9, v13
	v_max_f32_e32 v9, v12, v12
	v_cvt_f32_f16_e32 v8, v8
	v_min_f32_e32 v8, v9, v8
	v_cvt_f16_f32_e32 v8, v8
	flat_store_short v[4:5], v8
	s_or_b32 exec_lo, exec_lo, s0
	s_and_b32 s1, s5, s8
	s_and_saveexec_b32 s0, s1
	s_cbranch_execz .LBB230_345
.LBB230_368:
	v_cmp_ne_u32_e32 vcc_lo, 1, v70
	v_lshlrev_b64 v[4:5], 1, v[42:43]
	s_cbranch_vccnz .LBB230_370
; %bb.369:
	v_add_co_u32 v8, vcc_lo, v22, v4
	v_add_co_ci_u32_e64 v9, null, v23, v5, vcc_lo
	flat_load_ushort v8, v[8:9]
	s_waitcnt vmcnt(0) lgkmcnt(0)
	v_mul_f16_e32 v8, s22, v8
	v_cvt_f32_f16_e32 v8, v8
	s_branch .LBB230_371
.LBB230_370:
	v_mov_b32_e32 v8, 0
.LBB230_371:
	v_pk_add_f16 v9, v10, v6
	v_pk_add_f16 v10, v11, v7
	v_max_f16_e32 v11, v50, v50
	v_lshrrev_b32_e32 v12, 16, v50
	v_max_f32_e32 v8, v8, v8
	v_lshrrev_b32_e32 v13, 16, v9
	v_lshrrev_b32_e32 v14, 16, v10
	v_min_f16_e32 v9, v11, v9
	v_add_co_u32 v4, vcc_lo, v20, v4
	v_add_co_ci_u32_e64 v5, null, v21, v5, vcc_lo
	v_min3_f16 v11, v12, v13, v14
	v_min3_f16 v9, v9, v10, v11
	v_cvt_f32_f16_e32 v9, v9
	v_min_f32_e32 v8, v8, v9
	v_cvt_f16_f32_e32 v8, v8
	flat_store_short v[4:5], v8
	s_or_b32 exec_lo, exec_lo, s0
	s_and_b32 s1, s6, s8
	s_and_saveexec_b32 s0, s1
	s_cbranch_execz .LBB230_346
.LBB230_372:
	v_cmp_ne_u32_e32 vcc_lo, 1, v70
	v_lshlrev_b64 v[4:5], 1, v[44:45]
	s_cbranch_vccnz .LBB230_374
; %bb.373:
	v_add_co_u32 v8, vcc_lo, v22, v4
	v_add_co_ci_u32_e64 v9, null, v23, v5, vcc_lo
	flat_load_ushort v8, v[8:9]
	s_waitcnt vmcnt(0) lgkmcnt(0)
	v_mul_f16_e32 v8, s22, v8
	v_cvt_f32_f16_e32 v8, v8
	s_branch .LBB230_375
.LBB230_374:
	v_mov_b32_e32 v8, 0
.LBB230_375:
	v_pk_add_f16 v0, v0, v6
	v_pk_add_f16 v1, v1, v7
	v_max_f16_e32 v9, v49, v49
	v_lshrrev_b32_e32 v10, 16, v49
	v_lshrrev_b32_e32 v11, 16, v0
	v_lshrrev_b32_e32 v12, 16, v1
	v_min_f16_e32 v0, v9, v0
	v_min3_f16 v9, v10, v11, v12
	v_min3_f16 v0, v0, v1, v9
	v_max_f32_e32 v1, v8, v8
	v_cvt_f32_f16_e32 v0, v0
	v_min_f32_e32 v0, v1, v0
	v_cvt_f16_f32_e32 v8, v0
	v_add_co_u32 v0, vcc_lo, v20, v4
	v_add_co_ci_u32_e64 v1, null, v21, v5, vcc_lo
	flat_store_short v[0:1], v8
	s_or_b32 exec_lo, exec_lo, s0
	s_and_b32 s0, s7, s8
	s_and_saveexec_b32 s1, s0
	s_cbranch_execz .LBB230_347
.LBB230_376:
	v_cmp_ne_u32_e32 vcc_lo, 1, v70
	v_lshlrev_b64 v[0:1], 1, v[46:47]
	s_cbranch_vccnz .LBB230_378
; %bb.377:
	v_add_co_u32 v4, vcc_lo, v22, v0
	v_add_co_ci_u32_e64 v5, null, v23, v1, vcc_lo
	flat_load_ushort v4, v[4:5]
	s_waitcnt vmcnt(0) lgkmcnt(0)
	v_mul_f16_e32 v4, s22, v4
	v_cvt_f32_f16_e32 v4, v4
	s_branch .LBB230_379
.LBB230_378:
	v_mov_b32_e32 v4, 0
.LBB230_379:
	v_pk_add_f16 v2, v2, v6
	v_pk_add_f16 v3, v3, v7
	v_max_f16_e32 v5, v48, v48
	v_lshrrev_b32_e32 v6, 16, v48
	v_add_co_u32 v0, vcc_lo, v20, v0
	v_lshrrev_b32_e32 v7, 16, v2
	v_lshrrev_b32_e32 v8, 16, v3
	v_min_f16_e32 v2, v5, v2
	v_add_co_ci_u32_e64 v1, null, v21, v1, vcc_lo
	v_min3_f16 v5, v6, v7, v8
	v_min3_f16 v2, v2, v3, v5
	v_max_f32_e32 v3, v4, v4
	v_cvt_f32_f16_e32 v2, v2
	v_min_f32_e32 v2, v3, v2
	v_cvt_f16_f32_e32 v2, v2
	flat_store_short v[0:1], v2
	s_endpgm
	.section	.rodata,"a",@progbits
	.p2align	6, 0x0
	.amdhsa_kernel _ZN12_GLOBAL__N_120geam_min_plus_kernelIDF16_Dv2_DF16_S1_Li8ELi32ELi64ELi256ELi4ELi4ELi64ELi64ELi4ELc84ELc84ELb0ELb1ELb1EDF16_KPKDF16_KPDF16_EEviiiT16_PT17_ilS9_ilS7_S9_ilPT18_ili26rocblas_geam_ex_operation_
		.amdhsa_group_segment_fixed_size 5120
		.amdhsa_private_segment_fixed_size 0
		.amdhsa_kernarg_size 128
		.amdhsa_user_sgpr_count 6
		.amdhsa_user_sgpr_private_segment_buffer 1
		.amdhsa_user_sgpr_dispatch_ptr 0
		.amdhsa_user_sgpr_queue_ptr 0
		.amdhsa_user_sgpr_kernarg_segment_ptr 1
		.amdhsa_user_sgpr_dispatch_id 0
		.amdhsa_user_sgpr_flat_scratch_init 0
		.amdhsa_user_sgpr_private_segment_size 0
		.amdhsa_wavefront_size32 1
		.amdhsa_uses_dynamic_stack 0
		.amdhsa_system_sgpr_private_segment_wavefront_offset 0
		.amdhsa_system_sgpr_workgroup_id_x 1
		.amdhsa_system_sgpr_workgroup_id_y 0
		.amdhsa_system_sgpr_workgroup_id_z 1
		.amdhsa_system_sgpr_workgroup_info 0
		.amdhsa_system_vgpr_workitem_id 1
		.amdhsa_next_free_vgpr 172
		.amdhsa_next_free_sgpr 29
		.amdhsa_reserve_vcc 1
		.amdhsa_reserve_flat_scratch 0
		.amdhsa_float_round_mode_32 0
		.amdhsa_float_round_mode_16_64 0
		.amdhsa_float_denorm_mode_32 3
		.amdhsa_float_denorm_mode_16_64 3
		.amdhsa_dx10_clamp 1
		.amdhsa_ieee_mode 1
		.amdhsa_fp16_overflow 0
		.amdhsa_workgroup_processor_mode 1
		.amdhsa_memory_ordered 1
		.amdhsa_forward_progress 1
		.amdhsa_shared_vgpr_count 0
		.amdhsa_exception_fp_ieee_invalid_op 0
		.amdhsa_exception_fp_denorm_src 0
		.amdhsa_exception_fp_ieee_div_zero 0
		.amdhsa_exception_fp_ieee_overflow 0
		.amdhsa_exception_fp_ieee_underflow 0
		.amdhsa_exception_fp_ieee_inexact 0
		.amdhsa_exception_int_div_zero 0
	.end_amdhsa_kernel
	.section	.text._ZN12_GLOBAL__N_120geam_min_plus_kernelIDF16_Dv2_DF16_S1_Li8ELi32ELi64ELi256ELi4ELi4ELi64ELi64ELi4ELc84ELc84ELb0ELb1ELb1EDF16_KPKDF16_KPDF16_EEviiiT16_PT17_ilS9_ilS7_S9_ilPT18_ili26rocblas_geam_ex_operation_,"axG",@progbits,_ZN12_GLOBAL__N_120geam_min_plus_kernelIDF16_Dv2_DF16_S1_Li8ELi32ELi64ELi256ELi4ELi4ELi64ELi64ELi4ELc84ELc84ELb0ELb1ELb1EDF16_KPKDF16_KPDF16_EEviiiT16_PT17_ilS9_ilS7_S9_ilPT18_ili26rocblas_geam_ex_operation_,comdat
.Lfunc_end230:
	.size	_ZN12_GLOBAL__N_120geam_min_plus_kernelIDF16_Dv2_DF16_S1_Li8ELi32ELi64ELi256ELi4ELi4ELi64ELi64ELi4ELc84ELc84ELb0ELb1ELb1EDF16_KPKDF16_KPDF16_EEviiiT16_PT17_ilS9_ilS7_S9_ilPT18_ili26rocblas_geam_ex_operation_, .Lfunc_end230-_ZN12_GLOBAL__N_120geam_min_plus_kernelIDF16_Dv2_DF16_S1_Li8ELi32ELi64ELi256ELi4ELi4ELi64ELi64ELi4ELc84ELc84ELb0ELb1ELb1EDF16_KPKDF16_KPDF16_EEviiiT16_PT17_ilS9_ilS7_S9_ilPT18_ili26rocblas_geam_ex_operation_
                                        ; -- End function
	.set _ZN12_GLOBAL__N_120geam_min_plus_kernelIDF16_Dv2_DF16_S1_Li8ELi32ELi64ELi256ELi4ELi4ELi64ELi64ELi4ELc84ELc84ELb0ELb1ELb1EDF16_KPKDF16_KPDF16_EEviiiT16_PT17_ilS9_ilS7_S9_ilPT18_ili26rocblas_geam_ex_operation_.num_vgpr, 172
	.set _ZN12_GLOBAL__N_120geam_min_plus_kernelIDF16_Dv2_DF16_S1_Li8ELi32ELi64ELi256ELi4ELi4ELi64ELi64ELi4ELc84ELc84ELb0ELb1ELb1EDF16_KPKDF16_KPDF16_EEviiiT16_PT17_ilS9_ilS7_S9_ilPT18_ili26rocblas_geam_ex_operation_.num_agpr, 0
	.set _ZN12_GLOBAL__N_120geam_min_plus_kernelIDF16_Dv2_DF16_S1_Li8ELi32ELi64ELi256ELi4ELi4ELi64ELi64ELi4ELc84ELc84ELb0ELb1ELb1EDF16_KPKDF16_KPDF16_EEviiiT16_PT17_ilS9_ilS7_S9_ilPT18_ili26rocblas_geam_ex_operation_.numbered_sgpr, 29
	.set _ZN12_GLOBAL__N_120geam_min_plus_kernelIDF16_Dv2_DF16_S1_Li8ELi32ELi64ELi256ELi4ELi4ELi64ELi64ELi4ELc84ELc84ELb0ELb1ELb1EDF16_KPKDF16_KPDF16_EEviiiT16_PT17_ilS9_ilS7_S9_ilPT18_ili26rocblas_geam_ex_operation_.num_named_barrier, 0
	.set _ZN12_GLOBAL__N_120geam_min_plus_kernelIDF16_Dv2_DF16_S1_Li8ELi32ELi64ELi256ELi4ELi4ELi64ELi64ELi4ELc84ELc84ELb0ELb1ELb1EDF16_KPKDF16_KPDF16_EEviiiT16_PT17_ilS9_ilS7_S9_ilPT18_ili26rocblas_geam_ex_operation_.private_seg_size, 0
	.set _ZN12_GLOBAL__N_120geam_min_plus_kernelIDF16_Dv2_DF16_S1_Li8ELi32ELi64ELi256ELi4ELi4ELi64ELi64ELi4ELc84ELc84ELb0ELb1ELb1EDF16_KPKDF16_KPDF16_EEviiiT16_PT17_ilS9_ilS7_S9_ilPT18_ili26rocblas_geam_ex_operation_.uses_vcc, 1
	.set _ZN12_GLOBAL__N_120geam_min_plus_kernelIDF16_Dv2_DF16_S1_Li8ELi32ELi64ELi256ELi4ELi4ELi64ELi64ELi4ELc84ELc84ELb0ELb1ELb1EDF16_KPKDF16_KPDF16_EEviiiT16_PT17_ilS9_ilS7_S9_ilPT18_ili26rocblas_geam_ex_operation_.uses_flat_scratch, 0
	.set _ZN12_GLOBAL__N_120geam_min_plus_kernelIDF16_Dv2_DF16_S1_Li8ELi32ELi64ELi256ELi4ELi4ELi64ELi64ELi4ELc84ELc84ELb0ELb1ELb1EDF16_KPKDF16_KPDF16_EEviiiT16_PT17_ilS9_ilS7_S9_ilPT18_ili26rocblas_geam_ex_operation_.has_dyn_sized_stack, 0
	.set _ZN12_GLOBAL__N_120geam_min_plus_kernelIDF16_Dv2_DF16_S1_Li8ELi32ELi64ELi256ELi4ELi4ELi64ELi64ELi4ELc84ELc84ELb0ELb1ELb1EDF16_KPKDF16_KPDF16_EEviiiT16_PT17_ilS9_ilS7_S9_ilPT18_ili26rocblas_geam_ex_operation_.has_recursion, 0
	.set _ZN12_GLOBAL__N_120geam_min_plus_kernelIDF16_Dv2_DF16_S1_Li8ELi32ELi64ELi256ELi4ELi4ELi64ELi64ELi4ELc84ELc84ELb0ELb1ELb1EDF16_KPKDF16_KPDF16_EEviiiT16_PT17_ilS9_ilS7_S9_ilPT18_ili26rocblas_geam_ex_operation_.has_indirect_call, 0
	.section	.AMDGPU.csdata,"",@progbits
; Kernel info:
; codeLenInByte = 23360
; TotalNumSgprs: 31
; NumVgprs: 172
; ScratchSize: 0
; MemoryBound: 0
; FloatMode: 240
; IeeeMode: 1
; LDSByteSize: 5120 bytes/workgroup (compile time only)
; SGPRBlocks: 0
; VGPRBlocks: 21
; NumSGPRsForWavesPerEU: 31
; NumVGPRsForWavesPerEU: 172
; Occupancy: 5
; WaveLimiterHint : 1
; COMPUTE_PGM_RSRC2:SCRATCH_EN: 0
; COMPUTE_PGM_RSRC2:USER_SGPR: 6
; COMPUTE_PGM_RSRC2:TRAP_HANDLER: 0
; COMPUTE_PGM_RSRC2:TGID_X_EN: 1
; COMPUTE_PGM_RSRC2:TGID_Y_EN: 0
; COMPUTE_PGM_RSRC2:TGID_Z_EN: 1
; COMPUTE_PGM_RSRC2:TIDIG_COMP_CNT: 1
	.section	.text._ZN12_GLOBAL__N_120geam_min_plus_kernelIDF16_Dv2_DF16_S1_Li8ELi32ELi64ELi128ELi4ELi64ELi4ELi4ELi64ELc78ELc78ELb0ELb0ELb0EPKDF16_KS3_KPDF16_EEviiiT16_PT17_ilS9_ilS7_S9_ilPT18_ili26rocblas_geam_ex_operation_,"axG",@progbits,_ZN12_GLOBAL__N_120geam_min_plus_kernelIDF16_Dv2_DF16_S1_Li8ELi32ELi64ELi128ELi4ELi64ELi4ELi4ELi64ELc78ELc78ELb0ELb0ELb0EPKDF16_KS3_KPDF16_EEviiiT16_PT17_ilS9_ilS7_S9_ilPT18_ili26rocblas_geam_ex_operation_,comdat
	.globl	_ZN12_GLOBAL__N_120geam_min_plus_kernelIDF16_Dv2_DF16_S1_Li8ELi32ELi64ELi128ELi4ELi64ELi4ELi4ELi64ELc78ELc78ELb0ELb0ELb0EPKDF16_KS3_KPDF16_EEviiiT16_PT17_ilS9_ilS7_S9_ilPT18_ili26rocblas_geam_ex_operation_ ; -- Begin function _ZN12_GLOBAL__N_120geam_min_plus_kernelIDF16_Dv2_DF16_S1_Li8ELi32ELi64ELi128ELi4ELi64ELi4ELi4ELi64ELc78ELc78ELb0ELb0ELb0EPKDF16_KS3_KPDF16_EEviiiT16_PT17_ilS9_ilS7_S9_ilPT18_ili26rocblas_geam_ex_operation_
	.p2align	8
	.type	_ZN12_GLOBAL__N_120geam_min_plus_kernelIDF16_Dv2_DF16_S1_Li8ELi32ELi64ELi128ELi4ELi64ELi4ELi4ELi64ELc78ELc78ELb0ELb0ELb0EPKDF16_KS3_KPDF16_EEviiiT16_PT17_ilS9_ilS7_S9_ilPT18_ili26rocblas_geam_ex_operation_,@function
_ZN12_GLOBAL__N_120geam_min_plus_kernelIDF16_Dv2_DF16_S1_Li8ELi32ELi64ELi128ELi4ELi64ELi4ELi4ELi64ELc78ELc78ELb0ELb0ELb0EPKDF16_KS3_KPDF16_EEviiiT16_PT17_ilS9_ilS7_S9_ilPT18_ili26rocblas_geam_ex_operation_: ; @_ZN12_GLOBAL__N_120geam_min_plus_kernelIDF16_Dv2_DF16_S1_Li8ELi32ELi64ELi128ELi4ELi64ELi4ELi4ELi64ELc78ELc78ELb0ELb0ELb0EPKDF16_KS3_KPDF16_EEviiiT16_PT17_ilS9_ilS7_S9_ilPT18_ili26rocblas_geam_ex_operation_
; %bb.0:
	s_clause 0x1
	s_load_dwordx4 s[16:19], s[4:5], 0x10
	s_load_dwordx4 s[8:11], s[4:5], 0x28
	s_mov_b32 s20, s7
	s_mov_b32 s21, 0
	v_mov_b32_e32 v2, 0
	s_lshl_b64 s[0:1], s[20:21], 1
	s_waitcnt lgkmcnt(0)
	s_add_u32 s2, s16, s0
	s_addc_u32 s3, s17, s1
	s_mov_b64 s[16:17], 0
	global_load_ushort v31, v2, s[2:3]
	s_clause 0x1
	s_load_dwordx4 s[12:15], s[4:5], 0x40
	s_load_dwordx2 s[22:23], s[4:5], 0x50
	s_waitcnt lgkmcnt(0)
	s_add_u32 s24, s14, s0
	s_addc_u32 s25, s15, s1
	s_mov_b64 s[14:15], 0
	s_waitcnt vmcnt(0)
	v_cmp_eq_f16_e32 vcc_lo, 0, v31
	v_cmp_neq_f16_e64 s2, 0, v31
	s_and_b32 s0, exec_lo, vcc_lo
	s_mov_b32 vcc_lo, s0
	s_cbranch_vccnz .LBB231_2
; %bb.1:
	s_lshl_b64 s[14:15], s[20:21], 3
	s_add_u32 s14, s18, s14
	s_addc_u32 s15, s19, s15
	s_lshl_b64 s[8:9], s[8:9], 1
	s_load_dwordx2 s[14:15], s[14:15], 0x0
	s_waitcnt lgkmcnt(0)
	s_add_u32 s14, s14, s8
	s_addc_u32 s15, s15, s9
.LBB231_2:
	global_load_ushort v30, v2, s[24:25]
	v_cndmask_b32_e64 v2, 0, 1, s2
	s_andn2_b32 vcc_lo, exec_lo, s2
	v_cmp_ne_u32_e64 s1, 1, v2
	s_cbranch_vccnz .LBB231_4
; %bb.3:
	s_lshl_b64 s[2:3], s[20:21], 3
	s_add_u32 s2, s10, s2
	s_addc_u32 s3, s11, s3
	s_lshl_b64 s[8:9], s[12:13], 1
	s_load_dwordx2 s[2:3], s[2:3], 0x0
	s_waitcnt lgkmcnt(0)
	s_add_u32 s16, s2, s8
	s_addc_u32 s17, s3, s9
.LBB231_4:
	s_load_dwordx4 s[8:11], s[4:5], 0x60
	s_waitcnt vmcnt(0)
	v_cmp_eq_f16_e32 vcc_lo, 0, v30
	s_cbranch_vccnz .LBB231_6
; %bb.5:
	s_lshl_b64 s[2:3], s[20:21], 3
	s_add_u32 s2, s22, s2
	s_addc_u32 s3, s23, s3
	s_waitcnt lgkmcnt(0)
	s_lshl_b64 s[8:9], s[8:9], 1
	s_load_dwordx2 s[2:3], s[2:3], 0x0
	s_waitcnt lgkmcnt(0)
	s_add_u32 s8, s2, s8
	s_addc_u32 s9, s3, s9
	s_branch .LBB231_7
.LBB231_6:
	s_waitcnt lgkmcnt(0)
	s_mov_b64 s[8:9], 0
.LBB231_7:
	s_clause 0x2
	s_load_dword s12, s[4:5], 0x20
	s_load_dword s18, s[4:5], 0x0
	;; [unrolled: 1-line block ×3, first 2 shown]
	s_lshl_b64 s[2:3], s[20:21], 3
	v_lshl_add_u32 v3, v1, 3, v0
	v_and_b32_e32 v12, 3, v0
	v_mov_b32_e32 v10, 0
	v_and_b32_e32 v5, 63, v3
	v_lshrrev_b32_e32 v13, 2, v3
	v_lshrrev_b32_e32 v4, 6, v3
	v_lshlrev_b32_e32 v32, 1, v12
	s_waitcnt lgkmcnt(0)
	s_ashr_i32 s13, s12, 31
	s_add_u32 s2, s10, s2
	s_addc_u32 s3, s11, s3
	s_add_i32 s10, s18, -1
	s_ashr_i32 s11, s10, 31
	s_lshr_b32 s11, s11, 26
	s_add_i32 s10, s10, s11
	s_ashr_i32 s10, s10, 6
	s_add_i32 s11, s10, 1
	s_not_b32 s10, s10
	v_cvt_f32_u32_e32 v2, s11
	v_rcp_iflag_f32_e32 v2, v2
	v_mul_f32_e32 v2, 0x4f7ffffe, v2
	v_cvt_u32_f32_e32 v2, v2
	v_readfirstlane_b32 s18, v2
	s_mul_i32 s10, s10, s18
	s_mul_hi_u32 s10, s18, s10
	s_add_i32 s18, s18, s10
	s_mul_hi_u32 s10, s6, s18
	s_mul_i32 s18, s10, s11
	s_add_i32 s19, s10, 1
	s_sub_i32 s18, s6, s18
	s_sub_i32 s20, s18, s11
	s_cmp_ge_u32 s18, s11
	s_cselect_b32 s10, s19, s10
	s_cselect_b32 s18, s20, s18
	s_add_i32 s19, s10, 1
	s_cmp_ge_u32 s18, s11
	s_cselect_b32 s10, s19, s10
	s_and_b32 vcc_lo, exec_lo, s1
	s_mul_i32 s18, s10, s11
	s_lshl_b32 s10, s10, 7
	s_sub_i32 s11, s6, s18
	v_add_nc_u32_e32 v6, s10, v13
	s_lshl_b32 s11, s11, 6
	v_or_b32_e32 v2, s11, v5
	v_add_nc_u32_e32 v7, 64, v6
	v_ashrrev_i32_e32 v3, 31, v2
	s_cbranch_vccnz .LBB231_10
; %bb.8:
	v_mad_i64_i32 v[8:9], null, s12, v4, 0
	v_mad_i64_i32 v[14:15], null, v6, s7, 0
	;; [unrolled: 1-line block ×3, first 2 shown]
	v_add_co_u32 v19, s19, s16, v32
	v_lshlrev_b64 v[8:9], 1, v[8:9]
	v_add_co_ci_u32_e64 v20, null, s17, 0, s19
	v_lshlrev_b64 v[14:15], 1, v[14:15]
	v_lshlrev_b64 v[16:17], 1, v[16:17]
	v_add_co_u32 v11, vcc_lo, s14, v8
	v_add_co_ci_u32_e64 v18, null, s15, v9, vcc_lo
	v_lshlrev_b64 v[8:9], 1, v[2:3]
	v_add_co_u32 v14, vcc_lo, v19, v14
	v_add_co_ci_u32_e64 v15, null, v20, v15, vcc_lo
	v_add_co_u32 v8, vcc_lo, v11, v8
	v_add_co_ci_u32_e64 v9, null, v18, v9, vcc_lo
	flat_load_ushort v11, v[14:15]
	v_add_co_u32 v14, vcc_lo, v19, v16
	v_add_co_ci_u32_e64 v15, null, v20, v17, vcc_lo
	flat_load_ushort v8, v[8:9]
	flat_load_ushort v9, v[14:15]
	s_waitcnt vmcnt(2) lgkmcnt(2)
	v_mul_f16_e32 v11, v31, v11
	s_waitcnt vmcnt(1) lgkmcnt(1)
	v_mul_f16_e32 v14, v31, v8
	v_pack_b32_f16 v8, v11, 0
	s_waitcnt vmcnt(0) lgkmcnt(0)
	v_mul_f16_e32 v9, v31, v9
	s_and_b32 vcc_lo, exec_lo, s1
	s_cbranch_vccnz .LBB231_11
.LBB231_9:
	v_add_nc_u32_e32 v10, 4, v4
	v_mad_i64_i32 v[15:16], null, v6, s7, 0
	v_mad_i64_i32 v[17:18], null, v7, s7, 0
	;; [unrolled: 1-line block ×3, first 2 shown]
	v_add_co_u32 v19, s1, s16, v32
	v_lshlrev_b64 v[15:16], 1, v[15:16]
	v_add_co_ci_u32_e64 v20, null, s17, 0, s1
	v_lshlrev_b64 v[2:3], 1, v[2:3]
	v_lshlrev_b64 v[10:11], 1, v[10:11]
	;; [unrolled: 1-line block ×3, first 2 shown]
	v_add_co_u32 v21, vcc_lo, s14, v10
	v_add_co_ci_u32_e64 v22, null, s15, v11, vcc_lo
	v_add_co_u32 v10, vcc_lo, v19, v15
	v_add_co_ci_u32_e64 v11, null, v20, v16, vcc_lo
	;; [unrolled: 2-line block ×3, first 2 shown]
	flat_load_ushort v15, v[10:11] offset:8
	v_add_co_u32 v10, vcc_lo, v19, v17
	v_add_co_ci_u32_e64 v11, null, v20, v18, vcc_lo
	flat_load_ushort v2, v[2:3]
	flat_load_ushort v11, v[10:11] offset:8
	s_waitcnt vmcnt(2) lgkmcnt(2)
	v_mul_f16_e32 v3, v31, v15
	v_pack_b32_f16 v3, v3, 0
	s_waitcnt vmcnt(1) lgkmcnt(1)
	v_mul_f16_e32 v10, v31, v2
	s_waitcnt vmcnt(0) lgkmcnt(0)
	v_mul_f16_e32 v11, v31, v11
	s_branch .LBB231_12
.LBB231_10:
	v_mov_b32_e32 v8, 0
	v_mov_b32_e32 v14, 0
	;; [unrolled: 1-line block ×3, first 2 shown]
	s_and_b32 vcc_lo, exec_lo, s1
	s_cbranch_vccz .LBB231_9
.LBB231_11:
	v_mov_b32_e32 v3, 0
	v_mov_b32_e32 v11, 0
.LBB231_12:
	v_lshlrev_b32_e32 v2, 3, v5
	v_lshlrev_b32_e32 v13, 3, v13
	;; [unrolled: 1-line block ×4, first 2 shown]
	s_load_dwordx2 s[2:3], s[2:3], 0x0
	v_lshl_add_u32 v2, v4, 1, v2
	v_lshl_or_b32 v35, v12, 1, v13
	v_add_nc_u32_e32 v28, 0x800, v34
	s_load_dword s1, s[4:5], 0x8
	ds_write_b16 v2, v14 offset:2048
	ds_write_b16 v35, v8
	ds_write_b16 v35, v9 offset:512
	s_waitcnt lgkmcnt(0)
	s_barrier
	buffer_gl0_inv
	ds_read2_b64 v[12:15], v33 offset1:32
	ds_read2_b64 v[16:19], v28 offset0:48 offset1:56
	ds_read2_b64 v[20:23], v33 offset0:64 offset1:96
	ds_read2_b64 v[24:27], v28 offset1:8
	ds_read2_b64 v[36:39], v28 offset0:16 offset1:24
	ds_read2_b64 v[53:56], v28 offset0:32 offset1:40
	ds_write_b16 v2, v10 offset:2560
	ds_write_b16 v35, v3 offset:1024
	;; [unrolled: 1-line block ×3, first 2 shown]
	s_waitcnt lgkmcnt(0)
	s_barrier
	buffer_gl0_inv
	s_cmp_lt_i32 s1, 9
	v_pk_max_f16 v12, v12, v12
	v_pk_max_f16 v18, v18, v18
	;; [unrolled: 1-line block ×7, first 2 shown]
	v_pk_min_f16 v29, v18, v12
	v_pk_max_f16 v44, v53, v53
	v_pk_max_f16 v13, v13, v13
	v_pk_min_f16 v50, v38, v12
	v_pk_min_f16 v51, v38, v14
	v_pk_max_f16 v15, v15, v15
	v_pk_min_f16 v52, v38, v20
	v_pk_min_f16 v53, v38, v22
	v_pk_max_f16 v38, v55, v55
	v_pk_max_f16 v60, v37, v37
	v_pk_min_f16 v37, v18, v14
	v_pk_max_f16 v19, v19, v19
	v_pk_max_f16 v26, v26, v26
	;; [unrolled: 1-line block ×3, first 2 shown]
	v_pk_min_f16 v36, v24, v12
	v_pk_min_f16 v40, v24, v14
	;; [unrolled: 1-line block ×5, first 2 shown]
	v_pk_max_f16 v21, v21, v21
	v_pk_max_f16 v23, v23, v23
	v_pk_min_f16 v58, v44, v14
	v_pk_min_f16 v59, v44, v20
	v_pk_max_f16 v25, v25, v25
	v_pk_min_f16 v55, v44, v22
	v_pk_max_f16 v16, v16, v16
	v_pk_max_f16 v61, v39, v39
	v_pk_min_f16 v62, v38, v12
	v_pk_min_f16 v63, v38, v14
	;; [unrolled: 1-line block ×5, first 2 shown]
	v_pk_add_f16 v29, v29, 0
	v_pk_min_f16 v39, v19, v13
	v_pk_add_f16 v37, v37, 0
	v_pk_min_f16 v44, v19, v15
	v_pk_min_f16 v42, v26, v12
	;; [unrolled: 1-line block ×9, first 2 shown]
	v_pk_max_f16 v27, v27, v27
	v_pk_min_f16 v12, v16, v12
	v_pk_min_f16 v14, v16, v14
	v_pk_min_f16 v20, v16, v20
	v_pk_min_f16 v16, v16, v22
	v_pk_add_f16 v38, v38, 0
	v_pk_min_f16 v49, v19, v21
	v_pk_add_f16 v66, v36, 0
	v_pk_min_f16 v67, v25, v13
	v_pk_min_f16 v18, v18, v22
	v_pk_add_f16 v36, v29, v39
	v_pk_add_f16 v37, v37, v44
	;; [unrolled: 1-line block ×3, first 2 shown]
	v_pk_min_f16 v29, v25, v15
	v_pk_min_f16 v44, v25, v21
	v_pk_add_f16 v24, v24, 0
	v_pk_min_f16 v25, v25, v23
	v_pk_add_f16 v38, v38, v49
	v_pk_add_f16 v49, v42, 0
	;; [unrolled: 1-line block ×5, first 2 shown]
	v_pk_min_f16 v24, v27, v21
	v_pk_add_f16 v25, v26, 0
	v_pk_min_f16 v26, v27, v23
	v_pk_add_f16 v39, v66, v67
	;; [unrolled: 2-line block ×3, first 2 shown]
	v_pk_add_f16 v22, v28, 0
	v_pk_min_f16 v24, v60, v23
	v_pk_min_f16 v68, v27, v15
	v_pk_add_f16 v27, v46, 0
	v_pk_add_f16 v46, v25, v26
	;; [unrolled: 1-line block ×4, first 2 shown]
	v_pk_min_f16 v22, v61, v13
	v_pk_min_f16 v29, v60, v13
	v_pk_add_f16 v26, v51, 0
	v_pk_add_f16 v67, v43, 0
	;; [unrolled: 1-line block ×4, first 2 shown]
	v_pk_min_f16 v22, v61, v15
	v_pk_add_f16 v49, v47, 0
	v_pk_add_f16 v47, v27, v29
	;; [unrolled: 1-line block ×5, first 2 shown]
	v_pk_min_f16 v22, v61, v21
	v_pk_add_f16 v41, v41, 0
	v_pk_add_f16 v28, v57, 0
	;; [unrolled: 1-line block ×5, first 2 shown]
	v_pk_max_f16 v22, v54, v54
	v_pk_add_f16 v25, v55, 0
	v_pk_min_f16 v27, v61, v23
	v_pk_max_f16 v54, v56, v56
	v_pk_max_f16 v17, v17, v17
	v_pk_min_f16 v56, v22, v13
	v_pk_min_f16 v58, v22, v15
	;; [unrolled: 1-line block ×4, first 2 shown]
	v_pk_add_f16 v41, v41, v44
	v_pk_add_f16 v44, v67, v68
	v_pk_min_f16 v66, v60, v15
	v_pk_add_f16 v67, v48, 0
	v_pk_min_f16 v68, v60, v21
	v_pk_add_f16 v55, v62, 0
	v_pk_add_f16 v63, v63, 0
	;; [unrolled: 1-line block ×13, first 2 shown]
	v_pk_min_f16 v22, v54, v13
	v_pk_min_f16 v24, v54, v15
	;; [unrolled: 1-line block ×9, first 2 shown]
	v_pk_add_f16 v48, v49, v66
	v_pk_add_f16 v49, v67, v68
	;; [unrolled: 1-line block ×12, first 2 shown]
	s_cbranch_scc1 .LBB231_23
; %bb.13:
	v_perm_b32 v85, v11, v3, 0x5040100
	v_lshl_or_b32 v3, s6, 6, v5
	v_mad_i64_i32 v[12:13], null, s7, v7, 0
	v_mad_i64_i32 v[6:7], null, s7, v6, 0
	s_lshl_b32 s6, s18, 6
	v_add_nc_u32_e32 v10, 8, v4
	v_subrev_nc_u32_e32 v3, s6, v3
	v_or_b32_e32 v54, 0x800, v2
	v_add_nc_u32_e32 v56, 0xa00, v2
	v_perm_b32 v2, v9, v8, 0x5040100
	v_lshlrev_b64 v[5:6], 1, v[6:7]
	v_add_nc_u32_e32 v7, 12, v4
	v_ashrrev_i32_e32 v4, 31, v3
	v_lshlrev_b64 v[8:9], 1, v[12:13]
	v_mad_i64_i32 v[10:11], null, v10, s12, 0
	v_mad_i64_i32 v[12:13], null, v7, s12, 0
	v_lshlrev_b64 v[3:4], 1, v[3:4]
	v_add_co_u32 v74, vcc_lo, s16, v8
	v_add_co_ci_u32_e64 v75, null, s17, v9, vcc_lo
	v_add_co_u32 v76, vcc_lo, s16, v5
	v_add_co_ci_u32_e64 v77, null, s17, v6, vcc_lo
	v_add_co_u32 v78, vcc_lo, s14, v3
	v_lshlrev_b64 v[26:27], 1, v[10:11]
	v_lshlrev_b64 v[28:29], 1, v[12:13]
	v_or_b32_e32 v55, 0x800, v34
	v_add_nc_u32_e32 v57, 0x400, v35
	v_lshl_add_u32 v65, v0, 3, 0xa00
	v_lshl_add_u32 v70, v1, 3, 0x400
	v_add_co_ci_u32_e64 v79, null, s15, v4, vcc_lo
	s_add_i32 s1, s1, -8
	s_lshl_b64 s[6:7], s[12:13], 4
	s_mov_b32 s12, 0
	s_branch .LBB231_15
.LBB231_14:                             ;   in Loop: Header=BB231_15 Depth=1
	v_pk_max_f16 v4, v4, v4
	v_pk_max_f16 v22, v22, v22
	;; [unrolled: 1-line block ×7, first 2 shown]
	v_pk_min_f16 v85, v4, v22
	v_pk_min_f16 v86, v4, v24
	;; [unrolled: 1-line block ×3, first 2 shown]
	v_pk_max_f16 v20, v20, v20
	v_pk_min_f16 v94, v10, v22
	v_pk_min_f16 v95, v10, v24
	v_pk_max_f16 v12, v12, v12
	v_pk_max_f16 v23, v23, v23
	;; [unrolled: 1-line block ×3, first 2 shown]
	v_pk_min_f16 v96, v10, v14
	v_pk_min_f16 v10, v10, v16
	v_pk_max_f16 v15, v15, v15
	v_pk_max_f16 v17, v17, v17
	;; [unrolled: 1-line block ×13, first 2 shown]
	v_pk_min_f16 v88, v18, v22
	v_pk_min_f16 v89, v18, v24
	;; [unrolled: 1-line block ×55, first 2 shown]
	v_pk_add_f16 v3, v36, v85
	v_pk_add_f16 v5, v37, v86
	;; [unrolled: 1-line block ×4, first 2 shown]
	v_pk_min_f16 v19, v19, v17
	v_pk_min_f16 v21, v21, v17
	v_pk_add_f16 v17, v39, v88
	v_pk_add_f16 v37, v41, v90
	;; [unrolled: 1-line block ×25, first 2 shown]
	ds_read2_b64 v[3:6], v55 offset0:48 offset1:56
	ds_read2_b64 v[7:10], v33 offset1:32
	ds_read2_b64 v[11:14], v33 offset0:64 offset1:96
	v_pk_add_f16 v2, v67, v2
	v_pk_add_f16 v66, v17, v16
	;; [unrolled: 1-line block ×3, first 2 shown]
	ds_read2_b64 v[15:18], v55 offset1:8
	v_pk_add_f16 v22, v71, v22
	v_pk_add_f16 v24, v72, v24
	;; [unrolled: 1-line block ×12, first 2 shown]
	ds_read2_b64 v[19:22], v55 offset0:16 offset1:24
	s_waitcnt lgkmcnt(4)
	v_pk_max_f16 v5, v5, v5
	s_waitcnt lgkmcnt(3)
	v_pk_max_f16 v7, v7, v7
	v_pk_max_f16 v9, v9, v9
	s_waitcnt lgkmcnt(2)
	v_pk_max_f16 v11, v11, v11
	v_pk_add_f16 v36, v36, v106
	v_pk_add_f16 v37, v37, v107
	v_pk_min_f16 v59, v5, v7
	v_pk_min_f16 v60, v5, v9
	;; [unrolled: 1-line block ×3, first 2 shown]
	s_waitcnt lgkmcnt(1)
	v_pk_max_f16 v15, v15, v15
	v_pk_add_f16 v72, v2, v127
	v_perm_b32 v2, v84, v83, 0x5040100
	v_pk_add_f16 v83, v62, v59
	v_pk_add_f16 v63, v63, v60
	;; [unrolled: 1-line block ×3, first 2 shown]
	v_pk_min_f16 v59, v15, v7
	v_pk_min_f16 v60, v15, v9
	;; [unrolled: 1-line block ×3, first 2 shown]
	v_pk_max_f16 v13, v13, v13
	v_pk_max_f16 v17, v17, v17
	v_pk_add_f16 v66, v66, v59
	v_pk_add_f16 v84, v36, v60
	;; [unrolled: 1-line block ×3, first 2 shown]
	ds_read2_b64 v[59:62], v55 offset0:32 offset1:40
	v_pk_add_f16 v38, v38, v108
	v_pk_add_f16 v39, v39, v109
	v_pk_min_f16 v15, v15, v13
	v_pk_min_f16 v36, v17, v7
	;; [unrolled: 1-line block ×3, first 2 shown]
	s_waitcnt lgkmcnt(1)
	v_pk_max_f16 v19, v19, v19
	v_pk_add_f16 v41, v41, v111
	v_pk_add_f16 v42, v42, v112
	;; [unrolled: 1-line block ×4, first 2 shown]
	v_pk_min_f16 v67, v17, v11
	v_pk_min_f16 v17, v17, v13
	v_pk_add_f16 v86, v38, v36
	v_pk_add_f16 v87, v39, v37
	v_pk_min_f16 v36, v19, v7
	v_pk_min_f16 v37, v19, v9
	;; [unrolled: 1-line block ×3, first 2 shown]
	v_pk_max_f16 v21, v21, v21
	v_pk_add_f16 v44, v44, v114
	v_pk_add_f16 v45, v45, v115
	;; [unrolled: 1-line block ×4, first 2 shown]
	v_pk_min_f16 v19, v19, v13
	v_pk_add_f16 v68, v41, v36
	v_pk_add_f16 v88, v42, v37
	;; [unrolled: 1-line block ×3, first 2 shown]
	v_pk_min_f16 v36, v21, v7
	v_pk_min_f16 v37, v21, v9
	s_waitcnt lgkmcnt(0)
	v_pk_max_f16 v38, v59, v59
	v_pk_min_f16 v39, v21, v11
	v_pk_add_f16 v48, v48, v118
	v_pk_add_f16 v49, v49, v119
	;; [unrolled: 1-line block ×5, first 2 shown]
	v_pk_min_f16 v36, v38, v7
	v_pk_add_f16 v90, v46, v39
	v_pk_min_f16 v37, v38, v9
	v_pk_max_f16 v39, v61, v61
	v_pk_add_f16 v40, v40, v110
	v_pk_add_f16 v50, v50, v120
	;; [unrolled: 1-line block ×4, first 2 shown]
	v_pk_min_f16 v36, v38, v11
	v_pk_add_f16 v92, v49, v37
	v_pk_min_f16 v37, v39, v7
	v_pk_max_f16 v3, v3, v3
	v_pk_max_f16 v6, v6, v6
	;; [unrolled: 1-line block ×3, first 2 shown]
	v_pk_add_f16 v58, v58, v124
	v_pk_add_f16 v67, v40, v67
	v_pk_min_f16 v21, v21, v13
	v_pk_min_f16 v38, v38, v13
	;; [unrolled: 1-line block ×3, first 2 shown]
	v_pk_add_f16 v93, v50, v36
	v_pk_add_f16 v95, v52, v37
	v_pk_min_f16 v36, v39, v11
	v_pk_min_f16 v37, v39, v13
	;; [unrolled: 1-line block ×6, first 2 shown]
	v_pk_max_f16 v10, v10, v10
	v_pk_min_f16 v5, v5, v13
	v_pk_max_f16 v12, v12, v12
	v_pk_min_f16 v13, v6, v8
	v_pk_add_f16 v51, v51, v121
	v_pk_add_f16 v97, v58, v36
	;; [unrolled: 1-line block ×4, first 2 shown]
	v_pk_min_f16 v23, v6, v10
	v_pk_min_f16 v24, v6, v12
	v_pk_max_f16 v16, v16, v16
	v_pk_add_f16 v36, v83, v13
	v_pk_max_f16 v13, v14, v14
	v_pk_add_f16 v94, v51, v38
	v_pk_add_f16 v71, v71, v37
	v_pk_add_f16 v37, v63, v23
	v_pk_add_f16 v38, v64, v24
	v_pk_min_f16 v14, v16, v8
	v_pk_min_f16 v23, v16, v10
	v_pk_min_f16 v24, v16, v12
	v_pk_min_f16 v16, v16, v13
	v_pk_max_f16 v18, v18, v18
	v_pk_add_f16 v39, v66, v14
	v_pk_max_f16 v20, v20, v20
	v_pk_add_f16 v47, v47, v117
	v_pk_add_f16 v42, v15, v16
	v_pk_min_f16 v14, v18, v8
	v_pk_min_f16 v15, v18, v10
	;; [unrolled: 1-line block ×4, first 2 shown]
	v_pk_add_f16 v53, v53, v123
	v_pk_add_f16 v43, v86, v14
	v_pk_add_f16 v44, v87, v15
	v_pk_add_f16 v45, v67, v16
	v_pk_add_f16 v46, v17, v18
	v_pk_min_f16 v14, v20, v8
	v_pk_min_f16 v15, v20, v10
	v_pk_min_f16 v16, v20, v12
	v_pk_min_f16 v17, v20, v13
	v_pk_max_f16 v18, v22, v22
	v_pk_add_f16 v21, v47, v21
	v_pk_add_f16 v47, v68, v14
	v_pk_add_f16 v48, v88, v15
	v_pk_add_f16 v49, v89, v16
	v_pk_add_f16 v50, v19, v17
	v_pk_min_f16 v14, v18, v8
	v_pk_min_f16 v15, v18, v10
	v_pk_min_f16 v16, v18, v12
	v_pk_min_f16 v17, v18, v13
	v_pk_max_f16 v18, v60, v60
	;; [unrolled: 10-line block ×3, first 2 shown]
	v_pk_max_f16 v4, v4, v4
	v_add_co_u32 v74, vcc_lo, v74, 16
	v_pk_add_f16 v11, v25, v11
	v_pk_add_f16 v3, v72, v3
	v_pk_add_f16 v5, v73, v5
	v_pk_add_f16 v62, v91, v14
	v_pk_add_f16 v60, v92, v15
	v_pk_add_f16 v58, v93, v16
	v_pk_add_f16 v59, v94, v17
	v_pk_min_f16 v14, v18, v8
	v_pk_min_f16 v15, v18, v10
	;; [unrolled: 1-line block ×9, first 2 shown]
	v_add_co_ci_u32_e64 v75, null, 0, v75, vcc_lo
	v_add_co_u32 v76, vcc_lo, v76, 16
	v_add_co_ci_u32_e64 v77, null, 0, v77, vcc_lo
	v_add_co_u32 v78, vcc_lo, v78, s6
	v_pk_add_f16 v40, v84, v23
	v_pk_add_f16 v41, v85, v24
	;; [unrolled: 1-line block ×11, first 2 shown]
	v_perm_b32 v85, v82, v80, 0x5040100
	v_add_co_ci_u32_e64 v79, null, s7, v79, vcc_lo
	s_add_i32 s12, s12, 8
	ds_write_b16 v56, v81
	ds_write_b16 v57, v80
	ds_write_b16 v57, v82 offset:512
	s_cmp_ge_i32 s12, s1
	s_waitcnt lgkmcnt(0)
	s_barrier
	buffer_gl0_inv
	s_cbranch_scc1 .LBB231_23
.LBB231_15:                             ; =>This Inner Loop Header: Depth=1
	s_mov_b32 s13, -1
	s_mov_b32 vcc_lo, s0
                                        ; implicit-def: $vgpr83
	s_cbranch_vccz .LBB231_17
; %bb.16:                               ;   in Loop: Header=BB231_15 Depth=1
	v_and_b32_e32 v83, 0xffff0000, v2
	s_mov_b32 s13, 0
.LBB231_17:                             ;   in Loop: Header=BB231_15 Depth=1
	v_mov_b32_e32 v80, 0
	v_mov_b32_e32 v84, 0
	s_andn2_b32 vcc_lo, exec_lo, s13
	s_cbranch_vccnz .LBB231_19
; %bb.18:                               ;   in Loop: Header=BB231_15 Depth=1
	v_add_co_u32 v3, vcc_lo, v76, v32
	v_add_co_ci_u32_e64 v4, null, 0, v77, vcc_lo
	v_add_co_u32 v5, vcc_lo, v78, v26
	v_add_co_ci_u32_e64 v6, null, v79, v27, vcc_lo
	flat_load_ushort v7, v[3:4] offset:16
	v_add_co_u32 v3, vcc_lo, v74, v32
	v_add_co_ci_u32_e64 v4, null, 0, v75, vcc_lo
	flat_load_ushort v5, v[5:6]
	flat_load_ushort v3, v[3:4] offset:16
	s_waitcnt vmcnt(2) lgkmcnt(2)
	v_mul_f16_e32 v4, v31, v7
	v_bfi_b32 v83, 0xffff, v4, v2
	s_waitcnt vmcnt(1) lgkmcnt(1)
	v_mul_f16_e32 v80, v31, v5
	s_waitcnt vmcnt(0) lgkmcnt(0)
	v_mul_f16_e32 v84, v31, v3
.LBB231_19:                             ;   in Loop: Header=BB231_15 Depth=1
	ds_read2_b64 v[2:5], v65 offset0:48 offset1:56
	ds_read2_b64 v[14:17], v70 offset0:64 offset1:96
	ds_read2_b64 v[22:25], v70 offset1:32
	ds_read2_b64 v[18:21], v65 offset1:8
	ds_read2_b64 v[10:13], v65 offset0:16 offset1:24
	ds_read2_b64 v[6:9], v65 offset0:32 offset1:40
	s_mov_b32 s13, -1
	s_mov_b32 vcc_lo, s0
	ds_write_b16 v54, v80
	ds_write_b16 v35, v83
	ds_write_b16 v35, v84 offset:512
	s_waitcnt lgkmcnt(0)
	s_barrier
	buffer_gl0_inv
                                        ; implicit-def: $vgpr80
	s_cbranch_vccz .LBB231_21
; %bb.20:                               ;   in Loop: Header=BB231_15 Depth=1
	v_and_b32_e32 v80, 0xffff0000, v85
	s_mov_b32 s13, 0
.LBB231_21:                             ;   in Loop: Header=BB231_15 Depth=1
	v_mov_b32_e32 v81, 0
	v_mov_b32_e32 v82, 0
	s_andn2_b32 vcc_lo, exec_lo, s13
	s_cbranch_vccnz .LBB231_14
; %bb.22:                               ;   in Loop: Header=BB231_15 Depth=1
	v_add_co_u32 v80, vcc_lo, v76, v32
	v_add_co_ci_u32_e64 v81, null, 0, v77, vcc_lo
	v_add_co_u32 v86, vcc_lo, v78, v28
	v_add_co_ci_u32_e64 v87, null, v79, v29, vcc_lo
	flat_load_ushort v82, v[80:81] offset:24
	v_add_co_u32 v80, vcc_lo, v74, v32
	v_add_co_ci_u32_e64 v81, null, 0, v75, vcc_lo
	flat_load_ushort v86, v[86:87]
	flat_load_ushort v87, v[80:81] offset:24
	s_waitcnt vmcnt(2) lgkmcnt(2)
	v_mul_f16_e32 v80, v31, v82
	v_bfi_b32 v80, 0xffff, v80, v85
	s_waitcnt vmcnt(1) lgkmcnt(1)
	v_mul_f16_e32 v81, v31, v86
	s_waitcnt vmcnt(0) lgkmcnt(0)
	v_mul_f16_e32 v82, v31, v87
	s_branch .LBB231_14
.LBB231_23:
	v_add_nc_u32_e32 v18, 0x800, v34
	s_load_dwordx2 s[12:13], s[4:5], 0x78
	v_cmp_neq_f16_e64 s0, 0, v30
	v_add_nc_u32_e32 v1, s10, v1
	ds_read2_b64 v[2:5], v33 offset0:128 offset1:160
	ds_read2_b64 v[6:9], v18 offset0:112 offset1:120
	;; [unrolled: 1-line block ×4, first 2 shown]
	s_clause 0x1
	s_load_dword s6, s[4:5], 0x58
	s_load_dword s7, s[4:5], 0x70
	ds_read2_b64 v[26:29], v18 offset0:80 offset1:88
	ds_read2_b64 v[54:57], v18 offset0:96 offset1:104
	s_waitcnt lgkmcnt(0)
	s_lshl_b64 s[4:5], s[12:13], 1
	v_pk_max_f16 v2, v2, v2
	v_pk_max_f16 v4, v4, v4
	;; [unrolled: 1-line block ×7, first 2 shown]
	v_pk_min_f16 v24, v16, v2
	v_pk_min_f16 v25, v16, v4
	v_pk_max_f16 v14, v14, v14
	v_pk_min_f16 v19, v8, v4
	v_pk_min_f16 v34, v26, v10
	v_pk_add_f16 v32, v43, v24
	v_pk_add_f16 v33, v44, v25
	v_pk_min_f16 v24, v26, v2
	v_pk_min_f16 v25, v26, v4
	;; [unrolled: 1-line block ×3, first 2 shown]
	v_pk_max_f16 v28, v28, v28
	v_pk_min_f16 v18, v8, v2
	v_pk_min_f16 v20, v8, v10
	;; [unrolled: 1-line block ×3, first 2 shown]
	v_pk_add_f16 v19, v37, v19
	v_pk_add_f16 v35, v47, v24
	;; [unrolled: 1-line block ×3, first 2 shown]
	v_pk_min_f16 v24, v28, v2
	v_pk_max_f16 v26, v54, v54
	v_pk_min_f16 v22, v14, v4
	v_pk_min_f16 v23, v14, v10
	;; [unrolled: 1-line block ×3, first 2 shown]
	v_pk_add_f16 v18, v36, v18
	v_pk_add_f16 v20, v38, v20
	;; [unrolled: 1-line block ×4, first 2 shown]
	v_pk_min_f16 v25, v28, v4
	v_pk_min_f16 v38, v28, v10
	;; [unrolled: 1-line block ×3, first 2 shown]
	v_pk_add_f16 v39, v51, v24
	v_pk_min_f16 v24, v26, v2
	v_pk_min_f16 v31, v16, v10
	v_pk_add_f16 v22, v40, v22
	v_pk_add_f16 v23, v41, v23
	v_pk_add_f16 v14, v42, v14
	v_pk_add_f16 v40, v52, v25
	v_pk_add_f16 v41, v61, v28
	v_pk_min_f16 v25, v26, v4
	v_pk_max_f16 v28, v56, v56
	v_pk_add_f16 v42, v62, v24
	v_pk_min_f16 v24, v26, v10
	v_pk_max_f16 v6, v6, v6
	v_pk_add_f16 v31, v45, v31
	v_pk_add_f16 v43, v60, v25
	v_pk_min_f16 v25, v28, v2
	v_pk_min_f16 v44, v28, v4
	v_pk_add_f16 v45, v58, v24
	v_pk_min_f16 v24, v28, v10
	v_pk_min_f16 v2, v6, v2
	v_pk_min_f16 v4, v6, v4
	v_pk_min_f16 v10, v6, v10
	v_pk_min_f16 v6, v6, v12
	v_pk_max_f16 v3, v3, v3
	v_pk_max_f16 v9, v9, v9
	v_pk_min_f16 v16, v16, v12
	v_pk_min_f16 v26, v26, v12
	v_pk_add_f16 v47, v68, v25
	v_pk_min_f16 v25, v28, v12
	v_pk_max_f16 v5, v5, v5
	v_pk_min_f16 v8, v8, v12
	v_pk_max_f16 v11, v11, v11
	v_pk_add_f16 v12, v67, v6
	v_pk_min_f16 v6, v9, v3
	v_pk_add_f16 v34, v49, v34
	v_pk_add_f16 v48, v63, v24
	;; [unrolled: 1-line block ×3, first 2 shown]
	v_pk_min_f16 v24, v9, v5
	v_pk_min_f16 v25, v9, v11
	v_pk_max_f16 v15, v15, v15
	v_pk_add_f16 v18, v18, v6
	v_pk_max_f16 v6, v13, v13
	v_pk_add_f16 v19, v19, v24
	v_pk_add_f16 v20, v20, v25
	v_pk_min_f16 v13, v15, v3
	v_pk_min_f16 v24, v15, v5
	;; [unrolled: 1-line block ×4, first 2 shown]
	v_pk_max_f16 v17, v17, v17
	v_pk_add_f16 v16, v46, v16
	v_pk_add_f16 v21, v21, v13
	;; [unrolled: 1-line block ×4, first 2 shown]
	v_pk_min_f16 v13, v17, v3
	v_pk_min_f16 v14, v17, v5
	;; [unrolled: 1-line block ×4, first 2 shown]
	v_pk_max_f16 v50, v27, v27
	v_pk_add_f16 v46, v59, v26
	v_pk_add_f16 v23, v23, v25
	v_pk_add_f16 v25, v32, v13
	v_pk_add_f16 v26, v33, v14
	v_pk_add_f16 v27, v31, v15
	v_pk_add_f16 v28, v16, v17
	v_pk_min_f16 v13, v50, v3
	v_pk_min_f16 v14, v50, v5
	;; [unrolled: 1-line block ×4, first 2 shown]
	v_pk_max_f16 v17, v29, v29
	v_pk_add_f16 v29, v35, v13
	v_pk_add_f16 v31, v36, v14
	;; [unrolled: 1-line block ×4, first 2 shown]
	v_pk_min_f16 v13, v17, v3
	v_pk_min_f16 v14, v17, v5
	;; [unrolled: 1-line block ×4, first 2 shown]
	v_pk_max_f16 v17, v55, v55
	v_pk_add_f16 v38, v53, v38
	v_pk_add_f16 v34, v39, v13
	;; [unrolled: 1-line block ×4, first 2 shown]
	v_pk_min_f16 v13, v17, v3
	v_pk_min_f16 v14, v17, v5
	v_pk_max_f16 v16, v57, v57
	v_pk_max_f16 v7, v7, v7
	v_pk_add_f16 v2, v71, v2
	v_pk_add_f16 v4, v72, v4
	;; [unrolled: 1-line block ×3, first 2 shown]
	v_pk_min_f16 v15, v17, v11
	v_pk_min_f16 v17, v17, v6
	v_pk_add_f16 v38, v42, v13
	v_pk_add_f16 v39, v43, v14
	v_pk_min_f16 v13, v16, v3
	v_pk_min_f16 v14, v16, v5
	;; [unrolled: 1-line block ×4, first 2 shown]
	v_pk_add_f16 v44, v69, v44
	v_pk_add_f16 v10, v73, v10
	v_pk_add_f16 v8, v66, v8
	v_pk_add_f16 v40, v45, v15
	v_pk_add_f16 v41, v46, v17
	v_pk_min_f16 v15, v16, v11
	v_pk_add_f16 v42, v47, v13
	v_pk_min_f16 v13, v16, v6
	v_pk_add_f16 v46, v2, v3
	v_pk_min_f16 v3, v7, v11
	v_add_nc_u32_e32 v2, s11, v0
	v_pk_add_f16 v0, v4, v5
	v_pk_min_f16 v5, v7, v6
	v_pk_min_f16 v7, v9, v6
	v_pk_add_f16 v43, v44, v14
	v_pk_add_f16 v44, v48, v15
	;; [unrolled: 1-line block ×4, first 2 shown]
	v_add_nc_u32_e32 v4, 8, v2
	v_add_nc_u32_e32 v6, 16, v2
	v_pk_add_f16 v48, v12, v5
	v_pk_add_f16 v49, v8, v7
	v_add_nc_u32_e32 v8, 24, v2
	v_add_nc_u32_e32 v10, 32, v2
	;; [unrolled: 1-line block ×5, first 2 shown]
	v_ashrrev_i32_e32 v3, 31, v2
	v_ashrrev_i32_e32 v5, 31, v4
	;; [unrolled: 1-line block ×8, first 2 shown]
	v_lshlrev_b64 v[2:3], 1, v[2:3]
	v_lshlrev_b64 v[4:5], 1, v[4:5]
	;; [unrolled: 1-line block ×8, first 2 shown]
	s_add_u32 s10, s2, s4
	s_addc_u32 s3, s3, s5
	s_mov_b64 s[4:5], 15
	s_branch .LBB231_25
.LBB231_24:                             ;   in Loop: Header=BB231_25 Depth=1
	s_add_i32 s1, s4, -1
	v_add_nc_u32_e32 v1, 32, v1
	s_cmp_eq_u32 s1, 1
	s_cselect_b32 vcc_lo, -1, 0
	s_cmp_eq_u32 s1, 2
	v_cndmask_b32_e32 v82, v21, v50, vcc_lo
	s_cselect_b32 vcc_lo, -1, 0
	s_cmp_eq_u32 s1, 3
	v_cndmask_b32_e32 v82, v82, v25, vcc_lo
	;; [unrolled: 3-line block ×62, first 2 shown]
	s_cselect_b32 vcc_lo, -1, 0
	s_cmp_eq_u32 s4, 1
	s_cselect_b32 s1, -1, 0
	s_cmp_eq_u32 s4, 2
	v_cndmask_b32_e64 v50, v21, v50, s1
	s_cselect_b32 s1, -1, 0
	s_cmp_eq_u32 s4, 3
	v_cndmask_b32_e64 v50, v50, v25, s1
	;; [unrolled: 3-line block ×3, first 2 shown]
	s_cselect_b32 s1, -1, 0
	s_cmp_eq_u32 s4, 5
	v_cndmask_b32_e32 v51, v82, v81, vcc_lo
	v_cndmask_b32_e64 v50, v50, v29, s1
	s_cselect_b32 s1, -1, 0
	s_cmp_eq_u32 s4, 6
	v_cndmask_b32_e64 v50, v50, v52, s1
	s_cselect_b32 s1, -1, 0
	s_cmp_eq_u32 s4, 7
	;; [unrolled: 3-line block ×58, first 2 shown]
	s_cselect_b32 vcc_lo, -1, 0
	v_cndmask_b32_e64 v50, v50, v49, s1
	s_add_u32 s4, s4, 16
	s_addc_u32 s5, s5, 0
	s_cmpk_lg_i32 s4, 0x4f
	v_cndmask_b32_e32 v50, v50, v81, vcc_lo
	v_add_f16_e32 v52, v51, v50
	v_add_co_u32 v50, vcc_lo, v84, v16
	v_add_co_ci_u32_e64 v51, null, v85, v17, vcc_lo
	v_add_f16_e32 v52, v52, v86
	flat_store_short v[50:51], v52
	s_cbranch_scc0 .LBB231_41
.LBB231_25:                             ; =>This Inner Loop Header: Depth=1
	v_mad_i64_i32 v[50:51], null, v1, s6, 0
	v_cndmask_b32_e64 v52, 0, 1, s0
	v_mov_b32_e32 v86, 0
	v_mov_b32_e32 v87, 0
	v_cmp_ne_u32_e64 s1, 1, v52
	v_lshlrev_b64 v[50:51], 1, v[50:51]
	v_add_co_u32 v82, vcc_lo, s8, v50
	v_add_co_ci_u32_e64 v83, null, s9, v51, vcc_lo
	s_andn2_b32 vcc_lo, exec_lo, s0
	s_cbranch_vccnz .LBB231_27
; %bb.26:                               ;   in Loop: Header=BB231_25 Depth=1
	v_add_co_u32 v50, vcc_lo, v82, v2
	v_add_co_ci_u32_e64 v51, null, v83, v3, vcc_lo
	flat_load_ushort v50, v[50:51]
	s_waitcnt vmcnt(0) lgkmcnt(0)
	v_mul_f16_e32 v87, v30, v50
.LBB231_27:                             ;   in Loop: Header=BB231_25 Depth=1
	s_add_i32 s2, s4, -15
	v_lshrrev_b32_e32 v50, 16, v21
	s_cmp_eq_u32 s2, 1
	v_lshrrev_b32_e32 v51, 16, v25
	s_cselect_b32 vcc_lo, -1, 0
	s_cmp_eq_u32 s2, 2
	v_cndmask_b32_e32 v52, v21, v50, vcc_lo
	s_cselect_b32 vcc_lo, -1, 0
	s_cmp_eq_u32 s2, 3
	v_cndmask_b32_e32 v52, v52, v25, vcc_lo
	;; [unrolled: 3-line block ×3, first 2 shown]
	s_cselect_b32 vcc_lo, -1, 0
	v_lshrrev_b32_e32 v52, 16, v29
	s_cmp_eq_u32 s2, 5
	v_cndmask_b32_e32 v53, v53, v29, vcc_lo
	s_cselect_b32 vcc_lo, -1, 0
	s_cmp_eq_u32 s2, 6
	v_cndmask_b32_e32 v54, v53, v52, vcc_lo
	s_cselect_b32 vcc_lo, -1, 0
	v_lshrrev_b32_e32 v53, 16, v34
	s_cmp_eq_u32 s2, 7
	v_cndmask_b32_e32 v54, v54, v34, vcc_lo
	s_cselect_b32 vcc_lo, -1, 0
	s_cmp_eq_u32 s2, 8
	v_cndmask_b32_e32 v55, v54, v53, vcc_lo
	;; [unrolled: 7-line block ×29, first 2 shown]
	s_cselect_b32 vcc_lo, -1, 0
	s_cmp_eq_u32 s2, 63
	v_lshrrev_b32_e32 v81, 16, v49
	v_cndmask_b32_e32 v88, v84, v49, vcc_lo
	s_cselect_b32 vcc_lo, -1, 0
	s_add_i32 s11, s4, -14
	s_cmp_eq_u32 s11, 1
	v_cndmask_b32_e32 v88, v88, v81, vcc_lo
	s_cselect_b32 s2, -1, 0
	s_cmp_eq_u32 s11, 2
	v_cndmask_b32_e64 v84, v21, v50, s2
	s_cselect_b32 s2, -1, 0
	s_cmp_eq_u32 s11, 3
	v_cndmask_b32_e64 v84, v84, v25, s2
	;; [unrolled: 3-line block ×61, first 2 shown]
	v_mad_i64_i32 v[84:85], null, v1, s7, 0
	s_cselect_b32 s2, -1, 0
	s_cmp_eq_u32 s11, 63
	v_cndmask_b32_e64 v89, v89, v49, s2
	s_cselect_b32 vcc_lo, -1, 0
	v_lshlrev_b64 v[84:85], 1, v[84:85]
	v_cndmask_b32_e32 v89, v89, v81, vcc_lo
	v_add_co_u32 v84, vcc_lo, s10, v84
	v_add_f16_e32 v88, v88, v89
	v_add_co_ci_u32_e64 v85, null, s3, v85, vcc_lo
	v_add_f16_e32 v89, v88, v87
	v_add_co_u32 v87, vcc_lo, v84, v2
	v_add_co_ci_u32_e64 v88, null, v85, v3, vcc_lo
	s_and_b32 vcc_lo, exec_lo, s1
	flat_store_short v[87:88], v89
	s_cbranch_vccnz .LBB231_29
; %bb.28:                               ;   in Loop: Header=BB231_25 Depth=1
	v_add_co_u32 v86, vcc_lo, v82, v4
	v_add_co_ci_u32_e64 v87, null, v83, v5, vcc_lo
	flat_load_ushort v86, v[86:87]
	s_waitcnt vmcnt(0) lgkmcnt(0)
	v_mul_f16_e32 v86, v30, v86
.LBB231_29:                             ;   in Loop: Header=BB231_25 Depth=1
	s_add_i32 s2, s4, -13
	s_cmp_eq_u32 s2, 1
	s_cselect_b32 vcc_lo, -1, 0
	s_cmp_eq_u32 s2, 2
	v_cndmask_b32_e32 v87, v21, v50, vcc_lo
	s_cselect_b32 vcc_lo, -1, 0
	s_cmp_eq_u32 s2, 3
	v_cndmask_b32_e32 v87, v87, v25, vcc_lo
	;; [unrolled: 3-line block ×62, first 2 shown]
	s_cselect_b32 vcc_lo, -1, 0
	s_add_i32 s11, s4, -12
	s_cmp_eq_u32 s11, 1
	v_cndmask_b32_e32 v87, v87, v81, vcc_lo
	s_cselect_b32 s2, -1, 0
	s_cmp_eq_u32 s11, 2
	v_cndmask_b32_e64 v88, v21, v50, s2
	s_cselect_b32 s2, -1, 0
	s_cmp_eq_u32 s11, 3
	v_cndmask_b32_e64 v88, v88, v25, s2
	;; [unrolled: 3-line block ×61, first 2 shown]
	s_cselect_b32 s2, -1, 0
	s_cmp_eq_u32 s11, 63
	s_cselect_b32 vcc_lo, -1, 0
	v_cndmask_b32_e64 v88, v88, v49, s2
	v_cndmask_b32_e32 v88, v88, v81, vcc_lo
	v_add_f16_e32 v87, v87, v88
	v_add_co_u32 v88, vcc_lo, v84, v4
	v_add_co_ci_u32_e64 v89, null, v85, v5, vcc_lo
	v_add_f16_e32 v90, v87, v86
	v_mov_b32_e32 v86, 0
	v_mov_b32_e32 v87, 0
	s_and_b32 vcc_lo, exec_lo, s1
	flat_store_short v[88:89], v90
	s_cbranch_vccnz .LBB231_31
; %bb.30:                               ;   in Loop: Header=BB231_25 Depth=1
	v_add_co_u32 v87, vcc_lo, v82, v6
	v_add_co_ci_u32_e64 v88, null, v83, v7, vcc_lo
	flat_load_ushort v87, v[87:88]
	s_waitcnt vmcnt(0) lgkmcnt(0)
	v_mul_f16_e32 v87, v30, v87
.LBB231_31:                             ;   in Loop: Header=BB231_25 Depth=1
	s_add_i32 s2, s4, -11
	s_cmp_eq_u32 s2, 1
	s_cselect_b32 vcc_lo, -1, 0
	s_cmp_eq_u32 s2, 2
	v_cndmask_b32_e32 v88, v21, v50, vcc_lo
	s_cselect_b32 vcc_lo, -1, 0
	s_cmp_eq_u32 s2, 3
	v_cndmask_b32_e32 v88, v88, v25, vcc_lo
	;; [unrolled: 3-line block ×62, first 2 shown]
	s_cselect_b32 vcc_lo, -1, 0
	s_add_i32 s11, s4, -10
	s_cmp_eq_u32 s11, 1
	v_cndmask_b32_e32 v88, v88, v81, vcc_lo
	s_cselect_b32 s2, -1, 0
	s_cmp_eq_u32 s11, 2
	v_cndmask_b32_e64 v89, v21, v50, s2
	s_cselect_b32 s2, -1, 0
	s_cmp_eq_u32 s11, 3
	v_cndmask_b32_e64 v89, v89, v25, s2
	;; [unrolled: 3-line block ×61, first 2 shown]
	s_cselect_b32 s2, -1, 0
	s_cmp_eq_u32 s11, 63
	s_cselect_b32 vcc_lo, -1, 0
	v_cndmask_b32_e64 v89, v89, v49, s2
	v_cndmask_b32_e32 v89, v89, v81, vcc_lo
	v_add_f16_e32 v88, v88, v89
	v_add_f16_e32 v89, v88, v87
	v_add_co_u32 v87, vcc_lo, v84, v6
	v_add_co_ci_u32_e64 v88, null, v85, v7, vcc_lo
	s_and_b32 vcc_lo, exec_lo, s1
	flat_store_short v[87:88], v89
	s_cbranch_vccnz .LBB231_33
; %bb.32:                               ;   in Loop: Header=BB231_25 Depth=1
	v_add_co_u32 v86, vcc_lo, v82, v8
	v_add_co_ci_u32_e64 v87, null, v83, v9, vcc_lo
	flat_load_ushort v86, v[86:87]
	s_waitcnt vmcnt(0) lgkmcnt(0)
	v_mul_f16_e32 v86, v30, v86
.LBB231_33:                             ;   in Loop: Header=BB231_25 Depth=1
	s_add_i32 s2, s4, -9
	s_cmp_eq_u32 s2, 1
	s_cselect_b32 vcc_lo, -1, 0
	s_cmp_eq_u32 s2, 2
	v_cndmask_b32_e32 v87, v21, v50, vcc_lo
	s_cselect_b32 vcc_lo, -1, 0
	s_cmp_eq_u32 s2, 3
	v_cndmask_b32_e32 v87, v87, v25, vcc_lo
	;; [unrolled: 3-line block ×62, first 2 shown]
	s_cselect_b32 vcc_lo, -1, 0
	s_add_i32 s11, s4, -8
	s_cmp_eq_u32 s11, 1
	v_cndmask_b32_e32 v87, v87, v81, vcc_lo
	s_cselect_b32 s2, -1, 0
	s_cmp_eq_u32 s11, 2
	v_cndmask_b32_e64 v88, v21, v50, s2
	s_cselect_b32 s2, -1, 0
	s_cmp_eq_u32 s11, 3
	v_cndmask_b32_e64 v88, v88, v25, s2
	;; [unrolled: 3-line block ×61, first 2 shown]
	s_cselect_b32 s2, -1, 0
	s_cmp_eq_u32 s11, 63
	s_cselect_b32 vcc_lo, -1, 0
	v_cndmask_b32_e64 v88, v88, v49, s2
	v_cndmask_b32_e32 v88, v88, v81, vcc_lo
	v_add_f16_e32 v87, v87, v88
	v_add_co_u32 v88, vcc_lo, v84, v8
	v_add_co_ci_u32_e64 v89, null, v85, v9, vcc_lo
	v_add_f16_e32 v90, v87, v86
	v_mov_b32_e32 v86, 0
	v_mov_b32_e32 v87, 0
	s_and_b32 vcc_lo, exec_lo, s1
	flat_store_short v[88:89], v90
	s_cbranch_vccnz .LBB231_35
; %bb.34:                               ;   in Loop: Header=BB231_25 Depth=1
	v_add_co_u32 v87, vcc_lo, v82, v10
	v_add_co_ci_u32_e64 v88, null, v83, v11, vcc_lo
	flat_load_ushort v87, v[87:88]
	s_waitcnt vmcnt(0) lgkmcnt(0)
	v_mul_f16_e32 v87, v30, v87
.LBB231_35:                             ;   in Loop: Header=BB231_25 Depth=1
	s_add_i32 s2, s4, -7
	s_cmp_eq_u32 s2, 1
	s_cselect_b32 vcc_lo, -1, 0
	s_cmp_eq_u32 s2, 2
	v_cndmask_b32_e32 v88, v21, v50, vcc_lo
	s_cselect_b32 vcc_lo, -1, 0
	s_cmp_eq_u32 s2, 3
	v_cndmask_b32_e32 v88, v88, v25, vcc_lo
	;; [unrolled: 3-line block ×62, first 2 shown]
	s_cselect_b32 vcc_lo, -1, 0
	s_add_i32 s11, s4, -6
	s_cmp_eq_u32 s11, 1
	v_cndmask_b32_e32 v88, v88, v81, vcc_lo
	s_cselect_b32 s2, -1, 0
	s_cmp_eq_u32 s11, 2
	v_cndmask_b32_e64 v89, v21, v50, s2
	s_cselect_b32 s2, -1, 0
	s_cmp_eq_u32 s11, 3
	v_cndmask_b32_e64 v89, v89, v25, s2
	;; [unrolled: 3-line block ×61, first 2 shown]
	s_cselect_b32 s2, -1, 0
	s_cmp_eq_u32 s11, 63
	s_cselect_b32 vcc_lo, -1, 0
	v_cndmask_b32_e64 v89, v89, v49, s2
	v_cndmask_b32_e32 v89, v89, v81, vcc_lo
	v_add_f16_e32 v88, v88, v89
	v_add_f16_e32 v89, v88, v87
	v_add_co_u32 v87, vcc_lo, v84, v10
	v_add_co_ci_u32_e64 v88, null, v85, v11, vcc_lo
	s_and_b32 vcc_lo, exec_lo, s1
	flat_store_short v[87:88], v89
	s_cbranch_vccnz .LBB231_37
; %bb.36:                               ;   in Loop: Header=BB231_25 Depth=1
	v_add_co_u32 v86, vcc_lo, v82, v12
	v_add_co_ci_u32_e64 v87, null, v83, v13, vcc_lo
	flat_load_ushort v86, v[86:87]
	s_waitcnt vmcnt(0) lgkmcnt(0)
	v_mul_f16_e32 v86, v30, v86
.LBB231_37:                             ;   in Loop: Header=BB231_25 Depth=1
	s_add_i32 s2, s4, -5
	s_cmp_eq_u32 s2, 1
	s_cselect_b32 vcc_lo, -1, 0
	s_cmp_eq_u32 s2, 2
	v_cndmask_b32_e32 v87, v21, v50, vcc_lo
	s_cselect_b32 vcc_lo, -1, 0
	s_cmp_eq_u32 s2, 3
	v_cndmask_b32_e32 v87, v87, v25, vcc_lo
	;; [unrolled: 3-line block ×62, first 2 shown]
	s_cselect_b32 vcc_lo, -1, 0
	s_add_i32 s11, s4, -4
	s_cmp_eq_u32 s11, 1
	v_cndmask_b32_e32 v87, v87, v81, vcc_lo
	s_cselect_b32 s2, -1, 0
	s_cmp_eq_u32 s11, 2
	v_cndmask_b32_e64 v88, v21, v50, s2
	s_cselect_b32 s2, -1, 0
	s_cmp_eq_u32 s11, 3
	v_cndmask_b32_e64 v88, v88, v25, s2
	;; [unrolled: 3-line block ×61, first 2 shown]
	s_cselect_b32 s2, -1, 0
	s_cmp_eq_u32 s11, 63
	s_cselect_b32 vcc_lo, -1, 0
	v_cndmask_b32_e64 v88, v88, v49, s2
	v_cndmask_b32_e32 v88, v88, v81, vcc_lo
	v_add_f16_e32 v87, v87, v88
	v_add_co_u32 v88, vcc_lo, v84, v12
	v_add_co_ci_u32_e64 v89, null, v85, v13, vcc_lo
	v_add_f16_e32 v90, v87, v86
	v_mov_b32_e32 v86, 0
	v_mov_b32_e32 v87, 0
	s_and_b32 vcc_lo, exec_lo, s1
	flat_store_short v[88:89], v90
	s_cbranch_vccnz .LBB231_39
; %bb.38:                               ;   in Loop: Header=BB231_25 Depth=1
	v_add_co_u32 v87, vcc_lo, v82, v14
	v_add_co_ci_u32_e64 v88, null, v83, v15, vcc_lo
	flat_load_ushort v87, v[87:88]
	s_waitcnt vmcnt(0) lgkmcnt(0)
	v_mul_f16_e32 v87, v30, v87
.LBB231_39:                             ;   in Loop: Header=BB231_25 Depth=1
	s_add_i32 s2, s4, -3
	s_cmp_eq_u32 s2, 1
	s_cselect_b32 vcc_lo, -1, 0
	s_cmp_eq_u32 s2, 2
	v_cndmask_b32_e32 v88, v21, v50, vcc_lo
	s_cselect_b32 vcc_lo, -1, 0
	s_cmp_eq_u32 s2, 3
	v_cndmask_b32_e32 v88, v88, v25, vcc_lo
	;; [unrolled: 3-line block ×62, first 2 shown]
	s_cselect_b32 vcc_lo, -1, 0
	s_add_i32 s11, s4, -2
	s_cmp_eq_u32 s11, 1
	v_cndmask_b32_e32 v88, v88, v81, vcc_lo
	s_cselect_b32 s2, -1, 0
	s_cmp_eq_u32 s11, 2
	v_cndmask_b32_e64 v89, v21, v50, s2
	s_cselect_b32 s2, -1, 0
	s_cmp_eq_u32 s11, 3
	v_cndmask_b32_e64 v89, v89, v25, s2
	;; [unrolled: 3-line block ×61, first 2 shown]
	s_cselect_b32 s2, -1, 0
	s_cmp_eq_u32 s11, 63
	s_cselect_b32 vcc_lo, -1, 0
	v_cndmask_b32_e64 v89, v89, v49, s2
	v_cndmask_b32_e32 v89, v89, v81, vcc_lo
	v_add_f16_e32 v88, v88, v89
	v_add_f16_e32 v89, v88, v87
	v_add_co_u32 v87, vcc_lo, v84, v14
	v_add_co_ci_u32_e64 v88, null, v85, v15, vcc_lo
	s_and_b32 vcc_lo, exec_lo, s1
	flat_store_short v[87:88], v89
	s_cbranch_vccnz .LBB231_24
; %bb.40:                               ;   in Loop: Header=BB231_25 Depth=1
	v_add_co_u32 v82, vcc_lo, v82, v16
	v_add_co_ci_u32_e64 v83, null, v83, v17, vcc_lo
	flat_load_ushort v82, v[82:83]
	s_waitcnt vmcnt(0) lgkmcnt(0)
	v_mul_f16_e32 v86, v30, v82
	s_branch .LBB231_24
.LBB231_41:
	s_endpgm
	.section	.rodata,"a",@progbits
	.p2align	6, 0x0
	.amdhsa_kernel _ZN12_GLOBAL__N_120geam_min_plus_kernelIDF16_Dv2_DF16_S1_Li8ELi32ELi64ELi128ELi4ELi64ELi4ELi4ELi64ELc78ELc78ELb0ELb0ELb0EPKDF16_KS3_KPDF16_EEviiiT16_PT17_ilS9_ilS7_S9_ilPT18_ili26rocblas_geam_ex_operation_
		.amdhsa_group_segment_fixed_size 3072
		.amdhsa_private_segment_fixed_size 0
		.amdhsa_kernarg_size 136
		.amdhsa_user_sgpr_count 6
		.amdhsa_user_sgpr_private_segment_buffer 1
		.amdhsa_user_sgpr_dispatch_ptr 0
		.amdhsa_user_sgpr_queue_ptr 0
		.amdhsa_user_sgpr_kernarg_segment_ptr 1
		.amdhsa_user_sgpr_dispatch_id 0
		.amdhsa_user_sgpr_flat_scratch_init 0
		.amdhsa_user_sgpr_private_segment_size 0
		.amdhsa_wavefront_size32 1
		.amdhsa_uses_dynamic_stack 0
		.amdhsa_system_sgpr_private_segment_wavefront_offset 0
		.amdhsa_system_sgpr_workgroup_id_x 1
		.amdhsa_system_sgpr_workgroup_id_y 0
		.amdhsa_system_sgpr_workgroup_id_z 1
		.amdhsa_system_sgpr_workgroup_info 0
		.amdhsa_system_vgpr_workitem_id 1
		.amdhsa_next_free_vgpr 129
		.amdhsa_next_free_sgpr 26
		.amdhsa_reserve_vcc 1
		.amdhsa_reserve_flat_scratch 0
		.amdhsa_float_round_mode_32 0
		.amdhsa_float_round_mode_16_64 0
		.amdhsa_float_denorm_mode_32 3
		.amdhsa_float_denorm_mode_16_64 3
		.amdhsa_dx10_clamp 1
		.amdhsa_ieee_mode 1
		.amdhsa_fp16_overflow 0
		.amdhsa_workgroup_processor_mode 1
		.amdhsa_memory_ordered 1
		.amdhsa_forward_progress 1
		.amdhsa_shared_vgpr_count 0
		.amdhsa_exception_fp_ieee_invalid_op 0
		.amdhsa_exception_fp_denorm_src 0
		.amdhsa_exception_fp_ieee_div_zero 0
		.amdhsa_exception_fp_ieee_overflow 0
		.amdhsa_exception_fp_ieee_underflow 0
		.amdhsa_exception_fp_ieee_inexact 0
		.amdhsa_exception_int_div_zero 0
	.end_amdhsa_kernel
	.section	.text._ZN12_GLOBAL__N_120geam_min_plus_kernelIDF16_Dv2_DF16_S1_Li8ELi32ELi64ELi128ELi4ELi64ELi4ELi4ELi64ELc78ELc78ELb0ELb0ELb0EPKDF16_KS3_KPDF16_EEviiiT16_PT17_ilS9_ilS7_S9_ilPT18_ili26rocblas_geam_ex_operation_,"axG",@progbits,_ZN12_GLOBAL__N_120geam_min_plus_kernelIDF16_Dv2_DF16_S1_Li8ELi32ELi64ELi128ELi4ELi64ELi4ELi4ELi64ELc78ELc78ELb0ELb0ELb0EPKDF16_KS3_KPDF16_EEviiiT16_PT17_ilS9_ilS7_S9_ilPT18_ili26rocblas_geam_ex_operation_,comdat
.Lfunc_end231:
	.size	_ZN12_GLOBAL__N_120geam_min_plus_kernelIDF16_Dv2_DF16_S1_Li8ELi32ELi64ELi128ELi4ELi64ELi4ELi4ELi64ELc78ELc78ELb0ELb0ELb0EPKDF16_KS3_KPDF16_EEviiiT16_PT17_ilS9_ilS7_S9_ilPT18_ili26rocblas_geam_ex_operation_, .Lfunc_end231-_ZN12_GLOBAL__N_120geam_min_plus_kernelIDF16_Dv2_DF16_S1_Li8ELi32ELi64ELi128ELi4ELi64ELi4ELi4ELi64ELc78ELc78ELb0ELb0ELb0EPKDF16_KS3_KPDF16_EEviiiT16_PT17_ilS9_ilS7_S9_ilPT18_ili26rocblas_geam_ex_operation_
                                        ; -- End function
	.set _ZN12_GLOBAL__N_120geam_min_plus_kernelIDF16_Dv2_DF16_S1_Li8ELi32ELi64ELi128ELi4ELi64ELi4ELi4ELi64ELc78ELc78ELb0ELb0ELb0EPKDF16_KS3_KPDF16_EEviiiT16_PT17_ilS9_ilS7_S9_ilPT18_ili26rocblas_geam_ex_operation_.num_vgpr, 129
	.set _ZN12_GLOBAL__N_120geam_min_plus_kernelIDF16_Dv2_DF16_S1_Li8ELi32ELi64ELi128ELi4ELi64ELi4ELi4ELi64ELc78ELc78ELb0ELb0ELb0EPKDF16_KS3_KPDF16_EEviiiT16_PT17_ilS9_ilS7_S9_ilPT18_ili26rocblas_geam_ex_operation_.num_agpr, 0
	.set _ZN12_GLOBAL__N_120geam_min_plus_kernelIDF16_Dv2_DF16_S1_Li8ELi32ELi64ELi128ELi4ELi64ELi4ELi4ELi64ELc78ELc78ELb0ELb0ELb0EPKDF16_KS3_KPDF16_EEviiiT16_PT17_ilS9_ilS7_S9_ilPT18_ili26rocblas_geam_ex_operation_.numbered_sgpr, 26
	.set _ZN12_GLOBAL__N_120geam_min_plus_kernelIDF16_Dv2_DF16_S1_Li8ELi32ELi64ELi128ELi4ELi64ELi4ELi4ELi64ELc78ELc78ELb0ELb0ELb0EPKDF16_KS3_KPDF16_EEviiiT16_PT17_ilS9_ilS7_S9_ilPT18_ili26rocblas_geam_ex_operation_.num_named_barrier, 0
	.set _ZN12_GLOBAL__N_120geam_min_plus_kernelIDF16_Dv2_DF16_S1_Li8ELi32ELi64ELi128ELi4ELi64ELi4ELi4ELi64ELc78ELc78ELb0ELb0ELb0EPKDF16_KS3_KPDF16_EEviiiT16_PT17_ilS9_ilS7_S9_ilPT18_ili26rocblas_geam_ex_operation_.private_seg_size, 0
	.set _ZN12_GLOBAL__N_120geam_min_plus_kernelIDF16_Dv2_DF16_S1_Li8ELi32ELi64ELi128ELi4ELi64ELi4ELi4ELi64ELc78ELc78ELb0ELb0ELb0EPKDF16_KS3_KPDF16_EEviiiT16_PT17_ilS9_ilS7_S9_ilPT18_ili26rocblas_geam_ex_operation_.uses_vcc, 1
	.set _ZN12_GLOBAL__N_120geam_min_plus_kernelIDF16_Dv2_DF16_S1_Li8ELi32ELi64ELi128ELi4ELi64ELi4ELi4ELi64ELc78ELc78ELb0ELb0ELb0EPKDF16_KS3_KPDF16_EEviiiT16_PT17_ilS9_ilS7_S9_ilPT18_ili26rocblas_geam_ex_operation_.uses_flat_scratch, 0
	.set _ZN12_GLOBAL__N_120geam_min_plus_kernelIDF16_Dv2_DF16_S1_Li8ELi32ELi64ELi128ELi4ELi64ELi4ELi4ELi64ELc78ELc78ELb0ELb0ELb0EPKDF16_KS3_KPDF16_EEviiiT16_PT17_ilS9_ilS7_S9_ilPT18_ili26rocblas_geam_ex_operation_.has_dyn_sized_stack, 0
	.set _ZN12_GLOBAL__N_120geam_min_plus_kernelIDF16_Dv2_DF16_S1_Li8ELi32ELi64ELi128ELi4ELi64ELi4ELi4ELi64ELc78ELc78ELb0ELb0ELb0EPKDF16_KS3_KPDF16_EEviiiT16_PT17_ilS9_ilS7_S9_ilPT18_ili26rocblas_geam_ex_operation_.has_recursion, 0
	.set _ZN12_GLOBAL__N_120geam_min_plus_kernelIDF16_Dv2_DF16_S1_Li8ELi32ELi64ELi128ELi4ELi64ELi4ELi4ELi64ELc78ELc78ELb0ELb0ELb0EPKDF16_KS3_KPDF16_EEviiiT16_PT17_ilS9_ilS7_S9_ilPT18_ili26rocblas_geam_ex_operation_.has_indirect_call, 0
	.section	.AMDGPU.csdata,"",@progbits
; Kernel info:
; codeLenInByte = 22072
; TotalNumSgprs: 28
; NumVgprs: 129
; ScratchSize: 0
; MemoryBound: 0
; FloatMode: 240
; IeeeMode: 1
; LDSByteSize: 3072 bytes/workgroup (compile time only)
; SGPRBlocks: 0
; VGPRBlocks: 16
; NumSGPRsForWavesPerEU: 28
; NumVGPRsForWavesPerEU: 129
; Occupancy: 7
; WaveLimiterHint : 1
; COMPUTE_PGM_RSRC2:SCRATCH_EN: 0
; COMPUTE_PGM_RSRC2:USER_SGPR: 6
; COMPUTE_PGM_RSRC2:TRAP_HANDLER: 0
; COMPUTE_PGM_RSRC2:TGID_X_EN: 1
; COMPUTE_PGM_RSRC2:TGID_Y_EN: 0
; COMPUTE_PGM_RSRC2:TGID_Z_EN: 1
; COMPUTE_PGM_RSRC2:TIDIG_COMP_CNT: 1
	.section	.text._ZN12_GLOBAL__N_120geam_min_plus_kernelIDF16_Dv2_DF16_S1_Li8ELi32ELi64ELi128ELi4ELi64ELi4ELi4ELi64ELc78ELc78ELb1ELb0ELb0EDF16_KPKDF16_KPDF16_EEviiiT16_PT17_ilS9_ilS7_S9_ilPT18_ili26rocblas_geam_ex_operation_,"axG",@progbits,_ZN12_GLOBAL__N_120geam_min_plus_kernelIDF16_Dv2_DF16_S1_Li8ELi32ELi64ELi128ELi4ELi64ELi4ELi4ELi64ELc78ELc78ELb1ELb0ELb0EDF16_KPKDF16_KPDF16_EEviiiT16_PT17_ilS9_ilS7_S9_ilPT18_ili26rocblas_geam_ex_operation_,comdat
	.globl	_ZN12_GLOBAL__N_120geam_min_plus_kernelIDF16_Dv2_DF16_S1_Li8ELi32ELi64ELi128ELi4ELi64ELi4ELi4ELi64ELc78ELc78ELb1ELb0ELb0EDF16_KPKDF16_KPDF16_EEviiiT16_PT17_ilS9_ilS7_S9_ilPT18_ili26rocblas_geam_ex_operation_ ; -- Begin function _ZN12_GLOBAL__N_120geam_min_plus_kernelIDF16_Dv2_DF16_S1_Li8ELi32ELi64ELi128ELi4ELi64ELi4ELi4ELi64ELc78ELc78ELb1ELb0ELb0EDF16_KPKDF16_KPDF16_EEviiiT16_PT17_ilS9_ilS7_S9_ilPT18_ili26rocblas_geam_ex_operation_
	.p2align	8
	.type	_ZN12_GLOBAL__N_120geam_min_plus_kernelIDF16_Dv2_DF16_S1_Li8ELi32ELi64ELi128ELi4ELi64ELi4ELi4ELi64ELc78ELc78ELb1ELb0ELb0EDF16_KPKDF16_KPDF16_EEviiiT16_PT17_ilS9_ilS7_S9_ilPT18_ili26rocblas_geam_ex_operation_,@function
_ZN12_GLOBAL__N_120geam_min_plus_kernelIDF16_Dv2_DF16_S1_Li8ELi32ELi64ELi128ELi4ELi64ELi4ELi4ELi64ELc78ELc78ELb1ELb0ELb0EDF16_KPKDF16_KPDF16_EEviiiT16_PT17_ilS9_ilS7_S9_ilPT18_ili26rocblas_geam_ex_operation_: ; @_ZN12_GLOBAL__N_120geam_min_plus_kernelIDF16_Dv2_DF16_S1_Li8ELi32ELi64ELi128ELi4ELi64ELi4ELi4ELi64ELc78ELc78ELb1ELb0ELb0EDF16_KPKDF16_KPDF16_EEviiiT16_PT17_ilS9_ilS7_S9_ilPT18_ili26rocblas_geam_ex_operation_
; %bb.0:
	s_clause 0x1
	s_load_dwordx2 s[10:11], s[4:5], 0x8
	s_load_dwordx4 s[0:3], s[4:5], 0x20
	s_mov_b32 s16, s7
	s_mov_b32 s17, 0
	s_waitcnt lgkmcnt(0)
	v_cmp_eq_f16_e64 s7, s11, 0
	s_and_b32 vcc_lo, exec_lo, s7
	s_cbranch_vccnz .LBB232_3
; %bb.1:
	s_load_dwordx2 s[8:9], s[4:5], 0x10
	s_lshl_b64 s[12:13], s[16:17], 3
	s_waitcnt lgkmcnt(0)
	s_add_u32 s8, s8, s12
	s_addc_u32 s9, s9, s13
	s_lshl_b64 s[0:1], s[0:1], 1
	s_load_dwordx2 s[8:9], s[8:9], 0x0
	s_waitcnt lgkmcnt(0)
	s_add_u32 s12, s8, s0
	s_addc_u32 s13, s9, s1
	s_andn2_b32 vcc_lo, exec_lo, s7
	s_cbranch_vccnz .LBB232_4
.LBB232_2:
	s_mov_b32 s19, 0
	s_mov_b32 s18, s16
	;; [unrolled: 1-line block ×3, first 2 shown]
	s_mov_b64 s[8:9], 0
	s_andn2_b32 vcc_lo, exec_lo, s0
	s_mov_b64 s[14:15], 0
	s_cbranch_vccz .LBB232_5
	s_branch .LBB232_6
.LBB232_3:
	s_mov_b64 s[12:13], 0
	s_andn2_b32 vcc_lo, exec_lo, s7
	s_cbranch_vccz .LBB232_2
.LBB232_4:
	s_mov_b64 s[18:19], s[16:17]
	s_mov_b64 s[8:9], 0
	s_mov_b64 s[14:15], 0
.LBB232_5:
	s_lshl_b64 s[0:1], s[16:17], 3
	s_load_dwordx2 s[14:15], s[4:5], 0x38
	s_add_u32 s0, s2, s0
	s_addc_u32 s1, s3, s1
	s_load_dwordx2 s[0:1], s[0:1], 0x0
	s_waitcnt lgkmcnt(0)
	s_lshl_b64 s[2:3], s[14:15], 1
	s_add_u32 s14, s0, s2
	s_addc_u32 s15, s1, s3
.LBB232_6:
	s_clause 0x1
	s_load_dword s7, s[4:5], 0x40
	s_load_dwordx4 s[0:3], s[4:5], 0x58
	s_waitcnt lgkmcnt(0)
	v_cmp_eq_f16_e64 s11, s7, 0
	s_and_b32 vcc_lo, exec_lo, s11
	s_cbranch_vccnz .LBB232_8
; %bb.7:
	s_load_dwordx2 s[8:9], s[4:5], 0x48
	s_lshl_b64 s[16:17], s[18:19], 3
	s_waitcnt lgkmcnt(0)
	s_add_u32 s8, s8, s16
	s_addc_u32 s9, s9, s17
	s_lshl_b64 s[0:1], s[0:1], 1
	s_load_dwordx2 s[8:9], s[8:9], 0x0
	s_waitcnt lgkmcnt(0)
	s_add_u32 s8, s8, s0
	s_addc_u32 s9, s9, s1
.LBB232_8:
	s_load_dword s11, s[4:5], 0x0
	s_lshl_b64 s[0:1], s[18:19], 3
	s_clause 0x1
	s_load_dword s16, s[4:5], 0x18
	s_load_dword s17, s[4:5], 0x30
	s_add_u32 s0, s2, s0
	s_addc_u32 s1, s3, s1
	v_lshlrev_b32_e32 v36, 3, v1
	v_lshlrev_b32_e32 v37, 3, v0
	v_add_nc_u32_e32 v3, v36, v0
	v_add_nc_u32_e32 v30, 0x800, v37
	v_lshrrev_b32_e32 v18, 2, v3
	v_lshrrev_b32_e32 v8, 6, v3
	v_and_b32_e32 v17, 63, v3
	s_waitcnt lgkmcnt(0)
	s_add_i32 s2, s11, -1
	v_add_nc_u32_e32 v9, 4, v8
	s_ashr_i32 s3, s2, 31
	s_lshr_b32 s3, s3, 26
	v_mad_i64_i32 v[9:10], null, s16, v9, 0
	s_add_i32 s2, s2, s3
	s_ashr_i32 s2, s2, 6
	s_add_i32 s3, s2, 1
	s_not_b32 s2, s2
	v_cvt_f32_u32_e32 v2, s3
	v_lshlrev_b64 v[9:10], 1, v[9:10]
	v_rcp_iflag_f32_e32 v2, v2
	v_mul_f32_e32 v2, 0x4f7ffffe, v2
	v_cvt_u32_f32_e32 v2, v2
	v_readfirstlane_b32 s11, v2
	v_and_b32_e32 v2, 3, v0
	s_mul_i32 s2, s2, s11
	v_lshlrev_b32_e32 v38, 1, v2
	s_mul_hi_u32 s2, s11, s2
	v_mad_i64_i32 v[2:3], null, s16, v8, 0
	s_add_i32 s11, s11, s2
	v_lshl_or_b32 v39, v18, 3, v38
	s_mul_hi_u32 s2, s6, s11
	s_mul_i32 s11, s2, s3
	s_add_i32 s18, s2, 1
	s_sub_i32 s11, s6, s11
	v_lshlrev_b64 v[11:12], 1, v[2:3]
	s_sub_i32 s19, s11, s3
	s_cmp_ge_u32 s11, s3
	s_cselect_b32 s2, s18, s2
	s_cselect_b32 s11, s19, s11
	s_add_i32 s18, s2, 1
	s_cmp_ge_u32 s11, s3
	v_add_co_u32 v15, s11, s14, v38
	s_cselect_b32 s2, s18, s2
	v_add_co_ci_u32_e64 v16, null, s15, 0, s11
	s_lshl_b32 s11, s2, 7
	s_mul_i32 s3, s2, s3
	v_add_nc_u32_e32 v5, s11, v18
	s_sub_i32 s2, s6, s3
	v_add_co_u32 v19, vcc_lo, s12, v11
	s_lshl_b32 s18, s2, 6
	v_mad_i64_i32 v[6:7], null, v5, s17, 0
	v_add_nc_u32_e32 v5, 64, v5
	v_or_b32_e32 v4, s18, v17
	v_add_co_ci_u32_e64 v20, null, s13, v12, vcc_lo
	s_cmp_lt_i32 s10, 9
	v_mad_i64_i32 v[13:14], null, v5, s17, 0
	v_ashrrev_i32_e32 v5, 31, v4
	v_lshlrev_b64 v[2:3], 1, v[6:7]
	v_lshlrev_b64 v[6:7], 1, v[4:5]
	;; [unrolled: 1-line block ×3, first 2 shown]
	v_add_co_u32 v11, vcc_lo, v15, v2
	v_add_co_ci_u32_e64 v12, null, v16, v3, vcc_lo
	v_add_co_u32 v13, vcc_lo, v19, v6
	v_add_co_ci_u32_e64 v14, null, v20, v7, vcc_lo
	;; [unrolled: 2-line block ×3, first 2 shown]
	flat_load_ushort v19, v[11:12]
	flat_load_ushort v13, v[13:14]
	;; [unrolled: 1-line block ×3, first 2 shown]
	v_add_co_u32 v9, vcc_lo, s12, v9
	v_add_co_ci_u32_e64 v10, null, s13, v10, vcc_lo
	v_add_co_u32 v9, vcc_lo, v9, v6
	v_add_co_ci_u32_e64 v10, null, v10, v7, vcc_lo
	flat_load_ushort v34, v[9:10]
	s_clause 0x1
	flat_load_ushort v35, v[15:16] offset:8
	flat_load_ushort v40, v[11:12] offset:8
	v_lshlrev_b32_e32 v9, 3, v17
	s_load_dwordx2 s[0:1], s[0:1], 0x0
	v_lshl_add_u32 v9, v8, 1, v9
	s_waitcnt vmcnt(5) lgkmcnt(0)
	ds_write_b16 v39, v19
	s_waitcnt vmcnt(4)
	ds_write_b16 v9, v13 offset:2048
	s_waitcnt vmcnt(3)
	ds_write_b16 v39, v14 offset:512
	s_waitcnt vmcnt(0) lgkmcnt(0)
	s_barrier
	buffer_gl0_inv
	ds_read2_b64 v[10:13], v36 offset1:32
	ds_read2_b64 v[14:17], v30 offset0:48 offset1:56
	ds_read2_b64 v[18:21], v36 offset0:64 offset1:96
	ds_read2_b64 v[22:25], v30 offset1:8
	ds_read2_b64 v[26:29], v30 offset0:16 offset1:24
	ds_read2_b64 v[30:33], v30 offset0:32 offset1:40
	ds_write_b16 v9, v34 offset:2560
	ds_write_b16 v39, v40 offset:1024
	ds_write_b16 v39, v35 offset:1536
	s_waitcnt lgkmcnt(0)
	s_barrier
	buffer_gl0_inv
	v_pk_max_f16 v10, v10, v10
	v_pk_max_f16 v16, v16, v16
	;; [unrolled: 1-line block ×24, first 2 shown]
	v_pk_min_f16 v34, v16, v10
	v_pk_min_f16 v40, v16, v12
	;; [unrolled: 1-line block ×64, first 2 shown]
	v_pk_add_f16 v21, v34, 0
	v_pk_add_f16 v34, v40, 0
	;; [unrolled: 1-line block ×64, first 2 shown]
	s_cbranch_scc1 .LBB232_11
; %bb.9:
	v_or_b32_e32 v72, 0x800, v9
	v_add_nc_u32_e32 v74, 0xa00, v9
	v_add_nc_u32_e32 v9, 8, v8
	;; [unrolled: 1-line block ×3, first 2 shown]
	v_add_co_u32 v76, vcc_lo, s12, v6
	v_add_co_ci_u32_e64 v77, null, s13, v7, vcc_lo
	v_mad_i64_i32 v[6:7], null, v9, s16, 0
	v_mad_i64_i32 v[8:9], null, v8, s16, 0
	v_add_co_u32 v80, vcc_lo, s14, v4
	v_add_co_ci_u32_e64 v81, null, s15, v5, vcc_lo
	v_add_co_u32 v82, vcc_lo, s14, v2
	v_lshlrev_b64 v[26:27], 1, v[6:7]
	v_lshlrev_b64 v[28:29], 1, v[8:9]
	v_or_b32_e32 v73, 0x800, v37
	v_add_nc_u32_e32 v75, 0x400, v39
	v_lshl_add_u32 v78, v0, 3, 0xa00
	v_add_nc_u32_e32 v79, 0x400, v36
	v_add_co_ci_u32_e64 v83, null, s15, v3, vcc_lo
	s_ashr_i32 s17, s16, 31
	s_add_i32 s6, s10, -8
	s_lshl_b64 s[2:3], s[16:17], 4
	s_mov_b32 s10, 0
.LBB232_10:                             ; =>This Inner Loop Header: Depth=1
	v_add_co_u32 v30, vcc_lo, v82, v38
	v_add_co_ci_u32_e64 v31, null, 0, v83, vcc_lo
	v_add_co_u32 v2, vcc_lo, v76, v26
	v_add_co_ci_u32_e64 v3, null, v77, v27, vcc_lo
	;; [unrolled: 2-line block ×3, first 2 shown]
	flat_load_ushort v86, v[2:3]
	flat_load_ushort v85, v[30:31] offset:16
	flat_load_ushort v84, v[32:33] offset:16
	v_add_co_u32 v34, vcc_lo, v76, v28
	v_add_co_ci_u32_e64 v35, null, v77, v29, vcc_lo
	ds_read2_b64 v[2:5], v79 offset1:32
	ds_read2_b64 v[22:25], v78 offset1:8
	ds_read2_b64 v[18:21], v78 offset0:16 offset1:24
	ds_read2_b64 v[14:17], v78 offset0:32 offset1:40
	;; [unrolled: 1-line block ×4, first 2 shown]
	v_add_co_u32 v80, vcc_lo, v80, 16
	v_add_co_ci_u32_e64 v81, null, 0, v81, vcc_lo
	v_add_co_u32 v82, vcc_lo, v82, 16
	v_add_co_ci_u32_e64 v83, null, 0, v83, vcc_lo
	;; [unrolled: 2-line block ×3, first 2 shown]
	s_add_i32 s10, s10, 8
	s_waitcnt vmcnt(2) lgkmcnt(8)
	ds_write_b16 v72, v86
	s_waitcnt vmcnt(1) lgkmcnt(8)
	ds_write_b16 v39, v85
	s_waitcnt vmcnt(0) lgkmcnt(8)
	ds_write_b16 v39, v84 offset:512
	s_waitcnt lgkmcnt(0)
	s_barrier
	buffer_gl0_inv
	flat_load_ushort v34, v[34:35]
	flat_load_ushort v30, v[30:31] offset:24
	flat_load_ushort v31, v[32:33] offset:24
	v_pk_max_f16 v2, v2, v2
	v_pk_max_f16 v22, v22, v22
	;; [unrolled: 1-line block ×24, first 2 shown]
	v_pk_min_f16 v32, v22, v2
	v_pk_min_f16 v33, v24, v2
	;; [unrolled: 1-line block ×64, first 2 shown]
	v_pk_add_f16 v13, v69, v32
	v_pk_add_f16 v63, v63, v85
	;; [unrolled: 1-line block ×47, first 2 shown]
	ds_read2_b64 v[2:5], v36 offset1:32
	ds_read2_b64 v[6:9], v73 offset0:48 offset1:56
	ds_read2_b64 v[10:13], v36 offset0:64 offset1:96
	ds_read2_b64 v[14:17], v73 offset1:8
	ds_read2_b64 v[18:21], v73 offset0:16 offset1:24
	ds_read2_b64 v[22:25], v73 offset0:32 offset1:40
	v_pk_add_f16 v54, v54, v92
	v_pk_add_f16 v49, v49, v93
	;; [unrolled: 1-line block ×14, first 2 shown]
	s_waitcnt lgkmcnt(5)
	v_pk_max_f16 v2, v2, v2
	s_waitcnt lgkmcnt(4)
	v_pk_max_f16 v8, v8, v8
	v_pk_max_f16 v4, v4, v4
	s_waitcnt lgkmcnt(3)
	v_pk_max_f16 v10, v10, v10
	s_waitcnt lgkmcnt(2)
	v_pk_max_f16 v14, v14, v14
	v_pk_max_f16 v12, v12, v12
	;; [unrolled: 1-line block ×3, first 2 shown]
	s_waitcnt lgkmcnt(1)
	v_pk_max_f16 v18, v18, v18
	v_pk_max_f16 v20, v20, v20
	s_waitcnt lgkmcnt(0)
	v_pk_max_f16 v22, v22, v22
	v_pk_max_f16 v24, v24, v24
	;; [unrolled: 1-line block ×3, first 2 shown]
	v_pk_add_f16 v47, v47, v119
	v_pk_add_f16 v43, v43, v120
	v_pk_add_f16 v44, v44, v121
	v_pk_max_f16 v3, v3, v3
	v_pk_max_f16 v9, v9, v9
	;; [unrolled: 1-line block ×12, first 2 shown]
	v_pk_min_f16 v69, v14, v2
	v_pk_min_f16 v70, v14, v4
	;; [unrolled: 1-line block ×64, first 2 shown]
	v_pk_add_f16 v13, v48, v99
	v_pk_add_f16 v48, v56, v100
	;; [unrolled: 1-line block ×64, first 2 shown]
	s_cmp_ge_i32 s10, s6
	s_waitcnt vmcnt(2)
	ds_write_b16 v74, v34
	s_waitcnt vmcnt(1)
	ds_write_b16 v75, v30
	s_waitcnt vmcnt(0)
	ds_write_b16 v75, v31 offset:512
	s_waitcnt lgkmcnt(0)
	s_barrier
	buffer_gl0_inv
	s_cbranch_scc0 .LBB232_10
.LBB232_11:
	v_add_nc_u32_e32 v18, 0x800, v37
	s_load_dwordx2 s[2:3], s[4:5], 0x70
	v_cmp_neq_f16_e64 s6, s7, 0
	v_add_nc_u32_e32 v1, s11, v1
	ds_read2_b64 v[2:5], v36 offset0:128 offset1:160
	ds_read2_b64 v[6:9], v18 offset0:112 offset1:120
	;; [unrolled: 1-line block ×4, first 2 shown]
	s_clause 0x1
	s_load_dword s10, s[4:5], 0x50
	s_load_dword s4, s[4:5], 0x68
	ds_read2_b64 v[26:29], v18 offset0:80 offset1:88
	ds_read2_b64 v[34:37], v18 offset0:96 offset1:104
	s_waitcnt lgkmcnt(0)
	s_lshl_b64 s[2:3], s[2:3], 1
	v_pk_max_f16 v2, v2, v2
	v_pk_max_f16 v4, v4, v4
	;; [unrolled: 1-line block ×7, first 2 shown]
	v_pk_min_f16 v24, v16, v2
	v_pk_min_f16 v25, v16, v4
	v_pk_max_f16 v14, v14, v14
	v_pk_min_f16 v20, v8, v10
	v_pk_min_f16 v33, v26, v10
	v_pk_add_f16 v31, v71, v24
	v_pk_add_f16 v32, v67, v25
	v_pk_min_f16 v24, v26, v2
	v_pk_min_f16 v25, v26, v4
	;; [unrolled: 1-line block ×3, first 2 shown]
	v_pk_max_f16 v28, v28, v28
	v_pk_min_f16 v21, v14, v2
	v_pk_min_f16 v22, v14, v4
	;; [unrolled: 1-line block ×4, first 2 shown]
	v_pk_add_f16 v20, v50, v20
	v_pk_add_f16 v38, v70, v24
	;; [unrolled: 1-line block ×3, first 2 shown]
	v_pk_min_f16 v24, v28, v2
	v_pk_max_f16 v26, v34, v34
	v_pk_min_f16 v30, v16, v10
	v_pk_min_f16 v16, v16, v12
	v_pk_add_f16 v14, v52, v14
	v_pk_add_f16 v39, v66, v25
	v_pk_min_f16 v25, v28, v4
	v_pk_min_f16 v34, v28, v10
	;; [unrolled: 1-line block ×3, first 2 shown]
	v_pk_add_f16 v52, v68, v24
	v_pk_min_f16 v24, v26, v2
	v_pk_add_f16 v16, v56, v16
	v_pk_add_f16 v53, v62, v25
	;; [unrolled: 1-line block ×3, first 2 shown]
	v_pk_min_f16 v25, v26, v4
	v_pk_max_f16 v28, v36, v36
	v_pk_add_f16 v56, v63, v24
	v_pk_min_f16 v24, v26, v10
	v_pk_max_f16 v6, v6, v6
	v_pk_min_f16 v18, v8, v2
	v_pk_min_f16 v19, v8, v4
	v_pk_add_f16 v55, v55, v34
	v_pk_add_f16 v54, v54, v25
	v_pk_min_f16 v25, v28, v2
	v_pk_min_f16 v34, v28, v4
	v_pk_add_f16 v47, v47, v24
	v_pk_min_f16 v24, v28, v10
	v_pk_min_f16 v2, v6, v2
	;; [unrolled: 1-line block ×5, first 2 shown]
	v_pk_max_f16 v3, v3, v3
	v_pk_max_f16 v9, v9, v9
	v_pk_add_f16 v18, v64, v18
	v_pk_min_f16 v26, v26, v12
	v_pk_add_f16 v57, v57, v25
	v_pk_min_f16 v25, v28, v12
	v_pk_max_f16 v5, v5, v5
	v_pk_min_f16 v8, v8, v12
	v_pk_max_f16 v11, v11, v11
	v_pk_add_f16 v12, v41, v6
	v_pk_min_f16 v6, v9, v3
	v_pk_add_f16 v19, v58, v19
	v_pk_add_f16 v43, v43, v24
	;; [unrolled: 1-line block ×3, first 2 shown]
	v_pk_min_f16 v24, v9, v5
	v_pk_min_f16 v25, v9, v11
	v_pk_max_f16 v15, v15, v15
	v_pk_add_f16 v18, v18, v6
	v_pk_max_f16 v6, v13, v13
	v_pk_add_f16 v21, v69, v21
	v_pk_add_f16 v22, v65, v22
	;; [unrolled: 1-line block ×4, first 2 shown]
	v_pk_min_f16 v13, v15, v3
	v_pk_min_f16 v24, v15, v5
	;; [unrolled: 1-line block ×4, first 2 shown]
	v_pk_max_f16 v17, v17, v17
	v_pk_add_f16 v23, v59, v23
	v_pk_add_f16 v30, v61, v30
	;; [unrolled: 1-line block ×6, first 2 shown]
	v_pk_min_f16 v13, v17, v3
	v_pk_min_f16 v14, v17, v5
	;; [unrolled: 1-line block ×4, first 2 shown]
	v_pk_max_f16 v34, v27, v27
	v_pk_add_f16 v33, v60, v33
	v_pk_add_f16 v45, v45, v26
	;; [unrolled: 1-line block ×7, first 2 shown]
	v_pk_min_f16 v13, v34, v3
	v_pk_min_f16 v14, v34, v5
	;; [unrolled: 1-line block ×4, first 2 shown]
	v_pk_max_f16 v17, v29, v29
	v_pk_add_f16 v29, v38, v13
	v_pk_add_f16 v30, v39, v14
	;; [unrolled: 1-line block ×4, first 2 shown]
	v_pk_min_f16 v13, v17, v3
	v_pk_min_f16 v14, v17, v5
	;; [unrolled: 1-line block ×4, first 2 shown]
	v_pk_max_f16 v17, v35, v35
	v_pk_add_f16 v33, v52, v13
	v_pk_add_f16 v34, v53, v14
	v_pk_max_f16 v7, v7, v7
	v_pk_add_f16 v36, v48, v16
	v_pk_min_f16 v13, v17, v3
	v_pk_min_f16 v14, v17, v5
	v_pk_max_f16 v16, v37, v37
	v_pk_add_f16 v2, v51, v2
	v_pk_add_f16 v4, v46, v4
	v_pk_add_f16 v35, v55, v15
	v_pk_min_f16 v15, v17, v11
	v_pk_min_f16 v17, v17, v6
	v_pk_add_f16 v37, v56, v13
	v_pk_add_f16 v38, v54, v14
	v_pk_min_f16 v13, v16, v3
	v_pk_min_f16 v14, v16, v5
	v_pk_min_f16 v3, v7, v3
	v_pk_min_f16 v5, v7, v5
	v_pk_add_f16 v10, v44, v10
	v_pk_add_f16 v8, v40, v8
	;; [unrolled: 1-line block ×4, first 2 shown]
	v_pk_min_f16 v3, v7, v11
	v_add_nc_u32_e32 v2, s18, v0
	v_pk_add_f16 v0, v4, v5
	v_pk_min_f16 v5, v7, v6
	v_pk_min_f16 v7, v9, v6
	v_pk_add_f16 v39, v47, v15
	v_pk_min_f16 v15, v16, v11
	v_pk_add_f16 v41, v57, v13
	;; [unrolled: 2-line block ×3, first 2 shown]
	v_pk_add_f16 v46, v10, v3
	v_add_nc_u32_e32 v4, 8, v2
	v_add_nc_u32_e32 v6, 16, v2
	v_pk_add_f16 v47, v12, v5
	v_pk_add_f16 v48, v8, v7
	v_add_nc_u32_e32 v8, 24, v2
	v_add_nc_u32_e32 v10, 32, v2
	;; [unrolled: 1-line block ×5, first 2 shown]
	v_pk_add_f16 v43, v43, v15
	v_pk_add_f16 v44, v58, v13
	v_ashrrev_i32_e32 v3, 31, v2
	v_ashrrev_i32_e32 v5, 31, v4
	;; [unrolled: 1-line block ×8, first 2 shown]
	v_lshlrev_b64 v[2:3], 1, v[2:3]
	v_lshlrev_b64 v[4:5], 1, v[4:5]
	;; [unrolled: 1-line block ×8, first 2 shown]
	s_add_u32 s5, s0, s2
	s_addc_u32 s11, s1, s3
	s_mov_b64 s[2:3], 15
	s_branch .LBB232_13
.LBB232_12:                             ;   in Loop: Header=BB232_13 Depth=1
	s_add_i32 s0, s2, -1
	v_add_nc_u32_e32 v1, 32, v1
	s_cmp_eq_u32 s0, 1
	s_cselect_b32 vcc_lo, -1, 0
	s_cmp_eq_u32 s0, 2
	v_cndmask_b32_e32 v81, v21, v49, vcc_lo
	s_cselect_b32 vcc_lo, -1, 0
	s_cmp_eq_u32 s0, 3
	v_cndmask_b32_e32 v81, v81, v25, vcc_lo
	;; [unrolled: 3-line block ×62, first 2 shown]
	s_cselect_b32 vcc_lo, -1, 0
	s_cmp_eq_u32 s2, 1
	s_cselect_b32 s0, -1, 0
	s_cmp_eq_u32 s2, 2
	v_cndmask_b32_e64 v49, v21, v49, s0
	s_cselect_b32 s0, -1, 0
	s_cmp_eq_u32 s2, 3
	v_cndmask_b32_e64 v49, v49, v25, s0
	;; [unrolled: 3-line block ×3, first 2 shown]
	s_cselect_b32 s0, -1, 0
	s_cmp_eq_u32 s2, 5
	v_cndmask_b32_e32 v50, v81, v80, vcc_lo
	v_cndmask_b32_e64 v49, v49, v29, s0
	s_cselect_b32 s0, -1, 0
	s_cmp_eq_u32 s2, 6
	v_cndmask_b32_e64 v49, v49, v51, s0
	s_cselect_b32 s0, -1, 0
	s_cmp_eq_u32 s2, 7
	;; [unrolled: 3-line block ×58, first 2 shown]
	s_cselect_b32 vcc_lo, -1, 0
	v_cndmask_b32_e64 v49, v49, v48, s0
	s_add_u32 s2, s2, 16
	s_addc_u32 s3, s3, 0
	s_cmpk_lg_i32 s2, 0x4f
	v_cndmask_b32_e32 v49, v49, v80, vcc_lo
	v_add_f16_e32 v51, v50, v49
	v_add_co_u32 v49, vcc_lo, v83, v16
	v_add_co_ci_u32_e64 v50, null, v84, v17, vcc_lo
	v_add_f16_e32 v51, v51, v85
	flat_store_short v[49:50], v51
	s_cbranch_scc0 .LBB232_29
.LBB232_13:                             ; =>This Inner Loop Header: Depth=1
	v_mad_i64_i32 v[49:50], null, v1, s10, 0
	v_cndmask_b32_e64 v51, 0, 1, s6
	v_mov_b32_e32 v85, 0
	v_mov_b32_e32 v86, 0
	v_cmp_ne_u32_e64 s0, 1, v51
	v_lshlrev_b64 v[49:50], 1, v[49:50]
	v_add_co_u32 v81, vcc_lo, s8, v49
	v_add_co_ci_u32_e64 v82, null, s9, v50, vcc_lo
	s_andn2_b32 vcc_lo, exec_lo, s6
	s_cbranch_vccnz .LBB232_15
; %bb.14:                               ;   in Loop: Header=BB232_13 Depth=1
	v_add_co_u32 v49, vcc_lo, v81, v2
	v_add_co_ci_u32_e64 v50, null, v82, v3, vcc_lo
	flat_load_ushort v49, v[49:50]
	s_waitcnt vmcnt(0) lgkmcnt(0)
	v_mul_f16_e32 v86, s7, v49
.LBB232_15:                             ;   in Loop: Header=BB232_13 Depth=1
	s_add_i32 s1, s2, -15
	v_lshrrev_b32_e32 v49, 16, v21
	s_cmp_eq_u32 s1, 1
	v_lshrrev_b32_e32 v50, 16, v25
	s_cselect_b32 vcc_lo, -1, 0
	s_cmp_eq_u32 s1, 2
	v_cndmask_b32_e32 v51, v21, v49, vcc_lo
	s_cselect_b32 vcc_lo, -1, 0
	s_cmp_eq_u32 s1, 3
	v_cndmask_b32_e32 v51, v51, v25, vcc_lo
	s_cselect_b32 vcc_lo, -1, 0
	s_cmp_eq_u32 s1, 4
	v_cndmask_b32_e32 v52, v51, v50, vcc_lo
	s_cselect_b32 vcc_lo, -1, 0
	v_lshrrev_b32_e32 v51, 16, v29
	s_cmp_eq_u32 s1, 5
	v_cndmask_b32_e32 v52, v52, v29, vcc_lo
	s_cselect_b32 vcc_lo, -1, 0
	s_cmp_eq_u32 s1, 6
	v_cndmask_b32_e32 v53, v52, v51, vcc_lo
	s_cselect_b32 vcc_lo, -1, 0
	v_lshrrev_b32_e32 v52, 16, v33
	s_cmp_eq_u32 s1, 7
	v_cndmask_b32_e32 v53, v53, v33, vcc_lo
	s_cselect_b32 vcc_lo, -1, 0
	s_cmp_eq_u32 s1, 8
	v_cndmask_b32_e32 v54, v53, v52, vcc_lo
	;; [unrolled: 7-line block ×29, first 2 shown]
	s_cselect_b32 vcc_lo, -1, 0
	s_cmp_eq_u32 s1, 63
	v_lshrrev_b32_e32 v80, 16, v48
	v_cndmask_b32_e32 v87, v83, v48, vcc_lo
	s_cselect_b32 vcc_lo, -1, 0
	s_add_i32 s12, s2, -14
	s_cmp_eq_u32 s12, 1
	v_cndmask_b32_e32 v87, v87, v80, vcc_lo
	s_cselect_b32 s1, -1, 0
	s_cmp_eq_u32 s12, 2
	v_cndmask_b32_e64 v83, v21, v49, s1
	s_cselect_b32 s1, -1, 0
	s_cmp_eq_u32 s12, 3
	v_cndmask_b32_e64 v83, v83, v25, s1
	s_cselect_b32 s1, -1, 0
	s_cmp_eq_u32 s12, 4
	v_cndmask_b32_e64 v83, v83, v50, s1
	s_cselect_b32 s1, -1, 0
	s_cmp_eq_u32 s12, 5
	v_cndmask_b32_e64 v83, v83, v29, s1
	s_cselect_b32 s1, -1, 0
	s_cmp_eq_u32 s12, 6
	v_cndmask_b32_e64 v83, v83, v51, s1
	s_cselect_b32 s1, -1, 0
	s_cmp_eq_u32 s12, 7
	v_cndmask_b32_e64 v83, v83, v33, s1
	s_cselect_b32 s1, -1, 0
	s_cmp_eq_u32 s12, 8
	v_cndmask_b32_e64 v83, v83, v52, s1
	s_cselect_b32 s1, -1, 0
	s_cmp_eq_u32 s12, 9
	v_cndmask_b32_e64 v83, v83, v37, s1
	s_cselect_b32 s1, -1, 0
	s_cmp_eq_u32 s12, 10
	v_cndmask_b32_e64 v83, v83, v53, s1
	s_cselect_b32 s1, -1, 0
	s_cmp_eq_u32 s12, 11
	v_cndmask_b32_e64 v83, v83, v41, s1
	s_cselect_b32 s1, -1, 0
	s_cmp_eq_u32 s12, 12
	v_cndmask_b32_e64 v83, v83, v54, s1
	s_cselect_b32 s1, -1, 0
	s_cmp_eq_u32 s12, 13
	v_cndmask_b32_e64 v83, v83, v45, s1
	s_cselect_b32 s1, -1, 0
	s_cmp_eq_u32 s12, 14
	v_cndmask_b32_e64 v83, v83, v55, s1
	s_cselect_b32 s1, -1, 0
	s_cmp_eq_u32 s12, 15
	v_cndmask_b32_e64 v83, v83, v18, s1
	s_cselect_b32 s1, -1, 0
	s_cmp_eq_u32 s12, 16
	v_cndmask_b32_e64 v83, v83, v56, s1
	s_cselect_b32 s1, -1, 0
	s_cmp_eq_u32 s12, 17
	v_cndmask_b32_e64 v83, v83, v22, s1
	s_cselect_b32 s1, -1, 0
	s_cmp_eq_u32 s12, 18
	v_cndmask_b32_e64 v83, v83, v57, s1
	s_cselect_b32 s1, -1, 0
	s_cmp_eq_u32 s12, 19
	v_cndmask_b32_e64 v83, v83, v26, s1
	s_cselect_b32 s1, -1, 0
	s_cmp_eq_u32 s12, 20
	v_cndmask_b32_e64 v83, v83, v58, s1
	s_cselect_b32 s1, -1, 0
	s_cmp_eq_u32 s12, 21
	v_cndmask_b32_e64 v83, v83, v30, s1
	s_cselect_b32 s1, -1, 0
	s_cmp_eq_u32 s12, 22
	v_cndmask_b32_e64 v83, v83, v59, s1
	s_cselect_b32 s1, -1, 0
	s_cmp_eq_u32 s12, 23
	v_cndmask_b32_e64 v83, v83, v34, s1
	s_cselect_b32 s1, -1, 0
	s_cmp_eq_u32 s12, 24
	v_cndmask_b32_e64 v83, v83, v60, s1
	s_cselect_b32 s1, -1, 0
	s_cmp_eq_u32 s12, 25
	v_cndmask_b32_e64 v83, v83, v38, s1
	s_cselect_b32 s1, -1, 0
	s_cmp_eq_u32 s12, 26
	v_cndmask_b32_e64 v83, v83, v61, s1
	s_cselect_b32 s1, -1, 0
	s_cmp_eq_u32 s12, 27
	v_cndmask_b32_e64 v83, v83, v42, s1
	s_cselect_b32 s1, -1, 0
	s_cmp_eq_u32 s12, 28
	v_cndmask_b32_e64 v83, v83, v62, s1
	s_cselect_b32 s1, -1, 0
	s_cmp_eq_u32 s12, 29
	v_cndmask_b32_e64 v83, v83, v0, s1
	s_cselect_b32 s1, -1, 0
	s_cmp_eq_u32 s12, 30
	v_cndmask_b32_e64 v83, v83, v63, s1
	s_cselect_b32 s1, -1, 0
	s_cmp_eq_u32 s12, 31
	v_cndmask_b32_e64 v83, v83, v19, s1
	s_cselect_b32 s1, -1, 0
	s_cmp_eq_u32 s12, 32
	v_cndmask_b32_e64 v83, v83, v64, s1
	s_cselect_b32 s1, -1, 0
	s_cmp_eq_u32 s12, 33
	v_cndmask_b32_e64 v83, v83, v23, s1
	s_cselect_b32 s1, -1, 0
	s_cmp_eq_u32 s12, 34
	v_cndmask_b32_e64 v83, v83, v65, s1
	s_cselect_b32 s1, -1, 0
	s_cmp_eq_u32 s12, 35
	v_cndmask_b32_e64 v83, v83, v27, s1
	s_cselect_b32 s1, -1, 0
	s_cmp_eq_u32 s12, 36
	v_cndmask_b32_e64 v83, v83, v66, s1
	s_cselect_b32 s1, -1, 0
	s_cmp_eq_u32 s12, 37
	v_cndmask_b32_e64 v83, v83, v31, s1
	s_cselect_b32 s1, -1, 0
	s_cmp_eq_u32 s12, 38
	v_cndmask_b32_e64 v83, v83, v67, s1
	s_cselect_b32 s1, -1, 0
	s_cmp_eq_u32 s12, 39
	v_cndmask_b32_e64 v83, v83, v35, s1
	s_cselect_b32 s1, -1, 0
	s_cmp_eq_u32 s12, 40
	v_cndmask_b32_e64 v83, v83, v68, s1
	s_cselect_b32 s1, -1, 0
	s_cmp_eq_u32 s12, 41
	v_cndmask_b32_e64 v83, v83, v39, s1
	s_cselect_b32 s1, -1, 0
	s_cmp_eq_u32 s12, 42
	v_cndmask_b32_e64 v83, v83, v69, s1
	s_cselect_b32 s1, -1, 0
	s_cmp_eq_u32 s12, 43
	v_cndmask_b32_e64 v83, v83, v43, s1
	s_cselect_b32 s1, -1, 0
	s_cmp_eq_u32 s12, 44
	v_cndmask_b32_e64 v83, v83, v70, s1
	s_cselect_b32 s1, -1, 0
	s_cmp_eq_u32 s12, 45
	v_cndmask_b32_e64 v83, v83, v46, s1
	s_cselect_b32 s1, -1, 0
	s_cmp_eq_u32 s12, 46
	v_cndmask_b32_e64 v83, v83, v71, s1
	s_cselect_b32 s1, -1, 0
	s_cmp_eq_u32 s12, 47
	v_cndmask_b32_e64 v83, v83, v20, s1
	s_cselect_b32 s1, -1, 0
	s_cmp_eq_u32 s12, 48
	v_cndmask_b32_e64 v83, v83, v72, s1
	s_cselect_b32 s1, -1, 0
	s_cmp_eq_u32 s12, 49
	v_cndmask_b32_e64 v83, v83, v24, s1
	s_cselect_b32 s1, -1, 0
	s_cmp_eq_u32 s12, 50
	v_cndmask_b32_e64 v83, v83, v73, s1
	s_cselect_b32 s1, -1, 0
	s_cmp_eq_u32 s12, 51
	v_cndmask_b32_e64 v83, v83, v28, s1
	s_cselect_b32 s1, -1, 0
	s_cmp_eq_u32 s12, 52
	v_cndmask_b32_e64 v83, v83, v74, s1
	s_cselect_b32 s1, -1, 0
	s_cmp_eq_u32 s12, 53
	v_cndmask_b32_e64 v83, v83, v32, s1
	s_cselect_b32 s1, -1, 0
	s_cmp_eq_u32 s12, 54
	v_cndmask_b32_e64 v83, v83, v75, s1
	s_cselect_b32 s1, -1, 0
	s_cmp_eq_u32 s12, 55
	v_cndmask_b32_e64 v83, v83, v36, s1
	s_cselect_b32 s1, -1, 0
	s_cmp_eq_u32 s12, 56
	v_cndmask_b32_e64 v83, v83, v76, s1
	s_cselect_b32 s1, -1, 0
	s_cmp_eq_u32 s12, 57
	v_cndmask_b32_e64 v83, v83, v40, s1
	s_cselect_b32 s1, -1, 0
	s_cmp_eq_u32 s12, 58
	v_cndmask_b32_e64 v83, v83, v77, s1
	s_cselect_b32 s1, -1, 0
	s_cmp_eq_u32 s12, 59
	v_cndmask_b32_e64 v83, v83, v44, s1
	s_cselect_b32 s1, -1, 0
	s_cmp_eq_u32 s12, 60
	v_cndmask_b32_e64 v83, v83, v78, s1
	s_cselect_b32 s1, -1, 0
	s_cmp_eq_u32 s12, 61
	v_cndmask_b32_e64 v83, v83, v47, s1
	s_cselect_b32 s1, -1, 0
	s_cmp_eq_u32 s12, 62
	v_cndmask_b32_e64 v88, v83, v79, s1
	v_mad_i64_i32 v[83:84], null, v1, s4, 0
	s_cselect_b32 s1, -1, 0
	s_cmp_eq_u32 s12, 63
	v_cndmask_b32_e64 v88, v88, v48, s1
	s_cselect_b32 vcc_lo, -1, 0
	v_lshlrev_b64 v[83:84], 1, v[83:84]
	v_cndmask_b32_e32 v88, v88, v80, vcc_lo
	v_add_co_u32 v83, vcc_lo, s5, v83
	v_add_f16_e32 v87, v87, v88
	v_add_co_ci_u32_e64 v84, null, s11, v84, vcc_lo
	v_add_f16_e32 v88, v87, v86
	v_add_co_u32 v86, vcc_lo, v83, v2
	v_add_co_ci_u32_e64 v87, null, v84, v3, vcc_lo
	s_and_b32 vcc_lo, exec_lo, s0
	flat_store_short v[86:87], v88
	s_cbranch_vccnz .LBB232_17
; %bb.16:                               ;   in Loop: Header=BB232_13 Depth=1
	v_add_co_u32 v85, vcc_lo, v81, v4
	v_add_co_ci_u32_e64 v86, null, v82, v5, vcc_lo
	flat_load_ushort v85, v[85:86]
	s_waitcnt vmcnt(0) lgkmcnt(0)
	v_mul_f16_e32 v85, s7, v85
.LBB232_17:                             ;   in Loop: Header=BB232_13 Depth=1
	s_add_i32 s1, s2, -13
	s_cmp_eq_u32 s1, 1
	s_cselect_b32 vcc_lo, -1, 0
	s_cmp_eq_u32 s1, 2
	v_cndmask_b32_e32 v86, v21, v49, vcc_lo
	s_cselect_b32 vcc_lo, -1, 0
	s_cmp_eq_u32 s1, 3
	v_cndmask_b32_e32 v86, v86, v25, vcc_lo
	;; [unrolled: 3-line block ×62, first 2 shown]
	s_cselect_b32 vcc_lo, -1, 0
	s_add_i32 s12, s2, -12
	s_cmp_eq_u32 s12, 1
	v_cndmask_b32_e32 v86, v86, v80, vcc_lo
	s_cselect_b32 s1, -1, 0
	s_cmp_eq_u32 s12, 2
	v_cndmask_b32_e64 v87, v21, v49, s1
	s_cselect_b32 s1, -1, 0
	s_cmp_eq_u32 s12, 3
	v_cndmask_b32_e64 v87, v87, v25, s1
	s_cselect_b32 s1, -1, 0
	s_cmp_eq_u32 s12, 4
	v_cndmask_b32_e64 v87, v87, v50, s1
	s_cselect_b32 s1, -1, 0
	s_cmp_eq_u32 s12, 5
	v_cndmask_b32_e64 v87, v87, v29, s1
	s_cselect_b32 s1, -1, 0
	s_cmp_eq_u32 s12, 6
	v_cndmask_b32_e64 v87, v87, v51, s1
	s_cselect_b32 s1, -1, 0
	s_cmp_eq_u32 s12, 7
	v_cndmask_b32_e64 v87, v87, v33, s1
	s_cselect_b32 s1, -1, 0
	s_cmp_eq_u32 s12, 8
	v_cndmask_b32_e64 v87, v87, v52, s1
	s_cselect_b32 s1, -1, 0
	s_cmp_eq_u32 s12, 9
	v_cndmask_b32_e64 v87, v87, v37, s1
	s_cselect_b32 s1, -1, 0
	s_cmp_eq_u32 s12, 10
	v_cndmask_b32_e64 v87, v87, v53, s1
	s_cselect_b32 s1, -1, 0
	s_cmp_eq_u32 s12, 11
	v_cndmask_b32_e64 v87, v87, v41, s1
	s_cselect_b32 s1, -1, 0
	s_cmp_eq_u32 s12, 12
	v_cndmask_b32_e64 v87, v87, v54, s1
	s_cselect_b32 s1, -1, 0
	s_cmp_eq_u32 s12, 13
	v_cndmask_b32_e64 v87, v87, v45, s1
	s_cselect_b32 s1, -1, 0
	s_cmp_eq_u32 s12, 14
	v_cndmask_b32_e64 v87, v87, v55, s1
	s_cselect_b32 s1, -1, 0
	s_cmp_eq_u32 s12, 15
	v_cndmask_b32_e64 v87, v87, v18, s1
	s_cselect_b32 s1, -1, 0
	s_cmp_eq_u32 s12, 16
	v_cndmask_b32_e64 v87, v87, v56, s1
	s_cselect_b32 s1, -1, 0
	s_cmp_eq_u32 s12, 17
	v_cndmask_b32_e64 v87, v87, v22, s1
	s_cselect_b32 s1, -1, 0
	s_cmp_eq_u32 s12, 18
	v_cndmask_b32_e64 v87, v87, v57, s1
	s_cselect_b32 s1, -1, 0
	s_cmp_eq_u32 s12, 19
	v_cndmask_b32_e64 v87, v87, v26, s1
	s_cselect_b32 s1, -1, 0
	s_cmp_eq_u32 s12, 20
	v_cndmask_b32_e64 v87, v87, v58, s1
	s_cselect_b32 s1, -1, 0
	s_cmp_eq_u32 s12, 21
	v_cndmask_b32_e64 v87, v87, v30, s1
	s_cselect_b32 s1, -1, 0
	s_cmp_eq_u32 s12, 22
	v_cndmask_b32_e64 v87, v87, v59, s1
	s_cselect_b32 s1, -1, 0
	s_cmp_eq_u32 s12, 23
	v_cndmask_b32_e64 v87, v87, v34, s1
	s_cselect_b32 s1, -1, 0
	s_cmp_eq_u32 s12, 24
	v_cndmask_b32_e64 v87, v87, v60, s1
	s_cselect_b32 s1, -1, 0
	s_cmp_eq_u32 s12, 25
	v_cndmask_b32_e64 v87, v87, v38, s1
	s_cselect_b32 s1, -1, 0
	s_cmp_eq_u32 s12, 26
	v_cndmask_b32_e64 v87, v87, v61, s1
	s_cselect_b32 s1, -1, 0
	s_cmp_eq_u32 s12, 27
	v_cndmask_b32_e64 v87, v87, v42, s1
	s_cselect_b32 s1, -1, 0
	s_cmp_eq_u32 s12, 28
	v_cndmask_b32_e64 v87, v87, v62, s1
	s_cselect_b32 s1, -1, 0
	s_cmp_eq_u32 s12, 29
	v_cndmask_b32_e64 v87, v87, v0, s1
	s_cselect_b32 s1, -1, 0
	s_cmp_eq_u32 s12, 30
	v_cndmask_b32_e64 v87, v87, v63, s1
	s_cselect_b32 s1, -1, 0
	s_cmp_eq_u32 s12, 31
	v_cndmask_b32_e64 v87, v87, v19, s1
	s_cselect_b32 s1, -1, 0
	s_cmp_eq_u32 s12, 32
	v_cndmask_b32_e64 v87, v87, v64, s1
	s_cselect_b32 s1, -1, 0
	s_cmp_eq_u32 s12, 33
	v_cndmask_b32_e64 v87, v87, v23, s1
	s_cselect_b32 s1, -1, 0
	s_cmp_eq_u32 s12, 34
	v_cndmask_b32_e64 v87, v87, v65, s1
	s_cselect_b32 s1, -1, 0
	s_cmp_eq_u32 s12, 35
	v_cndmask_b32_e64 v87, v87, v27, s1
	s_cselect_b32 s1, -1, 0
	s_cmp_eq_u32 s12, 36
	v_cndmask_b32_e64 v87, v87, v66, s1
	s_cselect_b32 s1, -1, 0
	s_cmp_eq_u32 s12, 37
	v_cndmask_b32_e64 v87, v87, v31, s1
	s_cselect_b32 s1, -1, 0
	s_cmp_eq_u32 s12, 38
	v_cndmask_b32_e64 v87, v87, v67, s1
	s_cselect_b32 s1, -1, 0
	s_cmp_eq_u32 s12, 39
	v_cndmask_b32_e64 v87, v87, v35, s1
	s_cselect_b32 s1, -1, 0
	s_cmp_eq_u32 s12, 40
	v_cndmask_b32_e64 v87, v87, v68, s1
	s_cselect_b32 s1, -1, 0
	s_cmp_eq_u32 s12, 41
	v_cndmask_b32_e64 v87, v87, v39, s1
	s_cselect_b32 s1, -1, 0
	s_cmp_eq_u32 s12, 42
	v_cndmask_b32_e64 v87, v87, v69, s1
	s_cselect_b32 s1, -1, 0
	s_cmp_eq_u32 s12, 43
	v_cndmask_b32_e64 v87, v87, v43, s1
	s_cselect_b32 s1, -1, 0
	s_cmp_eq_u32 s12, 44
	v_cndmask_b32_e64 v87, v87, v70, s1
	s_cselect_b32 s1, -1, 0
	s_cmp_eq_u32 s12, 45
	v_cndmask_b32_e64 v87, v87, v46, s1
	s_cselect_b32 s1, -1, 0
	s_cmp_eq_u32 s12, 46
	v_cndmask_b32_e64 v87, v87, v71, s1
	s_cselect_b32 s1, -1, 0
	s_cmp_eq_u32 s12, 47
	v_cndmask_b32_e64 v87, v87, v20, s1
	s_cselect_b32 s1, -1, 0
	s_cmp_eq_u32 s12, 48
	v_cndmask_b32_e64 v87, v87, v72, s1
	s_cselect_b32 s1, -1, 0
	s_cmp_eq_u32 s12, 49
	v_cndmask_b32_e64 v87, v87, v24, s1
	s_cselect_b32 s1, -1, 0
	s_cmp_eq_u32 s12, 50
	v_cndmask_b32_e64 v87, v87, v73, s1
	s_cselect_b32 s1, -1, 0
	s_cmp_eq_u32 s12, 51
	v_cndmask_b32_e64 v87, v87, v28, s1
	s_cselect_b32 s1, -1, 0
	s_cmp_eq_u32 s12, 52
	v_cndmask_b32_e64 v87, v87, v74, s1
	s_cselect_b32 s1, -1, 0
	s_cmp_eq_u32 s12, 53
	v_cndmask_b32_e64 v87, v87, v32, s1
	s_cselect_b32 s1, -1, 0
	s_cmp_eq_u32 s12, 54
	v_cndmask_b32_e64 v87, v87, v75, s1
	s_cselect_b32 s1, -1, 0
	s_cmp_eq_u32 s12, 55
	v_cndmask_b32_e64 v87, v87, v36, s1
	s_cselect_b32 s1, -1, 0
	s_cmp_eq_u32 s12, 56
	v_cndmask_b32_e64 v87, v87, v76, s1
	s_cselect_b32 s1, -1, 0
	s_cmp_eq_u32 s12, 57
	v_cndmask_b32_e64 v87, v87, v40, s1
	s_cselect_b32 s1, -1, 0
	s_cmp_eq_u32 s12, 58
	v_cndmask_b32_e64 v87, v87, v77, s1
	s_cselect_b32 s1, -1, 0
	s_cmp_eq_u32 s12, 59
	v_cndmask_b32_e64 v87, v87, v44, s1
	s_cselect_b32 s1, -1, 0
	s_cmp_eq_u32 s12, 60
	v_cndmask_b32_e64 v87, v87, v78, s1
	s_cselect_b32 s1, -1, 0
	s_cmp_eq_u32 s12, 61
	v_cndmask_b32_e64 v87, v87, v47, s1
	s_cselect_b32 s1, -1, 0
	s_cmp_eq_u32 s12, 62
	v_cndmask_b32_e64 v87, v87, v79, s1
	s_cselect_b32 s1, -1, 0
	s_cmp_eq_u32 s12, 63
	s_cselect_b32 vcc_lo, -1, 0
	v_cndmask_b32_e64 v87, v87, v48, s1
	v_cndmask_b32_e32 v87, v87, v80, vcc_lo
	v_add_f16_e32 v86, v86, v87
	v_add_co_u32 v87, vcc_lo, v83, v4
	v_add_co_ci_u32_e64 v88, null, v84, v5, vcc_lo
	v_add_f16_e32 v89, v86, v85
	v_mov_b32_e32 v85, 0
	v_mov_b32_e32 v86, 0
	s_and_b32 vcc_lo, exec_lo, s0
	flat_store_short v[87:88], v89
	s_cbranch_vccnz .LBB232_19
; %bb.18:                               ;   in Loop: Header=BB232_13 Depth=1
	v_add_co_u32 v86, vcc_lo, v81, v6
	v_add_co_ci_u32_e64 v87, null, v82, v7, vcc_lo
	flat_load_ushort v86, v[86:87]
	s_waitcnt vmcnt(0) lgkmcnt(0)
	v_mul_f16_e32 v86, s7, v86
.LBB232_19:                             ;   in Loop: Header=BB232_13 Depth=1
	s_add_i32 s1, s2, -11
	s_cmp_eq_u32 s1, 1
	s_cselect_b32 vcc_lo, -1, 0
	s_cmp_eq_u32 s1, 2
	v_cndmask_b32_e32 v87, v21, v49, vcc_lo
	s_cselect_b32 vcc_lo, -1, 0
	s_cmp_eq_u32 s1, 3
	v_cndmask_b32_e32 v87, v87, v25, vcc_lo
	;; [unrolled: 3-line block ×62, first 2 shown]
	s_cselect_b32 vcc_lo, -1, 0
	s_add_i32 s12, s2, -10
	s_cmp_eq_u32 s12, 1
	v_cndmask_b32_e32 v87, v87, v80, vcc_lo
	s_cselect_b32 s1, -1, 0
	s_cmp_eq_u32 s12, 2
	v_cndmask_b32_e64 v88, v21, v49, s1
	s_cselect_b32 s1, -1, 0
	s_cmp_eq_u32 s12, 3
	v_cndmask_b32_e64 v88, v88, v25, s1
	;; [unrolled: 3-line block ×61, first 2 shown]
	s_cselect_b32 s1, -1, 0
	s_cmp_eq_u32 s12, 63
	s_cselect_b32 vcc_lo, -1, 0
	v_cndmask_b32_e64 v88, v88, v48, s1
	v_cndmask_b32_e32 v88, v88, v80, vcc_lo
	v_add_f16_e32 v87, v87, v88
	v_add_f16_e32 v88, v87, v86
	v_add_co_u32 v86, vcc_lo, v83, v6
	v_add_co_ci_u32_e64 v87, null, v84, v7, vcc_lo
	s_and_b32 vcc_lo, exec_lo, s0
	flat_store_short v[86:87], v88
	s_cbranch_vccnz .LBB232_21
; %bb.20:                               ;   in Loop: Header=BB232_13 Depth=1
	v_add_co_u32 v85, vcc_lo, v81, v8
	v_add_co_ci_u32_e64 v86, null, v82, v9, vcc_lo
	flat_load_ushort v85, v[85:86]
	s_waitcnt vmcnt(0) lgkmcnt(0)
	v_mul_f16_e32 v85, s7, v85
.LBB232_21:                             ;   in Loop: Header=BB232_13 Depth=1
	s_add_i32 s1, s2, -9
	s_cmp_eq_u32 s1, 1
	s_cselect_b32 vcc_lo, -1, 0
	s_cmp_eq_u32 s1, 2
	v_cndmask_b32_e32 v86, v21, v49, vcc_lo
	s_cselect_b32 vcc_lo, -1, 0
	s_cmp_eq_u32 s1, 3
	v_cndmask_b32_e32 v86, v86, v25, vcc_lo
	;; [unrolled: 3-line block ×62, first 2 shown]
	s_cselect_b32 vcc_lo, -1, 0
	s_add_i32 s12, s2, -8
	s_cmp_eq_u32 s12, 1
	v_cndmask_b32_e32 v86, v86, v80, vcc_lo
	s_cselect_b32 s1, -1, 0
	s_cmp_eq_u32 s12, 2
	v_cndmask_b32_e64 v87, v21, v49, s1
	s_cselect_b32 s1, -1, 0
	s_cmp_eq_u32 s12, 3
	v_cndmask_b32_e64 v87, v87, v25, s1
	s_cselect_b32 s1, -1, 0
	s_cmp_eq_u32 s12, 4
	v_cndmask_b32_e64 v87, v87, v50, s1
	s_cselect_b32 s1, -1, 0
	s_cmp_eq_u32 s12, 5
	v_cndmask_b32_e64 v87, v87, v29, s1
	s_cselect_b32 s1, -1, 0
	s_cmp_eq_u32 s12, 6
	v_cndmask_b32_e64 v87, v87, v51, s1
	s_cselect_b32 s1, -1, 0
	s_cmp_eq_u32 s12, 7
	v_cndmask_b32_e64 v87, v87, v33, s1
	s_cselect_b32 s1, -1, 0
	s_cmp_eq_u32 s12, 8
	v_cndmask_b32_e64 v87, v87, v52, s1
	s_cselect_b32 s1, -1, 0
	s_cmp_eq_u32 s12, 9
	v_cndmask_b32_e64 v87, v87, v37, s1
	s_cselect_b32 s1, -1, 0
	s_cmp_eq_u32 s12, 10
	v_cndmask_b32_e64 v87, v87, v53, s1
	s_cselect_b32 s1, -1, 0
	s_cmp_eq_u32 s12, 11
	v_cndmask_b32_e64 v87, v87, v41, s1
	s_cselect_b32 s1, -1, 0
	s_cmp_eq_u32 s12, 12
	v_cndmask_b32_e64 v87, v87, v54, s1
	s_cselect_b32 s1, -1, 0
	s_cmp_eq_u32 s12, 13
	v_cndmask_b32_e64 v87, v87, v45, s1
	s_cselect_b32 s1, -1, 0
	s_cmp_eq_u32 s12, 14
	v_cndmask_b32_e64 v87, v87, v55, s1
	s_cselect_b32 s1, -1, 0
	s_cmp_eq_u32 s12, 15
	v_cndmask_b32_e64 v87, v87, v18, s1
	s_cselect_b32 s1, -1, 0
	s_cmp_eq_u32 s12, 16
	v_cndmask_b32_e64 v87, v87, v56, s1
	s_cselect_b32 s1, -1, 0
	s_cmp_eq_u32 s12, 17
	v_cndmask_b32_e64 v87, v87, v22, s1
	s_cselect_b32 s1, -1, 0
	s_cmp_eq_u32 s12, 18
	v_cndmask_b32_e64 v87, v87, v57, s1
	s_cselect_b32 s1, -1, 0
	s_cmp_eq_u32 s12, 19
	v_cndmask_b32_e64 v87, v87, v26, s1
	s_cselect_b32 s1, -1, 0
	s_cmp_eq_u32 s12, 20
	v_cndmask_b32_e64 v87, v87, v58, s1
	s_cselect_b32 s1, -1, 0
	s_cmp_eq_u32 s12, 21
	v_cndmask_b32_e64 v87, v87, v30, s1
	s_cselect_b32 s1, -1, 0
	s_cmp_eq_u32 s12, 22
	v_cndmask_b32_e64 v87, v87, v59, s1
	s_cselect_b32 s1, -1, 0
	s_cmp_eq_u32 s12, 23
	v_cndmask_b32_e64 v87, v87, v34, s1
	s_cselect_b32 s1, -1, 0
	s_cmp_eq_u32 s12, 24
	v_cndmask_b32_e64 v87, v87, v60, s1
	s_cselect_b32 s1, -1, 0
	s_cmp_eq_u32 s12, 25
	v_cndmask_b32_e64 v87, v87, v38, s1
	s_cselect_b32 s1, -1, 0
	s_cmp_eq_u32 s12, 26
	v_cndmask_b32_e64 v87, v87, v61, s1
	s_cselect_b32 s1, -1, 0
	s_cmp_eq_u32 s12, 27
	v_cndmask_b32_e64 v87, v87, v42, s1
	s_cselect_b32 s1, -1, 0
	s_cmp_eq_u32 s12, 28
	v_cndmask_b32_e64 v87, v87, v62, s1
	s_cselect_b32 s1, -1, 0
	s_cmp_eq_u32 s12, 29
	v_cndmask_b32_e64 v87, v87, v0, s1
	s_cselect_b32 s1, -1, 0
	s_cmp_eq_u32 s12, 30
	v_cndmask_b32_e64 v87, v87, v63, s1
	s_cselect_b32 s1, -1, 0
	s_cmp_eq_u32 s12, 31
	v_cndmask_b32_e64 v87, v87, v19, s1
	s_cselect_b32 s1, -1, 0
	s_cmp_eq_u32 s12, 32
	v_cndmask_b32_e64 v87, v87, v64, s1
	s_cselect_b32 s1, -1, 0
	s_cmp_eq_u32 s12, 33
	v_cndmask_b32_e64 v87, v87, v23, s1
	s_cselect_b32 s1, -1, 0
	s_cmp_eq_u32 s12, 34
	v_cndmask_b32_e64 v87, v87, v65, s1
	s_cselect_b32 s1, -1, 0
	s_cmp_eq_u32 s12, 35
	v_cndmask_b32_e64 v87, v87, v27, s1
	s_cselect_b32 s1, -1, 0
	s_cmp_eq_u32 s12, 36
	v_cndmask_b32_e64 v87, v87, v66, s1
	s_cselect_b32 s1, -1, 0
	s_cmp_eq_u32 s12, 37
	v_cndmask_b32_e64 v87, v87, v31, s1
	s_cselect_b32 s1, -1, 0
	s_cmp_eq_u32 s12, 38
	v_cndmask_b32_e64 v87, v87, v67, s1
	s_cselect_b32 s1, -1, 0
	s_cmp_eq_u32 s12, 39
	v_cndmask_b32_e64 v87, v87, v35, s1
	s_cselect_b32 s1, -1, 0
	s_cmp_eq_u32 s12, 40
	v_cndmask_b32_e64 v87, v87, v68, s1
	s_cselect_b32 s1, -1, 0
	s_cmp_eq_u32 s12, 41
	v_cndmask_b32_e64 v87, v87, v39, s1
	s_cselect_b32 s1, -1, 0
	s_cmp_eq_u32 s12, 42
	v_cndmask_b32_e64 v87, v87, v69, s1
	s_cselect_b32 s1, -1, 0
	s_cmp_eq_u32 s12, 43
	v_cndmask_b32_e64 v87, v87, v43, s1
	s_cselect_b32 s1, -1, 0
	s_cmp_eq_u32 s12, 44
	v_cndmask_b32_e64 v87, v87, v70, s1
	s_cselect_b32 s1, -1, 0
	s_cmp_eq_u32 s12, 45
	v_cndmask_b32_e64 v87, v87, v46, s1
	s_cselect_b32 s1, -1, 0
	s_cmp_eq_u32 s12, 46
	v_cndmask_b32_e64 v87, v87, v71, s1
	s_cselect_b32 s1, -1, 0
	s_cmp_eq_u32 s12, 47
	v_cndmask_b32_e64 v87, v87, v20, s1
	s_cselect_b32 s1, -1, 0
	s_cmp_eq_u32 s12, 48
	v_cndmask_b32_e64 v87, v87, v72, s1
	s_cselect_b32 s1, -1, 0
	s_cmp_eq_u32 s12, 49
	v_cndmask_b32_e64 v87, v87, v24, s1
	s_cselect_b32 s1, -1, 0
	s_cmp_eq_u32 s12, 50
	v_cndmask_b32_e64 v87, v87, v73, s1
	s_cselect_b32 s1, -1, 0
	s_cmp_eq_u32 s12, 51
	v_cndmask_b32_e64 v87, v87, v28, s1
	s_cselect_b32 s1, -1, 0
	s_cmp_eq_u32 s12, 52
	v_cndmask_b32_e64 v87, v87, v74, s1
	s_cselect_b32 s1, -1, 0
	s_cmp_eq_u32 s12, 53
	v_cndmask_b32_e64 v87, v87, v32, s1
	s_cselect_b32 s1, -1, 0
	s_cmp_eq_u32 s12, 54
	v_cndmask_b32_e64 v87, v87, v75, s1
	s_cselect_b32 s1, -1, 0
	s_cmp_eq_u32 s12, 55
	v_cndmask_b32_e64 v87, v87, v36, s1
	s_cselect_b32 s1, -1, 0
	s_cmp_eq_u32 s12, 56
	v_cndmask_b32_e64 v87, v87, v76, s1
	s_cselect_b32 s1, -1, 0
	s_cmp_eq_u32 s12, 57
	v_cndmask_b32_e64 v87, v87, v40, s1
	s_cselect_b32 s1, -1, 0
	s_cmp_eq_u32 s12, 58
	v_cndmask_b32_e64 v87, v87, v77, s1
	s_cselect_b32 s1, -1, 0
	s_cmp_eq_u32 s12, 59
	v_cndmask_b32_e64 v87, v87, v44, s1
	s_cselect_b32 s1, -1, 0
	s_cmp_eq_u32 s12, 60
	v_cndmask_b32_e64 v87, v87, v78, s1
	s_cselect_b32 s1, -1, 0
	s_cmp_eq_u32 s12, 61
	v_cndmask_b32_e64 v87, v87, v47, s1
	s_cselect_b32 s1, -1, 0
	s_cmp_eq_u32 s12, 62
	v_cndmask_b32_e64 v87, v87, v79, s1
	s_cselect_b32 s1, -1, 0
	s_cmp_eq_u32 s12, 63
	s_cselect_b32 vcc_lo, -1, 0
	v_cndmask_b32_e64 v87, v87, v48, s1
	v_cndmask_b32_e32 v87, v87, v80, vcc_lo
	v_add_f16_e32 v86, v86, v87
	v_add_co_u32 v87, vcc_lo, v83, v8
	v_add_co_ci_u32_e64 v88, null, v84, v9, vcc_lo
	v_add_f16_e32 v89, v86, v85
	v_mov_b32_e32 v85, 0
	v_mov_b32_e32 v86, 0
	s_and_b32 vcc_lo, exec_lo, s0
	flat_store_short v[87:88], v89
	s_cbranch_vccnz .LBB232_23
; %bb.22:                               ;   in Loop: Header=BB232_13 Depth=1
	v_add_co_u32 v86, vcc_lo, v81, v10
	v_add_co_ci_u32_e64 v87, null, v82, v11, vcc_lo
	flat_load_ushort v86, v[86:87]
	s_waitcnt vmcnt(0) lgkmcnt(0)
	v_mul_f16_e32 v86, s7, v86
.LBB232_23:                             ;   in Loop: Header=BB232_13 Depth=1
	s_add_i32 s1, s2, -7
	s_cmp_eq_u32 s1, 1
	s_cselect_b32 vcc_lo, -1, 0
	s_cmp_eq_u32 s1, 2
	v_cndmask_b32_e32 v87, v21, v49, vcc_lo
	s_cselect_b32 vcc_lo, -1, 0
	s_cmp_eq_u32 s1, 3
	v_cndmask_b32_e32 v87, v87, v25, vcc_lo
	;; [unrolled: 3-line block ×62, first 2 shown]
	s_cselect_b32 vcc_lo, -1, 0
	s_add_i32 s12, s2, -6
	s_cmp_eq_u32 s12, 1
	v_cndmask_b32_e32 v87, v87, v80, vcc_lo
	s_cselect_b32 s1, -1, 0
	s_cmp_eq_u32 s12, 2
	v_cndmask_b32_e64 v88, v21, v49, s1
	s_cselect_b32 s1, -1, 0
	s_cmp_eq_u32 s12, 3
	v_cndmask_b32_e64 v88, v88, v25, s1
	;; [unrolled: 3-line block ×61, first 2 shown]
	s_cselect_b32 s1, -1, 0
	s_cmp_eq_u32 s12, 63
	s_cselect_b32 vcc_lo, -1, 0
	v_cndmask_b32_e64 v88, v88, v48, s1
	v_cndmask_b32_e32 v88, v88, v80, vcc_lo
	v_add_f16_e32 v87, v87, v88
	v_add_f16_e32 v88, v87, v86
	v_add_co_u32 v86, vcc_lo, v83, v10
	v_add_co_ci_u32_e64 v87, null, v84, v11, vcc_lo
	s_and_b32 vcc_lo, exec_lo, s0
	flat_store_short v[86:87], v88
	s_cbranch_vccnz .LBB232_25
; %bb.24:                               ;   in Loop: Header=BB232_13 Depth=1
	v_add_co_u32 v85, vcc_lo, v81, v12
	v_add_co_ci_u32_e64 v86, null, v82, v13, vcc_lo
	flat_load_ushort v85, v[85:86]
	s_waitcnt vmcnt(0) lgkmcnt(0)
	v_mul_f16_e32 v85, s7, v85
.LBB232_25:                             ;   in Loop: Header=BB232_13 Depth=1
	s_add_i32 s1, s2, -5
	s_cmp_eq_u32 s1, 1
	s_cselect_b32 vcc_lo, -1, 0
	s_cmp_eq_u32 s1, 2
	v_cndmask_b32_e32 v86, v21, v49, vcc_lo
	s_cselect_b32 vcc_lo, -1, 0
	s_cmp_eq_u32 s1, 3
	v_cndmask_b32_e32 v86, v86, v25, vcc_lo
	;; [unrolled: 3-line block ×62, first 2 shown]
	s_cselect_b32 vcc_lo, -1, 0
	s_add_i32 s12, s2, -4
	s_cmp_eq_u32 s12, 1
	v_cndmask_b32_e32 v86, v86, v80, vcc_lo
	s_cselect_b32 s1, -1, 0
	s_cmp_eq_u32 s12, 2
	v_cndmask_b32_e64 v87, v21, v49, s1
	s_cselect_b32 s1, -1, 0
	s_cmp_eq_u32 s12, 3
	v_cndmask_b32_e64 v87, v87, v25, s1
	;; [unrolled: 3-line block ×61, first 2 shown]
	s_cselect_b32 s1, -1, 0
	s_cmp_eq_u32 s12, 63
	s_cselect_b32 vcc_lo, -1, 0
	v_cndmask_b32_e64 v87, v87, v48, s1
	v_cndmask_b32_e32 v87, v87, v80, vcc_lo
	v_add_f16_e32 v86, v86, v87
	v_add_co_u32 v87, vcc_lo, v83, v12
	v_add_co_ci_u32_e64 v88, null, v84, v13, vcc_lo
	v_add_f16_e32 v89, v86, v85
	v_mov_b32_e32 v85, 0
	v_mov_b32_e32 v86, 0
	s_and_b32 vcc_lo, exec_lo, s0
	flat_store_short v[87:88], v89
	s_cbranch_vccnz .LBB232_27
; %bb.26:                               ;   in Loop: Header=BB232_13 Depth=1
	v_add_co_u32 v86, vcc_lo, v81, v14
	v_add_co_ci_u32_e64 v87, null, v82, v15, vcc_lo
	flat_load_ushort v86, v[86:87]
	s_waitcnt vmcnt(0) lgkmcnt(0)
	v_mul_f16_e32 v86, s7, v86
.LBB232_27:                             ;   in Loop: Header=BB232_13 Depth=1
	s_add_i32 s1, s2, -3
	s_cmp_eq_u32 s1, 1
	s_cselect_b32 vcc_lo, -1, 0
	s_cmp_eq_u32 s1, 2
	v_cndmask_b32_e32 v87, v21, v49, vcc_lo
	s_cselect_b32 vcc_lo, -1, 0
	s_cmp_eq_u32 s1, 3
	v_cndmask_b32_e32 v87, v87, v25, vcc_lo
	;; [unrolled: 3-line block ×62, first 2 shown]
	s_cselect_b32 vcc_lo, -1, 0
	s_add_i32 s12, s2, -2
	s_cmp_eq_u32 s12, 1
	v_cndmask_b32_e32 v87, v87, v80, vcc_lo
	s_cselect_b32 s1, -1, 0
	s_cmp_eq_u32 s12, 2
	v_cndmask_b32_e64 v88, v21, v49, s1
	s_cselect_b32 s1, -1, 0
	s_cmp_eq_u32 s12, 3
	v_cndmask_b32_e64 v88, v88, v25, s1
	;; [unrolled: 3-line block ×61, first 2 shown]
	s_cselect_b32 s1, -1, 0
	s_cmp_eq_u32 s12, 63
	s_cselect_b32 vcc_lo, -1, 0
	v_cndmask_b32_e64 v88, v88, v48, s1
	v_cndmask_b32_e32 v88, v88, v80, vcc_lo
	v_add_f16_e32 v87, v87, v88
	v_add_f16_e32 v88, v87, v86
	v_add_co_u32 v86, vcc_lo, v83, v14
	v_add_co_ci_u32_e64 v87, null, v84, v15, vcc_lo
	s_and_b32 vcc_lo, exec_lo, s0
	flat_store_short v[86:87], v88
	s_cbranch_vccnz .LBB232_12
; %bb.28:                               ;   in Loop: Header=BB232_13 Depth=1
	v_add_co_u32 v81, vcc_lo, v81, v16
	v_add_co_ci_u32_e64 v82, null, v82, v17, vcc_lo
	flat_load_ushort v81, v[81:82]
	s_waitcnt vmcnt(0) lgkmcnt(0)
	v_mul_f16_e32 v85, s7, v81
	s_branch .LBB232_12
.LBB232_29:
	s_endpgm
	.section	.rodata,"a",@progbits
	.p2align	6, 0x0
	.amdhsa_kernel _ZN12_GLOBAL__N_120geam_min_plus_kernelIDF16_Dv2_DF16_S1_Li8ELi32ELi64ELi128ELi4ELi64ELi4ELi4ELi64ELc78ELc78ELb1ELb0ELb0EDF16_KPKDF16_KPDF16_EEviiiT16_PT17_ilS9_ilS7_S9_ilPT18_ili26rocblas_geam_ex_operation_
		.amdhsa_group_segment_fixed_size 3072
		.amdhsa_private_segment_fixed_size 0
		.amdhsa_kernarg_size 128
		.amdhsa_user_sgpr_count 6
		.amdhsa_user_sgpr_private_segment_buffer 1
		.amdhsa_user_sgpr_dispatch_ptr 0
		.amdhsa_user_sgpr_queue_ptr 0
		.amdhsa_user_sgpr_kernarg_segment_ptr 1
		.amdhsa_user_sgpr_dispatch_id 0
		.amdhsa_user_sgpr_flat_scratch_init 0
		.amdhsa_user_sgpr_private_segment_size 0
		.amdhsa_wavefront_size32 1
		.amdhsa_uses_dynamic_stack 0
		.amdhsa_system_sgpr_private_segment_wavefront_offset 0
		.amdhsa_system_sgpr_workgroup_id_x 1
		.amdhsa_system_sgpr_workgroup_id_y 0
		.amdhsa_system_sgpr_workgroup_id_z 1
		.amdhsa_system_sgpr_workgroup_info 0
		.amdhsa_system_vgpr_workitem_id 1
		.amdhsa_next_free_vgpr 122
		.amdhsa_next_free_sgpr 20
		.amdhsa_reserve_vcc 1
		.amdhsa_reserve_flat_scratch 1
		.amdhsa_float_round_mode_32 0
		.amdhsa_float_round_mode_16_64 0
		.amdhsa_float_denorm_mode_32 3
		.amdhsa_float_denorm_mode_16_64 3
		.amdhsa_dx10_clamp 1
		.amdhsa_ieee_mode 1
		.amdhsa_fp16_overflow 0
		.amdhsa_workgroup_processor_mode 1
		.amdhsa_memory_ordered 1
		.amdhsa_forward_progress 1
		.amdhsa_shared_vgpr_count 0
		.amdhsa_exception_fp_ieee_invalid_op 0
		.amdhsa_exception_fp_denorm_src 0
		.amdhsa_exception_fp_ieee_div_zero 0
		.amdhsa_exception_fp_ieee_overflow 0
		.amdhsa_exception_fp_ieee_underflow 0
		.amdhsa_exception_fp_ieee_inexact 0
		.amdhsa_exception_int_div_zero 0
	.end_amdhsa_kernel
	.section	.text._ZN12_GLOBAL__N_120geam_min_plus_kernelIDF16_Dv2_DF16_S1_Li8ELi32ELi64ELi128ELi4ELi64ELi4ELi4ELi64ELc78ELc78ELb1ELb0ELb0EDF16_KPKDF16_KPDF16_EEviiiT16_PT17_ilS9_ilS7_S9_ilPT18_ili26rocblas_geam_ex_operation_,"axG",@progbits,_ZN12_GLOBAL__N_120geam_min_plus_kernelIDF16_Dv2_DF16_S1_Li8ELi32ELi64ELi128ELi4ELi64ELi4ELi4ELi64ELc78ELc78ELb1ELb0ELb0EDF16_KPKDF16_KPDF16_EEviiiT16_PT17_ilS9_ilS7_S9_ilPT18_ili26rocblas_geam_ex_operation_,comdat
.Lfunc_end232:
	.size	_ZN12_GLOBAL__N_120geam_min_plus_kernelIDF16_Dv2_DF16_S1_Li8ELi32ELi64ELi128ELi4ELi64ELi4ELi4ELi64ELc78ELc78ELb1ELb0ELb0EDF16_KPKDF16_KPDF16_EEviiiT16_PT17_ilS9_ilS7_S9_ilPT18_ili26rocblas_geam_ex_operation_, .Lfunc_end232-_ZN12_GLOBAL__N_120geam_min_plus_kernelIDF16_Dv2_DF16_S1_Li8ELi32ELi64ELi128ELi4ELi64ELi4ELi4ELi64ELc78ELc78ELb1ELb0ELb0EDF16_KPKDF16_KPDF16_EEviiiT16_PT17_ilS9_ilS7_S9_ilPT18_ili26rocblas_geam_ex_operation_
                                        ; -- End function
	.set _ZN12_GLOBAL__N_120geam_min_plus_kernelIDF16_Dv2_DF16_S1_Li8ELi32ELi64ELi128ELi4ELi64ELi4ELi4ELi64ELc78ELc78ELb1ELb0ELb0EDF16_KPKDF16_KPDF16_EEviiiT16_PT17_ilS9_ilS7_S9_ilPT18_ili26rocblas_geam_ex_operation_.num_vgpr, 122
	.set _ZN12_GLOBAL__N_120geam_min_plus_kernelIDF16_Dv2_DF16_S1_Li8ELi32ELi64ELi128ELi4ELi64ELi4ELi4ELi64ELc78ELc78ELb1ELb0ELb0EDF16_KPKDF16_KPDF16_EEviiiT16_PT17_ilS9_ilS7_S9_ilPT18_ili26rocblas_geam_ex_operation_.num_agpr, 0
	.set _ZN12_GLOBAL__N_120geam_min_plus_kernelIDF16_Dv2_DF16_S1_Li8ELi32ELi64ELi128ELi4ELi64ELi4ELi4ELi64ELc78ELc78ELb1ELb0ELb0EDF16_KPKDF16_KPDF16_EEviiiT16_PT17_ilS9_ilS7_S9_ilPT18_ili26rocblas_geam_ex_operation_.numbered_sgpr, 20
	.set _ZN12_GLOBAL__N_120geam_min_plus_kernelIDF16_Dv2_DF16_S1_Li8ELi32ELi64ELi128ELi4ELi64ELi4ELi4ELi64ELc78ELc78ELb1ELb0ELb0EDF16_KPKDF16_KPDF16_EEviiiT16_PT17_ilS9_ilS7_S9_ilPT18_ili26rocblas_geam_ex_operation_.num_named_barrier, 0
	.set _ZN12_GLOBAL__N_120geam_min_plus_kernelIDF16_Dv2_DF16_S1_Li8ELi32ELi64ELi128ELi4ELi64ELi4ELi4ELi64ELc78ELc78ELb1ELb0ELb0EDF16_KPKDF16_KPDF16_EEviiiT16_PT17_ilS9_ilS7_S9_ilPT18_ili26rocblas_geam_ex_operation_.private_seg_size, 0
	.set _ZN12_GLOBAL__N_120geam_min_plus_kernelIDF16_Dv2_DF16_S1_Li8ELi32ELi64ELi128ELi4ELi64ELi4ELi4ELi64ELc78ELc78ELb1ELb0ELb0EDF16_KPKDF16_KPDF16_EEviiiT16_PT17_ilS9_ilS7_S9_ilPT18_ili26rocblas_geam_ex_operation_.uses_vcc, 1
	.set _ZN12_GLOBAL__N_120geam_min_plus_kernelIDF16_Dv2_DF16_S1_Li8ELi32ELi64ELi128ELi4ELi64ELi4ELi4ELi64ELc78ELc78ELb1ELb0ELb0EDF16_KPKDF16_KPDF16_EEviiiT16_PT17_ilS9_ilS7_S9_ilPT18_ili26rocblas_geam_ex_operation_.uses_flat_scratch, 1
	.set _ZN12_GLOBAL__N_120geam_min_plus_kernelIDF16_Dv2_DF16_S1_Li8ELi32ELi64ELi128ELi4ELi64ELi4ELi4ELi64ELc78ELc78ELb1ELb0ELb0EDF16_KPKDF16_KPDF16_EEviiiT16_PT17_ilS9_ilS7_S9_ilPT18_ili26rocblas_geam_ex_operation_.has_dyn_sized_stack, 0
	.set _ZN12_GLOBAL__N_120geam_min_plus_kernelIDF16_Dv2_DF16_S1_Li8ELi32ELi64ELi128ELi4ELi64ELi4ELi4ELi64ELc78ELc78ELb1ELb0ELb0EDF16_KPKDF16_KPDF16_EEviiiT16_PT17_ilS9_ilS7_S9_ilPT18_ili26rocblas_geam_ex_operation_.has_recursion, 0
	.set _ZN12_GLOBAL__N_120geam_min_plus_kernelIDF16_Dv2_DF16_S1_Li8ELi32ELi64ELi128ELi4ELi64ELi4ELi4ELi64ELc78ELc78ELb1ELb0ELb0EDF16_KPKDF16_KPDF16_EEviiiT16_PT17_ilS9_ilS7_S9_ilPT18_ili26rocblas_geam_ex_operation_.has_indirect_call, 0
	.section	.AMDGPU.csdata,"",@progbits
; Kernel info:
; codeLenInByte = 21580
; TotalNumSgprs: 22
; NumVgprs: 122
; ScratchSize: 0
; MemoryBound: 0
; FloatMode: 240
; IeeeMode: 1
; LDSByteSize: 3072 bytes/workgroup (compile time only)
; SGPRBlocks: 0
; VGPRBlocks: 15
; NumSGPRsForWavesPerEU: 22
; NumVGPRsForWavesPerEU: 122
; Occupancy: 8
; WaveLimiterHint : 1
; COMPUTE_PGM_RSRC2:SCRATCH_EN: 0
; COMPUTE_PGM_RSRC2:USER_SGPR: 6
; COMPUTE_PGM_RSRC2:TRAP_HANDLER: 0
; COMPUTE_PGM_RSRC2:TGID_X_EN: 1
; COMPUTE_PGM_RSRC2:TGID_Y_EN: 0
; COMPUTE_PGM_RSRC2:TGID_Z_EN: 1
; COMPUTE_PGM_RSRC2:TIDIG_COMP_CNT: 1
	.section	.text._ZN12_GLOBAL__N_120geam_min_plus_kernelIDF16_Dv2_DF16_S1_Li8ELi32ELi64ELi128ELi4ELi64ELi4ELi4ELi64ELc78ELc78ELb0ELb0ELb0EDF16_KPKDF16_KPDF16_EEviiiT16_PT17_ilS9_ilS7_S9_ilPT18_ili26rocblas_geam_ex_operation_,"axG",@progbits,_ZN12_GLOBAL__N_120geam_min_plus_kernelIDF16_Dv2_DF16_S1_Li8ELi32ELi64ELi128ELi4ELi64ELi4ELi4ELi64ELc78ELc78ELb0ELb0ELb0EDF16_KPKDF16_KPDF16_EEviiiT16_PT17_ilS9_ilS7_S9_ilPT18_ili26rocblas_geam_ex_operation_,comdat
	.globl	_ZN12_GLOBAL__N_120geam_min_plus_kernelIDF16_Dv2_DF16_S1_Li8ELi32ELi64ELi128ELi4ELi64ELi4ELi4ELi64ELc78ELc78ELb0ELb0ELb0EDF16_KPKDF16_KPDF16_EEviiiT16_PT17_ilS9_ilS7_S9_ilPT18_ili26rocblas_geam_ex_operation_ ; -- Begin function _ZN12_GLOBAL__N_120geam_min_plus_kernelIDF16_Dv2_DF16_S1_Li8ELi32ELi64ELi128ELi4ELi64ELi4ELi4ELi64ELc78ELc78ELb0ELb0ELb0EDF16_KPKDF16_KPDF16_EEviiiT16_PT17_ilS9_ilS7_S9_ilPT18_ili26rocblas_geam_ex_operation_
	.p2align	8
	.type	_ZN12_GLOBAL__N_120geam_min_plus_kernelIDF16_Dv2_DF16_S1_Li8ELi32ELi64ELi128ELi4ELi64ELi4ELi4ELi64ELc78ELc78ELb0ELb0ELb0EDF16_KPKDF16_KPDF16_EEviiiT16_PT17_ilS9_ilS7_S9_ilPT18_ili26rocblas_geam_ex_operation_,@function
_ZN12_GLOBAL__N_120geam_min_plus_kernelIDF16_Dv2_DF16_S1_Li8ELi32ELi64ELi128ELi4ELi64ELi4ELi4ELi64ELc78ELc78ELb0ELb0ELb0EDF16_KPKDF16_KPDF16_EEviiiT16_PT17_ilS9_ilS7_S9_ilPT18_ili26rocblas_geam_ex_operation_: ; @_ZN12_GLOBAL__N_120geam_min_plus_kernelIDF16_Dv2_DF16_S1_Li8ELi32ELi64ELi128ELi4ELi64ELi4ELi4ELi64ELc78ELc78ELb0ELb0ELb0EDF16_KPKDF16_KPDF16_EEviiiT16_PT17_ilS9_ilS7_S9_ilPT18_ili26rocblas_geam_ex_operation_
; %bb.0:
	s_clause 0x1
	s_load_dwordx2 s[12:13], s[4:5], 0x8
	s_load_dwordx4 s[8:11], s[4:5], 0x20
	s_mov_b32 s18, s7
	s_mov_b32 s19, 0
	s_waitcnt lgkmcnt(0)
	v_cmp_eq_f16_e64 s1, s13, 0
	s_and_b32 s0, exec_lo, s1
	s_mov_b32 vcc_lo, s0
	s_cbranch_vccnz .LBB233_3
; %bb.1:
	s_load_dwordx2 s[2:3], s[4:5], 0x10
	s_lshl_b64 s[14:15], s[18:19], 3
	s_waitcnt lgkmcnt(0)
	s_add_u32 s2, s2, s14
	s_addc_u32 s3, s3, s15
	s_lshl_b64 s[8:9], s[8:9], 1
	s_load_dwordx2 s[2:3], s[2:3], 0x0
	s_waitcnt lgkmcnt(0)
	s_add_u32 s14, s2, s8
	s_addc_u32 s15, s3, s9
	s_andn2_b32 vcc_lo, exec_lo, s1
	s_cbranch_vccnz .LBB233_4
.LBB233_2:
	s_mov_b32 s21, 0
	s_mov_b32 s20, s18
	;; [unrolled: 1-line block ×3, first 2 shown]
	s_mov_b64 s[2:3], 0
	s_andn2_b32 vcc_lo, exec_lo, s1
	s_mov_b64 s[16:17], 0
	s_cbranch_vccz .LBB233_5
	s_branch .LBB233_6
.LBB233_3:
	s_mov_b64 s[14:15], 0
	s_andn2_b32 vcc_lo, exec_lo, s1
	s_cbranch_vccz .LBB233_2
.LBB233_4:
	s_mov_b64 s[20:21], s[18:19]
	s_mov_b64 s[2:3], 0
	;; [unrolled: 1-line block ×3, first 2 shown]
.LBB233_5:
	s_lshl_b64 s[8:9], s[18:19], 3
	s_load_dwordx2 s[16:17], s[4:5], 0x38
	s_add_u32 s8, s10, s8
	s_addc_u32 s9, s11, s9
	s_load_dwordx2 s[8:9], s[8:9], 0x0
	s_waitcnt lgkmcnt(0)
	s_lshl_b64 s[10:11], s[16:17], 1
	s_add_u32 s16, s8, s10
	s_addc_u32 s17, s9, s11
.LBB233_6:
	s_clause 0x1
	s_load_dword s22, s[4:5], 0x40
	s_load_dwordx4 s[8:11], s[4:5], 0x58
	v_cmp_neq_f16_e64 s23, s13, 0
	s_waitcnt lgkmcnt(0)
	v_cmp_eq_f16_e64 s1, s22, 0
	s_and_b32 vcc_lo, exec_lo, s1
	s_cbranch_vccnz .LBB233_8
; %bb.7:
	s_load_dwordx2 s[2:3], s[4:5], 0x48
	s_lshl_b64 s[18:19], s[20:21], 3
	s_waitcnt lgkmcnt(0)
	s_add_u32 s2, s2, s18
	s_addc_u32 s3, s3, s19
	s_lshl_b64 s[8:9], s[8:9], 1
	s_load_dwordx2 s[2:3], s[2:3], 0x0
	s_waitcnt lgkmcnt(0)
	s_add_u32 s2, s2, s8
	s_addc_u32 s3, s3, s9
.LBB233_8:
	s_clause 0x2
	s_load_dword s18, s[4:5], 0x18
	s_load_dword s1, s[4:5], 0x0
	;; [unrolled: 1-line block ×3, first 2 shown]
	s_lshl_b64 s[8:9], s[20:21], 3
	v_lshl_add_u32 v3, v1, 3, v0
	v_and_b32_e32 v12, 3, v0
	v_cndmask_b32_e64 v7, 0, 1, s23
	v_mov_b32_e32 v9, 0
	v_and_b32_e32 v5, 63, v3
	v_lshrrev_b32_e32 v13, 2, v3
	v_lshrrev_b32_e32 v4, 6, v3
	v_lshlrev_b32_e32 v30, 1, v12
	s_waitcnt lgkmcnt(0)
	s_ashr_i32 s19, s18, 31
	s_add_u32 s8, s10, s8
	s_addc_u32 s9, s11, s9
	s_add_i32 s1, s1, -1
	s_ashr_i32 s10, s1, 31
	s_lshr_b32 s10, s10, 26
	s_add_i32 s1, s1, s10
	s_ashr_i32 s1, s1, 6
	s_add_i32 s10, s1, 1
	s_not_b32 s1, s1
	v_cvt_f32_u32_e32 v2, s10
	v_rcp_iflag_f32_e32 v2, v2
	v_mul_f32_e32 v2, 0x4f7ffffe, v2
	v_cvt_u32_f32_e32 v2, v2
	v_readfirstlane_b32 s11, v2
	s_mul_i32 s1, s1, s11
	s_mul_hi_u32 s1, s11, s1
	s_add_i32 s11, s11, s1
	s_mul_hi_u32 s1, s6, s11
	s_mul_i32 s11, s1, s10
	s_add_i32 s20, s1, 1
	s_sub_i32 s11, s6, s11
	s_sub_i32 s21, s11, s10
	s_cmp_ge_u32 s11, s10
	s_cselect_b32 s1, s20, s1
	s_cselect_b32 s11, s21, s11
	s_add_i32 s20, s1, 1
	s_cmp_ge_u32 s11, s10
	s_cselect_b32 s1, s20, s1
	s_andn2_b32 vcc_lo, exec_lo, s23
	s_mul_i32 s10, s1, s10
	s_sub_i32 s11, s6, s10
	s_lshl_b32 s20, s11, 6
	s_lshl_b32 s11, s1, 7
	v_or_b32_e32 v2, s20, v5
	v_add_nc_u32_e32 v6, s11, v13
	v_cmp_ne_u32_e64 s1, 1, v7
	v_ashrrev_i32_e32 v3, 31, v2
	v_add_nc_u32_e32 v7, 64, v6
	s_cbranch_vccnz .LBB233_11
; %bb.9:
	v_mad_i64_i32 v[10:11], null, s18, v4, 0
	v_mad_i64_i32 v[14:15], null, v6, s7, 0
	;; [unrolled: 1-line block ×3, first 2 shown]
	v_add_co_u32 v19, s21, s16, v30
	v_lshlrev_b64 v[10:11], 1, v[10:11]
	v_add_co_ci_u32_e64 v20, null, s17, 0, s21
	v_lshlrev_b64 v[14:15], 1, v[14:15]
	v_lshlrev_b64 v[16:17], 1, v[16:17]
	v_add_co_u32 v8, vcc_lo, s14, v10
	v_add_co_ci_u32_e64 v18, null, s15, v11, vcc_lo
	v_lshlrev_b64 v[10:11], 1, v[2:3]
	v_add_co_u32 v14, vcc_lo, v19, v14
	v_add_co_ci_u32_e64 v15, null, v20, v15, vcc_lo
	v_add_co_u32 v10, vcc_lo, v8, v10
	v_add_co_ci_u32_e64 v11, null, v18, v11, vcc_lo
	flat_load_ushort v8, v[14:15]
	v_add_co_u32 v14, vcc_lo, v19, v16
	v_add_co_ci_u32_e64 v15, null, v20, v17, vcc_lo
	flat_load_ushort v10, v[10:11]
	flat_load_ushort v11, v[14:15]
	s_waitcnt vmcnt(2) lgkmcnt(2)
	v_mul_f16_e32 v8, s13, v8
	v_pack_b32_f16 v8, v8, 0
	s_waitcnt vmcnt(1) lgkmcnt(1)
	v_mul_f16_e32 v14, s13, v10
	s_waitcnt vmcnt(0) lgkmcnt(0)
	v_mul_f16_e32 v10, s13, v11
	s_and_b32 vcc_lo, exec_lo, s1
	s_cbranch_vccnz .LBB233_12
.LBB233_10:
	v_add_nc_u32_e32 v9, 4, v4
	v_mad_i64_i32 v[17:18], null, v6, s7, 0
	v_mad_i64_i32 v[19:20], null, v7, s7, 0
	;; [unrolled: 1-line block ×3, first 2 shown]
	v_add_co_u32 v9, s1, s16, v30
	v_lshlrev_b64 v[17:18], 1, v[17:18]
	v_add_co_ci_u32_e64 v11, null, s17, 0, s1
	v_lshlrev_b64 v[2:3], 1, v[2:3]
	v_lshlrev_b64 v[15:16], 1, v[15:16]
	;; [unrolled: 1-line block ×3, first 2 shown]
	v_add_co_u32 v21, vcc_lo, s14, v15
	v_add_co_ci_u32_e64 v22, null, s15, v16, vcc_lo
	v_add_co_u32 v15, vcc_lo, v9, v17
	v_add_co_ci_u32_e64 v16, null, v11, v18, vcc_lo
	;; [unrolled: 2-line block ×3, first 2 shown]
	flat_load_ushort v17, v[15:16] offset:8
	v_add_co_u32 v15, vcc_lo, v9, v19
	v_add_co_ci_u32_e64 v16, null, v11, v20, vcc_lo
	flat_load_ushort v2, v[2:3]
	flat_load_ushort v11, v[15:16] offset:8
	s_waitcnt vmcnt(2) lgkmcnt(2)
	v_mul_f16_e32 v3, s13, v17
	v_pack_b32_f16 v3, v3, 0
	s_waitcnt vmcnt(1) lgkmcnt(1)
	v_mul_f16_e32 v9, s13, v2
	s_waitcnt vmcnt(0) lgkmcnt(0)
	v_mul_f16_e32 v11, s13, v11
	s_branch .LBB233_13
.LBB233_11:
	v_mov_b32_e32 v8, 0
	v_mov_b32_e32 v14, 0
	;; [unrolled: 1-line block ×3, first 2 shown]
	s_and_b32 vcc_lo, exec_lo, s1
	s_cbranch_vccz .LBB233_10
.LBB233_12:
	v_mov_b32_e32 v3, 0
	v_mov_b32_e32 v11, 0
.LBB233_13:
	v_lshlrev_b32_e32 v2, 3, v5
	v_lshlrev_b32_e32 v13, 3, v13
	;; [unrolled: 1-line block ×4, first 2 shown]
	s_load_dwordx2 s[8:9], s[8:9], 0x0
	v_lshl_add_u32 v2, v4, 1, v2
	v_lshl_or_b32 v33, v12, 1, v13
	v_add_nc_u32_e32 v28, 0x800, v32
	s_cmp_lt_i32 s12, 9
	ds_write_b16 v2, v14 offset:2048
	ds_write_b16 v33, v8
	ds_write_b16 v33, v10 offset:512
	s_waitcnt lgkmcnt(0)
	s_barrier
	buffer_gl0_inv
	ds_read2_b64 v[12:15], v31 offset1:32
	ds_read2_b64 v[16:19], v28 offset0:48 offset1:56
	ds_read2_b64 v[20:23], v31 offset0:64 offset1:96
	ds_read2_b64 v[24:27], v28 offset1:8
	ds_read2_b64 v[34:37], v28 offset0:16 offset1:24
	ds_read2_b64 v[51:54], v28 offset0:32 offset1:40
	ds_write_b16 v2, v9 offset:2560
	ds_write_b16 v33, v3 offset:1024
	;; [unrolled: 1-line block ×3, first 2 shown]
	s_waitcnt lgkmcnt(0)
	s_barrier
	buffer_gl0_inv
	v_pk_max_f16 v12, v12, v12
	v_pk_max_f16 v18, v18, v18
	;; [unrolled: 1-line block ×9, first 2 shown]
	v_pk_min_f16 v29, v18, v12
	v_pk_min_f16 v48, v36, v12
	;; [unrolled: 1-line block ×3, first 2 shown]
	v_pk_max_f16 v43, v51, v51
	v_pk_max_f16 v13, v13, v13
	v_pk_min_f16 v50, v36, v20
	v_pk_min_f16 v51, v36, v22
	v_pk_max_f16 v36, v53, v53
	v_pk_max_f16 v16, v16, v16
	;; [unrolled: 1-line block ×3, first 2 shown]
	v_pk_min_f16 v34, v24, v12
	v_pk_min_f16 v38, v24, v14
	;; [unrolled: 1-line block ×12, first 2 shown]
	v_pk_max_f16 v15, v15, v15
	v_pk_min_f16 v55, v43, v12
	v_pk_max_f16 v21, v21, v21
	v_pk_max_f16 v23, v23, v23
	v_pk_min_f16 v56, v43, v14
	v_pk_min_f16 v57, v43, v20
	v_pk_max_f16 v25, v25, v25
	v_pk_min_f16 v53, v43, v22
	v_pk_max_f16 v47, v35, v35
	v_pk_min_f16 v59, v36, v12
	v_pk_min_f16 v60, v36, v14
	;; [unrolled: 1-line block ×11, first 2 shown]
	v_pk_add_f16 v22, v29, 0
	v_pk_min_f16 v29, v19, v13
	v_pk_max_f16 v27, v27, v27
	v_pk_add_f16 v36, v36, 0
	v_pk_min_f16 v43, v19, v21
	v_pk_add_f16 v63, v34, 0
	v_pk_min_f16 v64, v25, v13
	v_pk_min_f16 v65, v25, v15
	v_pk_add_f16 v34, v22, v29
	v_pk_add_f16 v22, v39, 0
	v_pk_min_f16 v29, v25, v21
	v_pk_add_f16 v24, v24, 0
	v_pk_min_f16 v25, v25, v23
	v_pk_max_f16 v58, v37, v37
	v_pk_add_f16 v35, v35, 0
	v_pk_min_f16 v37, v19, v15
	v_pk_add_f16 v38, v38, 0
	v_pk_add_f16 v36, v36, v43
	;; [unrolled: 1-line block ×6, first 2 shown]
	v_pk_min_f16 v24, v27, v23
	v_pk_add_f16 v25, v44, 0
	v_pk_min_f16 v26, v47, v13
	v_pk_add_f16 v35, v35, v37
	v_pk_add_f16 v37, v63, v64
	;; [unrolled: 1-line block ×3, first 2 shown]
	v_pk_min_f16 v63, v27, v13
	v_pk_min_f16 v65, v27, v15
	;; [unrolled: 1-line block ×3, first 2 shown]
	v_pk_add_f16 v27, v45, 0
	v_pk_add_f16 v44, v22, v24
	;; [unrolled: 1-line block ×3, first 2 shown]
	v_pk_min_f16 v24, v47, v21
	v_pk_add_f16 v45, v25, v26
	v_pk_add_f16 v25, v28, 0
	v_pk_min_f16 v26, v47, v23
	v_pk_min_f16 v29, v47, v15
	v_pk_add_f16 v47, v22, v24
	v_pk_add_f16 v22, v48, 0
	;; [unrolled: 1-line block ×4, first 2 shown]
	v_pk_min_f16 v25, v58, v13
	v_pk_add_f16 v46, v27, v29
	v_pk_add_f16 v27, v50, 0
	v_pk_add_f16 v26, v51, 0
	v_pk_add_f16 v28, v55, 0
	v_pk_add_f16 v49, v22, v25
	v_pk_min_f16 v22, v58, v15
	v_pk_add_f16 v29, v56, 0
	v_pk_add_f16 v55, v57, 0
	;; [unrolled: 1-line block ×3, first 2 shown]
	v_pk_max_f16 v17, v17, v17
	v_pk_add_f16 v50, v24, v22
	v_pk_min_f16 v22, v58, v21
	v_pk_add_f16 v64, v41, 0
	v_pk_add_f16 v66, v42, 0
	;; [unrolled: 1-line block ×5, first 2 shown]
	v_pk_max_f16 v22, v52, v52
	v_pk_min_f16 v27, v58, v23
	v_pk_max_f16 v52, v54, v54
	v_pk_add_f16 v63, v60, 0
	v_pk_add_f16 v61, v61, 0
	v_pk_min_f16 v54, v22, v13
	v_pk_min_f16 v56, v22, v15
	;; [unrolled: 1-line block ×4, first 2 shown]
	v_pk_add_f16 v24, v62, 0
	v_pk_add_f16 v12, v12, 0
	;; [unrolled: 1-line block ×10, first 2 shown]
	v_pk_min_f16 v22, v52, v13
	v_pk_min_f16 v25, v52, v15
	v_pk_min_f16 v26, v52, v21
	v_pk_min_f16 v27, v52, v23
	v_pk_min_f16 v13, v17, v13
	v_pk_min_f16 v15, v17, v15
	v_pk_min_f16 v21, v17, v21
	v_pk_min_f16 v17, v17, v23
	v_pk_min_f16 v19, v19, v23
	v_pk_add_f16 v42, v64, v65
	v_pk_add_f16 v43, v66, v67
	;; [unrolled: 1-line block ×12, first 2 shown]
	s_cbranch_scc1 .LBB233_24
; %bb.14:
	v_perm_b32 v83, v11, v3, 0x5040100
	v_lshl_or_b32 v3, s6, 6, v5
	v_mad_i64_i32 v[12:13], null, s7, v7, 0
	v_mad_i64_i32 v[6:7], null, s7, v6, 0
	s_lshl_b32 s1, s10, 6
	v_or_b32_e32 v52, 0x800, v2
	v_subrev_nc_u32_e32 v3, s1, v3
	v_add_nc_u32_e32 v54, 0xa00, v2
	v_perm_b32 v2, v10, v8, 0x5040100
	v_add_nc_u32_e32 v10, 8, v4
	v_lshlrev_b64 v[5:6], 1, v[6:7]
	v_add_nc_u32_e32 v7, 12, v4
	v_ashrrev_i32_e32 v4, 31, v3
	v_lshlrev_b64 v[8:9], 1, v[12:13]
	v_mad_i64_i32 v[10:11], null, v10, s18, 0
	v_mad_i64_i32 v[12:13], null, v7, s18, 0
	v_lshlrev_b64 v[3:4], 1, v[3:4]
	v_add_co_u32 v72, vcc_lo, s16, v8
	v_add_co_ci_u32_e64 v73, null, s17, v9, vcc_lo
	v_add_co_u32 v74, vcc_lo, s16, v5
	v_add_co_ci_u32_e64 v75, null, s17, v6, vcc_lo
	v_add_co_u32 v76, vcc_lo, s14, v3
	v_lshlrev_b64 v[26:27], 1, v[10:11]
	v_lshlrev_b64 v[28:29], 1, v[12:13]
	v_or_b32_e32 v53, 0x800, v32
	v_add_nc_u32_e32 v55, 0x400, v33
	v_lshl_add_u32 v63, v0, 3, 0xa00
	v_lshl_add_u32 v68, v1, 3, 0x400
	v_add_co_ci_u32_e64 v77, null, s15, v4, vcc_lo
	s_add_i32 s1, s12, -8
	s_lshl_b64 s[6:7], s[18:19], 4
	s_mov_b32 s10, 0
	s_branch .LBB233_16
.LBB233_15:                             ;   in Loop: Header=BB233_16 Depth=1
	v_pk_max_f16 v4, v4, v4
	v_pk_max_f16 v22, v22, v22
	;; [unrolled: 1-line block ×7, first 2 shown]
	v_pk_min_f16 v83, v4, v22
	v_pk_min_f16 v84, v4, v24
	;; [unrolled: 1-line block ×3, first 2 shown]
	v_pk_max_f16 v20, v20, v20
	v_pk_min_f16 v92, v10, v22
	v_pk_min_f16 v93, v10, v24
	v_pk_max_f16 v12, v12, v12
	v_pk_max_f16 v23, v23, v23
	;; [unrolled: 1-line block ×3, first 2 shown]
	v_pk_min_f16 v94, v10, v14
	v_pk_min_f16 v10, v10, v16
	v_pk_max_f16 v15, v15, v15
	v_pk_max_f16 v17, v17, v17
	;; [unrolled: 1-line block ×13, first 2 shown]
	v_pk_min_f16 v86, v18, v22
	v_pk_min_f16 v87, v18, v24
	;; [unrolled: 1-line block ×55, first 2 shown]
	v_pk_add_f16 v3, v34, v83
	v_pk_add_f16 v5, v35, v84
	;; [unrolled: 1-line block ×4, first 2 shown]
	v_pk_min_f16 v19, v19, v17
	v_pk_min_f16 v21, v21, v17
	v_pk_add_f16 v17, v37, v86
	v_pk_add_f16 v35, v39, v88
	;; [unrolled: 1-line block ×25, first 2 shown]
	ds_read2_b64 v[3:6], v53 offset0:48 offset1:56
	ds_read2_b64 v[7:10], v31 offset1:32
	ds_read2_b64 v[11:14], v31 offset0:64 offset1:96
	v_pk_add_f16 v2, v65, v2
	v_pk_add_f16 v64, v17, v16
	;; [unrolled: 1-line block ×3, first 2 shown]
	ds_read2_b64 v[15:18], v53 offset1:8
	v_pk_add_f16 v22, v69, v22
	v_pk_add_f16 v24, v70, v24
	;; [unrolled: 1-line block ×12, first 2 shown]
	ds_read2_b64 v[19:22], v53 offset0:16 offset1:24
	s_waitcnt lgkmcnt(4)
	v_pk_max_f16 v5, v5, v5
	s_waitcnt lgkmcnt(3)
	v_pk_max_f16 v7, v7, v7
	v_pk_max_f16 v9, v9, v9
	s_waitcnt lgkmcnt(2)
	v_pk_max_f16 v11, v11, v11
	v_pk_add_f16 v34, v34, v104
	v_pk_add_f16 v35, v35, v105
	v_pk_min_f16 v57, v5, v7
	v_pk_min_f16 v58, v5, v9
	;; [unrolled: 1-line block ×3, first 2 shown]
	s_waitcnt lgkmcnt(1)
	v_pk_max_f16 v15, v15, v15
	v_pk_add_f16 v70, v2, v125
	v_perm_b32 v2, v82, v81, 0x5040100
	v_pk_add_f16 v81, v60, v57
	v_pk_add_f16 v61, v61, v58
	;; [unrolled: 1-line block ×3, first 2 shown]
	v_pk_min_f16 v57, v15, v7
	v_pk_min_f16 v58, v15, v9
	;; [unrolled: 1-line block ×3, first 2 shown]
	v_pk_max_f16 v13, v13, v13
	v_pk_max_f16 v17, v17, v17
	v_pk_add_f16 v64, v64, v57
	v_pk_add_f16 v82, v34, v58
	;; [unrolled: 1-line block ×3, first 2 shown]
	ds_read2_b64 v[57:60], v53 offset0:32 offset1:40
	v_pk_add_f16 v36, v36, v106
	v_pk_add_f16 v37, v37, v107
	v_pk_min_f16 v15, v15, v13
	v_pk_min_f16 v34, v17, v7
	;; [unrolled: 1-line block ×3, first 2 shown]
	s_waitcnt lgkmcnt(1)
	v_pk_max_f16 v19, v19, v19
	v_pk_add_f16 v39, v39, v109
	v_pk_add_f16 v40, v40, v110
	;; [unrolled: 1-line block ×4, first 2 shown]
	v_pk_min_f16 v65, v17, v11
	v_pk_min_f16 v17, v17, v13
	v_pk_add_f16 v84, v36, v34
	v_pk_add_f16 v85, v37, v35
	v_pk_min_f16 v34, v19, v7
	v_pk_min_f16 v35, v19, v9
	;; [unrolled: 1-line block ×3, first 2 shown]
	v_pk_max_f16 v21, v21, v21
	v_pk_add_f16 v42, v42, v112
	v_pk_add_f16 v43, v43, v113
	;; [unrolled: 1-line block ×4, first 2 shown]
	v_pk_min_f16 v19, v19, v13
	v_pk_add_f16 v66, v39, v34
	v_pk_add_f16 v86, v40, v35
	;; [unrolled: 1-line block ×3, first 2 shown]
	v_pk_min_f16 v34, v21, v7
	v_pk_min_f16 v35, v21, v9
	s_waitcnt lgkmcnt(0)
	v_pk_max_f16 v36, v57, v57
	v_pk_min_f16 v37, v21, v11
	v_pk_add_f16 v46, v46, v116
	v_pk_add_f16 v47, v47, v117
	;; [unrolled: 1-line block ×5, first 2 shown]
	v_pk_min_f16 v34, v36, v7
	v_pk_add_f16 v88, v44, v37
	v_pk_min_f16 v35, v36, v9
	v_pk_max_f16 v37, v59, v59
	v_pk_add_f16 v38, v38, v108
	v_pk_add_f16 v48, v48, v118
	;; [unrolled: 1-line block ×4, first 2 shown]
	v_pk_min_f16 v34, v36, v11
	v_pk_add_f16 v90, v47, v35
	v_pk_min_f16 v35, v37, v7
	v_pk_max_f16 v3, v3, v3
	v_pk_max_f16 v6, v6, v6
	v_pk_max_f16 v8, v8, v8
	v_pk_add_f16 v56, v56, v122
	v_pk_add_f16 v65, v38, v65
	v_pk_min_f16 v21, v21, v13
	v_pk_min_f16 v36, v36, v13
	;; [unrolled: 1-line block ×3, first 2 shown]
	v_pk_add_f16 v91, v48, v34
	v_pk_add_f16 v93, v50, v35
	v_pk_min_f16 v34, v37, v11
	v_pk_min_f16 v35, v37, v13
	;; [unrolled: 1-line block ×6, first 2 shown]
	v_pk_max_f16 v10, v10, v10
	v_pk_min_f16 v5, v5, v13
	v_pk_max_f16 v12, v12, v12
	v_pk_min_f16 v13, v6, v8
	v_pk_add_f16 v49, v49, v119
	v_pk_add_f16 v95, v56, v34
	;; [unrolled: 1-line block ×4, first 2 shown]
	v_pk_min_f16 v23, v6, v10
	v_pk_min_f16 v24, v6, v12
	v_pk_max_f16 v16, v16, v16
	v_pk_add_f16 v34, v81, v13
	v_pk_max_f16 v13, v14, v14
	v_pk_add_f16 v92, v49, v36
	v_pk_add_f16 v69, v69, v35
	;; [unrolled: 1-line block ×4, first 2 shown]
	v_pk_min_f16 v14, v16, v8
	v_pk_min_f16 v23, v16, v10
	;; [unrolled: 1-line block ×4, first 2 shown]
	v_pk_max_f16 v18, v18, v18
	v_pk_add_f16 v37, v64, v14
	v_pk_max_f16 v20, v20, v20
	v_pk_add_f16 v45, v45, v115
	v_pk_add_f16 v40, v15, v16
	v_pk_min_f16 v14, v18, v8
	v_pk_min_f16 v15, v18, v10
	;; [unrolled: 1-line block ×4, first 2 shown]
	v_pk_add_f16 v51, v51, v121
	v_pk_add_f16 v41, v84, v14
	v_pk_add_f16 v42, v85, v15
	v_pk_add_f16 v43, v65, v16
	v_pk_add_f16 v44, v17, v18
	v_pk_min_f16 v14, v20, v8
	v_pk_min_f16 v15, v20, v10
	v_pk_min_f16 v16, v20, v12
	v_pk_min_f16 v17, v20, v13
	v_pk_max_f16 v18, v22, v22
	v_pk_add_f16 v21, v45, v21
	v_pk_add_f16 v45, v66, v14
	v_pk_add_f16 v46, v86, v15
	v_pk_add_f16 v47, v87, v16
	v_pk_add_f16 v48, v19, v17
	v_pk_min_f16 v14, v18, v8
	v_pk_min_f16 v15, v18, v10
	v_pk_min_f16 v16, v18, v12
	v_pk_min_f16 v17, v18, v13
	v_pk_max_f16 v18, v58, v58
	;; [unrolled: 10-line block ×3, first 2 shown]
	v_pk_max_f16 v4, v4, v4
	v_add_co_u32 v72, vcc_lo, v72, 16
	v_pk_add_f16 v11, v25, v11
	v_pk_add_f16 v3, v70, v3
	;; [unrolled: 1-line block ×7, first 2 shown]
	v_pk_min_f16 v14, v18, v8
	v_pk_min_f16 v15, v18, v10
	v_pk_min_f16 v16, v18, v12
	v_pk_min_f16 v17, v18, v13
	v_pk_min_f16 v8, v4, v8
	v_pk_min_f16 v10, v4, v10
	v_pk_min_f16 v12, v4, v12
	v_pk_min_f16 v4, v4, v13
	v_pk_min_f16 v6, v6, v13
	v_add_co_ci_u32_e64 v73, null, 0, v73, vcc_lo
	v_add_co_u32 v74, vcc_lo, v74, 16
	v_add_co_ci_u32_e64 v75, null, 0, v75, vcc_lo
	v_add_co_u32 v76, vcc_lo, v76, s6
	v_pk_add_f16 v38, v82, v23
	v_pk_add_f16 v39, v83, v24
	;; [unrolled: 1-line block ×11, first 2 shown]
	v_perm_b32 v83, v80, v78, 0x5040100
	v_add_co_ci_u32_e64 v77, null, s7, v77, vcc_lo
	s_add_i32 s10, s10, 8
	ds_write_b16 v54, v79
	ds_write_b16 v55, v78
	ds_write_b16 v55, v80 offset:512
	s_cmp_ge_i32 s10, s1
	s_waitcnt lgkmcnt(0)
	s_barrier
	buffer_gl0_inv
	s_cbranch_scc1 .LBB233_24
.LBB233_16:                             ; =>This Inner Loop Header: Depth=1
	s_mov_b32 s12, -1
	s_mov_b32 vcc_lo, s0
                                        ; implicit-def: $vgpr81
	s_cbranch_vccz .LBB233_18
; %bb.17:                               ;   in Loop: Header=BB233_16 Depth=1
	v_and_b32_e32 v81, 0xffff0000, v2
	s_mov_b32 s12, 0
.LBB233_18:                             ;   in Loop: Header=BB233_16 Depth=1
	v_mov_b32_e32 v78, 0
	v_mov_b32_e32 v82, 0
	s_andn2_b32 vcc_lo, exec_lo, s12
	s_cbranch_vccnz .LBB233_20
; %bb.19:                               ;   in Loop: Header=BB233_16 Depth=1
	v_add_co_u32 v3, vcc_lo, v74, v30
	v_add_co_ci_u32_e64 v4, null, 0, v75, vcc_lo
	v_add_co_u32 v5, vcc_lo, v76, v26
	v_add_co_ci_u32_e64 v6, null, v77, v27, vcc_lo
	flat_load_ushort v7, v[3:4] offset:16
	v_add_co_u32 v3, vcc_lo, v72, v30
	v_add_co_ci_u32_e64 v4, null, 0, v73, vcc_lo
	flat_load_ushort v5, v[5:6]
	flat_load_ushort v3, v[3:4] offset:16
	s_waitcnt vmcnt(2) lgkmcnt(2)
	v_mul_f16_e32 v4, s13, v7
	v_bfi_b32 v81, 0xffff, v4, v2
	s_waitcnt vmcnt(1) lgkmcnt(1)
	v_mul_f16_e32 v78, s13, v5
	s_waitcnt vmcnt(0) lgkmcnt(0)
	v_mul_f16_e32 v82, s13, v3
.LBB233_20:                             ;   in Loop: Header=BB233_16 Depth=1
	ds_read2_b64 v[2:5], v63 offset0:48 offset1:56
	ds_read2_b64 v[14:17], v68 offset0:64 offset1:96
	ds_read2_b64 v[22:25], v68 offset1:32
	ds_read2_b64 v[18:21], v63 offset1:8
	ds_read2_b64 v[10:13], v63 offset0:16 offset1:24
	ds_read2_b64 v[6:9], v63 offset0:32 offset1:40
	s_mov_b32 s12, -1
	s_mov_b32 vcc_lo, s0
	ds_write_b16 v52, v78
	ds_write_b16 v33, v81
	ds_write_b16 v33, v82 offset:512
	s_waitcnt lgkmcnt(0)
	s_barrier
	buffer_gl0_inv
                                        ; implicit-def: $vgpr78
	s_cbranch_vccz .LBB233_22
; %bb.21:                               ;   in Loop: Header=BB233_16 Depth=1
	v_and_b32_e32 v78, 0xffff0000, v83
	s_mov_b32 s12, 0
.LBB233_22:                             ;   in Loop: Header=BB233_16 Depth=1
	v_mov_b32_e32 v79, 0
	v_mov_b32_e32 v80, 0
	s_andn2_b32 vcc_lo, exec_lo, s12
	s_cbranch_vccnz .LBB233_15
; %bb.23:                               ;   in Loop: Header=BB233_16 Depth=1
	v_add_co_u32 v78, vcc_lo, v74, v30
	v_add_co_ci_u32_e64 v79, null, 0, v75, vcc_lo
	v_add_co_u32 v84, vcc_lo, v76, v28
	v_add_co_ci_u32_e64 v85, null, v77, v29, vcc_lo
	flat_load_ushort v80, v[78:79] offset:24
	v_add_co_u32 v78, vcc_lo, v72, v30
	v_add_co_ci_u32_e64 v79, null, 0, v73, vcc_lo
	flat_load_ushort v84, v[84:85]
	flat_load_ushort v85, v[78:79] offset:24
	s_waitcnt vmcnt(2) lgkmcnt(2)
	v_mul_f16_e32 v78, s13, v80
	v_bfi_b32 v78, 0xffff, v78, v83
	s_waitcnt vmcnt(1) lgkmcnt(1)
	v_mul_f16_e32 v79, s13, v84
	s_waitcnt vmcnt(0) lgkmcnt(0)
	v_mul_f16_e32 v80, s13, v85
	s_branch .LBB233_15
.LBB233_24:
	v_add_nc_u32_e32 v18, 0x800, v32
	s_load_dwordx2 s[0:1], s[4:5], 0x70
	v_cmp_neq_f16_e64 s6, s22, 0
	v_add_nc_u32_e32 v1, s11, v1
	ds_read2_b64 v[2:5], v31 offset0:128 offset1:160
	ds_read2_b64 v[6:9], v18 offset0:112 offset1:120
	;; [unrolled: 1-line block ×4, first 2 shown]
	s_clause 0x1
	s_load_dword s7, s[4:5], 0x50
	s_load_dword s10, s[4:5], 0x68
	ds_read2_b64 v[26:29], v18 offset0:80 offset1:88
	ds_read2_b64 v[52:55], v18 offset0:96 offset1:104
	s_mov_b64 s[4:5], 15
	s_waitcnt lgkmcnt(0)
	s_lshl_b64 s[0:1], s[0:1], 1
	v_pk_max_f16 v2, v2, v2
	v_pk_max_f16 v4, v4, v4
	v_pk_max_f16 v16, v16, v16
	v_pk_max_f16 v8, v8, v8
	v_pk_max_f16 v10, v10, v10
	v_pk_max_f16 v12, v12, v12
	v_pk_max_f16 v26, v26, v26
	v_pk_min_f16 v24, v16, v2
	v_pk_min_f16 v25, v16, v4
	v_pk_max_f16 v14, v14, v14
	v_pk_min_f16 v18, v8, v2
	v_pk_min_f16 v20, v8, v10
	v_pk_add_f16 v31, v41, v24
	v_pk_add_f16 v32, v42, v25
	v_pk_min_f16 v24, v26, v2
	v_pk_min_f16 v25, v26, v4
	;; [unrolled: 1-line block ×4, first 2 shown]
	v_pk_max_f16 v28, v28, v28
	v_pk_min_f16 v19, v8, v4
	v_pk_min_f16 v21, v14, v2
	;; [unrolled: 1-line block ×3, first 2 shown]
	v_pk_add_f16 v18, v34, v18
	v_pk_add_f16 v20, v36, v20
	;; [unrolled: 1-line block ×4, first 2 shown]
	v_pk_min_f16 v24, v28, v2
	v_pk_max_f16 v26, v52, v52
	v_pk_min_f16 v23, v14, v10
	v_pk_min_f16 v14, v14, v12
	v_pk_add_f16 v19, v35, v19
	v_pk_add_f16 v21, v37, v21
	;; [unrolled: 1-line block ×4, first 2 shown]
	v_pk_min_f16 v25, v28, v4
	v_pk_min_f16 v37, v28, v10
	;; [unrolled: 1-line block ×3, first 2 shown]
	v_pk_add_f16 v38, v49, v24
	v_pk_min_f16 v24, v26, v2
	v_pk_min_f16 v30, v16, v10
	;; [unrolled: 1-line block ×3, first 2 shown]
	v_pk_add_f16 v23, v39, v23
	v_pk_add_f16 v14, v40, v14
	;; [unrolled: 1-line block ×4, first 2 shown]
	v_pk_min_f16 v25, v26, v4
	v_pk_max_f16 v28, v54, v54
	v_pk_add_f16 v41, v60, v24
	v_pk_min_f16 v24, v26, v10
	v_pk_max_f16 v6, v6, v6
	v_pk_add_f16 v30, v43, v30
	v_pk_add_f16 v16, v44, v16
	;; [unrolled: 1-line block ×3, first 2 shown]
	v_pk_min_f16 v25, v28, v2
	v_pk_min_f16 v43, v28, v4
	v_pk_add_f16 v44, v56, v24
	v_pk_min_f16 v24, v28, v10
	v_pk_min_f16 v2, v6, v2
	;; [unrolled: 1-line block ×5, first 2 shown]
	v_pk_max_f16 v3, v3, v3
	v_pk_max_f16 v9, v9, v9
	v_pk_min_f16 v26, v26, v12
	v_pk_add_f16 v46, v66, v25
	v_pk_min_f16 v25, v28, v12
	v_pk_max_f16 v5, v5, v5
	v_pk_min_f16 v8, v8, v12
	v_pk_max_f16 v11, v11, v11
	v_pk_add_f16 v12, v65, v6
	v_pk_min_f16 v6, v9, v3
	v_pk_add_f16 v33, v47, v33
	v_pk_add_f16 v47, v61, v24
	;; [unrolled: 1-line block ×3, first 2 shown]
	v_pk_min_f16 v24, v9, v5
	v_pk_min_f16 v25, v9, v11
	v_pk_max_f16 v15, v15, v15
	v_pk_add_f16 v18, v18, v6
	v_pk_max_f16 v6, v13, v13
	v_pk_add_f16 v19, v19, v24
	v_pk_add_f16 v20, v20, v25
	v_pk_min_f16 v13, v15, v3
	v_pk_min_f16 v24, v15, v5
	;; [unrolled: 1-line block ×4, first 2 shown]
	v_pk_max_f16 v17, v17, v17
	v_pk_add_f16 v21, v21, v13
	v_pk_add_f16 v22, v22, v24
	v_pk_max_f16 v49, v27, v27
	v_pk_add_f16 v24, v14, v15
	v_pk_min_f16 v13, v17, v3
	v_pk_min_f16 v14, v17, v5
	;; [unrolled: 1-line block ×4, first 2 shown]
	v_pk_add_f16 v45, v57, v26
	v_pk_add_f16 v23, v23, v25
	;; [unrolled: 1-line block ×6, first 2 shown]
	v_pk_min_f16 v13, v49, v3
	v_pk_min_f16 v14, v49, v5
	;; [unrolled: 1-line block ×4, first 2 shown]
	v_pk_max_f16 v17, v29, v29
	v_pk_add_f16 v29, v34, v13
	v_pk_add_f16 v30, v35, v14
	;; [unrolled: 1-line block ×4, first 2 shown]
	v_pk_min_f16 v13, v17, v3
	v_pk_min_f16 v14, v17, v5
	;; [unrolled: 1-line block ×4, first 2 shown]
	v_pk_max_f16 v17, v53, v53
	v_pk_add_f16 v37, v51, v37
	v_pk_add_f16 v33, v38, v13
	;; [unrolled: 1-line block ×4, first 2 shown]
	v_pk_min_f16 v13, v17, v3
	v_pk_min_f16 v14, v17, v5
	v_pk_max_f16 v16, v55, v55
	v_pk_max_f16 v7, v7, v7
	v_pk_add_f16 v2, v69, v2
	v_pk_add_f16 v4, v70, v4
	;; [unrolled: 1-line block ×3, first 2 shown]
	v_pk_min_f16 v15, v17, v11
	v_pk_min_f16 v17, v17, v6
	v_pk_add_f16 v37, v41, v13
	v_pk_add_f16 v38, v42, v14
	v_pk_min_f16 v13, v16, v3
	v_pk_min_f16 v14, v16, v5
	;; [unrolled: 1-line block ×4, first 2 shown]
	v_pk_add_f16 v43, v67, v43
	v_pk_add_f16 v10, v71, v10
	;; [unrolled: 1-line block ×5, first 2 shown]
	v_pk_min_f16 v15, v16, v11
	v_pk_add_f16 v41, v46, v13
	v_pk_min_f16 v13, v16, v6
	v_pk_add_f16 v45, v2, v3
	v_pk_min_f16 v3, v7, v11
	v_add_nc_u32_e32 v2, s20, v0
	v_pk_add_f16 v0, v4, v5
	v_pk_min_f16 v5, v7, v6
	v_pk_min_f16 v7, v9, v6
	v_pk_add_f16 v42, v43, v14
	v_pk_add_f16 v43, v47, v15
	v_pk_add_f16 v44, v48, v13
	v_pk_add_f16 v46, v10, v3
	v_add_nc_u32_e32 v4, 8, v2
	v_add_nc_u32_e32 v6, 16, v2
	v_pk_add_f16 v47, v12, v5
	v_pk_add_f16 v48, v8, v7
	v_add_nc_u32_e32 v8, 24, v2
	v_add_nc_u32_e32 v10, 32, v2
	v_add_nc_u32_e32 v12, 40, v2
	v_add_nc_u32_e32 v14, 48, v2
	v_add_nc_u32_e32 v16, 56, v2
	v_ashrrev_i32_e32 v3, 31, v2
	v_ashrrev_i32_e32 v5, 31, v4
	;; [unrolled: 1-line block ×8, first 2 shown]
	v_lshlrev_b64 v[2:3], 1, v[2:3]
	v_lshlrev_b64 v[4:5], 1, v[4:5]
	v_lshlrev_b64 v[6:7], 1, v[6:7]
	v_lshlrev_b64 v[8:9], 1, v[8:9]
	v_lshlrev_b64 v[10:11], 1, v[10:11]
	v_lshlrev_b64 v[12:13], 1, v[12:13]
	v_lshlrev_b64 v[14:15], 1, v[14:15]
	v_lshlrev_b64 v[16:17], 1, v[16:17]
	s_add_u32 s8, s8, s0
	s_addc_u32 s9, s9, s1
	s_branch .LBB233_26
.LBB233_25:                             ;   in Loop: Header=BB233_26 Depth=1
	s_add_i32 s0, s4, -1
	v_add_nc_u32_e32 v1, 32, v1
	s_cmp_eq_u32 s0, 1
	s_cselect_b32 vcc_lo, -1, 0
	s_cmp_eq_u32 s0, 2
	v_cndmask_b32_e32 v81, v21, v49, vcc_lo
	s_cselect_b32 vcc_lo, -1, 0
	s_cmp_eq_u32 s0, 3
	v_cndmask_b32_e32 v81, v81, v25, vcc_lo
	;; [unrolled: 3-line block ×62, first 2 shown]
	s_cselect_b32 vcc_lo, -1, 0
	s_cmp_eq_u32 s4, 1
	s_cselect_b32 s0, -1, 0
	s_cmp_eq_u32 s4, 2
	v_cndmask_b32_e64 v49, v21, v49, s0
	s_cselect_b32 s0, -1, 0
	s_cmp_eq_u32 s4, 3
	v_cndmask_b32_e64 v49, v49, v25, s0
	;; [unrolled: 3-line block ×3, first 2 shown]
	s_cselect_b32 s0, -1, 0
	s_cmp_eq_u32 s4, 5
	v_cndmask_b32_e32 v50, v81, v80, vcc_lo
	v_cndmask_b32_e64 v49, v49, v29, s0
	s_cselect_b32 s0, -1, 0
	s_cmp_eq_u32 s4, 6
	v_cndmask_b32_e64 v49, v49, v51, s0
	s_cselect_b32 s0, -1, 0
	s_cmp_eq_u32 s4, 7
	;; [unrolled: 3-line block ×58, first 2 shown]
	s_cselect_b32 vcc_lo, -1, 0
	v_cndmask_b32_e64 v49, v49, v48, s0
	s_add_u32 s4, s4, 16
	s_addc_u32 s5, s5, 0
	s_cmpk_lg_i32 s4, 0x4f
	v_cndmask_b32_e32 v49, v49, v80, vcc_lo
	v_add_f16_e32 v51, v50, v49
	v_add_co_u32 v49, vcc_lo, v83, v16
	v_add_co_ci_u32_e64 v50, null, v84, v17, vcc_lo
	v_add_f16_e32 v51, v51, v85
	flat_store_short v[49:50], v51
	s_cbranch_scc0 .LBB233_42
.LBB233_26:                             ; =>This Inner Loop Header: Depth=1
	v_mad_i64_i32 v[49:50], null, v1, s7, 0
	v_cndmask_b32_e64 v51, 0, 1, s6
	v_mov_b32_e32 v85, 0
	v_mov_b32_e32 v86, 0
	v_cmp_ne_u32_e64 s0, 1, v51
	v_lshlrev_b64 v[49:50], 1, v[49:50]
	v_add_co_u32 v81, vcc_lo, s2, v49
	v_add_co_ci_u32_e64 v82, null, s3, v50, vcc_lo
	s_andn2_b32 vcc_lo, exec_lo, s6
	s_cbranch_vccnz .LBB233_28
; %bb.27:                               ;   in Loop: Header=BB233_26 Depth=1
	v_add_co_u32 v49, vcc_lo, v81, v2
	v_add_co_ci_u32_e64 v50, null, v82, v3, vcc_lo
	flat_load_ushort v49, v[49:50]
	s_waitcnt vmcnt(0) lgkmcnt(0)
	v_mul_f16_e32 v86, s22, v49
.LBB233_28:                             ;   in Loop: Header=BB233_26 Depth=1
	s_add_i32 s1, s4, -15
	v_lshrrev_b32_e32 v49, 16, v21
	s_cmp_eq_u32 s1, 1
	v_lshrrev_b32_e32 v50, 16, v25
	s_cselect_b32 vcc_lo, -1, 0
	s_cmp_eq_u32 s1, 2
	v_cndmask_b32_e32 v51, v21, v49, vcc_lo
	s_cselect_b32 vcc_lo, -1, 0
	s_cmp_eq_u32 s1, 3
	v_cndmask_b32_e32 v51, v51, v25, vcc_lo
	;; [unrolled: 3-line block ×3, first 2 shown]
	s_cselect_b32 vcc_lo, -1, 0
	v_lshrrev_b32_e32 v51, 16, v29
	s_cmp_eq_u32 s1, 5
	v_cndmask_b32_e32 v52, v52, v29, vcc_lo
	s_cselect_b32 vcc_lo, -1, 0
	s_cmp_eq_u32 s1, 6
	v_cndmask_b32_e32 v53, v52, v51, vcc_lo
	s_cselect_b32 vcc_lo, -1, 0
	v_lshrrev_b32_e32 v52, 16, v33
	s_cmp_eq_u32 s1, 7
	v_cndmask_b32_e32 v53, v53, v33, vcc_lo
	s_cselect_b32 vcc_lo, -1, 0
	s_cmp_eq_u32 s1, 8
	v_cndmask_b32_e32 v54, v53, v52, vcc_lo
	;; [unrolled: 7-line block ×29, first 2 shown]
	s_cselect_b32 vcc_lo, -1, 0
	s_cmp_eq_u32 s1, 63
	v_lshrrev_b32_e32 v80, 16, v48
	v_cndmask_b32_e32 v87, v83, v48, vcc_lo
	s_cselect_b32 vcc_lo, -1, 0
	s_add_i32 s11, s4, -14
	s_cmp_eq_u32 s11, 1
	v_cndmask_b32_e32 v87, v87, v80, vcc_lo
	s_cselect_b32 s1, -1, 0
	s_cmp_eq_u32 s11, 2
	v_cndmask_b32_e64 v83, v21, v49, s1
	s_cselect_b32 s1, -1, 0
	s_cmp_eq_u32 s11, 3
	v_cndmask_b32_e64 v83, v83, v25, s1
	;; [unrolled: 3-line block ×61, first 2 shown]
	v_mad_i64_i32 v[83:84], null, v1, s10, 0
	s_cselect_b32 s1, -1, 0
	s_cmp_eq_u32 s11, 63
	v_cndmask_b32_e64 v88, v88, v48, s1
	s_cselect_b32 vcc_lo, -1, 0
	v_lshlrev_b64 v[83:84], 1, v[83:84]
	v_cndmask_b32_e32 v88, v88, v80, vcc_lo
	v_add_co_u32 v83, vcc_lo, s8, v83
	v_add_f16_e32 v87, v87, v88
	v_add_co_ci_u32_e64 v84, null, s9, v84, vcc_lo
	v_add_f16_e32 v88, v87, v86
	v_add_co_u32 v86, vcc_lo, v83, v2
	v_add_co_ci_u32_e64 v87, null, v84, v3, vcc_lo
	s_and_b32 vcc_lo, exec_lo, s0
	flat_store_short v[86:87], v88
	s_cbranch_vccnz .LBB233_30
; %bb.29:                               ;   in Loop: Header=BB233_26 Depth=1
	v_add_co_u32 v85, vcc_lo, v81, v4
	v_add_co_ci_u32_e64 v86, null, v82, v5, vcc_lo
	flat_load_ushort v85, v[85:86]
	s_waitcnt vmcnt(0) lgkmcnt(0)
	v_mul_f16_e32 v85, s22, v85
.LBB233_30:                             ;   in Loop: Header=BB233_26 Depth=1
	s_add_i32 s1, s4, -13
	s_cmp_eq_u32 s1, 1
	s_cselect_b32 vcc_lo, -1, 0
	s_cmp_eq_u32 s1, 2
	v_cndmask_b32_e32 v86, v21, v49, vcc_lo
	s_cselect_b32 vcc_lo, -1, 0
	s_cmp_eq_u32 s1, 3
	v_cndmask_b32_e32 v86, v86, v25, vcc_lo
	;; [unrolled: 3-line block ×62, first 2 shown]
	s_cselect_b32 vcc_lo, -1, 0
	s_add_i32 s11, s4, -12
	s_cmp_eq_u32 s11, 1
	v_cndmask_b32_e32 v86, v86, v80, vcc_lo
	s_cselect_b32 s1, -1, 0
	s_cmp_eq_u32 s11, 2
	v_cndmask_b32_e64 v87, v21, v49, s1
	s_cselect_b32 s1, -1, 0
	s_cmp_eq_u32 s11, 3
	v_cndmask_b32_e64 v87, v87, v25, s1
	;; [unrolled: 3-line block ×61, first 2 shown]
	s_cselect_b32 s1, -1, 0
	s_cmp_eq_u32 s11, 63
	s_cselect_b32 vcc_lo, -1, 0
	v_cndmask_b32_e64 v87, v87, v48, s1
	v_cndmask_b32_e32 v87, v87, v80, vcc_lo
	v_add_f16_e32 v86, v86, v87
	v_add_co_u32 v87, vcc_lo, v83, v4
	v_add_co_ci_u32_e64 v88, null, v84, v5, vcc_lo
	v_add_f16_e32 v89, v86, v85
	v_mov_b32_e32 v85, 0
	v_mov_b32_e32 v86, 0
	s_and_b32 vcc_lo, exec_lo, s0
	flat_store_short v[87:88], v89
	s_cbranch_vccnz .LBB233_32
; %bb.31:                               ;   in Loop: Header=BB233_26 Depth=1
	v_add_co_u32 v86, vcc_lo, v81, v6
	v_add_co_ci_u32_e64 v87, null, v82, v7, vcc_lo
	flat_load_ushort v86, v[86:87]
	s_waitcnt vmcnt(0) lgkmcnt(0)
	v_mul_f16_e32 v86, s22, v86
.LBB233_32:                             ;   in Loop: Header=BB233_26 Depth=1
	s_add_i32 s1, s4, -11
	s_cmp_eq_u32 s1, 1
	s_cselect_b32 vcc_lo, -1, 0
	s_cmp_eq_u32 s1, 2
	v_cndmask_b32_e32 v87, v21, v49, vcc_lo
	s_cselect_b32 vcc_lo, -1, 0
	s_cmp_eq_u32 s1, 3
	v_cndmask_b32_e32 v87, v87, v25, vcc_lo
	;; [unrolled: 3-line block ×62, first 2 shown]
	s_cselect_b32 vcc_lo, -1, 0
	s_add_i32 s11, s4, -10
	s_cmp_eq_u32 s11, 1
	v_cndmask_b32_e32 v87, v87, v80, vcc_lo
	s_cselect_b32 s1, -1, 0
	s_cmp_eq_u32 s11, 2
	v_cndmask_b32_e64 v88, v21, v49, s1
	s_cselect_b32 s1, -1, 0
	s_cmp_eq_u32 s11, 3
	v_cndmask_b32_e64 v88, v88, v25, s1
	;; [unrolled: 3-line block ×61, first 2 shown]
	s_cselect_b32 s1, -1, 0
	s_cmp_eq_u32 s11, 63
	s_cselect_b32 vcc_lo, -1, 0
	v_cndmask_b32_e64 v88, v88, v48, s1
	v_cndmask_b32_e32 v88, v88, v80, vcc_lo
	v_add_f16_e32 v87, v87, v88
	v_add_f16_e32 v88, v87, v86
	v_add_co_u32 v86, vcc_lo, v83, v6
	v_add_co_ci_u32_e64 v87, null, v84, v7, vcc_lo
	s_and_b32 vcc_lo, exec_lo, s0
	flat_store_short v[86:87], v88
	s_cbranch_vccnz .LBB233_34
; %bb.33:                               ;   in Loop: Header=BB233_26 Depth=1
	v_add_co_u32 v85, vcc_lo, v81, v8
	v_add_co_ci_u32_e64 v86, null, v82, v9, vcc_lo
	flat_load_ushort v85, v[85:86]
	s_waitcnt vmcnt(0) lgkmcnt(0)
	v_mul_f16_e32 v85, s22, v85
.LBB233_34:                             ;   in Loop: Header=BB233_26 Depth=1
	s_add_i32 s1, s4, -9
	s_cmp_eq_u32 s1, 1
	s_cselect_b32 vcc_lo, -1, 0
	s_cmp_eq_u32 s1, 2
	v_cndmask_b32_e32 v86, v21, v49, vcc_lo
	s_cselect_b32 vcc_lo, -1, 0
	s_cmp_eq_u32 s1, 3
	v_cndmask_b32_e32 v86, v86, v25, vcc_lo
	;; [unrolled: 3-line block ×62, first 2 shown]
	s_cselect_b32 vcc_lo, -1, 0
	s_add_i32 s11, s4, -8
	s_cmp_eq_u32 s11, 1
	v_cndmask_b32_e32 v86, v86, v80, vcc_lo
	s_cselect_b32 s1, -1, 0
	s_cmp_eq_u32 s11, 2
	v_cndmask_b32_e64 v87, v21, v49, s1
	s_cselect_b32 s1, -1, 0
	s_cmp_eq_u32 s11, 3
	v_cndmask_b32_e64 v87, v87, v25, s1
	;; [unrolled: 3-line block ×61, first 2 shown]
	s_cselect_b32 s1, -1, 0
	s_cmp_eq_u32 s11, 63
	s_cselect_b32 vcc_lo, -1, 0
	v_cndmask_b32_e64 v87, v87, v48, s1
	v_cndmask_b32_e32 v87, v87, v80, vcc_lo
	v_add_f16_e32 v86, v86, v87
	v_add_co_u32 v87, vcc_lo, v83, v8
	v_add_co_ci_u32_e64 v88, null, v84, v9, vcc_lo
	v_add_f16_e32 v89, v86, v85
	v_mov_b32_e32 v85, 0
	v_mov_b32_e32 v86, 0
	s_and_b32 vcc_lo, exec_lo, s0
	flat_store_short v[87:88], v89
	s_cbranch_vccnz .LBB233_36
; %bb.35:                               ;   in Loop: Header=BB233_26 Depth=1
	v_add_co_u32 v86, vcc_lo, v81, v10
	v_add_co_ci_u32_e64 v87, null, v82, v11, vcc_lo
	flat_load_ushort v86, v[86:87]
	s_waitcnt vmcnt(0) lgkmcnt(0)
	v_mul_f16_e32 v86, s22, v86
.LBB233_36:                             ;   in Loop: Header=BB233_26 Depth=1
	s_add_i32 s1, s4, -7
	s_cmp_eq_u32 s1, 1
	s_cselect_b32 vcc_lo, -1, 0
	s_cmp_eq_u32 s1, 2
	v_cndmask_b32_e32 v87, v21, v49, vcc_lo
	s_cselect_b32 vcc_lo, -1, 0
	s_cmp_eq_u32 s1, 3
	v_cndmask_b32_e32 v87, v87, v25, vcc_lo
	;; [unrolled: 3-line block ×62, first 2 shown]
	s_cselect_b32 vcc_lo, -1, 0
	s_add_i32 s11, s4, -6
	s_cmp_eq_u32 s11, 1
	v_cndmask_b32_e32 v87, v87, v80, vcc_lo
	s_cselect_b32 s1, -1, 0
	s_cmp_eq_u32 s11, 2
	v_cndmask_b32_e64 v88, v21, v49, s1
	s_cselect_b32 s1, -1, 0
	s_cmp_eq_u32 s11, 3
	v_cndmask_b32_e64 v88, v88, v25, s1
	;; [unrolled: 3-line block ×61, first 2 shown]
	s_cselect_b32 s1, -1, 0
	s_cmp_eq_u32 s11, 63
	s_cselect_b32 vcc_lo, -1, 0
	v_cndmask_b32_e64 v88, v88, v48, s1
	v_cndmask_b32_e32 v88, v88, v80, vcc_lo
	v_add_f16_e32 v87, v87, v88
	v_add_f16_e32 v88, v87, v86
	v_add_co_u32 v86, vcc_lo, v83, v10
	v_add_co_ci_u32_e64 v87, null, v84, v11, vcc_lo
	s_and_b32 vcc_lo, exec_lo, s0
	flat_store_short v[86:87], v88
	s_cbranch_vccnz .LBB233_38
; %bb.37:                               ;   in Loop: Header=BB233_26 Depth=1
	v_add_co_u32 v85, vcc_lo, v81, v12
	v_add_co_ci_u32_e64 v86, null, v82, v13, vcc_lo
	flat_load_ushort v85, v[85:86]
	s_waitcnt vmcnt(0) lgkmcnt(0)
	v_mul_f16_e32 v85, s22, v85
.LBB233_38:                             ;   in Loop: Header=BB233_26 Depth=1
	s_add_i32 s1, s4, -5
	s_cmp_eq_u32 s1, 1
	s_cselect_b32 vcc_lo, -1, 0
	s_cmp_eq_u32 s1, 2
	v_cndmask_b32_e32 v86, v21, v49, vcc_lo
	s_cselect_b32 vcc_lo, -1, 0
	s_cmp_eq_u32 s1, 3
	v_cndmask_b32_e32 v86, v86, v25, vcc_lo
	;; [unrolled: 3-line block ×62, first 2 shown]
	s_cselect_b32 vcc_lo, -1, 0
	s_add_i32 s11, s4, -4
	s_cmp_eq_u32 s11, 1
	v_cndmask_b32_e32 v86, v86, v80, vcc_lo
	s_cselect_b32 s1, -1, 0
	s_cmp_eq_u32 s11, 2
	v_cndmask_b32_e64 v87, v21, v49, s1
	s_cselect_b32 s1, -1, 0
	s_cmp_eq_u32 s11, 3
	v_cndmask_b32_e64 v87, v87, v25, s1
	;; [unrolled: 3-line block ×61, first 2 shown]
	s_cselect_b32 s1, -1, 0
	s_cmp_eq_u32 s11, 63
	s_cselect_b32 vcc_lo, -1, 0
	v_cndmask_b32_e64 v87, v87, v48, s1
	v_cndmask_b32_e32 v87, v87, v80, vcc_lo
	v_add_f16_e32 v86, v86, v87
	v_add_co_u32 v87, vcc_lo, v83, v12
	v_add_co_ci_u32_e64 v88, null, v84, v13, vcc_lo
	v_add_f16_e32 v89, v86, v85
	v_mov_b32_e32 v85, 0
	v_mov_b32_e32 v86, 0
	s_and_b32 vcc_lo, exec_lo, s0
	flat_store_short v[87:88], v89
	s_cbranch_vccnz .LBB233_40
; %bb.39:                               ;   in Loop: Header=BB233_26 Depth=1
	v_add_co_u32 v86, vcc_lo, v81, v14
	v_add_co_ci_u32_e64 v87, null, v82, v15, vcc_lo
	flat_load_ushort v86, v[86:87]
	s_waitcnt vmcnt(0) lgkmcnt(0)
	v_mul_f16_e32 v86, s22, v86
.LBB233_40:                             ;   in Loop: Header=BB233_26 Depth=1
	s_add_i32 s1, s4, -3
	s_cmp_eq_u32 s1, 1
	s_cselect_b32 vcc_lo, -1, 0
	s_cmp_eq_u32 s1, 2
	v_cndmask_b32_e32 v87, v21, v49, vcc_lo
	s_cselect_b32 vcc_lo, -1, 0
	s_cmp_eq_u32 s1, 3
	v_cndmask_b32_e32 v87, v87, v25, vcc_lo
	;; [unrolled: 3-line block ×62, first 2 shown]
	s_cselect_b32 vcc_lo, -1, 0
	s_add_i32 s11, s4, -2
	s_cmp_eq_u32 s11, 1
	v_cndmask_b32_e32 v87, v87, v80, vcc_lo
	s_cselect_b32 s1, -1, 0
	s_cmp_eq_u32 s11, 2
	v_cndmask_b32_e64 v88, v21, v49, s1
	s_cselect_b32 s1, -1, 0
	s_cmp_eq_u32 s11, 3
	v_cndmask_b32_e64 v88, v88, v25, s1
	;; [unrolled: 3-line block ×61, first 2 shown]
	s_cselect_b32 s1, -1, 0
	s_cmp_eq_u32 s11, 63
	s_cselect_b32 vcc_lo, -1, 0
	v_cndmask_b32_e64 v88, v88, v48, s1
	v_cndmask_b32_e32 v88, v88, v80, vcc_lo
	v_add_f16_e32 v87, v87, v88
	v_add_f16_e32 v88, v87, v86
	v_add_co_u32 v86, vcc_lo, v83, v14
	v_add_co_ci_u32_e64 v87, null, v84, v15, vcc_lo
	s_and_b32 vcc_lo, exec_lo, s0
	flat_store_short v[86:87], v88
	s_cbranch_vccnz .LBB233_25
; %bb.41:                               ;   in Loop: Header=BB233_26 Depth=1
	v_add_co_u32 v81, vcc_lo, v81, v16
	v_add_co_ci_u32_e64 v82, null, v82, v17, vcc_lo
	flat_load_ushort v81, v[81:82]
	s_waitcnt vmcnt(0) lgkmcnt(0)
	v_mul_f16_e32 v85, s22, v81
	s_branch .LBB233_25
.LBB233_42:
	s_endpgm
	.section	.rodata,"a",@progbits
	.p2align	6, 0x0
	.amdhsa_kernel _ZN12_GLOBAL__N_120geam_min_plus_kernelIDF16_Dv2_DF16_S1_Li8ELi32ELi64ELi128ELi4ELi64ELi4ELi4ELi64ELc78ELc78ELb0ELb0ELb0EDF16_KPKDF16_KPDF16_EEviiiT16_PT17_ilS9_ilS7_S9_ilPT18_ili26rocblas_geam_ex_operation_
		.amdhsa_group_segment_fixed_size 3072
		.amdhsa_private_segment_fixed_size 0
		.amdhsa_kernarg_size 128
		.amdhsa_user_sgpr_count 6
		.amdhsa_user_sgpr_private_segment_buffer 1
		.amdhsa_user_sgpr_dispatch_ptr 0
		.amdhsa_user_sgpr_queue_ptr 0
		.amdhsa_user_sgpr_kernarg_segment_ptr 1
		.amdhsa_user_sgpr_dispatch_id 0
		.amdhsa_user_sgpr_flat_scratch_init 0
		.amdhsa_user_sgpr_private_segment_size 0
		.amdhsa_wavefront_size32 1
		.amdhsa_uses_dynamic_stack 0
		.amdhsa_system_sgpr_private_segment_wavefront_offset 0
		.amdhsa_system_sgpr_workgroup_id_x 1
		.amdhsa_system_sgpr_workgroup_id_y 0
		.amdhsa_system_sgpr_workgroup_id_z 1
		.amdhsa_system_sgpr_workgroup_info 0
		.amdhsa_system_vgpr_workitem_id 1
		.amdhsa_next_free_vgpr 127
		.amdhsa_next_free_sgpr 24
		.amdhsa_reserve_vcc 1
		.amdhsa_reserve_flat_scratch 0
		.amdhsa_float_round_mode_32 0
		.amdhsa_float_round_mode_16_64 0
		.amdhsa_float_denorm_mode_32 3
		.amdhsa_float_denorm_mode_16_64 3
		.amdhsa_dx10_clamp 1
		.amdhsa_ieee_mode 1
		.amdhsa_fp16_overflow 0
		.amdhsa_workgroup_processor_mode 1
		.amdhsa_memory_ordered 1
		.amdhsa_forward_progress 1
		.amdhsa_shared_vgpr_count 0
		.amdhsa_exception_fp_ieee_invalid_op 0
		.amdhsa_exception_fp_denorm_src 0
		.amdhsa_exception_fp_ieee_div_zero 0
		.amdhsa_exception_fp_ieee_overflow 0
		.amdhsa_exception_fp_ieee_underflow 0
		.amdhsa_exception_fp_ieee_inexact 0
		.amdhsa_exception_int_div_zero 0
	.end_amdhsa_kernel
	.section	.text._ZN12_GLOBAL__N_120geam_min_plus_kernelIDF16_Dv2_DF16_S1_Li8ELi32ELi64ELi128ELi4ELi64ELi4ELi4ELi64ELc78ELc78ELb0ELb0ELb0EDF16_KPKDF16_KPDF16_EEviiiT16_PT17_ilS9_ilS7_S9_ilPT18_ili26rocblas_geam_ex_operation_,"axG",@progbits,_ZN12_GLOBAL__N_120geam_min_plus_kernelIDF16_Dv2_DF16_S1_Li8ELi32ELi64ELi128ELi4ELi64ELi4ELi4ELi64ELc78ELc78ELb0ELb0ELb0EDF16_KPKDF16_KPDF16_EEviiiT16_PT17_ilS9_ilS7_S9_ilPT18_ili26rocblas_geam_ex_operation_,comdat
.Lfunc_end233:
	.size	_ZN12_GLOBAL__N_120geam_min_plus_kernelIDF16_Dv2_DF16_S1_Li8ELi32ELi64ELi128ELi4ELi64ELi4ELi4ELi64ELc78ELc78ELb0ELb0ELb0EDF16_KPKDF16_KPDF16_EEviiiT16_PT17_ilS9_ilS7_S9_ilPT18_ili26rocblas_geam_ex_operation_, .Lfunc_end233-_ZN12_GLOBAL__N_120geam_min_plus_kernelIDF16_Dv2_DF16_S1_Li8ELi32ELi64ELi128ELi4ELi64ELi4ELi4ELi64ELc78ELc78ELb0ELb0ELb0EDF16_KPKDF16_KPDF16_EEviiiT16_PT17_ilS9_ilS7_S9_ilPT18_ili26rocblas_geam_ex_operation_
                                        ; -- End function
	.set _ZN12_GLOBAL__N_120geam_min_plus_kernelIDF16_Dv2_DF16_S1_Li8ELi32ELi64ELi128ELi4ELi64ELi4ELi4ELi64ELc78ELc78ELb0ELb0ELb0EDF16_KPKDF16_KPDF16_EEviiiT16_PT17_ilS9_ilS7_S9_ilPT18_ili26rocblas_geam_ex_operation_.num_vgpr, 127
	.set _ZN12_GLOBAL__N_120geam_min_plus_kernelIDF16_Dv2_DF16_S1_Li8ELi32ELi64ELi128ELi4ELi64ELi4ELi4ELi64ELc78ELc78ELb0ELb0ELb0EDF16_KPKDF16_KPDF16_EEviiiT16_PT17_ilS9_ilS7_S9_ilPT18_ili26rocblas_geam_ex_operation_.num_agpr, 0
	.set _ZN12_GLOBAL__N_120geam_min_plus_kernelIDF16_Dv2_DF16_S1_Li8ELi32ELi64ELi128ELi4ELi64ELi4ELi4ELi64ELc78ELc78ELb0ELb0ELb0EDF16_KPKDF16_KPDF16_EEviiiT16_PT17_ilS9_ilS7_S9_ilPT18_ili26rocblas_geam_ex_operation_.numbered_sgpr, 24
	.set _ZN12_GLOBAL__N_120geam_min_plus_kernelIDF16_Dv2_DF16_S1_Li8ELi32ELi64ELi128ELi4ELi64ELi4ELi4ELi64ELc78ELc78ELb0ELb0ELb0EDF16_KPKDF16_KPDF16_EEviiiT16_PT17_ilS9_ilS7_S9_ilPT18_ili26rocblas_geam_ex_operation_.num_named_barrier, 0
	.set _ZN12_GLOBAL__N_120geam_min_plus_kernelIDF16_Dv2_DF16_S1_Li8ELi32ELi64ELi128ELi4ELi64ELi4ELi4ELi64ELc78ELc78ELb0ELb0ELb0EDF16_KPKDF16_KPDF16_EEviiiT16_PT17_ilS9_ilS7_S9_ilPT18_ili26rocblas_geam_ex_operation_.private_seg_size, 0
	.set _ZN12_GLOBAL__N_120geam_min_plus_kernelIDF16_Dv2_DF16_S1_Li8ELi32ELi64ELi128ELi4ELi64ELi4ELi4ELi64ELc78ELc78ELb0ELb0ELb0EDF16_KPKDF16_KPDF16_EEviiiT16_PT17_ilS9_ilS7_S9_ilPT18_ili26rocblas_geam_ex_operation_.uses_vcc, 1
	.set _ZN12_GLOBAL__N_120geam_min_plus_kernelIDF16_Dv2_DF16_S1_Li8ELi32ELi64ELi128ELi4ELi64ELi4ELi4ELi64ELc78ELc78ELb0ELb0ELb0EDF16_KPKDF16_KPDF16_EEviiiT16_PT17_ilS9_ilS7_S9_ilPT18_ili26rocblas_geam_ex_operation_.uses_flat_scratch, 0
	.set _ZN12_GLOBAL__N_120geam_min_plus_kernelIDF16_Dv2_DF16_S1_Li8ELi32ELi64ELi128ELi4ELi64ELi4ELi4ELi64ELc78ELc78ELb0ELb0ELb0EDF16_KPKDF16_KPDF16_EEviiiT16_PT17_ilS9_ilS7_S9_ilPT18_ili26rocblas_geam_ex_operation_.has_dyn_sized_stack, 0
	.set _ZN12_GLOBAL__N_120geam_min_plus_kernelIDF16_Dv2_DF16_S1_Li8ELi32ELi64ELi128ELi4ELi64ELi4ELi4ELi64ELc78ELc78ELb0ELb0ELb0EDF16_KPKDF16_KPDF16_EEviiiT16_PT17_ilS9_ilS7_S9_ilPT18_ili26rocblas_geam_ex_operation_.has_recursion, 0
	.set _ZN12_GLOBAL__N_120geam_min_plus_kernelIDF16_Dv2_DF16_S1_Li8ELi32ELi64ELi128ELi4ELi64ELi4ELi4ELi64ELc78ELc78ELb0ELb0ELb0EDF16_KPKDF16_KPDF16_EEviiiT16_PT17_ilS9_ilS7_S9_ilPT18_ili26rocblas_geam_ex_operation_.has_indirect_call, 0
	.section	.AMDGPU.csdata,"",@progbits
; Kernel info:
; codeLenInByte = 22084
; TotalNumSgprs: 26
; NumVgprs: 127
; ScratchSize: 0
; MemoryBound: 0
; FloatMode: 240
; IeeeMode: 1
; LDSByteSize: 3072 bytes/workgroup (compile time only)
; SGPRBlocks: 0
; VGPRBlocks: 15
; NumSGPRsForWavesPerEU: 26
; NumVGPRsForWavesPerEU: 127
; Occupancy: 8
; WaveLimiterHint : 1
; COMPUTE_PGM_RSRC2:SCRATCH_EN: 0
; COMPUTE_PGM_RSRC2:USER_SGPR: 6
; COMPUTE_PGM_RSRC2:TRAP_HANDLER: 0
; COMPUTE_PGM_RSRC2:TGID_X_EN: 1
; COMPUTE_PGM_RSRC2:TGID_Y_EN: 0
; COMPUTE_PGM_RSRC2:TGID_Z_EN: 1
; COMPUTE_PGM_RSRC2:TIDIG_COMP_CNT: 1
	.section	.text._ZN12_GLOBAL__N_120geam_min_plus_kernelIDF16_Dv2_DF16_S1_Li8ELi32ELi64ELi128ELi4ELi64ELi4ELi4ELi64ELc78ELc78ELb0ELb1ELb0EPKDF16_KS3_KPDF16_EEviiiT16_PT17_ilS9_ilS7_S9_ilPT18_ili26rocblas_geam_ex_operation_,"axG",@progbits,_ZN12_GLOBAL__N_120geam_min_plus_kernelIDF16_Dv2_DF16_S1_Li8ELi32ELi64ELi128ELi4ELi64ELi4ELi4ELi64ELc78ELc78ELb0ELb1ELb0EPKDF16_KS3_KPDF16_EEviiiT16_PT17_ilS9_ilS7_S9_ilPT18_ili26rocblas_geam_ex_operation_,comdat
	.globl	_ZN12_GLOBAL__N_120geam_min_plus_kernelIDF16_Dv2_DF16_S1_Li8ELi32ELi64ELi128ELi4ELi64ELi4ELi4ELi64ELc78ELc78ELb0ELb1ELb0EPKDF16_KS3_KPDF16_EEviiiT16_PT17_ilS9_ilS7_S9_ilPT18_ili26rocblas_geam_ex_operation_ ; -- Begin function _ZN12_GLOBAL__N_120geam_min_plus_kernelIDF16_Dv2_DF16_S1_Li8ELi32ELi64ELi128ELi4ELi64ELi4ELi4ELi64ELc78ELc78ELb0ELb1ELb0EPKDF16_KS3_KPDF16_EEviiiT16_PT17_ilS9_ilS7_S9_ilPT18_ili26rocblas_geam_ex_operation_
	.p2align	8
	.type	_ZN12_GLOBAL__N_120geam_min_plus_kernelIDF16_Dv2_DF16_S1_Li8ELi32ELi64ELi128ELi4ELi64ELi4ELi4ELi64ELc78ELc78ELb0ELb1ELb0EPKDF16_KS3_KPDF16_EEviiiT16_PT17_ilS9_ilS7_S9_ilPT18_ili26rocblas_geam_ex_operation_,@function
_ZN12_GLOBAL__N_120geam_min_plus_kernelIDF16_Dv2_DF16_S1_Li8ELi32ELi64ELi128ELi4ELi64ELi4ELi4ELi64ELc78ELc78ELb0ELb1ELb0EPKDF16_KS3_KPDF16_EEviiiT16_PT17_ilS9_ilS7_S9_ilPT18_ili26rocblas_geam_ex_operation_: ; @_ZN12_GLOBAL__N_120geam_min_plus_kernelIDF16_Dv2_DF16_S1_Li8ELi32ELi64ELi128ELi4ELi64ELi4ELi4ELi64ELc78ELc78ELb0ELb1ELb0EPKDF16_KS3_KPDF16_EEviiiT16_PT17_ilS9_ilS7_S9_ilPT18_ili26rocblas_geam_ex_operation_
; %bb.0:
	s_clause 0x1
	s_load_dwordx4 s[0:3], s[4:5], 0x10
	s_load_dwordx4 s[8:11], s[4:5], 0x40
	s_mov_b32 s22, s7
	s_mov_b32 s23, 0
	v_mov_b32_e32 v2, 0
	s_lshl_b64 s[18:19], s[22:23], 1
	s_clause 0x1
	s_load_dwordx4 s[12:15], s[4:5], 0x28
	s_load_dwordx2 s[16:17], s[4:5], 0x50
	s_mov_b64 s[20:21], 0
	s_waitcnt lgkmcnt(0)
	s_add_u32 s0, s0, s18
	s_addc_u32 s1, s1, s19
	global_load_ushort v34, v2, s[0:1]
	s_add_u32 s0, s10, s18
	s_addc_u32 s1, s11, s19
	s_mov_b64 s[18:19], 0
	global_load_ushort v42, v2, s[0:1]
	s_waitcnt vmcnt(1)
	v_cmp_eq_f16_e32 vcc_lo, 0, v34
	v_cmp_neq_f16_e64 s1, 0, v34
	s_cbranch_vccnz .LBB234_2
; %bb.1:
	s_lshl_b64 s[10:11], s[22:23], 3
	s_add_u32 s2, s2, s10
	s_addc_u32 s3, s3, s11
	s_lshl_b64 s[10:11], s[12:13], 1
	s_load_dwordx2 s[2:3], s[2:3], 0x0
	s_waitcnt lgkmcnt(0)
	s_add_u32 s20, s2, s10
	s_addc_u32 s21, s3, s11
.LBB234_2:
	s_andn2_b32 vcc_lo, exec_lo, s1
	s_cbranch_vccnz .LBB234_4
; %bb.3:
	s_lshl_b64 s[2:3], s[22:23], 3
	s_add_u32 s2, s14, s2
	s_addc_u32 s3, s15, s3
	s_lshl_b64 s[8:9], s[8:9], 1
	s_load_dwordx2 s[2:3], s[2:3], 0x0
	s_waitcnt lgkmcnt(0)
	s_add_u32 s18, s2, s8
	s_addc_u32 s19, s3, s9
.LBB234_4:
	s_load_dwordx4 s[8:11], s[4:5], 0x60
	s_waitcnt vmcnt(0)
	v_cmp_eq_f16_e32 vcc_lo, 0, v42
	v_cmp_neq_f16_e64 s0, 0, v42
	s_cbranch_vccnz .LBB234_6
; %bb.5:
	s_lshl_b64 s[2:3], s[22:23], 3
	s_add_u32 s2, s16, s2
	s_addc_u32 s3, s17, s3
	s_waitcnt lgkmcnt(0)
	s_lshl_b64 s[8:9], s[8:9], 1
	s_load_dwordx2 s[2:3], s[2:3], 0x0
	s_waitcnt lgkmcnt(0)
	s_add_u32 s16, s2, s8
	s_addc_u32 s17, s3, s9
	s_branch .LBB234_7
.LBB234_6:
	s_mov_b64 s[16:17], 0
.LBB234_7:
	s_waitcnt lgkmcnt(0)
	s_clause 0x1
	s_load_dword s8, s[4:5], 0x20
	s_load_dwordx4 s[12:15], s[4:5], 0x0
	s_lshl_b64 s[2:3], s[22:23], 3
	v_lshl_add_u32 v4, v1, 3, v0
	v_mov_b32_e32 v10, 0
	v_mov_b32_e32 v11, 0
	v_and_b32_e32 v9, 63, v4
	v_lshrrev_b32_e32 v35, 6, v4
	s_waitcnt lgkmcnt(0)
	s_ashr_i32 s9, s8, 31
	s_add_u32 s10, s10, s2
	s_addc_u32 s11, s11, s3
	s_add_i32 s2, s12, -1
	s_ashr_i32 s3, s2, 31
	s_lshr_b32 s3, s3, 26
	s_add_i32 s2, s2, s3
	s_ashr_i32 s2, s2, 6
	s_add_i32 s7, s2, 1
	s_not_b32 s2, s2
	v_cvt_f32_u32_e32 v2, s7
	v_rcp_iflag_f32_e32 v2, v2
	v_mul_f32_e32 v2, 0x4f7ffffe, v2
	v_cvt_u32_f32_e32 v2, v2
	v_readfirstlane_b32 s3, v2
	s_mul_i32 s2, s2, s3
	s_mul_hi_u32 s2, s3, s2
	s_add_i32 s3, s3, s2
	s_mul_hi_u32 s2, s6, s3
	s_mul_i32 s3, s2, s7
	s_add_i32 s15, s2, 1
	s_sub_i32 s3, s6, s3
	s_sub_i32 s22, s3, s7
	s_cmp_ge_u32 s3, s7
	s_cselect_b32 s2, s15, s2
	s_cselect_b32 s3, s22, s3
	s_add_i32 s15, s2, 1
	s_cmp_ge_u32 s3, s7
	s_cselect_b32 s3, s15, s2
	s_mul_i32 s2, s3, s7
	s_sub_i32 s2, s6, s2
	s_lshl_b32 s15, s2, 6
	v_cmp_gt_i32_e64 s2, s14, v35
	v_or_b32_e32 v2, s15, v9
	v_cmp_gt_i32_e32 vcc_lo, s12, v2
	v_ashrrev_i32_e32 v3, 31, v2
	s_and_b32 s2, s2, vcc_lo
	s_and_b32 s2, s1, s2
	s_and_saveexec_b32 s6, s2
	s_cbranch_execz .LBB234_9
; %bb.8:
	v_mad_i64_i32 v[5:6], null, s8, v35, 0
	v_lshlrev_b64 v[7:8], 1, v[2:3]
	v_lshlrev_b64 v[5:6], 1, v[5:6]
	v_add_co_u32 v5, s2, s20, v5
	v_add_co_ci_u32_e64 v6, null, s21, v6, s2
	v_add_co_u32 v5, s2, v5, v7
	v_add_co_ci_u32_e64 v6, null, v6, v8, s2
	flat_load_ushort v5, v[5:6]
	s_waitcnt vmcnt(0) lgkmcnt(0)
	v_mul_f16_e32 v11, v34, v5
.LBB234_9:
	s_or_b32 exec_lo, exec_lo, s6
	v_and_b32_e32 v36, 3, v0
	s_add_i32 s23, s14, -1
	s_load_dword s26, s[4:5], 0x38
	v_lshrrev_b32_e32 v12, 2, v4
	s_lshl_b32 s22, s3, 7
	v_min_i32_e32 v5, s23, v36
	v_cmp_le_i32_e64 s2, s14, v36
	s_xor_b32 s7, s1, -1
	v_add_nc_u32_e32 v4, s22, v12
	v_ashrrev_i32_e32 v6, 31, v5
	v_cmp_le_i32_e64 s3, s13, v4
	v_lshlrev_b64 v[5:6], 1, v[5:6]
	s_or_b32 s24, s3, s7
	s_nor_b32 s3, s2, s24
	v_add_co_u32 v7, s6, s18, v5
	v_add_co_ci_u32_e64 v8, null, s19, v6, s6
	s_and_saveexec_b32 s6, s3
	s_cbranch_execz .LBB234_11
; %bb.10:
	s_waitcnt lgkmcnt(0)
	v_mad_i64_i32 v[5:6], null, v4, s26, 0
	v_lshlrev_b64 v[5:6], 1, v[5:6]
	v_add_co_u32 v5, s3, v7, v5
	v_add_co_ci_u32_e64 v6, null, v8, v6, s3
	flat_load_ushort v5, v[5:6]
	s_waitcnt vmcnt(0) lgkmcnt(0)
	v_mul_f16_e32 v10, v34, v5
.LBB234_11:
	s_or_b32 exec_lo, exec_lo, s6
	v_add_nc_u32_e32 v5, 64, v4
	v_mov_b32_e32 v6, 0
	v_mov_b32_e32 v13, 0
	v_cmp_le_i32_e64 s3, s13, v5
	s_or_b32 s25, s3, s7
	s_nor_b32 s2, s2, s25
	s_and_saveexec_b32 s3, s2
	s_cbranch_execz .LBB234_13
; %bb.12:
	s_waitcnt lgkmcnt(0)
	v_mad_i64_i32 v[13:14], null, v5, s26, 0
	v_lshlrev_b64 v[13:14], 1, v[13:14]
	v_add_co_u32 v7, s2, v7, v13
	v_add_co_ci_u32_e64 v8, null, v8, v14, s2
	flat_load_ushort v7, v[7:8]
	s_waitcnt vmcnt(0) lgkmcnt(0)
	v_mul_f16_e32 v13, v34, v7
.LBB234_13:
	s_or_b32 exec_lo, exec_lo, s3
	v_add_nc_u32_e32 v7, 4, v35
	v_cmp_gt_i32_e64 s2, s14, v7
	s_and_b32 s2, vcc_lo, s2
	s_and_b32 s2, s1, s2
	s_and_saveexec_b32 s3, s2
	s_cbranch_execz .LBB234_15
; %bb.14:
	v_mad_u64_u32 v[14:15], null, s8, v7, 0
	v_mov_b32_e32 v6, v15
	v_mad_u64_u32 v[6:7], null, s9, v7, v[6:7]
	v_mov_b32_e32 v15, v6
	v_lshlrev_b64 v[6:7], 1, v[14:15]
	v_lshlrev_b64 v[14:15], 1, v[2:3]
	v_add_co_u32 v6, s2, s20, v6
	v_add_co_ci_u32_e64 v7, null, s21, v7, s2
	v_add_co_u32 v6, s2, v6, v14
	v_add_co_ci_u32_e64 v7, null, v7, v15, s2
	flat_load_ushort v6, v[6:7]
	s_waitcnt vmcnt(0) lgkmcnt(0)
	v_mul_f16_e32 v6, v34, v6
.LBB234_15:
	s_or_b32 exec_lo, exec_lo, s3
	v_or_b32_e32 v16, 4, v36
	v_min_i32_e32 v7, s23, v16
	v_cmp_le_i32_e64 s2, s14, v16
	v_ashrrev_i32_e32 v8, 31, v7
	v_lshlrev_b64 v[14:15], 1, v[7:8]
	v_mov_b32_e32 v7, 0
	v_mov_b32_e32 v8, 0
	v_add_co_u32 v14, s3, s18, v14
	v_add_co_ci_u32_e64 v15, null, s19, v15, s3
	s_nor_b32 s3, s2, s24
	s_and_saveexec_b32 s6, s3
	s_cbranch_execz .LBB234_17
; %bb.16:
	s_waitcnt lgkmcnt(0)
	v_mad_i64_i32 v[16:17], null, v4, s26, 0
	v_lshlrev_b64 v[16:17], 1, v[16:17]
	v_add_co_u32 v16, s3, v14, v16
	v_add_co_ci_u32_e64 v17, null, v15, v17, s3
	flat_load_ushort v8, v[16:17]
	s_waitcnt vmcnt(0) lgkmcnt(0)
	v_mul_f16_e32 v8, v34, v8
.LBB234_17:
	s_or_b32 exec_lo, exec_lo, s6
	s_nor_b32 s2, s2, s25
	s_and_saveexec_b32 s3, s2
	s_cbranch_execz .LBB234_19
; %bb.18:
	s_waitcnt lgkmcnt(0)
	v_mad_i64_i32 v[16:17], null, v5, s26, 0
	v_lshlrev_b64 v[16:17], 1, v[16:17]
	v_add_co_u32 v14, s2, v14, v16
	v_add_co_ci_u32_e64 v15, null, v15, v17, s2
	flat_load_ushort v7, v[14:15]
	s_waitcnt vmcnt(0) lgkmcnt(0)
	v_mul_f16_e32 v7, v34, v7
.LBB234_19:
	s_or_b32 exec_lo, exec_lo, s3
	v_lshlrev_b32_e32 v9, 3, v9
	v_lshlrev_b32_e32 v12, 3, v12
	v_lshlrev_b32_e32 v38, 3, v0
	v_lshlrev_b32_e32 v37, 3, v1
	s_load_dwordx2 s[6:7], s[10:11], 0x0
	v_lshl_add_u32 v9, v35, 1, v9
	v_lshl_or_b32 v39, v36, 1, v12
	v_add_nc_u32_e32 v30, 0x800, v38
	s_mov_b32 s10, 0
	s_cmp_lt_i32 s14, 9
	ds_write_b16 v9, v11 offset:2048
	ds_write_b16 v39, v10
	ds_write_b16 v39, v13 offset:512
	s_waitcnt lgkmcnt(0)
	s_barrier
	buffer_gl0_inv
	ds_read2_b64 v[10:13], v37 offset1:32
	ds_read2_b64 v[14:17], v30 offset0:48 offset1:56
	ds_read2_b64 v[18:21], v37 offset0:64 offset1:96
	ds_read2_b64 v[22:25], v30 offset1:8
	ds_read2_b64 v[26:29], v30 offset0:16 offset1:24
	ds_read2_b64 v[30:33], v30 offset0:32 offset1:40
	ds_write_b16 v9, v6 offset:2560
	ds_write_b16 v39, v8 offset:1024
	;; [unrolled: 1-line block ×3, first 2 shown]
	s_waitcnt lgkmcnt(0)
	s_barrier
	buffer_gl0_inv
	v_pk_max_f16 v10, v10, v10
	v_pk_max_f16 v16, v16, v16
	;; [unrolled: 1-line block ×6, first 2 shown]
	v_pk_min_f16 v40, v16, v10
	v_pk_max_f16 v22, v22, v22
	v_pk_max_f16 v20, v20, v20
	;; [unrolled: 1-line block ×4, first 2 shown]
	v_pk_min_f16 v41, v16, v12
	v_pk_max_f16 v28, v28, v28
	v_pk_max_f16 v30, v30, v30
	;; [unrolled: 1-line block ×5, first 2 shown]
	v_pk_add_f16 v40, v40, 0
	v_pk_min_f16 v51, v17, v11
	v_pk_min_f16 v43, v16, v18
	;; [unrolled: 1-line block ×19, first 2 shown]
	v_pk_max_f16 v19, v19, v19
	v_pk_max_f16 v21, v21, v21
	v_pk_min_f16 v60, v30, v12
	v_pk_min_f16 v61, v30, v18
	v_pk_max_f16 v23, v23, v23
	v_pk_min_f16 v30, v30, v20
	v_pk_min_f16 v62, v32, v10
	;; [unrolled: 1-line block ×10, first 2 shown]
	v_pk_add_f16 v69, v40, v51
	v_pk_add_f16 v20, v41, 0
	v_pk_min_f16 v40, v17, v13
	v_pk_max_f16 v25, v25, v25
	v_pk_add_f16 v41, v43, 0
	v_pk_min_f16 v43, v17, v19
	v_pk_min_f16 v58, v23, v11
	;; [unrolled: 1-line block ×4, first 2 shown]
	v_pk_add_f16 v59, v20, v40
	v_pk_add_f16 v20, v22, 0
	v_pk_min_f16 v23, v23, v21
	v_pk_add_f16 v51, v41, v43
	v_pk_add_f16 v22, v47, 0
	;; [unrolled: 1-line block ×5, first 2 shown]
	v_pk_min_f16 v20, v25, v11
	v_pk_add_f16 v46, v46, 0
	v_pk_add_f16 v40, v48, 0
	v_pk_max_f16 v27, v27, v27
	v_pk_add_f16 v74, v44, v58
	v_pk_add_f16 v73, v22, v20
	v_pk_min_f16 v20, v25, v13
	v_pk_add_f16 v58, v46, v66
	v_pk_add_f16 v41, v49, 0
	;; [unrolled: 1-line block ×3, first 2 shown]
	v_pk_max_f16 v29, v29, v29
	v_pk_add_f16 v66, v40, v20
	v_pk_min_f16 v20, v25, v19
	v_pk_min_f16 v25, v25, v21
	v_pk_add_f16 v45, v45, 0
	v_pk_add_f16 v44, v52, 0
	;; [unrolled: 1-line block ×5, first 2 shown]
	v_pk_min_f16 v20, v27, v11
	v_pk_min_f16 v24, v27, v13
	v_pk_add_f16 v67, v45, v65
	v_pk_add_f16 v45, v53, 0
	;; [unrolled: 1-line block ×6, first 2 shown]
	v_pk_min_f16 v20, v27, v19
	v_pk_min_f16 v24, v27, v21
	;; [unrolled: 1-line block ×3, first 2 shown]
	v_pk_add_f16 v46, v55, 0
	v_pk_add_f16 v47, v56, 0
	;; [unrolled: 1-line block ×6, first 2 shown]
	v_pk_min_f16 v20, v29, v13
	v_pk_min_f16 v23, v29, v19
	;; [unrolled: 1-line block ×3, first 2 shown]
	v_pk_max_f16 v26, v31, v31
	v_pk_add_f16 v52, v60, 0
	v_pk_add_f16 v53, v61, 0
	;; [unrolled: 1-line block ×6, first 2 shown]
	v_pk_min_f16 v20, v26, v11
	v_pk_min_f16 v23, v26, v13
	;; [unrolled: 1-line block ×3, first 2 shown]
	v_pk_max_f16 v27, v33, v33
	v_pk_max_f16 v15, v15, v15
	v_pk_add_f16 v30, v30, 0
	v_pk_add_f16 v40, v62, 0
	;; [unrolled: 1-line block ×9, first 2 shown]
	v_pk_min_f16 v26, v26, v21
	v_pk_add_f16 v70, v22, v20
	v_pk_add_f16 v63, v52, v23
	;; [unrolled: 1-line block ×3, first 2 shown]
	v_pk_min_f16 v20, v27, v11
	v_pk_min_f16 v22, v27, v13
	;; [unrolled: 1-line block ×9, first 2 shown]
	v_pk_add_f16 v46, v30, v26
	v_pk_add_f16 v41, v40, v20
	;; [unrolled: 1-line block ×10, first 2 shown]
	s_cbranch_scc1 .LBB234_34
; %bb.20:
	v_add_nc_u32_e32 v6, v37, v0
	v_or_b32_e32 v60, 0x800, v9
	v_add_nc_u32_e32 v75, 0xa00, v9
	v_lshlrev_b64 v[2:3], 1, v[2:3]
	v_or_b32_e32 v68, 0x800, v38
	v_lshrrev_b32_e32 v6, 6, v6
	v_add_nc_u32_e32 v76, 0x400, v39
	v_lshl_add_u32 v77, v0, 3, 0xa00
	v_add_nc_u32_e32 v80, 0x400, v37
	v_add_co_u32 v78, s2, s20, v2
	v_add_nc_u32_e32 v8, 12, v6
	v_add_nc_u32_e32 v10, 8, v6
	v_mad_i64_i32 v[6:7], null, v4, s26, 0
	v_mad_i64_i32 v[4:5], null, v5, s26, 0
	;; [unrolled: 1-line block ×4, first 2 shown]
	v_lshlrev_b64 v[30:31], 1, v[6:7]
	v_add_co_ci_u32_e64 v79, null, s21, v3, s2
	v_lshlrev_b64 v[32:33], 1, v[4:5]
	v_lshlrev_b64 v[26:27], 1, v[8:9]
	s_add_i32 s11, s14, -8
	v_lshlrev_b64 v[28:29], 1, v[10:11]
	s_lshl_b64 s[8:9], s[8:9], 4
	s_branch .LBB234_22
.LBB234_21:                             ;   in Loop: Header=BB234_22 Depth=1
	s_or_b32 exec_lo, exec_lo, s3
	v_pk_max_f16 v4, v4, v4
	v_pk_max_f16 v22, v22, v22
	;; [unrolled: 1-line block ×7, first 2 shown]
	v_pk_min_f16 v84, v4, v22
	v_pk_min_f16 v85, v4, v24
	;; [unrolled: 1-line block ×3, first 2 shown]
	v_pk_max_f16 v16, v16, v16
	v_pk_min_f16 v93, v10, v22
	v_pk_max_f16 v12, v12, v12
	v_pk_min_f16 v94, v10, v24
	v_pk_min_f16 v95, v10, v18
	;; [unrolled: 1-line block ×3, first 2 shown]
	v_pk_max_f16 v6, v6, v6
	v_pk_max_f16 v23, v23, v23
	;; [unrolled: 1-line block ×15, first 2 shown]
	v_pk_min_f16 v87, v14, v22
	v_pk_min_f16 v88, v14, v24
	;; [unrolled: 1-line block ×57, first 2 shown]
	v_pk_add_f16 v3, v69, v84
	v_pk_add_f16 v5, v59, v85
	;; [unrolled: 1-line block ×18, first 2 shown]
	ds_read2_b64 v[2:5], v68 offset0:48 offset1:56
	ds_read2_b64 v[6:9], v37 offset1:32
	v_pk_add_f16 v71, v10, v11
	ds_read2_b64 v[10:13], v37 offset0:64 offset1:96
	v_pk_add_f16 v69, v70, v99
	v_pk_add_f16 v24, v61, v24
	v_pk_add_f16 v61, v67, v105
	v_pk_add_f16 v67, v14, v15
	v_pk_add_f16 v70, v16, v17
	ds_read2_b64 v[14:17], v68 offset1:8
	v_pk_add_f16 v59, v74, v87
	v_pk_add_f16 v58, v58, v89
	;; [unrolled: 1-line block ×9, first 2 shown]
	ds_read2_b64 v[18:21], v68 offset0:16 offset1:24
	s_waitcnt lgkmcnt(4)
	v_pk_max_f16 v4, v4, v4
	s_waitcnt lgkmcnt(3)
	v_pk_max_f16 v6, v6, v6
	v_pk_max_f16 v8, v8, v8
	s_waitcnt lgkmcnt(2)
	v_pk_max_f16 v10, v10, v10
	v_pk_add_f16 v58, v58, v106
	v_pk_max_f16 v12, v12, v12
	v_pk_min_f16 v22, v4, v6
	v_pk_min_f16 v23, v4, v8
	;; [unrolled: 1-line block ×3, first 2 shown]
	s_waitcnt lgkmcnt(1)
	v_pk_max_f16 v14, v14, v14
	v_pk_max_f16 v16, v16, v16
	v_pk_add_f16 v44, v44, v22
	v_pk_add_f16 v52, v52, v23
	v_pk_add_f16 v51, v51, v24
	v_pk_min_f16 v22, v14, v6
	v_pk_min_f16 v23, v14, v8
	;; [unrolled: 1-line block ×3, first 2 shown]
	v_pk_add_f16 v66, v66, v91
	v_pk_add_f16 v50, v50, v107
	;; [unrolled: 1-line block ×5, first 2 shown]
	ds_read2_b64 v[22:25], v68 offset0:32 offset1:40
	v_pk_min_f16 v14, v14, v12
	v_pk_min_f16 v59, v16, v6
	s_waitcnt lgkmcnt(1)
	v_pk_max_f16 v18, v18, v18
	v_pk_add_f16 v65, v65, v94
	v_pk_add_f16 v66, v66, v108
	;; [unrolled: 1-line block ×4, first 2 shown]
	v_pk_min_f16 v67, v16, v8
	v_pk_min_f16 v85, v16, v10
	;; [unrolled: 1-line block ×3, first 2 shown]
	v_pk_add_f16 v86, v50, v59
	v_pk_min_f16 v50, v18, v6
	v_pk_max_f16 v20, v20, v20
	v_pk_add_f16 v57, v57, v92
	v_pk_add_f16 v65, v65, v111
	v_pk_add_f16 v48, v48, v113
	v_pk_add_f16 v66, v66, v67
	v_pk_add_f16 v16, v70, v16
	v_pk_min_f16 v59, v18, v8
	v_pk_min_f16 v67, v18, v10
	;; [unrolled: 1-line block ×3, first 2 shown]
	v_pk_add_f16 v70, v49, v50
	v_pk_min_f16 v49, v20, v6
	s_waitcnt lgkmcnt(0)
	v_pk_max_f16 v22, v22, v22
	v_pk_add_f16 v63, v63, v100
	v_pk_add_f16 v57, v57, v109
	;; [unrolled: 1-line block ×6, first 2 shown]
	v_pk_min_f16 v50, v20, v8
	v_pk_min_f16 v59, v20, v10
	;; [unrolled: 1-line block ×3, first 2 shown]
	v_pk_add_f16 v71, v48, v49
	v_pk_min_f16 v48, v22, v6
	v_pk_add_f16 v63, v63, v118
	v_pk_add_f16 v46, v46, v120
	;; [unrolled: 1-line block ×4, first 2 shown]
	v_pk_min_f16 v47, v22, v8
	v_pk_max_f16 v24, v24, v24
	v_pk_add_f16 v85, v69, v48
	v_pk_min_f16 v48, v22, v10
	v_pk_min_f16 v22, v22, v12
	v_pk_max_f16 v2, v2, v2
	v_pk_max_f16 v5, v5, v5
	;; [unrolled: 1-line block ×3, first 2 shown]
	v_pk_add_f16 v55, v55, v98
	v_pk_add_f16 v40, v40, v125
	;; [unrolled: 1-line block ×3, first 2 shown]
	v_pk_min_f16 v47, v24, v6
	v_pk_min_f16 v49, v24, v8
	v_pk_add_f16 v22, v46, v22
	v_pk_min_f16 v46, v24, v10
	v_pk_min_f16 v24, v24, v12
	;; [unrolled: 1-line block ×6, first 2 shown]
	v_pk_max_f16 v9, v9, v9
	v_pk_min_f16 v4, v4, v12
	v_pk_max_f16 v11, v11, v11
	v_pk_min_f16 v12, v5, v7
	v_pk_add_f16 v64, v64, v97
	v_pk_add_f16 v55, v55, v115
	;; [unrolled: 1-line block ×3, first 2 shown]
	v_pk_min_f16 v40, v5, v9
	v_pk_add_f16 v4, v43, v4
	v_pk_min_f16 v43, v5, v11
	v_pk_max_f16 v15, v15, v15
	v_pk_add_f16 v69, v44, v12
	v_pk_max_f16 v12, v13, v13
	v_pk_add_f16 v56, v56, v95
	v_pk_add_f16 v62, v62, v103
	;; [unrolled: 1-line block ×6, first 2 shown]
	v_pk_min_f16 v13, v15, v7
	v_pk_min_f16 v40, v15, v9
	;; [unrolled: 1-line block ×4, first 2 shown]
	v_pk_max_f16 v17, v17, v17
	v_pk_add_f16 v54, v54, v101
	v_pk_add_f16 v56, v56, v112
	;; [unrolled: 1-line block ×7, first 2 shown]
	v_pk_min_f16 v13, v17, v7
	v_pk_min_f16 v14, v17, v9
	;; [unrolled: 1-line block ×4, first 2 shown]
	v_pk_max_f16 v19, v19, v19
	v_pk_add_f16 v41, v41, v102
	v_pk_add_f16 v54, v54, v119
	;; [unrolled: 1-line block ×9, first 2 shown]
	v_pk_min_f16 v13, v19, v7
	v_pk_min_f16 v14, v19, v9
	;; [unrolled: 1-line block ×4, first 2 shown]
	v_pk_max_f16 v17, v21, v21
	v_pk_add_f16 v53, v53, v104
	v_pk_add_f16 v41, v41, v121
	v_pk_add_f16 v54, v54, v48
	v_pk_add_f16 v6, v72, v6
	v_pk_add_f16 v72, v70, v13
	v_pk_add_f16 v65, v65, v14
	v_pk_add_f16 v56, v56, v15
	v_pk_add_f16 v48, v18, v16
	v_pk_min_f16 v13, v17, v7
	v_pk_min_f16 v14, v17, v9
	;; [unrolled: 1-line block ×4, first 2 shown]
	v_pk_max_f16 v17, v23, v23
	v_pk_add_f16 v53, v53, v123
	v_pk_add_f16 v45, v45, v124
	;; [unrolled: 1-line block ×7, first 2 shown]
	v_pk_min_f16 v13, v17, v7
	v_pk_min_f16 v14, v17, v9
	;; [unrolled: 1-line block ×4, first 2 shown]
	v_pk_max_f16 v17, v25, v25
	v_pk_max_f16 v3, v3, v3
	v_pk_add_f16 v53, v53, v46
	v_pk_add_f16 v24, v45, v24
	;; [unrolled: 1-line block ×6, first 2 shown]
	v_pk_min_f16 v13, v17, v7
	v_pk_min_f16 v14, v17, v9
	;; [unrolled: 1-line block ×9, first 2 shown]
	v_add_co_u32 v78, s2, v78, s8
	v_pk_add_f16 v67, v61, v40
	v_pk_add_f16 v58, v58, v43
	;; [unrolled: 1-line block ×11, first 2 shown]
	v_add_co_ci_u32_e64 v79, null, s9, v79, s2
	s_add_i32 s10, s10, 8
	ds_write_b16 v75, v81
	ds_write_b16 v76, v83
	ds_write_b16 v76, v82 offset:512
	s_cmp_ge_i32 s10, s11
	s_waitcnt lgkmcnt(0)
	s_barrier
	buffer_gl0_inv
	s_cbranch_scc1 .LBB234_34
.LBB234_22:                             ; =>This Inner Loop Header: Depth=1
	v_add_nc_u32_e32 v83, s10, v35
	v_mov_b32_e32 v84, 0
	v_mov_b32_e32 v85, 0
	v_add_nc_u32_e32 v2, 8, v83
	v_cmp_gt_i32_e64 s2, s14, v2
	s_and_b32 s2, vcc_lo, s2
	s_and_b32 s2, s1, s2
	s_and_saveexec_b32 s3, s2
	s_cbranch_execz .LBB234_24
; %bb.23:                               ;   in Loop: Header=BB234_22 Depth=1
	v_add_co_u32 v2, s2, v78, v28
	v_add_co_ci_u32_e64 v3, null, v79, v29, s2
	flat_load_ushort v2, v[2:3]
	s_waitcnt vmcnt(0) lgkmcnt(0)
	v_mul_f16_e32 v85, v34, v2
.LBB234_24:                             ;   in Loop: Header=BB234_22 Depth=1
	s_or_b32 exec_lo, exec_lo, s3
	v_add_nc_u32_e32 v82, s10, v36
	v_add_nc_u32_e32 v4, 8, v82
	v_min_i32_e32 v2, s23, v4
	v_cmp_le_i32_e64 s2, s14, v4
	v_ashrrev_i32_e32 v3, 31, v2
	v_lshlrev_b64 v[2:3], 1, v[2:3]
	v_add_co_u32 v2, s3, s18, v2
	v_add_co_ci_u32_e64 v3, null, s19, v3, s3
	s_nor_b32 s3, s24, s2
	s_and_saveexec_b32 s20, s3
	s_cbranch_execz .LBB234_26
; %bb.25:                               ;   in Loop: Header=BB234_22 Depth=1
	v_add_co_u32 v4, s3, v2, v30
	v_add_co_ci_u32_e64 v5, null, v3, v31, s3
	flat_load_ushort v4, v[4:5]
	s_waitcnt vmcnt(0) lgkmcnt(0)
	v_mul_f16_e32 v84, v34, v4
.LBB234_26:                             ;   in Loop: Header=BB234_22 Depth=1
	s_or_b32 exec_lo, exec_lo, s20
	v_mov_b32_e32 v81, 0
	v_mov_b32_e32 v86, 0
	s_nor_b32 s2, s25, s2
	s_and_saveexec_b32 s3, s2
	s_cbranch_execz .LBB234_28
; %bb.27:                               ;   in Loop: Header=BB234_22 Depth=1
	v_add_co_u32 v2, s2, v2, v32
	v_add_co_ci_u32_e64 v3, null, v3, v33, s2
	flat_load_ushort v2, v[2:3]
	s_waitcnt vmcnt(0) lgkmcnt(0)
	v_mul_f16_e32 v86, v34, v2
.LBB234_28:                             ;   in Loop: Header=BB234_22 Depth=1
	s_or_b32 exec_lo, exec_lo, s3
	ds_read2_b64 v[2:5], v77 offset0:48 offset1:56
	ds_read2_b64 v[18:21], v80 offset0:64 offset1:96
	ds_read2_b64 v[22:25], v80 offset1:32
	ds_read2_b64 v[14:17], v77 offset1:8
	ds_read2_b64 v[10:13], v77 offset0:16 offset1:24
	ds_read2_b64 v[6:9], v77 offset0:32 offset1:40
	v_add_nc_u32_e32 v83, 12, v83
	ds_write_b16 v60, v85
	ds_write_b16 v39, v84
	ds_write_b16 v39, v86 offset:512
	s_waitcnt lgkmcnt(0)
	s_barrier
	buffer_gl0_inv
	v_cmp_gt_i32_e64 s2, s14, v83
	s_and_b32 s2, vcc_lo, s2
	s_and_b32 s2, s1, s2
	s_and_saveexec_b32 s3, s2
	s_xor_b32 s3, exec_lo, s3
	s_cbranch_execz .LBB234_30
; %bb.29:                               ;   in Loop: Header=BB234_22 Depth=1
	v_add_co_u32 v83, s2, v78, v26
	v_add_co_ci_u32_e64 v84, null, v79, v27, s2
	flat_load_ushort v81, v[83:84]
	s_waitcnt vmcnt(0) lgkmcnt(0)
	v_mul_f16_e32 v81, v34, v81
.LBB234_30:                             ;   in Loop: Header=BB234_22 Depth=1
	s_or_b32 exec_lo, exec_lo, s3
	v_add_nc_u32_e32 v86, 12, v82
	v_min_i32_e32 v82, s23, v86
	v_cmp_le_i32_e64 s2, s14, v86
	v_ashrrev_i32_e32 v83, 31, v82
	v_lshlrev_b64 v[84:85], 1, v[82:83]
	v_mov_b32_e32 v82, 0
	v_mov_b32_e32 v83, 0
	v_add_co_u32 v84, s3, s18, v84
	v_add_co_ci_u32_e64 v85, null, s19, v85, s3
	s_nor_b32 s3, s24, s2
	s_and_saveexec_b32 s20, s3
	s_cbranch_execz .LBB234_32
; %bb.31:                               ;   in Loop: Header=BB234_22 Depth=1
	v_add_co_u32 v86, s3, v84, v30
	v_add_co_ci_u32_e64 v87, null, v85, v31, s3
	flat_load_ushort v83, v[86:87]
	s_waitcnt vmcnt(0) lgkmcnt(0)
	v_mul_f16_e32 v83, v34, v83
.LBB234_32:                             ;   in Loop: Header=BB234_22 Depth=1
	s_or_b32 exec_lo, exec_lo, s20
	s_nor_b32 s2, s25, s2
	s_and_saveexec_b32 s3, s2
	s_cbranch_execz .LBB234_21
; %bb.33:                               ;   in Loop: Header=BB234_22 Depth=1
	v_add_co_u32 v84, s2, v84, v32
	v_add_co_ci_u32_e64 v85, null, v85, v33, s2
	flat_load_ushort v82, v[84:85]
	s_waitcnt vmcnt(0) lgkmcnt(0)
	v_mul_f16_e32 v82, v34, v82
	s_branch .LBB234_21
.LBB234_34:
	s_clause 0x2
	s_load_dword s10, s[4:5], 0x58
	s_load_dword s9, s[4:5], 0x70
	s_load_dwordx2 s[2:3], s[4:5], 0x78
	v_add_nc_u32_e32 v68, s22, v1
	v_add_nc_u32_e32 v10, 0x800, v38
	ds_read2_b64 v[2:5], v37 offset0:192 offset1:224
	ds_read2_b64 v[22:25], v37 offset0:128 offset1:160
	v_add_nc_u32_e32 v0, s15, v0
	ds_read2_b64 v[6:9], v10 offset0:112 offset1:120
	ds_read2_b64 v[18:21], v10 offset0:64 offset1:72
	;; [unrolled: 1-line block ×4, first 2 shown]
	v_cmp_gt_i32_e64 s8, s13, v68
	v_cmp_gt_i32_e64 s1, s12, v0
	v_ashrrev_i32_e32 v1, 31, v0
	v_cndmask_b32_e64 v60, 0, 1, s0
	s_waitcnt lgkmcnt(0)
	v_mad_i64_i32 v[26:27], null, v68, s10, 0
	v_mad_i64_i32 v[28:29], null, v68, s9, 0
	s_lshl_b64 s[2:3], s[2:3], 1
	s_add_u32 s11, s6, s2
	s_addc_u32 s14, s7, s3
	v_lshlrev_b64 v[26:27], 1, v[26:27]
	s_and_b32 s2, s1, s8
	v_lshlrev_b64 v[28:29], 1, v[28:29]
	v_add_co_u32 v77, vcc_lo, s16, v26
	v_add_co_ci_u32_e64 v78, null, s17, v27, vcc_lo
	v_add_co_u32 v75, vcc_lo, s11, v28
	v_add_co_ci_u32_e64 v76, null, s14, v29, vcc_lo
	s_and_saveexec_b32 s3, s2
	s_xor_b32 s2, exec_lo, s3
	s_cbranch_execz .LBB234_39
; %bb.35:
	v_lshlrev_b64 v[26:27], 1, v[0:1]
	s_andn2_b32 vcc_lo, exec_lo, s0
	s_cbranch_vccnz .LBB234_37
; %bb.36:
	v_add_co_u32 v28, vcc_lo, v77, v26
	v_add_co_ci_u32_e64 v29, null, v78, v27, vcc_lo
	flat_load_ushort v28, v[28:29]
	s_waitcnt vmcnt(0) lgkmcnt(0)
	v_mul_f16_e32 v28, v42, v28
	s_branch .LBB234_38
.LBB234_37:
	v_mov_b32_e32 v28, 0
.LBB234_38:
	v_pk_max_f16 v29, v22, v22
	v_pk_max_f16 v30, v18, v18
	;; [unrolled: 1-line block ×4, first 2 shown]
	v_add_co_u32 v26, vcc_lo, v75, v26
	v_pk_min_f16 v29, v30, v29
	v_add_co_ci_u32_e64 v27, null, v76, v27, vcc_lo
	v_pk_min_f16 v30, v32, v31
	v_pk_add_f16 v29, v74, v29
	v_pk_add_f16 v29, v29, v30
	v_add_f16_sdwa v29, v29, v29 dst_sel:DWORD dst_unused:UNUSED_PAD src0_sel:DWORD src1_sel:WORD_1
	v_add_f16_e32 v28, v29, v28
	flat_store_short v[26:27], v28
.LBB234_39:
	s_or_b32 exec_lo, exec_lo, s2
	v_add_nc_u32_e32 v26, 8, v0
	v_cmp_gt_i32_e64 s0, s12, v26
	v_ashrrev_i32_e32 v27, 31, v26
	s_and_b32 s3, s0, s8
	s_and_saveexec_b32 s2, s3
	s_cbranch_execz .LBB234_44
; %bb.40:
	v_cmp_ne_u32_e32 vcc_lo, 1, v60
	v_lshlrev_b64 v[28:29], 1, v[26:27]
	s_cbranch_vccnz .LBB234_42
; %bb.41:
	v_add_co_u32 v30, vcc_lo, v77, v28
	v_add_co_ci_u32_e64 v31, null, v78, v29, vcc_lo
	flat_load_ushort v30, v[30:31]
	s_waitcnt vmcnt(0) lgkmcnt(0)
	v_mul_f16_e32 v30, v42, v30
	s_branch .LBB234_43
.LBB234_42:
	v_mov_b32_e32 v30, 0
.LBB234_43:
	v_pk_max_f16 v31, v22, v22
	v_pk_max_f16 v32, v20, v20
	v_pk_max_f16 v33, v23, v23
	v_pk_max_f16 v34, v21, v21
	v_add_co_u32 v28, vcc_lo, v75, v28
	v_pk_min_f16 v31, v32, v31
	v_add_co_ci_u32_e64 v29, null, v76, v29, vcc_lo
	v_pk_min_f16 v32, v34, v33
	v_pk_add_f16 v31, v73, v31
	v_pk_add_f16 v31, v31, v32
	v_add_f16_sdwa v31, v31, v31 dst_sel:DWORD dst_unused:UNUSED_PAD src0_sel:DWORD src1_sel:WORD_1
	v_add_f16_e32 v30, v31, v30
	flat_store_short v[28:29], v30
.LBB234_44:
	s_or_b32 exec_lo, exec_lo, s2
	v_add_nc_u32_e32 v28, 16, v0
	v_cmp_gt_i32_e64 s2, s12, v28
	v_ashrrev_i32_e32 v29, 31, v28
	s_and_b32 s4, s2, s8
	s_and_saveexec_b32 s3, s4
	s_cbranch_execz .LBB234_49
; %bb.45:
	v_cmp_ne_u32_e32 vcc_lo, 1, v60
	v_lshlrev_b64 v[30:31], 1, v[28:29]
	s_cbranch_vccnz .LBB234_47
; %bb.46:
	v_add_co_u32 v32, vcc_lo, v77, v30
	v_add_co_ci_u32_e64 v33, null, v78, v31, vcc_lo
	flat_load_ushort v32, v[32:33]
	s_waitcnt vmcnt(0) lgkmcnt(0)
	v_mul_f16_e32 v32, v42, v32
	s_branch .LBB234_48
.LBB234_47:
	v_mov_b32_e32 v32, 0
.LBB234_48:
	v_pk_max_f16 v33, v22, v22
	v_pk_max_f16 v34, v14, v14
	v_pk_max_f16 v35, v23, v23
	v_pk_max_f16 v36, v15, v15
	v_add_co_u32 v30, vcc_lo, v75, v30
	v_pk_min_f16 v33, v34, v33
	v_add_co_ci_u32_e64 v31, null, v76, v31, vcc_lo
	v_pk_min_f16 v34, v36, v35
	v_pk_add_f16 v33, v72, v33
	v_pk_add_f16 v33, v33, v34
	v_add_f16_sdwa v33, v33, v33 dst_sel:DWORD dst_unused:UNUSED_PAD src0_sel:DWORD src1_sel:WORD_1
	v_add_f16_e32 v32, v33, v32
	flat_store_short v[30:31], v32
.LBB234_49:
	;; [unrolled: 35-line block ×6, first 2 shown]
	s_or_b32 exec_lo, exec_lo, s7
	v_add_nc_u32_e32 v38, 56, v0
	v_cmp_gt_i32_e64 s7, s12, v38
	v_ashrrev_i32_e32 v39, 31, v38
	s_and_b32 s12, s7, s8
	s_and_saveexec_b32 s8, s12
	s_cbranch_execz .LBB234_74
; %bb.70:
	v_cmp_ne_u32_e32 vcc_lo, 1, v60
	v_lshlrev_b64 v[40:41], 1, v[38:39]
	s_cbranch_vccnz .LBB234_72
; %bb.71:
	v_add_co_u32 v70, vcc_lo, v77, v40
	v_add_co_ci_u32_e64 v71, null, v78, v41, vcc_lo
	flat_load_ushort v70, v[70:71]
	s_waitcnt vmcnt(0) lgkmcnt(0)
	v_mul_f16_e32 v70, v42, v70
	s_branch .LBB234_73
.LBB234_72:
	v_mov_b32_e32 v70, 0
.LBB234_73:
	v_pk_max_f16 v22, v22, v22
	v_pk_max_f16 v71, v8, v8
	;; [unrolled: 1-line block ×4, first 2 shown]
	v_pk_min_f16 v22, v71, v22
	v_pk_min_f16 v23, v72, v23
	v_pk_add_f16 v22, v69, v22
	v_pk_add_f16 v22, v22, v23
	v_add_f16_sdwa v22, v22, v22 dst_sel:DWORD dst_unused:UNUSED_PAD src0_sel:DWORD src1_sel:WORD_1
	v_add_f16_e32 v69, v22, v70
	v_add_co_u32 v22, vcc_lo, v75, v40
	v_add_co_ci_u32_e64 v23, null, v76, v41, vcc_lo
	flat_store_short v[22:23], v69
.LBB234_74:
	s_or_b32 exec_lo, exec_lo, s8
	v_add_nc_u32_e32 v69, 32, v68
	v_mad_i64_i32 v[22:23], null, v69, s10, 0
	v_mad_i64_i32 v[40:41], null, v69, s9, 0
	v_cmp_gt_i32_e64 s8, s13, v69
	v_lshlrev_b64 v[22:23], 1, v[22:23]
	s_and_b32 s15, s1, s8
	v_lshlrev_b64 v[40:41], 1, v[40:41]
	v_add_co_u32 v69, vcc_lo, s16, v22
	v_add_co_ci_u32_e64 v70, null, s17, v23, vcc_lo
	v_add_co_u32 v40, vcc_lo, s11, v40
	v_add_co_ci_u32_e64 v41, null, s14, v41, vcc_lo
	s_and_saveexec_b32 s12, s15
	s_cbranch_execnz .LBB234_82
; %bb.75:
	s_or_b32 exec_lo, exec_lo, s12
	s_and_b32 s15, s0, s8
	s_and_saveexec_b32 s12, s15
	s_cbranch_execnz .LBB234_86
.LBB234_76:
	s_or_b32 exec_lo, exec_lo, s12
	s_and_b32 s15, s2, s8
	s_and_saveexec_b32 s12, s15
	s_cbranch_execnz .LBB234_90
.LBB234_77:
	s_or_b32 exec_lo, exec_lo, s12
	s_and_b32 s15, s3, s8
	s_and_saveexec_b32 s12, s15
	s_cbranch_execnz .LBB234_94
.LBB234_78:
	s_or_b32 exec_lo, exec_lo, s12
	s_and_b32 s15, s4, s8
	s_and_saveexec_b32 s12, s15
	s_cbranch_execnz .LBB234_98
.LBB234_79:
	s_or_b32 exec_lo, exec_lo, s12
	s_and_b32 s15, s5, s8
	s_and_saveexec_b32 s12, s15
	s_cbranch_execnz .LBB234_102
.LBB234_80:
	s_or_b32 exec_lo, exec_lo, s12
	s_and_b32 s15, s6, s8
	s_and_saveexec_b32 s12, s15
	s_cbranch_execnz .LBB234_106
.LBB234_81:
	s_or_b32 exec_lo, exec_lo, s12
	s_and_b32 s12, s7, s8
	s_and_saveexec_b32 s8, s12
	s_cbranch_execnz .LBB234_110
	s_branch .LBB234_114
.LBB234_82:
	v_cmp_ne_u32_e32 vcc_lo, 1, v60
	v_lshlrev_b64 v[22:23], 1, v[0:1]
	s_cbranch_vccnz .LBB234_84
; %bb.83:
	v_add_co_u32 v71, vcc_lo, v69, v22
	v_add_co_ci_u32_e64 v72, null, v70, v23, vcc_lo
	flat_load_ushort v71, v[71:72]
	s_waitcnt vmcnt(0) lgkmcnt(0)
	v_mul_f16_e32 v71, v42, v71
	s_branch .LBB234_85
.LBB234_84:
	v_mov_b32_e32 v71, 0
.LBB234_85:
	v_pk_max_f16 v72, v24, v24
	v_pk_max_f16 v73, v18, v18
	;; [unrolled: 1-line block ×4, first 2 shown]
	v_add_co_u32 v22, vcc_lo, v40, v22
	v_pk_min_f16 v72, v73, v72
	v_add_co_ci_u32_e64 v23, null, v41, v23, vcc_lo
	v_pk_min_f16 v73, v75, v74
	v_pk_add_f16 v67, v67, v72
	v_pk_add_f16 v67, v67, v73
	v_add_f16_sdwa v67, v67, v67 dst_sel:DWORD dst_unused:UNUSED_PAD src0_sel:DWORD src1_sel:WORD_1
	v_add_f16_e32 v67, v67, v71
	flat_store_short v[22:23], v67
	s_or_b32 exec_lo, exec_lo, s12
	s_and_b32 s15, s0, s8
	s_and_saveexec_b32 s12, s15
	s_cbranch_execz .LBB234_76
.LBB234_86:
	v_cmp_ne_u32_e32 vcc_lo, 1, v60
	v_lshlrev_b64 v[22:23], 1, v[26:27]
	s_cbranch_vccnz .LBB234_88
; %bb.87:
	v_add_co_u32 v71, vcc_lo, v69, v22
	v_add_co_ci_u32_e64 v72, null, v70, v23, vcc_lo
	flat_load_ushort v67, v[71:72]
	s_waitcnt vmcnt(0) lgkmcnt(0)
	v_mul_f16_e32 v67, v42, v67
	s_branch .LBB234_89
.LBB234_88:
	v_mov_b32_e32 v67, 0
.LBB234_89:
	v_pk_max_f16 v71, v24, v24
	v_pk_max_f16 v72, v20, v20
	;; [unrolled: 1-line block ×4, first 2 shown]
	v_add_co_u32 v22, vcc_lo, v40, v22
	v_pk_min_f16 v71, v72, v71
	v_add_co_ci_u32_e64 v23, null, v41, v23, vcc_lo
	v_pk_min_f16 v72, v74, v73
	v_pk_add_f16 v66, v66, v71
	v_pk_add_f16 v66, v66, v72
	v_add_f16_sdwa v66, v66, v66 dst_sel:DWORD dst_unused:UNUSED_PAD src0_sel:DWORD src1_sel:WORD_1
	v_add_f16_e32 v66, v66, v67
	flat_store_short v[22:23], v66
	s_or_b32 exec_lo, exec_lo, s12
	s_and_b32 s15, s2, s8
	s_and_saveexec_b32 s12, s15
	s_cbranch_execz .LBB234_77
.LBB234_90:
	v_cmp_ne_u32_e32 vcc_lo, 1, v60
	v_lshlrev_b64 v[22:23], 1, v[28:29]
	s_cbranch_vccnz .LBB234_92
; %bb.91:
	v_add_co_u32 v66, vcc_lo, v69, v22
	v_add_co_ci_u32_e64 v67, null, v70, v23, vcc_lo
	flat_load_ushort v66, v[66:67]
	s_waitcnt vmcnt(0) lgkmcnt(0)
	v_mul_f16_e32 v66, v42, v66
	s_branch .LBB234_93
.LBB234_92:
	v_mov_b32_e32 v66, 0
.LBB234_93:
	v_pk_max_f16 v67, v24, v24
	v_pk_max_f16 v71, v14, v14
	;; [unrolled: 1-line block ×4, first 2 shown]
	v_add_co_u32 v22, vcc_lo, v40, v22
	v_pk_min_f16 v67, v71, v67
	v_add_co_ci_u32_e64 v23, null, v41, v23, vcc_lo
	v_pk_min_f16 v71, v73, v72
	v_pk_add_f16 v65, v65, v67
	v_pk_add_f16 v65, v65, v71
	v_add_f16_sdwa v65, v65, v65 dst_sel:DWORD dst_unused:UNUSED_PAD src0_sel:DWORD src1_sel:WORD_1
	v_add_f16_e32 v65, v65, v66
	flat_store_short v[22:23], v65
	s_or_b32 exec_lo, exec_lo, s12
	s_and_b32 s15, s3, s8
	s_and_saveexec_b32 s12, s15
	s_cbranch_execz .LBB234_78
.LBB234_94:
	v_cmp_ne_u32_e32 vcc_lo, 1, v60
	v_lshlrev_b64 v[22:23], 1, v[30:31]
	s_cbranch_vccnz .LBB234_96
; %bb.95:
	v_add_co_u32 v65, vcc_lo, v69, v22
	v_add_co_ci_u32_e64 v66, null, v70, v23, vcc_lo
	flat_load_ushort v65, v[65:66]
	s_waitcnt vmcnt(0) lgkmcnt(0)
	v_mul_f16_e32 v65, v42, v65
	s_branch .LBB234_97
.LBB234_96:
	v_mov_b32_e32 v65, 0
.LBB234_97:
	v_pk_max_f16 v66, v24, v24
	v_pk_max_f16 v67, v16, v16
	;; [unrolled: 1-line block ×4, first 2 shown]
	v_add_co_u32 v22, vcc_lo, v40, v22
	v_pk_min_f16 v66, v67, v66
	v_add_co_ci_u32_e64 v23, null, v41, v23, vcc_lo
	v_pk_min_f16 v67, v72, v71
	v_pk_add_f16 v64, v64, v66
	v_pk_add_f16 v64, v64, v67
	v_add_f16_sdwa v64, v64, v64 dst_sel:DWORD dst_unused:UNUSED_PAD src0_sel:DWORD src1_sel:WORD_1
	v_add_f16_e32 v64, v64, v65
	flat_store_short v[22:23], v64
	s_or_b32 exec_lo, exec_lo, s12
	s_and_b32 s15, s4, s8
	s_and_saveexec_b32 s12, s15
	s_cbranch_execz .LBB234_79
.LBB234_98:
	v_cmp_ne_u32_e32 vcc_lo, 1, v60
	v_lshlrev_b64 v[22:23], 1, v[32:33]
	s_cbranch_vccnz .LBB234_100
; %bb.99:
	v_add_co_u32 v64, vcc_lo, v69, v22
	v_add_co_ci_u32_e64 v65, null, v70, v23, vcc_lo
	flat_load_ushort v64, v[64:65]
	s_waitcnt vmcnt(0) lgkmcnt(0)
	v_mul_f16_e32 v64, v42, v64
	s_branch .LBB234_101
.LBB234_100:
	v_mov_b32_e32 v64, 0
.LBB234_101:
	v_pk_max_f16 v65, v24, v24
	v_pk_max_f16 v66, v10, v10
	;; [unrolled: 1-line block ×4, first 2 shown]
	v_add_co_u32 v22, vcc_lo, v40, v22
	v_pk_min_f16 v65, v66, v65
	v_add_co_ci_u32_e64 v23, null, v41, v23, vcc_lo
	v_pk_min_f16 v66, v71, v67
	v_pk_add_f16 v63, v63, v65
	v_pk_add_f16 v63, v63, v66
	v_add_f16_sdwa v63, v63, v63 dst_sel:DWORD dst_unused:UNUSED_PAD src0_sel:DWORD src1_sel:WORD_1
	v_add_f16_e32 v63, v63, v64
	flat_store_short v[22:23], v63
	s_or_b32 exec_lo, exec_lo, s12
	s_and_b32 s15, s5, s8
	s_and_saveexec_b32 s12, s15
	s_cbranch_execz .LBB234_80
.LBB234_102:
	v_cmp_ne_u32_e32 vcc_lo, 1, v60
	v_lshlrev_b64 v[22:23], 1, v[34:35]
	s_cbranch_vccnz .LBB234_104
; %bb.103:
	v_add_co_u32 v63, vcc_lo, v69, v22
	v_add_co_ci_u32_e64 v64, null, v70, v23, vcc_lo
	flat_load_ushort v63, v[63:64]
	s_waitcnt vmcnt(0) lgkmcnt(0)
	v_mul_f16_e32 v63, v42, v63
	s_branch .LBB234_105
.LBB234_104:
	v_mov_b32_e32 v63, 0
.LBB234_105:
	v_pk_max_f16 v64, v24, v24
	v_pk_max_f16 v65, v12, v12
	;; [unrolled: 1-line block ×4, first 2 shown]
	v_add_co_u32 v22, vcc_lo, v40, v22
	v_pk_min_f16 v64, v65, v64
	v_add_co_ci_u32_e64 v23, null, v41, v23, vcc_lo
	v_pk_min_f16 v65, v67, v66
	v_pk_add_f16 v62, v62, v64
	v_pk_add_f16 v62, v62, v65
	v_add_f16_sdwa v62, v62, v62 dst_sel:DWORD dst_unused:UNUSED_PAD src0_sel:DWORD src1_sel:WORD_1
	v_add_f16_e32 v62, v62, v63
	flat_store_short v[22:23], v62
	s_or_b32 exec_lo, exec_lo, s12
	s_and_b32 s15, s6, s8
	s_and_saveexec_b32 s12, s15
	s_cbranch_execz .LBB234_81
.LBB234_106:
	v_cmp_ne_u32_e32 vcc_lo, 1, v60
	v_lshlrev_b64 v[22:23], 1, v[36:37]
	s_cbranch_vccnz .LBB234_108
; %bb.107:
	v_add_co_u32 v62, vcc_lo, v69, v22
	v_add_co_ci_u32_e64 v63, null, v70, v23, vcc_lo
	flat_load_ushort v62, v[62:63]
	s_waitcnt vmcnt(0) lgkmcnt(0)
	v_mul_f16_e32 v62, v42, v62
	s_branch .LBB234_109
.LBB234_108:
	v_mov_b32_e32 v62, 0
.LBB234_109:
	v_pk_max_f16 v63, v24, v24
	v_pk_max_f16 v64, v6, v6
	;; [unrolled: 1-line block ×4, first 2 shown]
	v_add_co_u32 v22, vcc_lo, v40, v22
	v_pk_min_f16 v63, v64, v63
	v_add_co_ci_u32_e64 v23, null, v41, v23, vcc_lo
	v_pk_min_f16 v64, v66, v65
	v_pk_add_f16 v61, v61, v63
	v_pk_add_f16 v61, v61, v64
	v_add_f16_sdwa v61, v61, v61 dst_sel:DWORD dst_unused:UNUSED_PAD src0_sel:DWORD src1_sel:WORD_1
	v_add_f16_e32 v61, v61, v62
	flat_store_short v[22:23], v61
	s_or_b32 exec_lo, exec_lo, s12
	s_and_b32 s12, s7, s8
	s_and_saveexec_b32 s8, s12
	s_cbranch_execz .LBB234_114
.LBB234_110:
	v_cmp_ne_u32_e32 vcc_lo, 1, v60
	v_lshlrev_b64 v[22:23], 1, v[38:39]
	s_cbranch_vccnz .LBB234_112
; %bb.111:
	v_add_co_u32 v61, vcc_lo, v69, v22
	v_add_co_ci_u32_e64 v62, null, v70, v23, vcc_lo
	flat_load_ushort v61, v[61:62]
	s_waitcnt vmcnt(0) lgkmcnt(0)
	v_mul_f16_e32 v61, v42, v61
	s_branch .LBB234_113
.LBB234_112:
	v_mov_b32_e32 v61, 0
.LBB234_113:
	v_pk_max_f16 v24, v24, v24
	v_pk_max_f16 v62, v8, v8
	;; [unrolled: 1-line block ×4, first 2 shown]
	v_add_co_u32 v22, vcc_lo, v40, v22
	v_pk_min_f16 v24, v62, v24
	v_add_co_ci_u32_e64 v23, null, v41, v23, vcc_lo
	v_pk_min_f16 v25, v63, v25
	v_pk_add_f16 v24, v59, v24
	v_pk_add_f16 v24, v24, v25
	v_add_f16_sdwa v24, v24, v24 dst_sel:DWORD dst_unused:UNUSED_PAD src0_sel:DWORD src1_sel:WORD_1
	v_add_f16_e32 v24, v24, v61
	flat_store_short v[22:23], v24
.LBB234_114:
	s_or_b32 exec_lo, exec_lo, s8
	v_add_nc_u32_e32 v40, 64, v68
	v_mad_i64_i32 v[22:23], null, v40, s10, 0
	v_mad_i64_i32 v[24:25], null, v40, s9, 0
	v_cmp_gt_i32_e64 s8, s13, v40
	v_lshlrev_b64 v[22:23], 1, v[22:23]
	s_and_b32 s15, s1, s8
	v_lshlrev_b64 v[24:25], 1, v[24:25]
	v_add_co_u32 v40, vcc_lo, s16, v22
	v_add_co_ci_u32_e64 v41, null, s17, v23, vcc_lo
	v_add_co_u32 v24, vcc_lo, s11, v24
	v_add_co_ci_u32_e64 v25, null, s14, v25, vcc_lo
	s_and_saveexec_b32 s12, s15
	s_cbranch_execnz .LBB234_122
; %bb.115:
	s_or_b32 exec_lo, exec_lo, s12
	s_and_b32 s15, s0, s8
	s_and_saveexec_b32 s12, s15
	s_cbranch_execnz .LBB234_126
.LBB234_116:
	s_or_b32 exec_lo, exec_lo, s12
	s_and_b32 s15, s2, s8
	s_and_saveexec_b32 s12, s15
	s_cbranch_execnz .LBB234_130
.LBB234_117:
	s_or_b32 exec_lo, exec_lo, s12
	s_and_b32 s15, s3, s8
	s_and_saveexec_b32 s12, s15
	s_cbranch_execnz .LBB234_134
.LBB234_118:
	s_or_b32 exec_lo, exec_lo, s12
	s_and_b32 s15, s4, s8
	s_and_saveexec_b32 s12, s15
	s_cbranch_execnz .LBB234_138
.LBB234_119:
	s_or_b32 exec_lo, exec_lo, s12
	s_and_b32 s15, s5, s8
	s_and_saveexec_b32 s12, s15
	s_cbranch_execnz .LBB234_142
.LBB234_120:
	s_or_b32 exec_lo, exec_lo, s12
	s_and_b32 s15, s6, s8
	s_and_saveexec_b32 s12, s15
	s_cbranch_execnz .LBB234_146
.LBB234_121:
	s_or_b32 exec_lo, exec_lo, s12
	s_and_b32 s12, s7, s8
	s_and_saveexec_b32 s8, s12
	s_cbranch_execnz .LBB234_150
	s_branch .LBB234_154
.LBB234_122:
	v_cmp_ne_u32_e32 vcc_lo, 1, v60
	v_lshlrev_b64 v[22:23], 1, v[0:1]
	s_cbranch_vccnz .LBB234_124
; %bb.123:
	v_add_co_u32 v61, vcc_lo, v40, v22
	v_add_co_ci_u32_e64 v62, null, v41, v23, vcc_lo
	flat_load_ushort v59, v[61:62]
	s_waitcnt vmcnt(0) lgkmcnt(0)
	v_mul_f16_e32 v59, v42, v59
	s_branch .LBB234_125
.LBB234_124:
	v_mov_b32_e32 v59, 0
.LBB234_125:
	v_pk_max_f16 v61, v2, v2
	v_pk_max_f16 v62, v18, v18
	;; [unrolled: 1-line block ×4, first 2 shown]
	v_add_co_u32 v22, vcc_lo, v24, v22
	v_pk_min_f16 v61, v62, v61
	v_add_co_ci_u32_e64 v23, null, v25, v23, vcc_lo
	v_pk_min_f16 v62, v64, v63
	v_pk_add_f16 v58, v58, v61
	v_pk_add_f16 v58, v58, v62
	v_add_f16_sdwa v58, v58, v58 dst_sel:DWORD dst_unused:UNUSED_PAD src0_sel:DWORD src1_sel:WORD_1
	v_add_f16_e32 v58, v58, v59
	flat_store_short v[22:23], v58
	s_or_b32 exec_lo, exec_lo, s12
	s_and_b32 s15, s0, s8
	s_and_saveexec_b32 s12, s15
	s_cbranch_execz .LBB234_116
.LBB234_126:
	v_cmp_ne_u32_e32 vcc_lo, 1, v60
	v_lshlrev_b64 v[22:23], 1, v[26:27]
	s_cbranch_vccnz .LBB234_128
; %bb.127:
	v_add_co_u32 v58, vcc_lo, v40, v22
	v_add_co_ci_u32_e64 v59, null, v41, v23, vcc_lo
	flat_load_ushort v58, v[58:59]
	s_waitcnt vmcnt(0) lgkmcnt(0)
	v_mul_f16_e32 v58, v42, v58
	s_branch .LBB234_129
.LBB234_128:
	v_mov_b32_e32 v58, 0
.LBB234_129:
	v_pk_max_f16 v59, v2, v2
	v_pk_max_f16 v61, v20, v20
	v_pk_max_f16 v62, v3, v3
	v_pk_max_f16 v63, v21, v21
	v_add_co_u32 v22, vcc_lo, v24, v22
	v_pk_min_f16 v59, v61, v59
	v_add_co_ci_u32_e64 v23, null, v25, v23, vcc_lo
	v_pk_min_f16 v61, v63, v62
	v_pk_add_f16 v57, v57, v59
	v_pk_add_f16 v57, v57, v61
	v_add_f16_sdwa v57, v57, v57 dst_sel:DWORD dst_unused:UNUSED_PAD src0_sel:DWORD src1_sel:WORD_1
	v_add_f16_e32 v57, v57, v58
	flat_store_short v[22:23], v57
	s_or_b32 exec_lo, exec_lo, s12
	s_and_b32 s15, s2, s8
	s_and_saveexec_b32 s12, s15
	s_cbranch_execz .LBB234_117
.LBB234_130:
	v_cmp_ne_u32_e32 vcc_lo, 1, v60
	v_lshlrev_b64 v[22:23], 1, v[28:29]
	s_cbranch_vccnz .LBB234_132
; %bb.131:
	v_add_co_u32 v57, vcc_lo, v40, v22
	v_add_co_ci_u32_e64 v58, null, v41, v23, vcc_lo
	flat_load_ushort v57, v[57:58]
	s_waitcnt vmcnt(0) lgkmcnt(0)
	v_mul_f16_e32 v57, v42, v57
	s_branch .LBB234_133
.LBB234_132:
	v_mov_b32_e32 v57, 0
.LBB234_133:
	v_pk_max_f16 v58, v2, v2
	v_pk_max_f16 v59, v14, v14
	;; [unrolled: 1-line block ×4, first 2 shown]
	v_add_co_u32 v22, vcc_lo, v24, v22
	v_pk_min_f16 v58, v59, v58
	v_add_co_ci_u32_e64 v23, null, v25, v23, vcc_lo
	v_pk_min_f16 v59, v62, v61
	v_pk_add_f16 v56, v56, v58
	v_pk_add_f16 v56, v56, v59
	v_add_f16_sdwa v56, v56, v56 dst_sel:DWORD dst_unused:UNUSED_PAD src0_sel:DWORD src1_sel:WORD_1
	v_add_f16_e32 v56, v56, v57
	flat_store_short v[22:23], v56
	s_or_b32 exec_lo, exec_lo, s12
	s_and_b32 s15, s3, s8
	s_and_saveexec_b32 s12, s15
	s_cbranch_execz .LBB234_118
.LBB234_134:
	v_cmp_ne_u32_e32 vcc_lo, 1, v60
	v_lshlrev_b64 v[22:23], 1, v[30:31]
	s_cbranch_vccnz .LBB234_136
; %bb.135:
	v_add_co_u32 v56, vcc_lo, v40, v22
	v_add_co_ci_u32_e64 v57, null, v41, v23, vcc_lo
	flat_load_ushort v56, v[56:57]
	s_waitcnt vmcnt(0) lgkmcnt(0)
	v_mul_f16_e32 v56, v42, v56
	s_branch .LBB234_137
.LBB234_136:
	v_mov_b32_e32 v56, 0
.LBB234_137:
	v_pk_max_f16 v57, v2, v2
	v_pk_max_f16 v58, v16, v16
	;; [unrolled: 1-line block ×4, first 2 shown]
	v_add_co_u32 v22, vcc_lo, v24, v22
	v_pk_min_f16 v57, v58, v57
	v_add_co_ci_u32_e64 v23, null, v25, v23, vcc_lo
	v_pk_min_f16 v58, v61, v59
	v_pk_add_f16 v55, v55, v57
	v_pk_add_f16 v55, v55, v58
	v_add_f16_sdwa v55, v55, v55 dst_sel:DWORD dst_unused:UNUSED_PAD src0_sel:DWORD src1_sel:WORD_1
	v_add_f16_e32 v55, v55, v56
	flat_store_short v[22:23], v55
	s_or_b32 exec_lo, exec_lo, s12
	s_and_b32 s15, s4, s8
	s_and_saveexec_b32 s12, s15
	s_cbranch_execz .LBB234_119
.LBB234_138:
	v_cmp_ne_u32_e32 vcc_lo, 1, v60
	v_lshlrev_b64 v[22:23], 1, v[32:33]
	s_cbranch_vccnz .LBB234_140
; %bb.139:
	v_add_co_u32 v55, vcc_lo, v40, v22
	v_add_co_ci_u32_e64 v56, null, v41, v23, vcc_lo
	flat_load_ushort v55, v[55:56]
	s_waitcnt vmcnt(0) lgkmcnt(0)
	v_mul_f16_e32 v55, v42, v55
	s_branch .LBB234_141
.LBB234_140:
	v_mov_b32_e32 v55, 0
.LBB234_141:
	v_pk_max_f16 v56, v2, v2
	v_pk_max_f16 v57, v10, v10
	;; [unrolled: 1-line block ×4, first 2 shown]
	v_add_co_u32 v22, vcc_lo, v24, v22
	v_pk_min_f16 v56, v57, v56
	v_add_co_ci_u32_e64 v23, null, v25, v23, vcc_lo
	v_pk_min_f16 v57, v59, v58
	v_pk_add_f16 v54, v54, v56
	v_pk_add_f16 v54, v54, v57
	v_add_f16_sdwa v54, v54, v54 dst_sel:DWORD dst_unused:UNUSED_PAD src0_sel:DWORD src1_sel:WORD_1
	v_add_f16_e32 v54, v54, v55
	flat_store_short v[22:23], v54
	s_or_b32 exec_lo, exec_lo, s12
	s_and_b32 s15, s5, s8
	s_and_saveexec_b32 s12, s15
	s_cbranch_execz .LBB234_120
.LBB234_142:
	v_cmp_ne_u32_e32 vcc_lo, 1, v60
	v_lshlrev_b64 v[22:23], 1, v[34:35]
	s_cbranch_vccnz .LBB234_144
; %bb.143:
	v_add_co_u32 v54, vcc_lo, v40, v22
	v_add_co_ci_u32_e64 v55, null, v41, v23, vcc_lo
	flat_load_ushort v54, v[54:55]
	s_waitcnt vmcnt(0) lgkmcnt(0)
	v_mul_f16_e32 v54, v42, v54
	s_branch .LBB234_145
.LBB234_144:
	v_mov_b32_e32 v54, 0
.LBB234_145:
	v_pk_max_f16 v55, v2, v2
	v_pk_max_f16 v56, v12, v12
	;; [unrolled: 1-line block ×4, first 2 shown]
	v_add_co_u32 v22, vcc_lo, v24, v22
	v_pk_min_f16 v55, v56, v55
	v_add_co_ci_u32_e64 v23, null, v25, v23, vcc_lo
	v_pk_min_f16 v56, v58, v57
	v_pk_add_f16 v53, v53, v55
	v_pk_add_f16 v53, v53, v56
	v_add_f16_sdwa v53, v53, v53 dst_sel:DWORD dst_unused:UNUSED_PAD src0_sel:DWORD src1_sel:WORD_1
	v_add_f16_e32 v53, v53, v54
	flat_store_short v[22:23], v53
	s_or_b32 exec_lo, exec_lo, s12
	s_and_b32 s15, s6, s8
	s_and_saveexec_b32 s12, s15
	s_cbranch_execz .LBB234_121
.LBB234_146:
	v_cmp_ne_u32_e32 vcc_lo, 1, v60
	v_lshlrev_b64 v[22:23], 1, v[36:37]
	s_cbranch_vccnz .LBB234_148
; %bb.147:
	v_add_co_u32 v53, vcc_lo, v40, v22
	v_add_co_ci_u32_e64 v54, null, v41, v23, vcc_lo
	flat_load_ushort v53, v[53:54]
	s_waitcnt vmcnt(0) lgkmcnt(0)
	v_mul_f16_e32 v53, v42, v53
	s_branch .LBB234_149
.LBB234_148:
	v_mov_b32_e32 v53, 0
.LBB234_149:
	v_pk_max_f16 v54, v2, v2
	v_pk_max_f16 v55, v6, v6
	;; [unrolled: 1-line block ×4, first 2 shown]
	v_add_co_u32 v22, vcc_lo, v24, v22
	v_pk_min_f16 v54, v55, v54
	v_add_co_ci_u32_e64 v23, null, v25, v23, vcc_lo
	v_pk_min_f16 v55, v57, v56
	v_pk_add_f16 v52, v52, v54
	v_pk_add_f16 v52, v52, v55
	v_add_f16_sdwa v52, v52, v52 dst_sel:DWORD dst_unused:UNUSED_PAD src0_sel:DWORD src1_sel:WORD_1
	v_add_f16_e32 v52, v52, v53
	flat_store_short v[22:23], v52
	s_or_b32 exec_lo, exec_lo, s12
	s_and_b32 s12, s7, s8
	s_and_saveexec_b32 s8, s12
	s_cbranch_execz .LBB234_154
.LBB234_150:
	v_cmp_ne_u32_e32 vcc_lo, 1, v60
	v_lshlrev_b64 v[22:23], 1, v[38:39]
	s_cbranch_vccnz .LBB234_152
; %bb.151:
	v_add_co_u32 v40, vcc_lo, v40, v22
	v_add_co_ci_u32_e64 v41, null, v41, v23, vcc_lo
	flat_load_ushort v40, v[40:41]
	s_waitcnt vmcnt(0) lgkmcnt(0)
	v_mul_f16_e32 v40, v42, v40
	s_branch .LBB234_153
.LBB234_152:
	v_mov_b32_e32 v40, 0
.LBB234_153:
	v_pk_max_f16 v2, v2, v2
	v_pk_max_f16 v41, v8, v8
	;; [unrolled: 1-line block ×4, first 2 shown]
	v_pk_min_f16 v2, v41, v2
	v_pk_min_f16 v3, v52, v3
	v_pk_add_f16 v2, v51, v2
	v_pk_add_f16 v2, v2, v3
	v_add_f16_sdwa v2, v2, v2 dst_sel:DWORD dst_unused:UNUSED_PAD src0_sel:DWORD src1_sel:WORD_1
	v_add_f16_e32 v40, v2, v40
	v_add_co_u32 v2, vcc_lo, v24, v22
	v_add_co_ci_u32_e64 v3, null, v25, v23, vcc_lo
	flat_store_short v[2:3], v40
.LBB234_154:
	s_or_b32 exec_lo, exec_lo, s8
	v_add_nc_u32_e32 v24, 0x60, v68
	v_mad_i64_i32 v[2:3], null, v24, s10, 0
	v_mad_i64_i32 v[22:23], null, v24, s9, 0
	v_cmp_gt_i32_e64 s8, s13, v24
	v_lshlrev_b64 v[2:3], 1, v[2:3]
	s_and_b32 s9, s1, s8
	v_lshlrev_b64 v[24:25], 1, v[22:23]
	v_add_co_u32 v22, vcc_lo, s16, v2
	v_add_co_ci_u32_e64 v23, null, s17, v3, vcc_lo
	v_add_co_u32 v2, vcc_lo, s11, v24
	v_add_co_ci_u32_e64 v3, null, s14, v25, vcc_lo
	s_and_saveexec_b32 s1, s9
	s_cbranch_execnz .LBB234_163
; %bb.155:
	s_or_b32 exec_lo, exec_lo, s1
	s_and_b32 s1, s0, s8
	s_and_saveexec_b32 s0, s1
	s_cbranch_execnz .LBB234_167
.LBB234_156:
	s_or_b32 exec_lo, exec_lo, s0
	s_and_b32 s1, s2, s8
	s_and_saveexec_b32 s0, s1
	s_cbranch_execnz .LBB234_171
.LBB234_157:
	s_or_b32 exec_lo, exec_lo, s0
	s_and_b32 s1, s3, s8
	s_and_saveexec_b32 s0, s1
	s_cbranch_execnz .LBB234_175
.LBB234_158:
	s_or_b32 exec_lo, exec_lo, s0
	s_and_b32 s1, s4, s8
	s_and_saveexec_b32 s0, s1
	s_cbranch_execnz .LBB234_179
.LBB234_159:
	s_or_b32 exec_lo, exec_lo, s0
	s_and_b32 s1, s5, s8
	s_and_saveexec_b32 s0, s1
	s_cbranch_execnz .LBB234_183
.LBB234_160:
	s_or_b32 exec_lo, exec_lo, s0
	s_and_b32 s1, s6, s8
	s_and_saveexec_b32 s0, s1
	s_cbranch_execnz .LBB234_187
.LBB234_161:
	s_or_b32 exec_lo, exec_lo, s0
	s_and_b32 s0, s7, s8
	s_and_saveexec_b32 s1, s0
	s_cbranch_execnz .LBB234_191
.LBB234_162:
	s_endpgm
.LBB234_163:
	v_cmp_ne_u32_e32 vcc_lo, 1, v60
	v_lshlrev_b64 v[0:1], 1, v[0:1]
	s_cbranch_vccnz .LBB234_165
; %bb.164:
	v_add_co_u32 v24, vcc_lo, v22, v0
	v_add_co_ci_u32_e64 v25, null, v23, v1, vcc_lo
	flat_load_ushort v24, v[24:25]
	s_waitcnt vmcnt(0) lgkmcnt(0)
	v_mul_f16_e32 v24, v42, v24
	s_branch .LBB234_166
.LBB234_165:
	v_mov_b32_e32 v24, 0
.LBB234_166:
	v_pk_max_f16 v25, v4, v4
	v_pk_max_f16 v18, v18, v18
	;; [unrolled: 1-line block ×4, first 2 shown]
	v_add_co_u32 v0, vcc_lo, v2, v0
	v_pk_min_f16 v18, v18, v25
	v_add_co_ci_u32_e64 v1, null, v3, v1, vcc_lo
	v_pk_min_f16 v19, v19, v40
	v_pk_add_f16 v18, v50, v18
	v_pk_add_f16 v18, v18, v19
	v_add_f16_sdwa v18, v18, v18 dst_sel:DWORD dst_unused:UNUSED_PAD src0_sel:DWORD src1_sel:WORD_1
	v_add_f16_e32 v18, v18, v24
	flat_store_short v[0:1], v18
	s_or_b32 exec_lo, exec_lo, s1
	s_and_b32 s1, s0, s8
	s_and_saveexec_b32 s0, s1
	s_cbranch_execz .LBB234_156
.LBB234_167:
	v_cmp_ne_u32_e32 vcc_lo, 1, v60
	v_lshlrev_b64 v[0:1], 1, v[26:27]
	s_cbranch_vccnz .LBB234_169
; %bb.168:
	v_add_co_u32 v18, vcc_lo, v22, v0
	v_add_co_ci_u32_e64 v19, null, v23, v1, vcc_lo
	flat_load_ushort v18, v[18:19]
	s_waitcnt vmcnt(0) lgkmcnt(0)
	v_mul_f16_e32 v18, v42, v18
	s_branch .LBB234_170
.LBB234_169:
	v_mov_b32_e32 v18, 0
.LBB234_170:
	v_pk_max_f16 v19, v4, v4
	v_pk_max_f16 v20, v20, v20
	;; [unrolled: 1-line block ×4, first 2 shown]
	v_add_co_u32 v0, vcc_lo, v2, v0
	v_pk_min_f16 v19, v20, v19
	v_add_co_ci_u32_e64 v1, null, v3, v1, vcc_lo
	v_pk_min_f16 v20, v21, v24
	v_pk_add_f16 v19, v49, v19
	v_pk_add_f16 v19, v19, v20
	v_add_f16_sdwa v19, v19, v19 dst_sel:DWORD dst_unused:UNUSED_PAD src0_sel:DWORD src1_sel:WORD_1
	v_add_f16_e32 v18, v19, v18
	flat_store_short v[0:1], v18
	s_or_b32 exec_lo, exec_lo, s0
	s_and_b32 s1, s2, s8
	s_and_saveexec_b32 s0, s1
	s_cbranch_execz .LBB234_157
.LBB234_171:
	v_cmp_ne_u32_e32 vcc_lo, 1, v60
	v_lshlrev_b64 v[0:1], 1, v[28:29]
	s_cbranch_vccnz .LBB234_173
; %bb.172:
	v_add_co_u32 v18, vcc_lo, v22, v0
	v_add_co_ci_u32_e64 v19, null, v23, v1, vcc_lo
	flat_load_ushort v18, v[18:19]
	s_waitcnt vmcnt(0) lgkmcnt(0)
	v_mul_f16_e32 v18, v42, v18
	s_branch .LBB234_174
.LBB234_173:
	v_mov_b32_e32 v18, 0
.LBB234_174:
	v_pk_max_f16 v19, v4, v4
	v_pk_max_f16 v14, v14, v14
	;; [unrolled: 1-line block ×4, first 2 shown]
	v_add_co_u32 v0, vcc_lo, v2, v0
	v_pk_min_f16 v14, v14, v19
	v_add_co_ci_u32_e64 v1, null, v3, v1, vcc_lo
	v_pk_min_f16 v15, v15, v20
	v_pk_add_f16 v14, v48, v14
	v_pk_add_f16 v14, v14, v15
	v_add_f16_sdwa v14, v14, v14 dst_sel:DWORD dst_unused:UNUSED_PAD src0_sel:DWORD src1_sel:WORD_1
	v_add_f16_e32 v14, v14, v18
	flat_store_short v[0:1], v14
	s_or_b32 exec_lo, exec_lo, s0
	s_and_b32 s1, s3, s8
	s_and_saveexec_b32 s0, s1
	s_cbranch_execz .LBB234_158
.LBB234_175:
	v_cmp_ne_u32_e32 vcc_lo, 1, v60
	v_lshlrev_b64 v[0:1], 1, v[30:31]
	s_cbranch_vccnz .LBB234_177
; %bb.176:
	v_add_co_u32 v14, vcc_lo, v22, v0
	v_add_co_ci_u32_e64 v15, null, v23, v1, vcc_lo
	flat_load_ushort v14, v[14:15]
	s_waitcnt vmcnt(0) lgkmcnt(0)
	v_mul_f16_e32 v14, v42, v14
	s_branch .LBB234_178
.LBB234_177:
	v_mov_b32_e32 v14, 0
.LBB234_178:
	v_pk_max_f16 v15, v4, v4
	v_pk_max_f16 v16, v16, v16
	;; [unrolled: 1-line block ×4, first 2 shown]
	v_add_co_u32 v0, vcc_lo, v2, v0
	v_pk_min_f16 v15, v16, v15
	v_add_co_ci_u32_e64 v1, null, v3, v1, vcc_lo
	v_pk_min_f16 v16, v17, v18
	v_pk_add_f16 v15, v47, v15
	v_pk_add_f16 v15, v15, v16
	v_add_f16_sdwa v15, v15, v15 dst_sel:DWORD dst_unused:UNUSED_PAD src0_sel:DWORD src1_sel:WORD_1
	v_add_f16_e32 v14, v15, v14
	flat_store_short v[0:1], v14
	s_or_b32 exec_lo, exec_lo, s0
	s_and_b32 s1, s4, s8
	s_and_saveexec_b32 s0, s1
	s_cbranch_execz .LBB234_159
.LBB234_179:
	v_cmp_ne_u32_e32 vcc_lo, 1, v60
	v_lshlrev_b64 v[0:1], 1, v[32:33]
	s_cbranch_vccnz .LBB234_181
; %bb.180:
	v_add_co_u32 v14, vcc_lo, v22, v0
	v_add_co_ci_u32_e64 v15, null, v23, v1, vcc_lo
	flat_load_ushort v14, v[14:15]
	s_waitcnt vmcnt(0) lgkmcnt(0)
	v_mul_f16_e32 v14, v42, v14
	s_branch .LBB234_182
.LBB234_181:
	v_mov_b32_e32 v14, 0
.LBB234_182:
	v_pk_max_f16 v15, v4, v4
	v_pk_max_f16 v10, v10, v10
	;; [unrolled: 1-line block ×4, first 2 shown]
	v_add_co_u32 v0, vcc_lo, v2, v0
	v_pk_min_f16 v10, v10, v15
	v_add_co_ci_u32_e64 v1, null, v3, v1, vcc_lo
	v_pk_min_f16 v11, v11, v16
	v_pk_add_f16 v10, v46, v10
	v_pk_add_f16 v10, v10, v11
	v_add_f16_sdwa v10, v10, v10 dst_sel:DWORD dst_unused:UNUSED_PAD src0_sel:DWORD src1_sel:WORD_1
	v_add_f16_e32 v10, v10, v14
	flat_store_short v[0:1], v10
	s_or_b32 exec_lo, exec_lo, s0
	s_and_b32 s1, s5, s8
	s_and_saveexec_b32 s0, s1
	s_cbranch_execz .LBB234_160
.LBB234_183:
	v_cmp_ne_u32_e32 vcc_lo, 1, v60
	v_lshlrev_b64 v[0:1], 1, v[34:35]
	s_cbranch_vccnz .LBB234_185
; %bb.184:
	v_add_co_u32 v10, vcc_lo, v22, v0
	v_add_co_ci_u32_e64 v11, null, v23, v1, vcc_lo
	flat_load_ushort v10, v[10:11]
	s_waitcnt vmcnt(0) lgkmcnt(0)
	v_mul_f16_e32 v10, v42, v10
	s_branch .LBB234_186
.LBB234_185:
	v_mov_b32_e32 v10, 0
.LBB234_186:
	v_pk_max_f16 v11, v4, v4
	v_pk_max_f16 v12, v12, v12
	;; [unrolled: 1-line block ×4, first 2 shown]
	v_add_co_u32 v0, vcc_lo, v2, v0
	v_pk_min_f16 v11, v12, v11
	v_add_co_ci_u32_e64 v1, null, v3, v1, vcc_lo
	v_pk_min_f16 v12, v13, v14
	v_pk_add_f16 v11, v45, v11
	v_pk_add_f16 v11, v11, v12
	v_add_f16_sdwa v11, v11, v11 dst_sel:DWORD dst_unused:UNUSED_PAD src0_sel:DWORD src1_sel:WORD_1
	v_add_f16_e32 v10, v11, v10
	flat_store_short v[0:1], v10
	s_or_b32 exec_lo, exec_lo, s0
	s_and_b32 s1, s6, s8
	s_and_saveexec_b32 s0, s1
	s_cbranch_execz .LBB234_161
.LBB234_187:
	v_cmp_ne_u32_e32 vcc_lo, 1, v60
	v_lshlrev_b64 v[0:1], 1, v[36:37]
	s_cbranch_vccnz .LBB234_189
; %bb.188:
	v_add_co_u32 v10, vcc_lo, v22, v0
	v_add_co_ci_u32_e64 v11, null, v23, v1, vcc_lo
	flat_load_ushort v10, v[10:11]
	s_waitcnt vmcnt(0) lgkmcnt(0)
	v_mul_f16_e32 v10, v42, v10
	s_branch .LBB234_190
.LBB234_189:
	v_mov_b32_e32 v10, 0
.LBB234_190:
	v_pk_max_f16 v11, v4, v4
	v_pk_max_f16 v6, v6, v6
	;; [unrolled: 1-line block ×4, first 2 shown]
	v_add_co_u32 v0, vcc_lo, v2, v0
	v_pk_min_f16 v6, v6, v11
	v_add_co_ci_u32_e64 v1, null, v3, v1, vcc_lo
	v_pk_min_f16 v7, v7, v12
	v_pk_add_f16 v6, v44, v6
	v_pk_add_f16 v6, v6, v7
	v_add_f16_sdwa v6, v6, v6 dst_sel:DWORD dst_unused:UNUSED_PAD src0_sel:DWORD src1_sel:WORD_1
	v_add_f16_e32 v6, v6, v10
	flat_store_short v[0:1], v6
	s_or_b32 exec_lo, exec_lo, s0
	s_and_b32 s0, s7, s8
	s_and_saveexec_b32 s1, s0
	s_cbranch_execz .LBB234_162
.LBB234_191:
	v_cmp_ne_u32_e32 vcc_lo, 1, v60
	v_lshlrev_b64 v[0:1], 1, v[38:39]
	s_cbranch_vccnz .LBB234_193
; %bb.192:
	v_add_co_u32 v6, vcc_lo, v22, v0
	v_add_co_ci_u32_e64 v7, null, v23, v1, vcc_lo
	flat_load_ushort v6, v[6:7]
	s_waitcnt vmcnt(0) lgkmcnt(0)
	v_mul_f16_e32 v6, v42, v6
	s_branch .LBB234_194
.LBB234_193:
	v_mov_b32_e32 v6, 0
.LBB234_194:
	v_pk_max_f16 v4, v4, v4
	v_pk_max_f16 v7, v8, v8
	;; [unrolled: 1-line block ×4, first 2 shown]
	v_add_co_u32 v0, vcc_lo, v2, v0
	v_pk_min_f16 v4, v7, v4
	v_add_co_ci_u32_e64 v1, null, v3, v1, vcc_lo
	v_pk_min_f16 v5, v8, v5
	v_pk_add_f16 v4, v43, v4
	v_pk_add_f16 v4, v4, v5
	v_add_f16_sdwa v4, v4, v4 dst_sel:DWORD dst_unused:UNUSED_PAD src0_sel:DWORD src1_sel:WORD_1
	v_add_f16_e32 v4, v4, v6
	flat_store_short v[0:1], v4
	s_endpgm
	.section	.rodata,"a",@progbits
	.p2align	6, 0x0
	.amdhsa_kernel _ZN12_GLOBAL__N_120geam_min_plus_kernelIDF16_Dv2_DF16_S1_Li8ELi32ELi64ELi128ELi4ELi64ELi4ELi4ELi64ELc78ELc78ELb0ELb1ELb0EPKDF16_KS3_KPDF16_EEviiiT16_PT17_ilS9_ilS7_S9_ilPT18_ili26rocblas_geam_ex_operation_
		.amdhsa_group_segment_fixed_size 3072
		.amdhsa_private_segment_fixed_size 0
		.amdhsa_kernarg_size 136
		.amdhsa_user_sgpr_count 6
		.amdhsa_user_sgpr_private_segment_buffer 1
		.amdhsa_user_sgpr_dispatch_ptr 0
		.amdhsa_user_sgpr_queue_ptr 0
		.amdhsa_user_sgpr_kernarg_segment_ptr 1
		.amdhsa_user_sgpr_dispatch_id 0
		.amdhsa_user_sgpr_flat_scratch_init 0
		.amdhsa_user_sgpr_private_segment_size 0
		.amdhsa_wavefront_size32 1
		.amdhsa_uses_dynamic_stack 0
		.amdhsa_system_sgpr_private_segment_wavefront_offset 0
		.amdhsa_system_sgpr_workgroup_id_x 1
		.amdhsa_system_sgpr_workgroup_id_y 0
		.amdhsa_system_sgpr_workgroup_id_z 1
		.amdhsa_system_sgpr_workgroup_info 0
		.amdhsa_system_vgpr_workitem_id 1
		.amdhsa_next_free_vgpr 126
		.amdhsa_next_free_sgpr 27
		.amdhsa_reserve_vcc 1
		.amdhsa_reserve_flat_scratch 0
		.amdhsa_float_round_mode_32 0
		.amdhsa_float_round_mode_16_64 0
		.amdhsa_float_denorm_mode_32 3
		.amdhsa_float_denorm_mode_16_64 3
		.amdhsa_dx10_clamp 1
		.amdhsa_ieee_mode 1
		.amdhsa_fp16_overflow 0
		.amdhsa_workgroup_processor_mode 1
		.amdhsa_memory_ordered 1
		.amdhsa_forward_progress 1
		.amdhsa_shared_vgpr_count 0
		.amdhsa_exception_fp_ieee_invalid_op 0
		.amdhsa_exception_fp_denorm_src 0
		.amdhsa_exception_fp_ieee_div_zero 0
		.amdhsa_exception_fp_ieee_overflow 0
		.amdhsa_exception_fp_ieee_underflow 0
		.amdhsa_exception_fp_ieee_inexact 0
		.amdhsa_exception_int_div_zero 0
	.end_amdhsa_kernel
	.section	.text._ZN12_GLOBAL__N_120geam_min_plus_kernelIDF16_Dv2_DF16_S1_Li8ELi32ELi64ELi128ELi4ELi64ELi4ELi4ELi64ELc78ELc78ELb0ELb1ELb0EPKDF16_KS3_KPDF16_EEviiiT16_PT17_ilS9_ilS7_S9_ilPT18_ili26rocblas_geam_ex_operation_,"axG",@progbits,_ZN12_GLOBAL__N_120geam_min_plus_kernelIDF16_Dv2_DF16_S1_Li8ELi32ELi64ELi128ELi4ELi64ELi4ELi4ELi64ELc78ELc78ELb0ELb1ELb0EPKDF16_KS3_KPDF16_EEviiiT16_PT17_ilS9_ilS7_S9_ilPT18_ili26rocblas_geam_ex_operation_,comdat
.Lfunc_end234:
	.size	_ZN12_GLOBAL__N_120geam_min_plus_kernelIDF16_Dv2_DF16_S1_Li8ELi32ELi64ELi128ELi4ELi64ELi4ELi4ELi64ELc78ELc78ELb0ELb1ELb0EPKDF16_KS3_KPDF16_EEviiiT16_PT17_ilS9_ilS7_S9_ilPT18_ili26rocblas_geam_ex_operation_, .Lfunc_end234-_ZN12_GLOBAL__N_120geam_min_plus_kernelIDF16_Dv2_DF16_S1_Li8ELi32ELi64ELi128ELi4ELi64ELi4ELi4ELi64ELc78ELc78ELb0ELb1ELb0EPKDF16_KS3_KPDF16_EEviiiT16_PT17_ilS9_ilS7_S9_ilPT18_ili26rocblas_geam_ex_operation_
                                        ; -- End function
	.set _ZN12_GLOBAL__N_120geam_min_plus_kernelIDF16_Dv2_DF16_S1_Li8ELi32ELi64ELi128ELi4ELi64ELi4ELi4ELi64ELc78ELc78ELb0ELb1ELb0EPKDF16_KS3_KPDF16_EEviiiT16_PT17_ilS9_ilS7_S9_ilPT18_ili26rocblas_geam_ex_operation_.num_vgpr, 126
	.set _ZN12_GLOBAL__N_120geam_min_plus_kernelIDF16_Dv2_DF16_S1_Li8ELi32ELi64ELi128ELi4ELi64ELi4ELi4ELi64ELc78ELc78ELb0ELb1ELb0EPKDF16_KS3_KPDF16_EEviiiT16_PT17_ilS9_ilS7_S9_ilPT18_ili26rocblas_geam_ex_operation_.num_agpr, 0
	.set _ZN12_GLOBAL__N_120geam_min_plus_kernelIDF16_Dv2_DF16_S1_Li8ELi32ELi64ELi128ELi4ELi64ELi4ELi4ELi64ELc78ELc78ELb0ELb1ELb0EPKDF16_KS3_KPDF16_EEviiiT16_PT17_ilS9_ilS7_S9_ilPT18_ili26rocblas_geam_ex_operation_.numbered_sgpr, 27
	.set _ZN12_GLOBAL__N_120geam_min_plus_kernelIDF16_Dv2_DF16_S1_Li8ELi32ELi64ELi128ELi4ELi64ELi4ELi4ELi64ELc78ELc78ELb0ELb1ELb0EPKDF16_KS3_KPDF16_EEviiiT16_PT17_ilS9_ilS7_S9_ilPT18_ili26rocblas_geam_ex_operation_.num_named_barrier, 0
	.set _ZN12_GLOBAL__N_120geam_min_plus_kernelIDF16_Dv2_DF16_S1_Li8ELi32ELi64ELi128ELi4ELi64ELi4ELi4ELi64ELc78ELc78ELb0ELb1ELb0EPKDF16_KS3_KPDF16_EEviiiT16_PT17_ilS9_ilS7_S9_ilPT18_ili26rocblas_geam_ex_operation_.private_seg_size, 0
	.set _ZN12_GLOBAL__N_120geam_min_plus_kernelIDF16_Dv2_DF16_S1_Li8ELi32ELi64ELi128ELi4ELi64ELi4ELi4ELi64ELc78ELc78ELb0ELb1ELb0EPKDF16_KS3_KPDF16_EEviiiT16_PT17_ilS9_ilS7_S9_ilPT18_ili26rocblas_geam_ex_operation_.uses_vcc, 1
	.set _ZN12_GLOBAL__N_120geam_min_plus_kernelIDF16_Dv2_DF16_S1_Li8ELi32ELi64ELi128ELi4ELi64ELi4ELi4ELi64ELc78ELc78ELb0ELb1ELb0EPKDF16_KS3_KPDF16_EEviiiT16_PT17_ilS9_ilS7_S9_ilPT18_ili26rocblas_geam_ex_operation_.uses_flat_scratch, 0
	.set _ZN12_GLOBAL__N_120geam_min_plus_kernelIDF16_Dv2_DF16_S1_Li8ELi32ELi64ELi128ELi4ELi64ELi4ELi4ELi64ELc78ELc78ELb0ELb1ELb0EPKDF16_KS3_KPDF16_EEviiiT16_PT17_ilS9_ilS7_S9_ilPT18_ili26rocblas_geam_ex_operation_.has_dyn_sized_stack, 0
	.set _ZN12_GLOBAL__N_120geam_min_plus_kernelIDF16_Dv2_DF16_S1_Li8ELi32ELi64ELi128ELi4ELi64ELi4ELi4ELi64ELc78ELc78ELb0ELb1ELb0EPKDF16_KS3_KPDF16_EEviiiT16_PT17_ilS9_ilS7_S9_ilPT18_ili26rocblas_geam_ex_operation_.has_recursion, 0
	.set _ZN12_GLOBAL__N_120geam_min_plus_kernelIDF16_Dv2_DF16_S1_Li8ELi32ELi64ELi128ELi4ELi64ELi4ELi4ELi64ELc78ELc78ELb0ELb1ELb0EPKDF16_KS3_KPDF16_EEviiiT16_PT17_ilS9_ilS7_S9_ilPT18_ili26rocblas_geam_ex_operation_.has_indirect_call, 0
	.section	.AMDGPU.csdata,"",@progbits
; Kernel info:
; codeLenInByte = 12208
; TotalNumSgprs: 29
; NumVgprs: 126
; ScratchSize: 0
; MemoryBound: 0
; FloatMode: 240
; IeeeMode: 1
; LDSByteSize: 3072 bytes/workgroup (compile time only)
; SGPRBlocks: 0
; VGPRBlocks: 15
; NumSGPRsForWavesPerEU: 29
; NumVGPRsForWavesPerEU: 126
; Occupancy: 8
; WaveLimiterHint : 1
; COMPUTE_PGM_RSRC2:SCRATCH_EN: 0
; COMPUTE_PGM_RSRC2:USER_SGPR: 6
; COMPUTE_PGM_RSRC2:TRAP_HANDLER: 0
; COMPUTE_PGM_RSRC2:TGID_X_EN: 1
; COMPUTE_PGM_RSRC2:TGID_Y_EN: 0
; COMPUTE_PGM_RSRC2:TGID_Z_EN: 1
; COMPUTE_PGM_RSRC2:TIDIG_COMP_CNT: 1
	.section	.text._ZN12_GLOBAL__N_120geam_min_plus_kernelIDF16_Dv2_DF16_S1_Li8ELi32ELi64ELi128ELi4ELi64ELi4ELi4ELi64ELc78ELc78ELb1ELb1ELb0EDF16_KPKDF16_KPDF16_EEviiiT16_PT17_ilS9_ilS7_S9_ilPT18_ili26rocblas_geam_ex_operation_,"axG",@progbits,_ZN12_GLOBAL__N_120geam_min_plus_kernelIDF16_Dv2_DF16_S1_Li8ELi32ELi64ELi128ELi4ELi64ELi4ELi4ELi64ELc78ELc78ELb1ELb1ELb0EDF16_KPKDF16_KPDF16_EEviiiT16_PT17_ilS9_ilS7_S9_ilPT18_ili26rocblas_geam_ex_operation_,comdat
	.globl	_ZN12_GLOBAL__N_120geam_min_plus_kernelIDF16_Dv2_DF16_S1_Li8ELi32ELi64ELi128ELi4ELi64ELi4ELi4ELi64ELc78ELc78ELb1ELb1ELb0EDF16_KPKDF16_KPDF16_EEviiiT16_PT17_ilS9_ilS7_S9_ilPT18_ili26rocblas_geam_ex_operation_ ; -- Begin function _ZN12_GLOBAL__N_120geam_min_plus_kernelIDF16_Dv2_DF16_S1_Li8ELi32ELi64ELi128ELi4ELi64ELi4ELi4ELi64ELc78ELc78ELb1ELb1ELb0EDF16_KPKDF16_KPDF16_EEviiiT16_PT17_ilS9_ilS7_S9_ilPT18_ili26rocblas_geam_ex_operation_
	.p2align	8
	.type	_ZN12_GLOBAL__N_120geam_min_plus_kernelIDF16_Dv2_DF16_S1_Li8ELi32ELi64ELi128ELi4ELi64ELi4ELi4ELi64ELc78ELc78ELb1ELb1ELb0EDF16_KPKDF16_KPDF16_EEviiiT16_PT17_ilS9_ilS7_S9_ilPT18_ili26rocblas_geam_ex_operation_,@function
_ZN12_GLOBAL__N_120geam_min_plus_kernelIDF16_Dv2_DF16_S1_Li8ELi32ELi64ELi128ELi4ELi64ELi4ELi4ELi64ELc78ELc78ELb1ELb1ELb0EDF16_KPKDF16_KPDF16_EEviiiT16_PT17_ilS9_ilS7_S9_ilPT18_ili26rocblas_geam_ex_operation_: ; @_ZN12_GLOBAL__N_120geam_min_plus_kernelIDF16_Dv2_DF16_S1_Li8ELi32ELi64ELi128ELi4ELi64ELi4ELi4ELi64ELc78ELc78ELb1ELb1ELb0EDF16_KPKDF16_KPDF16_EEviiiT16_PT17_ilS9_ilS7_S9_ilPT18_ili26rocblas_geam_ex_operation_
; %bb.0:
	s_clause 0x1
	s_load_dwordx4 s[12:15], s[4:5], 0x0
	s_load_dwordx4 s[0:3], s[4:5], 0x20
	s_mov_b32 s18, s7
	s_mov_b32 s19, 0
	s_waitcnt lgkmcnt(0)
	v_cmp_eq_f16_e64 s7, s15, 0
	s_and_b32 vcc_lo, exec_lo, s7
	s_cbranch_vccnz .LBB235_3
; %bb.1:
	s_load_dwordx2 s[8:9], s[4:5], 0x10
	s_lshl_b64 s[10:11], s[18:19], 3
	s_waitcnt lgkmcnt(0)
	s_add_u32 s8, s8, s10
	s_addc_u32 s9, s9, s11
	s_lshl_b64 s[0:1], s[0:1], 1
	s_load_dwordx2 s[8:9], s[8:9], 0x0
	s_waitcnt lgkmcnt(0)
	s_add_u32 s8, s8, s0
	s_addc_u32 s9, s9, s1
	s_andn2_b32 vcc_lo, exec_lo, s7
	s_cbranch_vccnz .LBB235_4
.LBB235_2:
	s_mov_b32 s21, 0
	s_mov_b32 s20, s18
	;; [unrolled: 1-line block ×3, first 2 shown]
	s_mov_b64 s[10:11], 0
	s_andn2_b32 vcc_lo, exec_lo, s0
	s_mov_b64 s[16:17], 0
	s_cbranch_vccz .LBB235_5
	s_branch .LBB235_6
.LBB235_3:
	s_mov_b64 s[8:9], 0
	s_andn2_b32 vcc_lo, exec_lo, s7
	s_cbranch_vccz .LBB235_2
.LBB235_4:
	s_mov_b64 s[20:21], s[18:19]
	s_mov_b64 s[10:11], 0
	;; [unrolled: 1-line block ×3, first 2 shown]
.LBB235_5:
	s_lshl_b64 s[0:1], s[18:19], 3
	s_load_dwordx2 s[16:17], s[4:5], 0x38
	s_add_u32 s0, s2, s0
	s_addc_u32 s1, s3, s1
	s_load_dwordx2 s[0:1], s[0:1], 0x0
	s_waitcnt lgkmcnt(0)
	s_lshl_b64 s[2:3], s[16:17], 1
	s_add_u32 s16, s0, s2
	s_addc_u32 s17, s1, s3
.LBB235_6:
	s_clause 0x1
	s_load_dword s15, s[4:5], 0x40
	s_load_dwordx4 s[0:3], s[4:5], 0x58
	s_waitcnt lgkmcnt(0)
	v_cmp_eq_f16_e64 s7, s15, 0
	v_cmp_neq_f16_e64 s22, s15, 0
	s_and_b32 vcc_lo, exec_lo, s7
	s_cbranch_vccnz .LBB235_8
; %bb.7:
	s_load_dwordx2 s[10:11], s[4:5], 0x48
	s_lshl_b64 s[18:19], s[20:21], 3
	s_waitcnt lgkmcnt(0)
	s_add_u32 s10, s10, s18
	s_addc_u32 s11, s11, s19
	s_lshl_b64 s[0:1], s[0:1], 1
	s_load_dwordx2 s[10:11], s[10:11], 0x0
	s_waitcnt lgkmcnt(0)
	s_add_u32 s10, s10, s0
	s_addc_u32 s11, s11, s1
.LBB235_8:
	s_load_dword s18, s[4:5], 0x18
	s_lshl_b64 s[0:1], s[20:21], 3
	v_lshl_add_u32 v4, v1, 3, v0
	v_mov_b32_e32 v10, 0
	v_mov_b32_e32 v11, 0
	v_and_b32_e32 v9, 63, v4
	v_lshrrev_b32_e32 v30, 6, v4
	v_cmp_gt_i32_e32 vcc_lo, s14, v30
	s_waitcnt lgkmcnt(0)
	s_ashr_i32 s19, s18, 31
	s_add_u32 s20, s2, s0
	s_addc_u32 s21, s3, s1
	s_add_i32 s0, s12, -1
	s_ashr_i32 s1, s0, 31
	s_lshr_b32 s1, s1, 26
	s_add_i32 s0, s0, s1
	s_ashr_i32 s0, s0, 6
	s_add_i32 s1, s0, 1
	s_not_b32 s0, s0
	v_cvt_f32_u32_e32 v2, s1
	v_rcp_iflag_f32_e32 v2, v2
	v_mul_f32_e32 v2, 0x4f7ffffe, v2
	v_cvt_u32_f32_e32 v2, v2
	v_readfirstlane_b32 s2, v2
	s_mul_i32 s0, s0, s2
	s_mul_hi_u32 s0, s2, s0
	s_add_i32 s2, s2, s0
	s_mul_hi_u32 s0, s6, s2
	s_mul_i32 s2, s0, s1
	s_add_i32 s3, s0, 1
	s_sub_i32 s2, s6, s2
	s_sub_i32 s7, s2, s1
	s_cmp_ge_u32 s2, s1
	s_cselect_b32 s0, s3, s0
	s_cselect_b32 s2, s7, s2
	s_add_i32 s3, s0, 1
	s_cmp_ge_u32 s2, s1
	s_cselect_b32 s2, s3, s0
	s_mul_i32 s0, s2, s1
	s_sub_i32 s0, s6, s0
	s_lshl_b32 s3, s0, 6
	v_or_b32_e32 v2, s3, v9
	v_cmp_gt_i32_e64 s0, s12, v2
	v_cmp_le_i32_e64 s1, s12, v2
	v_ashrrev_i32_e32 v3, 31, v2
	s_and_b32 s6, vcc_lo, s0
	s_and_saveexec_b32 s0, s6
	s_cbranch_execz .LBB235_10
; %bb.9:
	v_mad_i64_i32 v[5:6], null, s18, v30, 0
	v_lshlrev_b64 v[7:8], 1, v[2:3]
	v_lshlrev_b64 v[5:6], 1, v[5:6]
	v_add_co_u32 v5, vcc_lo, s8, v5
	v_add_co_ci_u32_e64 v6, null, s9, v6, vcc_lo
	v_add_co_u32 v5, vcc_lo, v5, v7
	v_add_co_ci_u32_e64 v6, null, v6, v8, vcc_lo
	flat_load_ushort v11, v[5:6]
.LBB235_10:
	s_or_b32 exec_lo, exec_lo, s0
	s_load_dword s25, s[4:5], 0x30
	v_lshrrev_b32_e32 v12, 2, v4
	v_and_b32_e32 v31, 3, v0
	s_lshl_b32 s23, s2, 7
	v_add_nc_u32_e32 v4, s23, v12
	v_lshlrev_b32_e32 v32, 1, v31
	v_cmp_le_i32_e64 s2, s14, v31
	v_cmp_le_i32_e32 vcc_lo, s13, v4
	v_add_co_u32 v13, s0, s16, v32
	v_add_co_ci_u32_e64 v14, null, s17, 0, s0
	s_nor_b32 s0, s2, vcc_lo
	s_and_saveexec_b32 s6, s0
	s_cbranch_execz .LBB235_12
; %bb.11:
	s_waitcnt lgkmcnt(0)
	v_mad_i64_i32 v[5:6], null, v4, s25, 0
	v_lshlrev_b64 v[5:6], 1, v[5:6]
	v_add_co_u32 v5, s0, v13, v5
	v_add_co_ci_u32_e64 v6, null, v14, v6, s0
	flat_load_ushort v10, v[5:6]
.LBB235_12:
	s_or_b32 exec_lo, exec_lo, s6
	v_add_nc_u32_e32 v5, 64, v4
	v_mov_b32_e32 v6, 0
	v_mov_b32_e32 v15, 0
	v_cmp_le_i32_e64 s0, s13, v5
	s_nor_b32 s2, s2, s0
	s_and_saveexec_b32 s6, s2
	s_cbranch_execz .LBB235_14
; %bb.13:
	s_waitcnt lgkmcnt(0)
	v_mad_i64_i32 v[7:8], null, v5, s25, 0
	v_lshlrev_b64 v[7:8], 1, v[7:8]
	v_add_co_u32 v7, s2, v13, v7
	v_add_co_ci_u32_e64 v8, null, v14, v8, s2
	flat_load_ushort v15, v[7:8]
.LBB235_14:
	s_or_b32 exec_lo, exec_lo, s6
	v_add_nc_u32_e32 v7, 4, v30
	s_xor_b32 s24, s1, -1
	v_cmp_gt_i32_e64 s2, s14, v7
	s_and_b32 s1, s24, s2
	s_and_saveexec_b32 s2, s1
	s_cbranch_execz .LBB235_16
; %bb.15:
	v_mad_u64_u32 v[16:17], null, s18, v7, 0
	v_mov_b32_e32 v6, v17
	v_mad_u64_u32 v[6:7], null, s19, v7, v[6:7]
	v_mov_b32_e32 v17, v6
	v_lshlrev_b64 v[6:7], 1, v[16:17]
	v_lshlrev_b64 v[16:17], 1, v[2:3]
	v_add_co_u32 v6, s1, s8, v6
	v_add_co_ci_u32_e64 v7, null, s9, v7, s1
	v_add_co_u32 v6, s1, v6, v16
	v_add_co_ci_u32_e64 v7, null, v7, v17, s1
	flat_load_ushort v6, v[6:7]
.LBB235_16:
	s_or_b32 exec_lo, exec_lo, s2
	v_or_b32_e32 v7, 4, v31
	v_mov_b32_e32 v8, 0
	v_cmp_le_i32_e64 s1, s14, v7
	v_mov_b32_e32 v7, 0
	s_nor_b32 s2, s1, vcc_lo
	s_and_saveexec_b32 s6, s2
	s_cbranch_execz .LBB235_18
; %bb.17:
	s_waitcnt lgkmcnt(0)
	v_mad_i64_i32 v[16:17], null, v4, s25, 0
	v_lshlrev_b64 v[16:17], 1, v[16:17]
	v_add_co_u32 v16, s2, v13, v16
	v_add_co_ci_u32_e64 v17, null, v14, v17, s2
	flat_load_ushort v8, v[16:17] offset:8
.LBB235_18:
	s_or_b32 exec_lo, exec_lo, s6
	s_nor_b32 s1, s1, s0
	s_and_saveexec_b32 s2, s1
	s_cbranch_execz .LBB235_20
; %bb.19:
	s_waitcnt lgkmcnt(0)
	v_mad_i64_i32 v[16:17], null, v5, s25, 0
	v_lshlrev_b64 v[16:17], 1, v[16:17]
	v_add_co_u32 v13, s1, v13, v16
	v_add_co_ci_u32_e64 v14, null, v14, v17, s1
	flat_load_ushort v7, v[13:14] offset:8
.LBB235_20:
	s_or_b32 exec_lo, exec_lo, s2
	v_lshlrev_b32_e32 v9, 3, v9
	v_lshlrev_b32_e32 v12, 3, v12
	;; [unrolled: 1-line block ×4, first 2 shown]
	s_load_dwordx2 s[6:7], s[20:21], 0x0
	v_lshl_add_u32 v9, v30, 1, v9
	v_lshl_or_b32 v35, v31, 1, v12
	v_add_nc_u32_e32 v36, 0x800, v34
	s_mov_b32 s20, 0
	s_cmp_lt_i32 s14, 9
	s_waitcnt vmcnt(0) lgkmcnt(0)
	ds_write_b16 v9, v11 offset:2048
	ds_write_b16 v35, v10
	ds_write_b16 v35, v15 offset:512
	s_waitcnt lgkmcnt(0)
	s_barrier
	buffer_gl0_inv
	ds_read2_b64 v[10:13], v33 offset1:32
	ds_read2_b64 v[14:17], v36 offset0:48 offset1:56
	ds_read2_b64 v[18:21], v33 offset0:64 offset1:96
	ds_read2_b64 v[22:25], v36 offset1:8
	ds_read2_b64 v[26:29], v36 offset0:16 offset1:24
	ds_read2_b64 v[37:40], v36 offset0:32 offset1:40
	ds_write_b16 v9, v6 offset:2560
	ds_write_b16 v35, v8 offset:1024
	;; [unrolled: 1-line block ×3, first 2 shown]
	s_waitcnt lgkmcnt(0)
	s_barrier
	buffer_gl0_inv
	v_pk_max_f16 v10, v10, v10
	v_pk_max_f16 v16, v16, v16
	;; [unrolled: 1-line block ×6, first 2 shown]
	v_pk_min_f16 v36, v16, v10
	v_pk_max_f16 v22, v22, v22
	v_pk_max_f16 v20, v20, v20
	;; [unrolled: 1-line block ×4, first 2 shown]
	v_pk_min_f16 v41, v16, v12
	v_pk_max_f16 v28, v28, v28
	v_pk_max_f16 v37, v37, v37
	;; [unrolled: 1-line block ×5, first 2 shown]
	v_pk_add_f16 v36, v36, 0
	v_pk_min_f16 v50, v17, v11
	v_pk_min_f16 v42, v16, v18
	v_pk_min_f16 v43, v22, v10
	v_pk_min_f16 v44, v22, v12
	v_pk_min_f16 v45, v22, v18
	v_pk_min_f16 v22, v22, v20
	v_pk_min_f16 v46, v24, v10
	v_pk_min_f16 v47, v24, v12
	v_pk_min_f16 v48, v24, v18
	v_pk_min_f16 v24, v24, v20
	v_pk_min_f16 v49, v26, v10
	v_pk_min_f16 v51, v26, v12
	v_pk_min_f16 v52, v26, v18
	v_pk_min_f16 v26, v26, v20
	v_pk_min_f16 v53, v28, v10
	v_pk_min_f16 v54, v28, v12
	v_pk_min_f16 v55, v28, v18
	v_pk_min_f16 v28, v28, v20
	v_pk_min_f16 v56, v37, v10
	v_pk_max_f16 v19, v19, v19
	v_pk_max_f16 v21, v21, v21
	v_pk_min_f16 v59, v37, v12
	v_pk_min_f16 v60, v37, v18
	v_pk_max_f16 v23, v23, v23
	v_pk_min_f16 v37, v37, v20
	v_pk_min_f16 v61, v39, v10
	;; [unrolled: 1-line block ×10, first 2 shown]
	v_pk_add_f16 v68, v36, v50
	v_pk_add_f16 v20, v41, 0
	v_pk_min_f16 v36, v17, v13
	v_pk_max_f16 v25, v25, v25
	v_pk_add_f16 v43, v43, 0
	v_pk_min_f16 v57, v23, v11
	v_pk_min_f16 v64, v23, v13
	;; [unrolled: 1-line block ×3, first 2 shown]
	v_pk_add_f16 v58, v20, v36
	v_pk_add_f16 v20, v22, 0
	v_pk_min_f16 v23, v23, v21
	v_pk_add_f16 v41, v42, 0
	v_pk_min_f16 v42, v17, v19
	v_pk_add_f16 v69, v43, v57
	v_pk_add_f16 v22, v46, 0
	;; [unrolled: 1-line block ×4, first 2 shown]
	v_pk_min_f16 v20, v25, v11
	v_pk_add_f16 v45, v45, 0
	v_pk_add_f16 v50, v41, v42
	;; [unrolled: 1-line block ×3, first 2 shown]
	v_pk_max_f16 v27, v27, v27
	v_pk_add_f16 v41, v22, v20
	v_pk_min_f16 v20, v25, v13
	v_pk_add_f16 v44, v44, 0
	v_pk_add_f16 v57, v45, v65
	;; [unrolled: 1-line block ×5, first 2 shown]
	v_pk_min_f16 v20, v25, v19
	v_pk_min_f16 v25, v25, v21
	v_pk_max_f16 v29, v29, v29
	v_pk_add_f16 v66, v44, v64
	v_pk_add_f16 v44, v51, 0
	;; [unrolled: 1-line block ×5, first 2 shown]
	v_pk_min_f16 v20, v27, v11
	v_pk_min_f16 v24, v27, v13
	v_pk_add_f16 v45, v52, 0
	v_pk_add_f16 v26, v26, 0
	;; [unrolled: 1-line block ×6, first 2 shown]
	v_pk_min_f16 v20, v27, v19
	v_pk_min_f16 v24, v27, v21
	;; [unrolled: 1-line block ×3, first 2 shown]
	v_pk_add_f16 v46, v54, 0
	v_pk_add_f16 v51, v55, 0
	;; [unrolled: 1-line block ×8, first 2 shown]
	v_pk_min_f16 v20, v29, v13
	v_pk_min_f16 v23, v29, v19
	;; [unrolled: 1-line block ×3, first 2 shown]
	v_pk_max_f16 v26, v38, v38
	v_pk_add_f16 v53, v60, 0
	v_pk_add_f16 v67, v63, 0
	;; [unrolled: 1-line block ×5, first 2 shown]
	v_pk_min_f16 v20, v26, v11
	v_pk_min_f16 v23, v26, v13
	;; [unrolled: 1-line block ×3, first 2 shown]
	v_pk_max_f16 v27, v40, v40
	v_pk_max_f16 v15, v15, v15
	v_pk_add_f16 v60, v61, 0
	v_pk_add_f16 v61, v62, 0
	;; [unrolled: 1-line block ×7, first 2 shown]
	v_pk_min_f16 v26, v26, v21
	v_pk_add_f16 v36, v22, v20
	v_pk_add_f16 v62, v52, v23
	;; [unrolled: 1-line block ×3, first 2 shown]
	v_pk_min_f16 v20, v27, v11
	v_pk_min_f16 v22, v27, v13
	;; [unrolled: 1-line block ×9, first 2 shown]
	v_pk_add_f16 v45, v59, v26
	v_pk_add_f16 v38, v60, v20
	;; [unrolled: 1-line block ×10, first 2 shown]
	s_cbranch_scc1 .LBB235_35
; %bb.21:
	v_add_nc_u32_e32 v8, v33, v0
	v_lshlrev_b64 v[2:3], 1, v[2:3]
	v_mad_i64_i32 v[6:7], null, s25, v4, 0
	v_or_b32_e32 v59, 0x800, v9
	v_lshrrev_b32_e32 v4, 6, v8
	v_add_nc_u32_e32 v70, 0xa00, v9
	v_add_co_u32 v72, s1, s8, v2
	v_add_co_ci_u32_e64 v73, null, s9, v3, s1
	v_mad_i64_i32 v[2:3], null, s25, v5, 0
	v_add_nc_u32_e32 v8, 12, v4
	v_add_nc_u32_e32 v9, 8, v4
	v_lshlrev_b64 v[4:5], 1, v[6:7]
	v_or_b32_e32 v67, 0x800, v34
	v_add_nc_u32_e32 v71, 0x400, v35
	v_mad_i64_i32 v[6:7], null, v8, s18, 0
	v_mad_i64_i32 v[8:9], null, v9, s18, 0
	v_lshlrev_b64 v[2:3], 1, v[2:3]
	v_add_co_u32 v76, s1, s16, v4
	v_add_co_ci_u32_e64 v77, null, s17, v5, s1
	v_lshlrev_b64 v[26:27], 1, v[6:7]
	v_add_co_u32 v78, s1, s16, v2
	v_lshlrev_b64 v[28:29], 1, v[8:9]
	v_lshl_add_u32 v74, v0, 3, 0xa00
	v_add_nc_u32_e32 v75, 0x400, v33
	v_add_co_ci_u32_e64 v79, null, s17, v3, s1
	s_add_i32 s16, s14, -8
	s_lshl_b64 s[8:9], s[18:19], 4
	s_branch .LBB235_23
.LBB235_22:                             ;   in Loop: Header=BB235_23 Depth=1
	s_or_b32 exec_lo, exec_lo, s2
	v_pk_max_f16 v4, v4, v4
	v_pk_max_f16 v22, v22, v22
	;; [unrolled: 1-line block ×7, first 2 shown]
	v_pk_min_f16 v83, v4, v22
	v_pk_min_f16 v84, v4, v24
	;; [unrolled: 1-line block ×3, first 2 shown]
	v_pk_max_f16 v16, v16, v16
	v_pk_max_f16 v12, v12, v12
	v_pk_min_f16 v92, v10, v22
	v_pk_min_f16 v93, v10, v24
	;; [unrolled: 1-line block ×4, first 2 shown]
	v_pk_max_f16 v23, v23, v23
	v_pk_max_f16 v25, v25, v25
	;; [unrolled: 1-line block ×15, first 2 shown]
	v_pk_min_f16 v86, v14, v22
	v_pk_min_f16 v87, v14, v24
	;; [unrolled: 1-line block ×57, first 2 shown]
	v_pk_add_f16 v3, v68, v83
	v_pk_add_f16 v5, v58, v84
	;; [unrolled: 1-line block ×17, first 2 shown]
	ds_read2_b64 v[2:5], v67 offset0:48 offset1:56
	ds_read2_b64 v[6:9], v33 offset1:32
	v_pk_add_f16 v65, v10, v11
	ds_read2_b64 v[10:13], v33 offset0:64 offset1:96
	v_pk_add_f16 v48, v64, v93
	v_pk_add_f16 v47, v63, v96
	;; [unrolled: 1-line block ×4, first 2 shown]
	ds_read2_b64 v[14:17], v67 offset1:8
	v_pk_add_f16 v58, v69, v86
	v_pk_add_f16 v66, v66, v87
	;; [unrolled: 1-line block ×10, first 2 shown]
	ds_read2_b64 v[18:21], v67 offset0:16 offset1:24
	s_waitcnt lgkmcnt(4)
	v_pk_max_f16 v4, v4, v4
	s_waitcnt lgkmcnt(3)
	v_pk_max_f16 v6, v6, v6
	v_pk_max_f16 v8, v8, v8
	s_waitcnt lgkmcnt(2)
	v_pk_max_f16 v10, v10, v10
	v_pk_add_f16 v57, v57, v105
	v_pk_max_f16 v12, v12, v12
	v_pk_min_f16 v22, v4, v6
	v_pk_min_f16 v23, v4, v8
	;; [unrolled: 1-line block ×3, first 2 shown]
	s_waitcnt lgkmcnt(1)
	v_pk_max_f16 v14, v14, v14
	v_pk_max_f16 v16, v16, v16
	v_pk_add_f16 v43, v43, v22
	v_pk_add_f16 v51, v51, v23
	;; [unrolled: 1-line block ×3, first 2 shown]
	v_pk_min_f16 v22, v14, v6
	v_pk_min_f16 v23, v14, v8
	v_pk_min_f16 v24, v14, v10
	v_pk_min_f16 v14, v14, v12
	v_pk_add_f16 v41, v41, v89
	v_pk_add_f16 v83, v58, v22
	;; [unrolled: 1-line block ×4, first 2 shown]
	ds_read2_b64 v[22:25], v67 offset0:32 offset1:40
	v_pk_add_f16 v39, v39, v92
	v_pk_add_f16 v49, v49, v107
	;; [unrolled: 1-line block ×3, first 2 shown]
	v_pk_min_f16 v63, v16, v8
	s_waitcnt lgkmcnt(1)
	v_pk_max_f16 v18, v18, v18
	v_pk_add_f16 v56, v56, v91
	v_pk_add_f16 v41, v41, v106
	;; [unrolled: 1-line block ×3, first 2 shown]
	v_pk_min_f16 v58, v16, v6
	v_pk_add_f16 v63, v49, v63
	v_pk_min_f16 v49, v18, v6
	v_pk_max_f16 v20, v20, v20
	v_pk_add_f16 v36, v36, v98
	v_pk_add_f16 v56, v56, v108
	;; [unrolled: 1-line block ×4, first 2 shown]
	v_pk_min_f16 v84, v16, v10
	v_pk_add_f16 v41, v41, v58
	v_pk_min_f16 v58, v18, v8
	v_pk_add_f16 v39, v39, v49
	v_pk_min_f16 v49, v20, v8
	s_waitcnt lgkmcnt(0)
	v_pk_max_f16 v22, v22, v22
	v_pk_add_f16 v37, v37, v95
	v_pk_add_f16 v62, v62, v99
	;; [unrolled: 1-line block ×6, first 2 shown]
	v_pk_min_f16 v48, v20, v6
	v_pk_min_f16 v58, v20, v10
	;; [unrolled: 1-line block ×3, first 2 shown]
	v_pk_add_f16 v85, v47, v49
	v_pk_min_f16 v47, v22, v6
	v_pk_add_f16 v37, v37, v112
	v_pk_add_f16 v62, v62, v117
	;; [unrolled: 1-line block ×3, first 2 shown]
	v_pk_min_f16 v16, v16, v12
	v_pk_add_f16 v20, v46, v20
	v_pk_min_f16 v46, v22, v8
	v_pk_max_f16 v24, v24, v24
	v_pk_add_f16 v36, v36, v47
	v_pk_min_f16 v47, v22, v10
	v_pk_min_f16 v22, v22, v12
	v_pk_max_f16 v2, v2, v2
	v_pk_max_f16 v5, v5, v5
	;; [unrolled: 1-line block ×3, first 2 shown]
	v_pk_add_f16 v54, v54, v97
	v_pk_add_f16 v40, v40, v124
	;; [unrolled: 1-line block ×3, first 2 shown]
	v_pk_min_f16 v64, v18, v10
	v_pk_min_f16 v18, v18, v12
	v_pk_add_f16 v37, v37, v48
	v_pk_add_f16 v62, v62, v46
	v_pk_min_f16 v46, v24, v6
	v_pk_min_f16 v48, v24, v8
	v_pk_add_f16 v22, v45, v22
	v_pk_min_f16 v45, v24, v10
	v_pk_min_f16 v24, v24, v12
	;; [unrolled: 1-line block ×6, first 2 shown]
	v_pk_max_f16 v9, v9, v9
	v_pk_min_f16 v4, v4, v12
	v_pk_max_f16 v11, v11, v11
	v_pk_min_f16 v12, v5, v7
	v_pk_add_f16 v54, v54, v114
	v_pk_add_f16 v8, v68, v8
	;; [unrolled: 1-line block ×3, first 2 shown]
	v_pk_min_f16 v40, v5, v9
	v_pk_add_f16 v4, v42, v4
	v_pk_min_f16 v42, v5, v11
	v_pk_max_f16 v15, v15, v15
	v_pk_add_f16 v68, v43, v12
	v_pk_max_f16 v12, v13, v13
	v_pk_add_f16 v55, v55, v94
	v_pk_add_f16 v61, v61, v102
	;; [unrolled: 1-line block ×5, first 2 shown]
	v_pk_min_f16 v13, v15, v7
	v_pk_min_f16 v40, v15, v9
	v_pk_min_f16 v42, v15, v11
	v_pk_min_f16 v15, v15, v12
	v_pk_max_f16 v17, v17, v17
	v_pk_add_f16 v53, v53, v100
	v_pk_add_f16 v55, v55, v111
	;; [unrolled: 1-line block ×6, first 2 shown]
	v_pk_min_f16 v13, v17, v7
	v_pk_min_f16 v14, v17, v9
	;; [unrolled: 1-line block ×4, first 2 shown]
	v_pk_max_f16 v19, v19, v19
	v_pk_add_f16 v38, v38, v101
	v_pk_add_f16 v53, v53, v118
	v_pk_add_f16 v55, v55, v64
	v_pk_add_f16 v18, v65, v18
	v_pk_add_f16 v61, v61, v48
	v_pk_add_f16 v41, v41, v13
	v_pk_add_f16 v65, v63, v14
	v_pk_add_f16 v56, v56, v15
	v_pk_add_f16 v48, v16, v17
	v_pk_min_f16 v13, v19, v7
	v_pk_min_f16 v14, v19, v9
	;; [unrolled: 1-line block ×4, first 2 shown]
	v_pk_max_f16 v17, v21, v21
	v_pk_add_f16 v52, v52, v103
	v_pk_add_f16 v38, v38, v120
	;; [unrolled: 1-line block ×7, first 2 shown]
	v_pk_min_f16 v13, v17, v7
	v_pk_min_f16 v14, v17, v9
	;; [unrolled: 1-line block ×4, first 2 shown]
	v_pk_max_f16 v17, v23, v23
	v_pk_add_f16 v52, v52, v122
	v_pk_add_f16 v44, v44, v123
	;; [unrolled: 1-line block ×7, first 2 shown]
	v_pk_min_f16 v13, v17, v7
	v_pk_min_f16 v14, v17, v9
	;; [unrolled: 1-line block ×4, first 2 shown]
	v_pk_max_f16 v17, v25, v25
	v_pk_max_f16 v3, v3, v3
	v_add_co_u32 v76, s1, v76, 16
	v_pk_add_f16 v52, v52, v45
	v_pk_add_f16 v24, v44, v24
	;; [unrolled: 1-line block ×7, first 2 shown]
	v_pk_min_f16 v13, v17, v7
	v_pk_min_f16 v14, v17, v9
	;; [unrolled: 1-line block ×9, first 2 shown]
	v_add_co_ci_u32_e64 v77, null, 0, v77, s1
	v_add_co_u32 v78, s1, v78, 16
	v_add_co_ci_u32_e64 v79, null, 0, v79, s1
	v_add_co_u32 v72, s1, v72, s8
	v_pk_add_f16 v66, v60, v40
	v_pk_add_f16 v57, v57, v42
	v_pk_add_f16 v38, v38, v13
	v_pk_add_f16 v61, v61, v14
	v_pk_add_f16 v52, v52, v15
	v_pk_add_f16 v44, v24, v16
	v_pk_add_f16 v40, v6, v7
	v_pk_add_f16 v60, v8, v9
	v_pk_add_f16 v51, v10, v11
	v_pk_add_f16 v43, v2, v3
	v_pk_add_f16 v42, v4, v5
	v_add_co_ci_u32_e64 v73, null, s9, v73, s1
	s_add_i32 s20, s20, 8
	s_waitcnt vmcnt(0)
	ds_write_b16 v70, v81
	ds_write_b16 v71, v80
	ds_write_b16 v71, v82 offset:512
	s_cmp_ge_i32 s20, s16
	s_waitcnt lgkmcnt(0)
	s_barrier
	buffer_gl0_inv
	s_cbranch_scc1 .LBB235_35
.LBB235_23:                             ; =>This Inner Loop Header: Depth=1
	v_add_nc_u32_e32 v80, s20, v30
	v_mov_b32_e32 v81, 0
	v_add_nc_u32_e32 v2, 8, v80
	v_cmp_gt_i32_e64 s1, s14, v2
	s_and_b32 s1, s24, s1
	s_and_saveexec_b32 s2, s1
	s_cbranch_execz .LBB235_25
; %bb.24:                               ;   in Loop: Header=BB235_23 Depth=1
	v_add_co_u32 v2, s1, v72, v28
	v_add_co_ci_u32_e64 v3, null, v73, v29, s1
	flat_load_ushort v81, v[2:3]
.LBB235_25:                             ;   in Loop: Header=BB235_23 Depth=1
	s_or_b32 exec_lo, exec_lo, s2
	v_add_nc_u32_e32 v82, s20, v31
	v_mov_b32_e32 v83, 0
	v_mov_b32_e32 v84, 0
	v_add_nc_u32_e32 v2, 8, v82
	v_cmp_le_i32_e64 s1, s14, v2
	s_nor_b32 s2, vcc_lo, s1
	s_and_saveexec_b32 s17, s2
	s_cbranch_execz .LBB235_27
; %bb.26:                               ;   in Loop: Header=BB235_23 Depth=1
	v_add_co_u32 v2, s2, v76, v32
	v_add_co_ci_u32_e64 v3, null, 0, v77, s2
	flat_load_ushort v84, v[2:3] offset:16
.LBB235_27:                             ;   in Loop: Header=BB235_23 Depth=1
	s_or_b32 exec_lo, exec_lo, s17
	s_nor_b32 s1, s0, s1
	s_and_saveexec_b32 s2, s1
	s_cbranch_execz .LBB235_29
; %bb.28:                               ;   in Loop: Header=BB235_23 Depth=1
	v_add_co_u32 v2, s1, v78, v32
	v_add_co_ci_u32_e64 v3, null, 0, v79, s1
	flat_load_ushort v83, v[2:3] offset:16
.LBB235_29:                             ;   in Loop: Header=BB235_23 Depth=1
	s_or_b32 exec_lo, exec_lo, s2
	ds_read2_b64 v[2:5], v74 offset0:48 offset1:56
	ds_read2_b64 v[18:21], v75 offset0:64 offset1:96
	ds_read2_b64 v[22:25], v75 offset1:32
	ds_read2_b64 v[14:17], v74 offset1:8
	ds_read2_b64 v[10:13], v74 offset0:16 offset1:24
	ds_read2_b64 v[6:9], v74 offset0:32 offset1:40
	v_add_nc_u32_e32 v80, 12, v80
	s_waitcnt vmcnt(0) lgkmcnt(6)
	ds_write_b16 v59, v81
	ds_write_b16 v35, v84
	ds_write_b16 v35, v83 offset:512
	v_mov_b32_e32 v81, 0
	s_waitcnt lgkmcnt(0)
	s_barrier
	v_cmp_gt_i32_e64 s1, s14, v80
	v_mov_b32_e32 v80, 0
	buffer_gl0_inv
	s_and_b32 s1, s24, s1
	s_and_saveexec_b32 s2, s1
	s_xor_b32 s2, exec_lo, s2
	s_cbranch_execz .LBB235_31
; %bb.30:                               ;   in Loop: Header=BB235_23 Depth=1
	v_add_co_u32 v83, s1, v72, v26
	v_add_co_ci_u32_e64 v84, null, v73, v27, s1
	flat_load_ushort v81, v[83:84]
.LBB235_31:                             ;   in Loop: Header=BB235_23 Depth=1
	s_or_b32 exec_lo, exec_lo, s2
	v_add_nc_u32_e32 v82, 12, v82
	v_cmp_le_i32_e64 s1, s14, v82
	s_nor_b32 s2, vcc_lo, s1
	s_and_saveexec_b32 s17, s2
	s_cbranch_execz .LBB235_33
; %bb.32:                               ;   in Loop: Header=BB235_23 Depth=1
	v_add_co_u32 v82, s2, v76, v32
	v_add_co_ci_u32_e64 v83, null, 0, v77, s2
	flat_load_ushort v80, v[82:83] offset:24
.LBB235_33:                             ;   in Loop: Header=BB235_23 Depth=1
	s_or_b32 exec_lo, exec_lo, s17
	v_mov_b32_e32 v82, 0
	s_nor_b32 s1, s0, s1
	s_and_saveexec_b32 s2, s1
	s_cbranch_execz .LBB235_22
; %bb.34:                               ;   in Loop: Header=BB235_23 Depth=1
	v_add_co_u32 v82, s1, v78, v32
	v_add_co_ci_u32_e64 v83, null, 0, v79, s1
	flat_load_ushort v82, v[82:83] offset:24
	s_branch .LBB235_22
.LBB235_35:
	s_clause 0x2
	s_load_dword s14, s[4:5], 0x50
	s_load_dword s9, s[4:5], 0x68
	s_load_dwordx2 s[4:5], s[4:5], 0x70
	v_add_nc_u32_e32 v67, s23, v1
	v_add_nc_u32_e32 v10, 0x800, v34
	ds_read2_b64 v[2:5], v33 offset0:192 offset1:224
	ds_read2_b64 v[22:25], v33 offset0:128 offset1:160
	v_add_nc_u32_e32 v0, s3, v0
	ds_read2_b64 v[6:9], v10 offset0:112 offset1:120
	ds_read2_b64 v[18:21], v10 offset0:64 offset1:72
	;; [unrolled: 1-line block ×4, first 2 shown]
	v_cmp_gt_i32_e64 s8, s13, v67
	v_cmp_gt_i32_e64 s0, s12, v0
	v_ashrrev_i32_e32 v1, 31, v0
	v_cndmask_b32_e64 v59, 0, 1, s22
	s_waitcnt lgkmcnt(0)
	v_mad_i64_i32 v[26:27], null, v67, s14, 0
	v_mad_i64_i32 v[28:29], null, v67, s9, 0
	s_lshl_b64 s[2:3], s[4:5], 1
	s_add_u32 s16, s6, s2
	s_addc_u32 s17, s7, s3
	v_lshlrev_b64 v[26:27], 1, v[26:27]
	s_and_b32 s1, s0, s8
	v_lshlrev_b64 v[28:29], 1, v[28:29]
	v_add_co_u32 v72, vcc_lo, s10, v26
	v_add_co_ci_u32_e64 v73, null, s11, v27, vcc_lo
	v_add_co_u32 v70, vcc_lo, s16, v28
	v_add_co_ci_u32_e64 v71, null, s17, v29, vcc_lo
	s_and_saveexec_b32 s2, s1
	s_xor_b32 s1, exec_lo, s2
	s_cbranch_execz .LBB235_40
; %bb.36:
	v_lshlrev_b64 v[26:27], 1, v[0:1]
	s_andn2_b32 vcc_lo, exec_lo, s22
	s_cbranch_vccnz .LBB235_38
; %bb.37:
	v_add_co_u32 v28, vcc_lo, v72, v26
	v_add_co_ci_u32_e64 v29, null, v73, v27, vcc_lo
	flat_load_ushort v28, v[28:29]
	s_waitcnt vmcnt(0) lgkmcnt(0)
	v_mul_f16_e32 v28, s15, v28
	s_branch .LBB235_39
.LBB235_38:
	v_mov_b32_e32 v28, 0
.LBB235_39:
	v_pk_max_f16 v29, v22, v22
	v_pk_max_f16 v30, v18, v18
	;; [unrolled: 1-line block ×4, first 2 shown]
	v_add_co_u32 v26, vcc_lo, v70, v26
	v_pk_min_f16 v29, v30, v29
	v_add_co_ci_u32_e64 v27, null, v71, v27, vcc_lo
	v_pk_min_f16 v30, v32, v31
	v_pk_add_f16 v29, v69, v29
	v_pk_add_f16 v29, v29, v30
	v_add_f16_sdwa v29, v29, v29 dst_sel:DWORD dst_unused:UNUSED_PAD src0_sel:DWORD src1_sel:WORD_1
	v_add_f16_e32 v28, v29, v28
	flat_store_short v[26:27], v28
.LBB235_40:
	s_or_b32 exec_lo, exec_lo, s1
	v_add_nc_u32_e32 v26, 8, v0
	v_cmp_gt_i32_e64 s1, s12, v26
	v_ashrrev_i32_e32 v27, 31, v26
	s_and_b32 s3, s1, s8
	s_and_saveexec_b32 s2, s3
	s_cbranch_execz .LBB235_45
; %bb.41:
	v_cmp_ne_u32_e32 vcc_lo, 1, v59
	v_lshlrev_b64 v[28:29], 1, v[26:27]
	s_cbranch_vccnz .LBB235_43
; %bb.42:
	v_add_co_u32 v30, vcc_lo, v72, v28
	v_add_co_ci_u32_e64 v31, null, v73, v29, vcc_lo
	flat_load_ushort v30, v[30:31]
	s_waitcnt vmcnt(0) lgkmcnt(0)
	v_mul_f16_e32 v30, s15, v30
	s_branch .LBB235_44
.LBB235_43:
	v_mov_b32_e32 v30, 0
.LBB235_44:
	v_pk_max_f16 v31, v22, v22
	v_pk_max_f16 v32, v20, v20
	v_pk_max_f16 v33, v23, v23
	v_pk_max_f16 v34, v21, v21
	v_add_co_u32 v28, vcc_lo, v70, v28
	v_pk_min_f16 v31, v32, v31
	v_add_co_ci_u32_e64 v29, null, v71, v29, vcc_lo
	v_pk_min_f16 v32, v34, v33
	v_pk_add_f16 v31, v41, v31
	v_pk_add_f16 v31, v31, v32
	v_add_f16_sdwa v31, v31, v31 dst_sel:DWORD dst_unused:UNUSED_PAD src0_sel:DWORD src1_sel:WORD_1
	v_add_f16_e32 v30, v31, v30
	flat_store_short v[28:29], v30
.LBB235_45:
	s_or_b32 exec_lo, exec_lo, s2
	v_add_nc_u32_e32 v28, 16, v0
	v_cmp_gt_i32_e64 s2, s12, v28
	v_ashrrev_i32_e32 v29, 31, v28
	s_and_b32 s4, s2, s8
	s_and_saveexec_b32 s3, s4
	s_cbranch_execz .LBB235_50
; %bb.46:
	v_cmp_ne_u32_e32 vcc_lo, 1, v59
	v_lshlrev_b64 v[30:31], 1, v[28:29]
	s_cbranch_vccnz .LBB235_48
; %bb.47:
	v_add_co_u32 v32, vcc_lo, v72, v30
	v_add_co_ci_u32_e64 v33, null, v73, v31, vcc_lo
	flat_load_ushort v32, v[32:33]
	s_waitcnt vmcnt(0) lgkmcnt(0)
	v_mul_f16_e32 v32, s15, v32
	s_branch .LBB235_49
.LBB235_48:
	v_mov_b32_e32 v32, 0
.LBB235_49:
	v_pk_max_f16 v33, v22, v22
	v_pk_max_f16 v34, v14, v14
	v_pk_max_f16 v35, v23, v23
	v_pk_max_f16 v41, v15, v15
	v_add_co_u32 v30, vcc_lo, v70, v30
	v_pk_min_f16 v33, v34, v33
	v_add_co_ci_u32_e64 v31, null, v71, v31, vcc_lo
	v_pk_min_f16 v34, v41, v35
	v_pk_add_f16 v33, v39, v33
	v_pk_add_f16 v33, v33, v34
	v_add_f16_sdwa v33, v33, v33 dst_sel:DWORD dst_unused:UNUSED_PAD src0_sel:DWORD src1_sel:WORD_1
	v_add_f16_e32 v32, v33, v32
	flat_store_short v[30:31], v32
.LBB235_50:
	;; [unrolled: 35-line block ×6, first 2 shown]
	s_or_b32 exec_lo, exec_lo, s7
	v_add_nc_u32_e32 v38, 56, v0
	v_cmp_gt_i32_e64 s7, s12, v38
	v_ashrrev_i32_e32 v39, 31, v38
	s_and_b32 s12, s7, s8
	s_and_saveexec_b32 s8, s12
	s_cbranch_execz .LBB235_75
; %bb.71:
	v_cmp_ne_u32_e32 vcc_lo, 1, v59
	v_lshlrev_b64 v[40:41], 1, v[38:39]
	s_cbranch_vccnz .LBB235_73
; %bb.72:
	v_add_co_u32 v72, vcc_lo, v72, v40
	v_add_co_ci_u32_e64 v73, null, v73, v41, vcc_lo
	flat_load_ushort v69, v[72:73]
	s_waitcnt vmcnt(0) lgkmcnt(0)
	v_mul_f16_e32 v69, s15, v69
	s_branch .LBB235_74
.LBB235_73:
	v_mov_b32_e32 v69, 0
.LBB235_74:
	v_pk_max_f16 v22, v22, v22
	v_pk_max_f16 v72, v8, v8
	;; [unrolled: 1-line block ×4, first 2 shown]
	v_pk_min_f16 v22, v72, v22
	v_pk_min_f16 v23, v73, v23
	v_pk_add_f16 v22, v68, v22
	v_pk_add_f16 v22, v22, v23
	v_add_f16_sdwa v22, v22, v22 dst_sel:DWORD dst_unused:UNUSED_PAD src0_sel:DWORD src1_sel:WORD_1
	v_add_f16_e32 v68, v22, v69
	v_add_co_u32 v22, vcc_lo, v70, v40
	v_add_co_ci_u32_e64 v23, null, v71, v41, vcc_lo
	flat_store_short v[22:23], v68
.LBB235_75:
	s_or_b32 exec_lo, exec_lo, s8
	v_add_nc_u32_e32 v68, 32, v67
	v_mad_i64_i32 v[22:23], null, v68, s14, 0
	v_mad_i64_i32 v[40:41], null, v68, s9, 0
	v_cmp_gt_i32_e64 s8, s13, v68
	v_lshlrev_b64 v[22:23], 1, v[22:23]
	s_and_b32 s18, s0, s8
	v_lshlrev_b64 v[40:41], 1, v[40:41]
	v_add_co_u32 v68, vcc_lo, s10, v22
	v_add_co_ci_u32_e64 v69, null, s11, v23, vcc_lo
	v_add_co_u32 v40, vcc_lo, s16, v40
	v_add_co_ci_u32_e64 v41, null, s17, v41, vcc_lo
	s_and_saveexec_b32 s12, s18
	s_cbranch_execnz .LBB235_83
; %bb.76:
	s_or_b32 exec_lo, exec_lo, s12
	s_and_b32 s18, s1, s8
	s_and_saveexec_b32 s12, s18
	s_cbranch_execnz .LBB235_87
.LBB235_77:
	s_or_b32 exec_lo, exec_lo, s12
	s_and_b32 s18, s2, s8
	s_and_saveexec_b32 s12, s18
	s_cbranch_execnz .LBB235_91
.LBB235_78:
	s_or_b32 exec_lo, exec_lo, s12
	s_and_b32 s18, s3, s8
	s_and_saveexec_b32 s12, s18
	s_cbranch_execnz .LBB235_95
.LBB235_79:
	s_or_b32 exec_lo, exec_lo, s12
	s_and_b32 s18, s4, s8
	s_and_saveexec_b32 s12, s18
	s_cbranch_execnz .LBB235_99
.LBB235_80:
	s_or_b32 exec_lo, exec_lo, s12
	s_and_b32 s18, s5, s8
	s_and_saveexec_b32 s12, s18
	s_cbranch_execnz .LBB235_103
.LBB235_81:
	s_or_b32 exec_lo, exec_lo, s12
	s_and_b32 s18, s6, s8
	s_and_saveexec_b32 s12, s18
	s_cbranch_execnz .LBB235_107
.LBB235_82:
	s_or_b32 exec_lo, exec_lo, s12
	s_and_b32 s12, s7, s8
	s_and_saveexec_b32 s8, s12
	s_cbranch_execnz .LBB235_111
	s_branch .LBB235_115
.LBB235_83:
	v_cmp_ne_u32_e32 vcc_lo, 1, v59
	v_lshlrev_b64 v[22:23], 1, v[0:1]
	s_cbranch_vccnz .LBB235_85
; %bb.84:
	v_add_co_u32 v70, vcc_lo, v68, v22
	v_add_co_ci_u32_e64 v71, null, v69, v23, vcc_lo
	flat_load_ushort v70, v[70:71]
	s_waitcnt vmcnt(0) lgkmcnt(0)
	v_mul_f16_e32 v70, s15, v70
	s_branch .LBB235_86
.LBB235_85:
	v_mov_b32_e32 v70, 0
.LBB235_86:
	v_pk_max_f16 v71, v24, v24
	v_pk_max_f16 v72, v18, v18
	;; [unrolled: 1-line block ×4, first 2 shown]
	v_add_co_u32 v22, vcc_lo, v40, v22
	v_pk_min_f16 v71, v72, v71
	v_add_co_ci_u32_e64 v23, null, v41, v23, vcc_lo
	v_pk_min_f16 v72, v74, v73
	v_pk_add_f16 v66, v66, v71
	v_pk_add_f16 v66, v66, v72
	v_add_f16_sdwa v66, v66, v66 dst_sel:DWORD dst_unused:UNUSED_PAD src0_sel:DWORD src1_sel:WORD_1
	v_add_f16_e32 v66, v66, v70
	flat_store_short v[22:23], v66
	s_or_b32 exec_lo, exec_lo, s12
	s_and_b32 s18, s1, s8
	s_and_saveexec_b32 s12, s18
	s_cbranch_execz .LBB235_77
.LBB235_87:
	v_cmp_ne_u32_e32 vcc_lo, 1, v59
	v_lshlrev_b64 v[22:23], 1, v[26:27]
	s_cbranch_vccnz .LBB235_89
; %bb.88:
	v_add_co_u32 v70, vcc_lo, v68, v22
	v_add_co_ci_u32_e64 v71, null, v69, v23, vcc_lo
	flat_load_ushort v66, v[70:71]
	s_waitcnt vmcnt(0) lgkmcnt(0)
	v_mul_f16_e32 v66, s15, v66
	s_branch .LBB235_90
.LBB235_89:
	v_mov_b32_e32 v66, 0
.LBB235_90:
	v_pk_max_f16 v70, v24, v24
	v_pk_max_f16 v71, v20, v20
	;; [unrolled: 1-line block ×4, first 2 shown]
	v_add_co_u32 v22, vcc_lo, v40, v22
	v_pk_min_f16 v70, v71, v70
	v_add_co_ci_u32_e64 v23, null, v41, v23, vcc_lo
	v_pk_min_f16 v71, v73, v72
	v_pk_add_f16 v65, v65, v70
	v_pk_add_f16 v65, v65, v71
	v_add_f16_sdwa v65, v65, v65 dst_sel:DWORD dst_unused:UNUSED_PAD src0_sel:DWORD src1_sel:WORD_1
	v_add_f16_e32 v65, v65, v66
	flat_store_short v[22:23], v65
	s_or_b32 exec_lo, exec_lo, s12
	s_and_b32 s18, s2, s8
	s_and_saveexec_b32 s12, s18
	s_cbranch_execz .LBB235_78
.LBB235_91:
	v_cmp_ne_u32_e32 vcc_lo, 1, v59
	v_lshlrev_b64 v[22:23], 1, v[28:29]
	s_cbranch_vccnz .LBB235_93
; %bb.92:
	v_add_co_u32 v65, vcc_lo, v68, v22
	v_add_co_ci_u32_e64 v66, null, v69, v23, vcc_lo
	flat_load_ushort v65, v[65:66]
	s_waitcnt vmcnt(0) lgkmcnt(0)
	v_mul_f16_e32 v65, s15, v65
	s_branch .LBB235_94
.LBB235_93:
	v_mov_b32_e32 v65, 0
.LBB235_94:
	v_pk_max_f16 v66, v24, v24
	v_pk_max_f16 v70, v14, v14
	;; [unrolled: 1-line block ×4, first 2 shown]
	v_add_co_u32 v22, vcc_lo, v40, v22
	v_pk_min_f16 v66, v70, v66
	v_add_co_ci_u32_e64 v23, null, v41, v23, vcc_lo
	v_pk_min_f16 v70, v72, v71
	v_pk_add_f16 v64, v64, v66
	v_pk_add_f16 v64, v64, v70
	v_add_f16_sdwa v64, v64, v64 dst_sel:DWORD dst_unused:UNUSED_PAD src0_sel:DWORD src1_sel:WORD_1
	v_add_f16_e32 v64, v64, v65
	flat_store_short v[22:23], v64
	s_or_b32 exec_lo, exec_lo, s12
	s_and_b32 s18, s3, s8
	s_and_saveexec_b32 s12, s18
	s_cbranch_execz .LBB235_79
.LBB235_95:
	v_cmp_ne_u32_e32 vcc_lo, 1, v59
	v_lshlrev_b64 v[22:23], 1, v[30:31]
	s_cbranch_vccnz .LBB235_97
; %bb.96:
	v_add_co_u32 v64, vcc_lo, v68, v22
	v_add_co_ci_u32_e64 v65, null, v69, v23, vcc_lo
	flat_load_ushort v64, v[64:65]
	s_waitcnt vmcnt(0) lgkmcnt(0)
	v_mul_f16_e32 v64, s15, v64
	s_branch .LBB235_98
.LBB235_97:
	v_mov_b32_e32 v64, 0
.LBB235_98:
	v_pk_max_f16 v65, v24, v24
	v_pk_max_f16 v66, v16, v16
	;; [unrolled: 1-line block ×4, first 2 shown]
	v_add_co_u32 v22, vcc_lo, v40, v22
	v_pk_min_f16 v65, v66, v65
	v_add_co_ci_u32_e64 v23, null, v41, v23, vcc_lo
	v_pk_min_f16 v66, v71, v70
	v_pk_add_f16 v63, v63, v65
	v_pk_add_f16 v63, v63, v66
	v_add_f16_sdwa v63, v63, v63 dst_sel:DWORD dst_unused:UNUSED_PAD src0_sel:DWORD src1_sel:WORD_1
	v_add_f16_e32 v63, v63, v64
	flat_store_short v[22:23], v63
	s_or_b32 exec_lo, exec_lo, s12
	s_and_b32 s18, s4, s8
	s_and_saveexec_b32 s12, s18
	s_cbranch_execz .LBB235_80
.LBB235_99:
	v_cmp_ne_u32_e32 vcc_lo, 1, v59
	v_lshlrev_b64 v[22:23], 1, v[32:33]
	s_cbranch_vccnz .LBB235_101
; %bb.100:
	v_add_co_u32 v63, vcc_lo, v68, v22
	v_add_co_ci_u32_e64 v64, null, v69, v23, vcc_lo
	flat_load_ushort v63, v[63:64]
	s_waitcnt vmcnt(0) lgkmcnt(0)
	v_mul_f16_e32 v63, s15, v63
	s_branch .LBB235_102
.LBB235_101:
	v_mov_b32_e32 v63, 0
.LBB235_102:
	v_pk_max_f16 v64, v24, v24
	v_pk_max_f16 v65, v10, v10
	;; [unrolled: 1-line block ×4, first 2 shown]
	v_add_co_u32 v22, vcc_lo, v40, v22
	v_pk_min_f16 v64, v65, v64
	v_add_co_ci_u32_e64 v23, null, v41, v23, vcc_lo
	v_pk_min_f16 v65, v70, v66
	v_pk_add_f16 v62, v62, v64
	v_pk_add_f16 v62, v62, v65
	v_add_f16_sdwa v62, v62, v62 dst_sel:DWORD dst_unused:UNUSED_PAD src0_sel:DWORD src1_sel:WORD_1
	v_add_f16_e32 v62, v62, v63
	flat_store_short v[22:23], v62
	s_or_b32 exec_lo, exec_lo, s12
	s_and_b32 s18, s5, s8
	s_and_saveexec_b32 s12, s18
	s_cbranch_execz .LBB235_81
.LBB235_103:
	v_cmp_ne_u32_e32 vcc_lo, 1, v59
	v_lshlrev_b64 v[22:23], 1, v[34:35]
	s_cbranch_vccnz .LBB235_105
; %bb.104:
	v_add_co_u32 v62, vcc_lo, v68, v22
	v_add_co_ci_u32_e64 v63, null, v69, v23, vcc_lo
	flat_load_ushort v62, v[62:63]
	s_waitcnt vmcnt(0) lgkmcnt(0)
	v_mul_f16_e32 v62, s15, v62
	s_branch .LBB235_106
.LBB235_105:
	v_mov_b32_e32 v62, 0
.LBB235_106:
	v_pk_max_f16 v63, v24, v24
	v_pk_max_f16 v64, v12, v12
	;; [unrolled: 1-line block ×4, first 2 shown]
	v_add_co_u32 v22, vcc_lo, v40, v22
	v_pk_min_f16 v63, v64, v63
	v_add_co_ci_u32_e64 v23, null, v41, v23, vcc_lo
	v_pk_min_f16 v64, v66, v65
	v_pk_add_f16 v61, v61, v63
	v_pk_add_f16 v61, v61, v64
	v_add_f16_sdwa v61, v61, v61 dst_sel:DWORD dst_unused:UNUSED_PAD src0_sel:DWORD src1_sel:WORD_1
	v_add_f16_e32 v61, v61, v62
	flat_store_short v[22:23], v61
	s_or_b32 exec_lo, exec_lo, s12
	s_and_b32 s18, s6, s8
	s_and_saveexec_b32 s12, s18
	s_cbranch_execz .LBB235_82
.LBB235_107:
	v_cmp_ne_u32_e32 vcc_lo, 1, v59
	v_lshlrev_b64 v[22:23], 1, v[36:37]
	s_cbranch_vccnz .LBB235_109
; %bb.108:
	v_add_co_u32 v61, vcc_lo, v68, v22
	v_add_co_ci_u32_e64 v62, null, v69, v23, vcc_lo
	flat_load_ushort v61, v[61:62]
	s_waitcnt vmcnt(0) lgkmcnt(0)
	v_mul_f16_e32 v61, s15, v61
	s_branch .LBB235_110
.LBB235_109:
	v_mov_b32_e32 v61, 0
.LBB235_110:
	v_pk_max_f16 v62, v24, v24
	v_pk_max_f16 v63, v6, v6
	;; [unrolled: 1-line block ×4, first 2 shown]
	v_add_co_u32 v22, vcc_lo, v40, v22
	v_pk_min_f16 v62, v63, v62
	v_add_co_ci_u32_e64 v23, null, v41, v23, vcc_lo
	v_pk_min_f16 v63, v65, v64
	v_pk_add_f16 v60, v60, v62
	v_pk_add_f16 v60, v60, v63
	v_add_f16_sdwa v60, v60, v60 dst_sel:DWORD dst_unused:UNUSED_PAD src0_sel:DWORD src1_sel:WORD_1
	v_add_f16_e32 v60, v60, v61
	flat_store_short v[22:23], v60
	s_or_b32 exec_lo, exec_lo, s12
	s_and_b32 s12, s7, s8
	s_and_saveexec_b32 s8, s12
	s_cbranch_execz .LBB235_115
.LBB235_111:
	v_cmp_ne_u32_e32 vcc_lo, 1, v59
	v_lshlrev_b64 v[22:23], 1, v[38:39]
	s_cbranch_vccnz .LBB235_113
; %bb.112:
	v_add_co_u32 v60, vcc_lo, v68, v22
	v_add_co_ci_u32_e64 v61, null, v69, v23, vcc_lo
	flat_load_ushort v60, v[60:61]
	s_waitcnt vmcnt(0) lgkmcnt(0)
	v_mul_f16_e32 v60, s15, v60
	s_branch .LBB235_114
.LBB235_113:
	v_mov_b32_e32 v60, 0
.LBB235_114:
	v_pk_max_f16 v24, v24, v24
	v_pk_max_f16 v61, v8, v8
	;; [unrolled: 1-line block ×4, first 2 shown]
	v_add_co_u32 v22, vcc_lo, v40, v22
	v_pk_min_f16 v24, v61, v24
	v_add_co_ci_u32_e64 v23, null, v41, v23, vcc_lo
	v_pk_min_f16 v25, v62, v25
	v_pk_add_f16 v24, v58, v24
	v_pk_add_f16 v24, v24, v25
	v_add_f16_sdwa v24, v24, v24 dst_sel:DWORD dst_unused:UNUSED_PAD src0_sel:DWORD src1_sel:WORD_1
	v_add_f16_e32 v24, v24, v60
	flat_store_short v[22:23], v24
.LBB235_115:
	s_or_b32 exec_lo, exec_lo, s8
	v_add_nc_u32_e32 v40, 64, v67
	v_mad_i64_i32 v[22:23], null, v40, s14, 0
	v_mad_i64_i32 v[24:25], null, v40, s9, 0
	v_cmp_gt_i32_e64 s8, s13, v40
	v_lshlrev_b64 v[22:23], 1, v[22:23]
	s_and_b32 s18, s0, s8
	v_lshlrev_b64 v[24:25], 1, v[24:25]
	v_add_co_u32 v40, vcc_lo, s10, v22
	v_add_co_ci_u32_e64 v41, null, s11, v23, vcc_lo
	v_add_co_u32 v24, vcc_lo, s16, v24
	v_add_co_ci_u32_e64 v25, null, s17, v25, vcc_lo
	s_and_saveexec_b32 s12, s18
	s_cbranch_execnz .LBB235_123
; %bb.116:
	s_or_b32 exec_lo, exec_lo, s12
	s_and_b32 s18, s1, s8
	s_and_saveexec_b32 s12, s18
	s_cbranch_execnz .LBB235_127
.LBB235_117:
	s_or_b32 exec_lo, exec_lo, s12
	s_and_b32 s18, s2, s8
	s_and_saveexec_b32 s12, s18
	s_cbranch_execnz .LBB235_131
.LBB235_118:
	s_or_b32 exec_lo, exec_lo, s12
	s_and_b32 s18, s3, s8
	s_and_saveexec_b32 s12, s18
	s_cbranch_execnz .LBB235_135
.LBB235_119:
	s_or_b32 exec_lo, exec_lo, s12
	s_and_b32 s18, s4, s8
	s_and_saveexec_b32 s12, s18
	s_cbranch_execnz .LBB235_139
.LBB235_120:
	s_or_b32 exec_lo, exec_lo, s12
	s_and_b32 s18, s5, s8
	s_and_saveexec_b32 s12, s18
	s_cbranch_execnz .LBB235_143
.LBB235_121:
	s_or_b32 exec_lo, exec_lo, s12
	s_and_b32 s18, s6, s8
	s_and_saveexec_b32 s12, s18
	s_cbranch_execnz .LBB235_147
.LBB235_122:
	s_or_b32 exec_lo, exec_lo, s12
	s_and_b32 s12, s7, s8
	s_and_saveexec_b32 s8, s12
	s_cbranch_execnz .LBB235_151
	s_branch .LBB235_155
.LBB235_123:
	v_cmp_ne_u32_e32 vcc_lo, 1, v59
	v_lshlrev_b64 v[22:23], 1, v[0:1]
	s_cbranch_vccnz .LBB235_125
; %bb.124:
	v_add_co_u32 v60, vcc_lo, v40, v22
	v_add_co_ci_u32_e64 v61, null, v41, v23, vcc_lo
	flat_load_ushort v58, v[60:61]
	s_waitcnt vmcnt(0) lgkmcnt(0)
	v_mul_f16_e32 v58, s15, v58
	s_branch .LBB235_126
.LBB235_125:
	v_mov_b32_e32 v58, 0
.LBB235_126:
	v_pk_max_f16 v60, v2, v2
	v_pk_max_f16 v61, v18, v18
	;; [unrolled: 1-line block ×4, first 2 shown]
	v_add_co_u32 v22, vcc_lo, v24, v22
	v_pk_min_f16 v60, v61, v60
	v_add_co_ci_u32_e64 v23, null, v25, v23, vcc_lo
	v_pk_min_f16 v61, v63, v62
	v_pk_add_f16 v57, v57, v60
	v_pk_add_f16 v57, v57, v61
	v_add_f16_sdwa v57, v57, v57 dst_sel:DWORD dst_unused:UNUSED_PAD src0_sel:DWORD src1_sel:WORD_1
	v_add_f16_e32 v57, v57, v58
	flat_store_short v[22:23], v57
	s_or_b32 exec_lo, exec_lo, s12
	s_and_b32 s18, s1, s8
	s_and_saveexec_b32 s12, s18
	s_cbranch_execz .LBB235_117
.LBB235_127:
	v_cmp_ne_u32_e32 vcc_lo, 1, v59
	v_lshlrev_b64 v[22:23], 1, v[26:27]
	s_cbranch_vccnz .LBB235_129
; %bb.128:
	v_add_co_u32 v57, vcc_lo, v40, v22
	v_add_co_ci_u32_e64 v58, null, v41, v23, vcc_lo
	flat_load_ushort v57, v[57:58]
	s_waitcnt vmcnt(0) lgkmcnt(0)
	v_mul_f16_e32 v57, s15, v57
	s_branch .LBB235_130
.LBB235_129:
	v_mov_b32_e32 v57, 0
.LBB235_130:
	v_pk_max_f16 v58, v2, v2
	v_pk_max_f16 v60, v20, v20
	;; [unrolled: 1-line block ×4, first 2 shown]
	v_add_co_u32 v22, vcc_lo, v24, v22
	v_pk_min_f16 v58, v60, v58
	v_add_co_ci_u32_e64 v23, null, v25, v23, vcc_lo
	v_pk_min_f16 v60, v62, v61
	v_pk_add_f16 v56, v56, v58
	v_pk_add_f16 v56, v56, v60
	v_add_f16_sdwa v56, v56, v56 dst_sel:DWORD dst_unused:UNUSED_PAD src0_sel:DWORD src1_sel:WORD_1
	v_add_f16_e32 v56, v56, v57
	flat_store_short v[22:23], v56
	s_or_b32 exec_lo, exec_lo, s12
	s_and_b32 s18, s2, s8
	s_and_saveexec_b32 s12, s18
	s_cbranch_execz .LBB235_118
.LBB235_131:
	v_cmp_ne_u32_e32 vcc_lo, 1, v59
	v_lshlrev_b64 v[22:23], 1, v[28:29]
	s_cbranch_vccnz .LBB235_133
; %bb.132:
	v_add_co_u32 v56, vcc_lo, v40, v22
	v_add_co_ci_u32_e64 v57, null, v41, v23, vcc_lo
	flat_load_ushort v56, v[56:57]
	s_waitcnt vmcnt(0) lgkmcnt(0)
	v_mul_f16_e32 v56, s15, v56
	s_branch .LBB235_134
.LBB235_133:
	v_mov_b32_e32 v56, 0
.LBB235_134:
	v_pk_max_f16 v57, v2, v2
	v_pk_max_f16 v58, v14, v14
	;; [unrolled: 1-line block ×4, first 2 shown]
	v_add_co_u32 v22, vcc_lo, v24, v22
	v_pk_min_f16 v57, v58, v57
	v_add_co_ci_u32_e64 v23, null, v25, v23, vcc_lo
	v_pk_min_f16 v58, v61, v60
	v_pk_add_f16 v55, v55, v57
	v_pk_add_f16 v55, v55, v58
	v_add_f16_sdwa v55, v55, v55 dst_sel:DWORD dst_unused:UNUSED_PAD src0_sel:DWORD src1_sel:WORD_1
	v_add_f16_e32 v55, v55, v56
	flat_store_short v[22:23], v55
	s_or_b32 exec_lo, exec_lo, s12
	s_and_b32 s18, s3, s8
	s_and_saveexec_b32 s12, s18
	s_cbranch_execz .LBB235_119
.LBB235_135:
	v_cmp_ne_u32_e32 vcc_lo, 1, v59
	v_lshlrev_b64 v[22:23], 1, v[30:31]
	s_cbranch_vccnz .LBB235_137
; %bb.136:
	v_add_co_u32 v55, vcc_lo, v40, v22
	v_add_co_ci_u32_e64 v56, null, v41, v23, vcc_lo
	flat_load_ushort v55, v[55:56]
	s_waitcnt vmcnt(0) lgkmcnt(0)
	v_mul_f16_e32 v55, s15, v55
	s_branch .LBB235_138
.LBB235_137:
	v_mov_b32_e32 v55, 0
.LBB235_138:
	v_pk_max_f16 v56, v2, v2
	v_pk_max_f16 v57, v16, v16
	;; [unrolled: 1-line block ×4, first 2 shown]
	v_add_co_u32 v22, vcc_lo, v24, v22
	v_pk_min_f16 v56, v57, v56
	v_add_co_ci_u32_e64 v23, null, v25, v23, vcc_lo
	v_pk_min_f16 v57, v60, v58
	v_pk_add_f16 v54, v54, v56
	v_pk_add_f16 v54, v54, v57
	v_add_f16_sdwa v54, v54, v54 dst_sel:DWORD dst_unused:UNUSED_PAD src0_sel:DWORD src1_sel:WORD_1
	v_add_f16_e32 v54, v54, v55
	flat_store_short v[22:23], v54
	s_or_b32 exec_lo, exec_lo, s12
	s_and_b32 s18, s4, s8
	s_and_saveexec_b32 s12, s18
	s_cbranch_execz .LBB235_120
.LBB235_139:
	v_cmp_ne_u32_e32 vcc_lo, 1, v59
	v_lshlrev_b64 v[22:23], 1, v[32:33]
	s_cbranch_vccnz .LBB235_141
; %bb.140:
	v_add_co_u32 v54, vcc_lo, v40, v22
	v_add_co_ci_u32_e64 v55, null, v41, v23, vcc_lo
	flat_load_ushort v54, v[54:55]
	s_waitcnt vmcnt(0) lgkmcnt(0)
	v_mul_f16_e32 v54, s15, v54
	s_branch .LBB235_142
.LBB235_141:
	v_mov_b32_e32 v54, 0
.LBB235_142:
	v_pk_max_f16 v55, v2, v2
	v_pk_max_f16 v56, v10, v10
	;; [unrolled: 1-line block ×4, first 2 shown]
	v_add_co_u32 v22, vcc_lo, v24, v22
	v_pk_min_f16 v55, v56, v55
	v_add_co_ci_u32_e64 v23, null, v25, v23, vcc_lo
	v_pk_min_f16 v56, v58, v57
	v_pk_add_f16 v53, v53, v55
	v_pk_add_f16 v53, v53, v56
	v_add_f16_sdwa v53, v53, v53 dst_sel:DWORD dst_unused:UNUSED_PAD src0_sel:DWORD src1_sel:WORD_1
	v_add_f16_e32 v53, v53, v54
	flat_store_short v[22:23], v53
	s_or_b32 exec_lo, exec_lo, s12
	s_and_b32 s18, s5, s8
	s_and_saveexec_b32 s12, s18
	s_cbranch_execz .LBB235_121
.LBB235_143:
	v_cmp_ne_u32_e32 vcc_lo, 1, v59
	v_lshlrev_b64 v[22:23], 1, v[34:35]
	s_cbranch_vccnz .LBB235_145
; %bb.144:
	v_add_co_u32 v53, vcc_lo, v40, v22
	v_add_co_ci_u32_e64 v54, null, v41, v23, vcc_lo
	flat_load_ushort v53, v[53:54]
	s_waitcnt vmcnt(0) lgkmcnt(0)
	v_mul_f16_e32 v53, s15, v53
	s_branch .LBB235_146
.LBB235_145:
	v_mov_b32_e32 v53, 0
.LBB235_146:
	v_pk_max_f16 v54, v2, v2
	v_pk_max_f16 v55, v12, v12
	;; [unrolled: 1-line block ×4, first 2 shown]
	v_add_co_u32 v22, vcc_lo, v24, v22
	v_pk_min_f16 v54, v55, v54
	v_add_co_ci_u32_e64 v23, null, v25, v23, vcc_lo
	v_pk_min_f16 v55, v57, v56
	v_pk_add_f16 v52, v52, v54
	v_pk_add_f16 v52, v52, v55
	v_add_f16_sdwa v52, v52, v52 dst_sel:DWORD dst_unused:UNUSED_PAD src0_sel:DWORD src1_sel:WORD_1
	v_add_f16_e32 v52, v52, v53
	flat_store_short v[22:23], v52
	s_or_b32 exec_lo, exec_lo, s12
	s_and_b32 s18, s6, s8
	s_and_saveexec_b32 s12, s18
	s_cbranch_execz .LBB235_122
.LBB235_147:
	v_cmp_ne_u32_e32 vcc_lo, 1, v59
	v_lshlrev_b64 v[22:23], 1, v[36:37]
	s_cbranch_vccnz .LBB235_149
; %bb.148:
	v_add_co_u32 v52, vcc_lo, v40, v22
	v_add_co_ci_u32_e64 v53, null, v41, v23, vcc_lo
	flat_load_ushort v52, v[52:53]
	s_waitcnt vmcnt(0) lgkmcnt(0)
	v_mul_f16_e32 v52, s15, v52
	s_branch .LBB235_150
.LBB235_149:
	v_mov_b32_e32 v52, 0
.LBB235_150:
	v_pk_max_f16 v53, v2, v2
	v_pk_max_f16 v54, v6, v6
	;; [unrolled: 1-line block ×4, first 2 shown]
	v_add_co_u32 v22, vcc_lo, v24, v22
	v_pk_min_f16 v53, v54, v53
	v_add_co_ci_u32_e64 v23, null, v25, v23, vcc_lo
	v_pk_min_f16 v54, v56, v55
	v_pk_add_f16 v51, v51, v53
	v_pk_add_f16 v51, v51, v54
	v_add_f16_sdwa v51, v51, v51 dst_sel:DWORD dst_unused:UNUSED_PAD src0_sel:DWORD src1_sel:WORD_1
	v_add_f16_e32 v51, v51, v52
	flat_store_short v[22:23], v51
	s_or_b32 exec_lo, exec_lo, s12
	s_and_b32 s12, s7, s8
	s_and_saveexec_b32 s8, s12
	s_cbranch_execz .LBB235_155
.LBB235_151:
	v_cmp_ne_u32_e32 vcc_lo, 1, v59
	v_lshlrev_b64 v[22:23], 1, v[38:39]
	s_cbranch_vccnz .LBB235_153
; %bb.152:
	v_add_co_u32 v40, vcc_lo, v40, v22
	v_add_co_ci_u32_e64 v41, null, v41, v23, vcc_lo
	flat_load_ushort v40, v[40:41]
	s_waitcnt vmcnt(0) lgkmcnt(0)
	v_mul_f16_e32 v40, s15, v40
	s_branch .LBB235_154
.LBB235_153:
	v_mov_b32_e32 v40, 0
.LBB235_154:
	v_pk_max_f16 v2, v2, v2
	v_pk_max_f16 v41, v8, v8
	v_pk_max_f16 v3, v3, v3
	v_pk_max_f16 v51, v9, v9
	v_pk_min_f16 v2, v41, v2
	v_pk_min_f16 v3, v51, v3
	v_pk_add_f16 v2, v50, v2
	v_pk_add_f16 v2, v2, v3
	v_add_f16_sdwa v2, v2, v2 dst_sel:DWORD dst_unused:UNUSED_PAD src0_sel:DWORD src1_sel:WORD_1
	v_add_f16_e32 v40, v2, v40
	v_add_co_u32 v2, vcc_lo, v24, v22
	v_add_co_ci_u32_e64 v3, null, v25, v23, vcc_lo
	flat_store_short v[2:3], v40
.LBB235_155:
	s_or_b32 exec_lo, exec_lo, s8
	v_add_nc_u32_e32 v24, 0x60, v67
	v_mad_i64_i32 v[2:3], null, v24, s14, 0
	v_mad_i64_i32 v[22:23], null, v24, s9, 0
	v_cmp_gt_i32_e64 s8, s13, v24
	v_lshlrev_b64 v[2:3], 1, v[2:3]
	s_and_b32 s9, s0, s8
	v_lshlrev_b64 v[24:25], 1, v[22:23]
	v_add_co_u32 v22, vcc_lo, s10, v2
	v_add_co_ci_u32_e64 v23, null, s11, v3, vcc_lo
	v_add_co_u32 v2, vcc_lo, s16, v24
	v_add_co_ci_u32_e64 v3, null, s17, v25, vcc_lo
	s_and_saveexec_b32 s0, s9
	s_cbranch_execnz .LBB235_164
; %bb.156:
	s_or_b32 exec_lo, exec_lo, s0
	s_and_b32 s1, s1, s8
	s_and_saveexec_b32 s0, s1
	s_cbranch_execnz .LBB235_168
.LBB235_157:
	s_or_b32 exec_lo, exec_lo, s0
	s_and_b32 s1, s2, s8
	s_and_saveexec_b32 s0, s1
	s_cbranch_execnz .LBB235_172
.LBB235_158:
	s_or_b32 exec_lo, exec_lo, s0
	s_and_b32 s1, s3, s8
	s_and_saveexec_b32 s0, s1
	s_cbranch_execnz .LBB235_176
.LBB235_159:
	s_or_b32 exec_lo, exec_lo, s0
	s_and_b32 s1, s4, s8
	s_and_saveexec_b32 s0, s1
	s_cbranch_execnz .LBB235_180
.LBB235_160:
	s_or_b32 exec_lo, exec_lo, s0
	s_and_b32 s1, s5, s8
	s_and_saveexec_b32 s0, s1
	s_cbranch_execnz .LBB235_184
.LBB235_161:
	s_or_b32 exec_lo, exec_lo, s0
	s_and_b32 s1, s6, s8
	s_and_saveexec_b32 s0, s1
	s_cbranch_execnz .LBB235_188
.LBB235_162:
	s_or_b32 exec_lo, exec_lo, s0
	s_and_b32 s0, s7, s8
	s_and_saveexec_b32 s1, s0
	s_cbranch_execnz .LBB235_192
.LBB235_163:
	s_endpgm
.LBB235_164:
	v_cmp_ne_u32_e32 vcc_lo, 1, v59
	v_lshlrev_b64 v[0:1], 1, v[0:1]
	s_cbranch_vccnz .LBB235_166
; %bb.165:
	v_add_co_u32 v24, vcc_lo, v22, v0
	v_add_co_ci_u32_e64 v25, null, v23, v1, vcc_lo
	flat_load_ushort v24, v[24:25]
	s_waitcnt vmcnt(0) lgkmcnt(0)
	v_mul_f16_e32 v24, s15, v24
	s_branch .LBB235_167
.LBB235_166:
	v_mov_b32_e32 v24, 0
.LBB235_167:
	v_pk_max_f16 v25, v4, v4
	v_pk_max_f16 v18, v18, v18
	;; [unrolled: 1-line block ×4, first 2 shown]
	v_add_co_u32 v0, vcc_lo, v2, v0
	v_pk_min_f16 v18, v18, v25
	v_add_co_ci_u32_e64 v1, null, v3, v1, vcc_lo
	v_pk_min_f16 v19, v19, v40
	v_pk_add_f16 v18, v49, v18
	v_pk_add_f16 v18, v18, v19
	v_add_f16_sdwa v18, v18, v18 dst_sel:DWORD dst_unused:UNUSED_PAD src0_sel:DWORD src1_sel:WORD_1
	v_add_f16_e32 v18, v18, v24
	flat_store_short v[0:1], v18
	s_or_b32 exec_lo, exec_lo, s0
	s_and_b32 s1, s1, s8
	s_and_saveexec_b32 s0, s1
	s_cbranch_execz .LBB235_157
.LBB235_168:
	v_cmp_ne_u32_e32 vcc_lo, 1, v59
	v_lshlrev_b64 v[0:1], 1, v[26:27]
	s_cbranch_vccnz .LBB235_170
; %bb.169:
	v_add_co_u32 v18, vcc_lo, v22, v0
	v_add_co_ci_u32_e64 v19, null, v23, v1, vcc_lo
	flat_load_ushort v18, v[18:19]
	s_waitcnt vmcnt(0) lgkmcnt(0)
	v_mul_f16_e32 v18, s15, v18
	s_branch .LBB235_171
.LBB235_170:
	v_mov_b32_e32 v18, 0
.LBB235_171:
	v_pk_max_f16 v19, v4, v4
	v_pk_max_f16 v20, v20, v20
	;; [unrolled: 1-line block ×4, first 2 shown]
	v_add_co_u32 v0, vcc_lo, v2, v0
	v_pk_min_f16 v19, v20, v19
	v_add_co_ci_u32_e64 v1, null, v3, v1, vcc_lo
	v_pk_min_f16 v20, v21, v24
	v_pk_add_f16 v19, v48, v19
	v_pk_add_f16 v19, v19, v20
	v_add_f16_sdwa v19, v19, v19 dst_sel:DWORD dst_unused:UNUSED_PAD src0_sel:DWORD src1_sel:WORD_1
	v_add_f16_e32 v18, v19, v18
	flat_store_short v[0:1], v18
	s_or_b32 exec_lo, exec_lo, s0
	s_and_b32 s1, s2, s8
	s_and_saveexec_b32 s0, s1
	s_cbranch_execz .LBB235_158
.LBB235_172:
	v_cmp_ne_u32_e32 vcc_lo, 1, v59
	v_lshlrev_b64 v[0:1], 1, v[28:29]
	s_cbranch_vccnz .LBB235_174
; %bb.173:
	v_add_co_u32 v18, vcc_lo, v22, v0
	v_add_co_ci_u32_e64 v19, null, v23, v1, vcc_lo
	flat_load_ushort v18, v[18:19]
	s_waitcnt vmcnt(0) lgkmcnt(0)
	v_mul_f16_e32 v18, s15, v18
	s_branch .LBB235_175
.LBB235_174:
	v_mov_b32_e32 v18, 0
.LBB235_175:
	v_pk_max_f16 v19, v4, v4
	v_pk_max_f16 v14, v14, v14
	;; [unrolled: 1-line block ×4, first 2 shown]
	v_add_co_u32 v0, vcc_lo, v2, v0
	v_pk_min_f16 v14, v14, v19
	v_add_co_ci_u32_e64 v1, null, v3, v1, vcc_lo
	v_pk_min_f16 v15, v15, v20
	v_pk_add_f16 v14, v47, v14
	v_pk_add_f16 v14, v14, v15
	v_add_f16_sdwa v14, v14, v14 dst_sel:DWORD dst_unused:UNUSED_PAD src0_sel:DWORD src1_sel:WORD_1
	v_add_f16_e32 v14, v14, v18
	flat_store_short v[0:1], v14
	s_or_b32 exec_lo, exec_lo, s0
	s_and_b32 s1, s3, s8
	s_and_saveexec_b32 s0, s1
	s_cbranch_execz .LBB235_159
.LBB235_176:
	v_cmp_ne_u32_e32 vcc_lo, 1, v59
	v_lshlrev_b64 v[0:1], 1, v[30:31]
	s_cbranch_vccnz .LBB235_178
; %bb.177:
	v_add_co_u32 v14, vcc_lo, v22, v0
	v_add_co_ci_u32_e64 v15, null, v23, v1, vcc_lo
	flat_load_ushort v14, v[14:15]
	s_waitcnt vmcnt(0) lgkmcnt(0)
	v_mul_f16_e32 v14, s15, v14
	s_branch .LBB235_179
.LBB235_178:
	v_mov_b32_e32 v14, 0
.LBB235_179:
	v_pk_max_f16 v15, v4, v4
	v_pk_max_f16 v16, v16, v16
	;; [unrolled: 1-line block ×4, first 2 shown]
	v_add_co_u32 v0, vcc_lo, v2, v0
	v_pk_min_f16 v15, v16, v15
	v_add_co_ci_u32_e64 v1, null, v3, v1, vcc_lo
	v_pk_min_f16 v16, v17, v18
	v_pk_add_f16 v15, v46, v15
	v_pk_add_f16 v15, v15, v16
	v_add_f16_sdwa v15, v15, v15 dst_sel:DWORD dst_unused:UNUSED_PAD src0_sel:DWORD src1_sel:WORD_1
	v_add_f16_e32 v14, v15, v14
	flat_store_short v[0:1], v14
	s_or_b32 exec_lo, exec_lo, s0
	s_and_b32 s1, s4, s8
	s_and_saveexec_b32 s0, s1
	s_cbranch_execz .LBB235_160
.LBB235_180:
	v_cmp_ne_u32_e32 vcc_lo, 1, v59
	v_lshlrev_b64 v[0:1], 1, v[32:33]
	s_cbranch_vccnz .LBB235_182
; %bb.181:
	v_add_co_u32 v14, vcc_lo, v22, v0
	v_add_co_ci_u32_e64 v15, null, v23, v1, vcc_lo
	flat_load_ushort v14, v[14:15]
	s_waitcnt vmcnt(0) lgkmcnt(0)
	v_mul_f16_e32 v14, s15, v14
	s_branch .LBB235_183
.LBB235_182:
	v_mov_b32_e32 v14, 0
.LBB235_183:
	v_pk_max_f16 v15, v4, v4
	v_pk_max_f16 v10, v10, v10
	;; [unrolled: 1-line block ×4, first 2 shown]
	v_add_co_u32 v0, vcc_lo, v2, v0
	v_pk_min_f16 v10, v10, v15
	v_add_co_ci_u32_e64 v1, null, v3, v1, vcc_lo
	v_pk_min_f16 v11, v11, v16
	v_pk_add_f16 v10, v45, v10
	v_pk_add_f16 v10, v10, v11
	v_add_f16_sdwa v10, v10, v10 dst_sel:DWORD dst_unused:UNUSED_PAD src0_sel:DWORD src1_sel:WORD_1
	v_add_f16_e32 v10, v10, v14
	flat_store_short v[0:1], v10
	s_or_b32 exec_lo, exec_lo, s0
	s_and_b32 s1, s5, s8
	s_and_saveexec_b32 s0, s1
	s_cbranch_execz .LBB235_161
.LBB235_184:
	v_cmp_ne_u32_e32 vcc_lo, 1, v59
	v_lshlrev_b64 v[0:1], 1, v[34:35]
	s_cbranch_vccnz .LBB235_186
; %bb.185:
	v_add_co_u32 v10, vcc_lo, v22, v0
	v_add_co_ci_u32_e64 v11, null, v23, v1, vcc_lo
	flat_load_ushort v10, v[10:11]
	s_waitcnt vmcnt(0) lgkmcnt(0)
	v_mul_f16_e32 v10, s15, v10
	s_branch .LBB235_187
.LBB235_186:
	v_mov_b32_e32 v10, 0
.LBB235_187:
	v_pk_max_f16 v11, v4, v4
	v_pk_max_f16 v12, v12, v12
	;; [unrolled: 1-line block ×4, first 2 shown]
	v_add_co_u32 v0, vcc_lo, v2, v0
	v_pk_min_f16 v11, v12, v11
	v_add_co_ci_u32_e64 v1, null, v3, v1, vcc_lo
	v_pk_min_f16 v12, v13, v14
	v_pk_add_f16 v11, v44, v11
	v_pk_add_f16 v11, v11, v12
	v_add_f16_sdwa v11, v11, v11 dst_sel:DWORD dst_unused:UNUSED_PAD src0_sel:DWORD src1_sel:WORD_1
	v_add_f16_e32 v10, v11, v10
	flat_store_short v[0:1], v10
	s_or_b32 exec_lo, exec_lo, s0
	s_and_b32 s1, s6, s8
	s_and_saveexec_b32 s0, s1
	s_cbranch_execz .LBB235_162
.LBB235_188:
	v_cmp_ne_u32_e32 vcc_lo, 1, v59
	v_lshlrev_b64 v[0:1], 1, v[36:37]
	s_cbranch_vccnz .LBB235_190
; %bb.189:
	v_add_co_u32 v10, vcc_lo, v22, v0
	v_add_co_ci_u32_e64 v11, null, v23, v1, vcc_lo
	flat_load_ushort v10, v[10:11]
	s_waitcnt vmcnt(0) lgkmcnt(0)
	v_mul_f16_e32 v10, s15, v10
	s_branch .LBB235_191
.LBB235_190:
	v_mov_b32_e32 v10, 0
.LBB235_191:
	v_pk_max_f16 v11, v4, v4
	v_pk_max_f16 v6, v6, v6
	;; [unrolled: 1-line block ×4, first 2 shown]
	v_add_co_u32 v0, vcc_lo, v2, v0
	v_pk_min_f16 v6, v6, v11
	v_add_co_ci_u32_e64 v1, null, v3, v1, vcc_lo
	v_pk_min_f16 v7, v7, v12
	v_pk_add_f16 v6, v43, v6
	v_pk_add_f16 v6, v6, v7
	v_add_f16_sdwa v6, v6, v6 dst_sel:DWORD dst_unused:UNUSED_PAD src0_sel:DWORD src1_sel:WORD_1
	v_add_f16_e32 v6, v6, v10
	flat_store_short v[0:1], v6
	s_or_b32 exec_lo, exec_lo, s0
	s_and_b32 s0, s7, s8
	s_and_saveexec_b32 s1, s0
	s_cbranch_execz .LBB235_163
.LBB235_192:
	v_cmp_ne_u32_e32 vcc_lo, 1, v59
	v_lshlrev_b64 v[0:1], 1, v[38:39]
	s_cbranch_vccnz .LBB235_194
; %bb.193:
	v_add_co_u32 v6, vcc_lo, v22, v0
	v_add_co_ci_u32_e64 v7, null, v23, v1, vcc_lo
	flat_load_ushort v6, v[6:7]
	s_waitcnt vmcnt(0) lgkmcnt(0)
	v_mul_f16_e32 v6, s15, v6
	s_branch .LBB235_195
.LBB235_194:
	v_mov_b32_e32 v6, 0
.LBB235_195:
	v_pk_max_f16 v4, v4, v4
	v_pk_max_f16 v7, v8, v8
	;; [unrolled: 1-line block ×4, first 2 shown]
	v_add_co_u32 v0, vcc_lo, v2, v0
	v_pk_min_f16 v4, v7, v4
	v_add_co_ci_u32_e64 v1, null, v3, v1, vcc_lo
	v_pk_min_f16 v5, v8, v5
	v_pk_add_f16 v4, v42, v4
	v_pk_add_f16 v4, v4, v5
	v_add_f16_sdwa v4, v4, v4 dst_sel:DWORD dst_unused:UNUSED_PAD src0_sel:DWORD src1_sel:WORD_1
	v_add_f16_e32 v4, v4, v6
	flat_store_short v[0:1], v4
	s_endpgm
	.section	.rodata,"a",@progbits
	.p2align	6, 0x0
	.amdhsa_kernel _ZN12_GLOBAL__N_120geam_min_plus_kernelIDF16_Dv2_DF16_S1_Li8ELi32ELi64ELi128ELi4ELi64ELi4ELi4ELi64ELc78ELc78ELb1ELb1ELb0EDF16_KPKDF16_KPDF16_EEviiiT16_PT17_ilS9_ilS7_S9_ilPT18_ili26rocblas_geam_ex_operation_
		.amdhsa_group_segment_fixed_size 3072
		.amdhsa_private_segment_fixed_size 0
		.amdhsa_kernarg_size 128
		.amdhsa_user_sgpr_count 6
		.amdhsa_user_sgpr_private_segment_buffer 1
		.amdhsa_user_sgpr_dispatch_ptr 0
		.amdhsa_user_sgpr_queue_ptr 0
		.amdhsa_user_sgpr_kernarg_segment_ptr 1
		.amdhsa_user_sgpr_dispatch_id 0
		.amdhsa_user_sgpr_flat_scratch_init 0
		.amdhsa_user_sgpr_private_segment_size 0
		.amdhsa_wavefront_size32 1
		.amdhsa_uses_dynamic_stack 0
		.amdhsa_system_sgpr_private_segment_wavefront_offset 0
		.amdhsa_system_sgpr_workgroup_id_x 1
		.amdhsa_system_sgpr_workgroup_id_y 0
		.amdhsa_system_sgpr_workgroup_id_z 1
		.amdhsa_system_sgpr_workgroup_info 0
		.amdhsa_system_vgpr_workitem_id 1
		.amdhsa_next_free_vgpr 125
		.amdhsa_next_free_sgpr 26
		.amdhsa_reserve_vcc 1
		.amdhsa_reserve_flat_scratch 0
		.amdhsa_float_round_mode_32 0
		.amdhsa_float_round_mode_16_64 0
		.amdhsa_float_denorm_mode_32 3
		.amdhsa_float_denorm_mode_16_64 3
		.amdhsa_dx10_clamp 1
		.amdhsa_ieee_mode 1
		.amdhsa_fp16_overflow 0
		.amdhsa_workgroup_processor_mode 1
		.amdhsa_memory_ordered 1
		.amdhsa_forward_progress 1
		.amdhsa_shared_vgpr_count 0
		.amdhsa_exception_fp_ieee_invalid_op 0
		.amdhsa_exception_fp_denorm_src 0
		.amdhsa_exception_fp_ieee_div_zero 0
		.amdhsa_exception_fp_ieee_overflow 0
		.amdhsa_exception_fp_ieee_underflow 0
		.amdhsa_exception_fp_ieee_inexact 0
		.amdhsa_exception_int_div_zero 0
	.end_amdhsa_kernel
	.section	.text._ZN12_GLOBAL__N_120geam_min_plus_kernelIDF16_Dv2_DF16_S1_Li8ELi32ELi64ELi128ELi4ELi64ELi4ELi4ELi64ELc78ELc78ELb1ELb1ELb0EDF16_KPKDF16_KPDF16_EEviiiT16_PT17_ilS9_ilS7_S9_ilPT18_ili26rocblas_geam_ex_operation_,"axG",@progbits,_ZN12_GLOBAL__N_120geam_min_plus_kernelIDF16_Dv2_DF16_S1_Li8ELi32ELi64ELi128ELi4ELi64ELi4ELi4ELi64ELc78ELc78ELb1ELb1ELb0EDF16_KPKDF16_KPDF16_EEviiiT16_PT17_ilS9_ilS7_S9_ilPT18_ili26rocblas_geam_ex_operation_,comdat
.Lfunc_end235:
	.size	_ZN12_GLOBAL__N_120geam_min_plus_kernelIDF16_Dv2_DF16_S1_Li8ELi32ELi64ELi128ELi4ELi64ELi4ELi4ELi64ELc78ELc78ELb1ELb1ELb0EDF16_KPKDF16_KPDF16_EEviiiT16_PT17_ilS9_ilS7_S9_ilPT18_ili26rocblas_geam_ex_operation_, .Lfunc_end235-_ZN12_GLOBAL__N_120geam_min_plus_kernelIDF16_Dv2_DF16_S1_Li8ELi32ELi64ELi128ELi4ELi64ELi4ELi4ELi64ELc78ELc78ELb1ELb1ELb0EDF16_KPKDF16_KPDF16_EEviiiT16_PT17_ilS9_ilS7_S9_ilPT18_ili26rocblas_geam_ex_operation_
                                        ; -- End function
	.set _ZN12_GLOBAL__N_120geam_min_plus_kernelIDF16_Dv2_DF16_S1_Li8ELi32ELi64ELi128ELi4ELi64ELi4ELi4ELi64ELc78ELc78ELb1ELb1ELb0EDF16_KPKDF16_KPDF16_EEviiiT16_PT17_ilS9_ilS7_S9_ilPT18_ili26rocblas_geam_ex_operation_.num_vgpr, 125
	.set _ZN12_GLOBAL__N_120geam_min_plus_kernelIDF16_Dv2_DF16_S1_Li8ELi32ELi64ELi128ELi4ELi64ELi4ELi4ELi64ELc78ELc78ELb1ELb1ELb0EDF16_KPKDF16_KPDF16_EEviiiT16_PT17_ilS9_ilS7_S9_ilPT18_ili26rocblas_geam_ex_operation_.num_agpr, 0
	.set _ZN12_GLOBAL__N_120geam_min_plus_kernelIDF16_Dv2_DF16_S1_Li8ELi32ELi64ELi128ELi4ELi64ELi4ELi4ELi64ELc78ELc78ELb1ELb1ELb0EDF16_KPKDF16_KPDF16_EEviiiT16_PT17_ilS9_ilS7_S9_ilPT18_ili26rocblas_geam_ex_operation_.numbered_sgpr, 26
	.set _ZN12_GLOBAL__N_120geam_min_plus_kernelIDF16_Dv2_DF16_S1_Li8ELi32ELi64ELi128ELi4ELi64ELi4ELi4ELi64ELc78ELc78ELb1ELb1ELb0EDF16_KPKDF16_KPDF16_EEviiiT16_PT17_ilS9_ilS7_S9_ilPT18_ili26rocblas_geam_ex_operation_.num_named_barrier, 0
	.set _ZN12_GLOBAL__N_120geam_min_plus_kernelIDF16_Dv2_DF16_S1_Li8ELi32ELi64ELi128ELi4ELi64ELi4ELi4ELi64ELc78ELc78ELb1ELb1ELb0EDF16_KPKDF16_KPDF16_EEviiiT16_PT17_ilS9_ilS7_S9_ilPT18_ili26rocblas_geam_ex_operation_.private_seg_size, 0
	.set _ZN12_GLOBAL__N_120geam_min_plus_kernelIDF16_Dv2_DF16_S1_Li8ELi32ELi64ELi128ELi4ELi64ELi4ELi4ELi64ELc78ELc78ELb1ELb1ELb0EDF16_KPKDF16_KPDF16_EEviiiT16_PT17_ilS9_ilS7_S9_ilPT18_ili26rocblas_geam_ex_operation_.uses_vcc, 1
	.set _ZN12_GLOBAL__N_120geam_min_plus_kernelIDF16_Dv2_DF16_S1_Li8ELi32ELi64ELi128ELi4ELi64ELi4ELi4ELi64ELc78ELc78ELb1ELb1ELb0EDF16_KPKDF16_KPDF16_EEviiiT16_PT17_ilS9_ilS7_S9_ilPT18_ili26rocblas_geam_ex_operation_.uses_flat_scratch, 0
	.set _ZN12_GLOBAL__N_120geam_min_plus_kernelIDF16_Dv2_DF16_S1_Li8ELi32ELi64ELi128ELi4ELi64ELi4ELi4ELi64ELc78ELc78ELb1ELb1ELb0EDF16_KPKDF16_KPDF16_EEviiiT16_PT17_ilS9_ilS7_S9_ilPT18_ili26rocblas_geam_ex_operation_.has_dyn_sized_stack, 0
	.set _ZN12_GLOBAL__N_120geam_min_plus_kernelIDF16_Dv2_DF16_S1_Li8ELi32ELi64ELi128ELi4ELi64ELi4ELi4ELi64ELc78ELc78ELb1ELb1ELb0EDF16_KPKDF16_KPDF16_EEviiiT16_PT17_ilS9_ilS7_S9_ilPT18_ili26rocblas_geam_ex_operation_.has_recursion, 0
	.set _ZN12_GLOBAL__N_120geam_min_plus_kernelIDF16_Dv2_DF16_S1_Li8ELi32ELi64ELi128ELi4ELi64ELi4ELi4ELi64ELc78ELc78ELb1ELb1ELb0EDF16_KPKDF16_KPDF16_EEviiiT16_PT17_ilS9_ilS7_S9_ilPT18_ili26rocblas_geam_ex_operation_.has_indirect_call, 0
	.section	.AMDGPU.csdata,"",@progbits
; Kernel info:
; codeLenInByte = 12064
; TotalNumSgprs: 28
; NumVgprs: 125
; ScratchSize: 0
; MemoryBound: 0
; FloatMode: 240
; IeeeMode: 1
; LDSByteSize: 3072 bytes/workgroup (compile time only)
; SGPRBlocks: 0
; VGPRBlocks: 15
; NumSGPRsForWavesPerEU: 28
; NumVGPRsForWavesPerEU: 125
; Occupancy: 8
; WaveLimiterHint : 1
; COMPUTE_PGM_RSRC2:SCRATCH_EN: 0
; COMPUTE_PGM_RSRC2:USER_SGPR: 6
; COMPUTE_PGM_RSRC2:TRAP_HANDLER: 0
; COMPUTE_PGM_RSRC2:TGID_X_EN: 1
; COMPUTE_PGM_RSRC2:TGID_Y_EN: 0
; COMPUTE_PGM_RSRC2:TGID_Z_EN: 1
; COMPUTE_PGM_RSRC2:TIDIG_COMP_CNT: 1
	.section	.text._ZN12_GLOBAL__N_120geam_min_plus_kernelIDF16_Dv2_DF16_S1_Li8ELi32ELi64ELi128ELi4ELi64ELi4ELi4ELi64ELc78ELc78ELb0ELb1ELb0EDF16_KPKDF16_KPDF16_EEviiiT16_PT17_ilS9_ilS7_S9_ilPT18_ili26rocblas_geam_ex_operation_,"axG",@progbits,_ZN12_GLOBAL__N_120geam_min_plus_kernelIDF16_Dv2_DF16_S1_Li8ELi32ELi64ELi128ELi4ELi64ELi4ELi4ELi64ELc78ELc78ELb0ELb1ELb0EDF16_KPKDF16_KPDF16_EEviiiT16_PT17_ilS9_ilS7_S9_ilPT18_ili26rocblas_geam_ex_operation_,comdat
	.globl	_ZN12_GLOBAL__N_120geam_min_plus_kernelIDF16_Dv2_DF16_S1_Li8ELi32ELi64ELi128ELi4ELi64ELi4ELi4ELi64ELc78ELc78ELb0ELb1ELb0EDF16_KPKDF16_KPDF16_EEviiiT16_PT17_ilS9_ilS7_S9_ilPT18_ili26rocblas_geam_ex_operation_ ; -- Begin function _ZN12_GLOBAL__N_120geam_min_plus_kernelIDF16_Dv2_DF16_S1_Li8ELi32ELi64ELi128ELi4ELi64ELi4ELi4ELi64ELc78ELc78ELb0ELb1ELb0EDF16_KPKDF16_KPDF16_EEviiiT16_PT17_ilS9_ilS7_S9_ilPT18_ili26rocblas_geam_ex_operation_
	.p2align	8
	.type	_ZN12_GLOBAL__N_120geam_min_plus_kernelIDF16_Dv2_DF16_S1_Li8ELi32ELi64ELi128ELi4ELi64ELi4ELi4ELi64ELc78ELc78ELb0ELb1ELb0EDF16_KPKDF16_KPDF16_EEviiiT16_PT17_ilS9_ilS7_S9_ilPT18_ili26rocblas_geam_ex_operation_,@function
_ZN12_GLOBAL__N_120geam_min_plus_kernelIDF16_Dv2_DF16_S1_Li8ELi32ELi64ELi128ELi4ELi64ELi4ELi4ELi64ELc78ELc78ELb0ELb1ELb0EDF16_KPKDF16_KPDF16_EEviiiT16_PT17_ilS9_ilS7_S9_ilPT18_ili26rocblas_geam_ex_operation_: ; @_ZN12_GLOBAL__N_120geam_min_plus_kernelIDF16_Dv2_DF16_S1_Li8ELi32ELi64ELi128ELi4ELi64ELi4ELi4ELi64ELc78ELc78ELb0ELb1ELb0EDF16_KPKDF16_KPDF16_EEviiiT16_PT17_ilS9_ilS7_S9_ilPT18_ili26rocblas_geam_ex_operation_
; %bb.0:
	s_clause 0x1
	s_load_dwordx4 s[12:15], s[4:5], 0x0
	s_load_dwordx4 s[0:3], s[4:5], 0x20
	s_mov_b32 s18, s7
	s_mov_b32 s19, 0
	s_waitcnt lgkmcnt(0)
	v_cmp_eq_f16_e64 s7, s15, 0
	v_cmp_neq_f16_e64 s24, s15, 0
	s_and_b32 vcc_lo, exec_lo, s7
	s_cbranch_vccnz .LBB236_3
; %bb.1:
	s_load_dwordx2 s[8:9], s[4:5], 0x10
	s_lshl_b64 s[10:11], s[18:19], 3
	s_waitcnt lgkmcnt(0)
	s_add_u32 s8, s8, s10
	s_addc_u32 s9, s9, s11
	s_lshl_b64 s[0:1], s[0:1], 1
	s_load_dwordx2 s[8:9], s[8:9], 0x0
	s_waitcnt lgkmcnt(0)
	s_add_u32 s16, s8, s0
	s_addc_u32 s17, s9, s1
	s_andn2_b32 vcc_lo, exec_lo, s7
	s_cbranch_vccnz .LBB236_4
.LBB236_2:
	s_mov_b32 s21, 0
	s_mov_b32 s20, s18
	;; [unrolled: 1-line block ×3, first 2 shown]
	s_mov_b64 s[10:11], 0
	s_andn2_b32 vcc_lo, exec_lo, s0
	s_mov_b64 s[8:9], 0
	s_cbranch_vccz .LBB236_5
	s_branch .LBB236_6
.LBB236_3:
	s_mov_b64 s[16:17], 0
	s_andn2_b32 vcc_lo, exec_lo, s7
	s_cbranch_vccz .LBB236_2
.LBB236_4:
	s_mov_b64 s[20:21], s[18:19]
	s_mov_b64 s[10:11], 0
	;; [unrolled: 1-line block ×3, first 2 shown]
.LBB236_5:
	s_lshl_b64 s[0:1], s[18:19], 3
	s_load_dwordx2 s[8:9], s[4:5], 0x38
	s_add_u32 s0, s2, s0
	s_addc_u32 s1, s3, s1
	s_load_dwordx2 s[0:1], s[0:1], 0x0
	s_waitcnt lgkmcnt(0)
	s_lshl_b64 s[2:3], s[8:9], 1
	s_add_u32 s8, s0, s2
	s_addc_u32 s9, s1, s3
.LBB236_6:
	s_clause 0x1
	s_load_dword s22, s[4:5], 0x40
	s_load_dwordx4 s[0:3], s[4:5], 0x58
	s_waitcnt lgkmcnt(0)
	v_cmp_eq_f16_e64 s7, s22, 0
	v_cmp_neq_f16_e64 s23, s22, 0
	s_and_b32 vcc_lo, exec_lo, s7
	s_cbranch_vccnz .LBB236_8
; %bb.7:
	s_load_dwordx2 s[10:11], s[4:5], 0x48
	s_lshl_b64 s[18:19], s[20:21], 3
	s_waitcnt lgkmcnt(0)
	s_add_u32 s10, s10, s18
	s_addc_u32 s11, s11, s19
	s_lshl_b64 s[0:1], s[0:1], 1
	s_load_dwordx2 s[10:11], s[10:11], 0x0
	s_waitcnt lgkmcnt(0)
	s_add_u32 s10, s10, s0
	s_addc_u32 s11, s11, s1
.LBB236_8:
	s_load_dword s18, s[4:5], 0x18
	s_lshl_b64 s[0:1], s[20:21], 3
	v_lshl_add_u32 v4, v1, 3, v0
	v_mov_b32_e32 v10, 0
	v_mov_b32_e32 v11, 0
	v_and_b32_e32 v9, 63, v4
	v_lshrrev_b32_e32 v34, 6, v4
	s_waitcnt lgkmcnt(0)
	s_ashr_i32 s19, s18, 31
	s_add_u32 s20, s2, s0
	s_addc_u32 s21, s3, s1
	s_add_i32 s0, s12, -1
	s_ashr_i32 s1, s0, 31
	s_lshr_b32 s1, s1, 26
	s_add_i32 s0, s0, s1
	s_ashr_i32 s0, s0, 6
	s_add_i32 s2, s0, 1
	s_not_b32 s0, s0
	v_cvt_f32_u32_e32 v2, s2
	v_rcp_iflag_f32_e32 v2, v2
	v_mul_f32_e32 v2, 0x4f7ffffe, v2
	v_cvt_u32_f32_e32 v2, v2
	v_readfirstlane_b32 s1, v2
	s_mul_i32 s0, s0, s1
	s_mul_hi_u32 s0, s1, s0
	s_add_i32 s1, s1, s0
	s_mul_hi_u32 s0, s6, s1
	s_mul_i32 s1, s0, s2
	s_add_i32 s3, s0, 1
	s_sub_i32 s1, s6, s1
	s_sub_i32 s7, s1, s2
	s_cmp_ge_u32 s1, s2
	s_cselect_b32 s0, s3, s0
	s_cselect_b32 s1, s7, s1
	s_add_i32 s3, s0, 1
	s_cmp_ge_u32 s1, s2
	s_cselect_b32 s1, s3, s0
	s_mul_i32 s0, s1, s2
	s_sub_i32 s0, s6, s0
	s_lshl_b32 s25, s0, 6
	v_cmp_gt_i32_e64 s0, s14, v34
	v_or_b32_e32 v2, s25, v9
	v_cmp_gt_i32_e32 vcc_lo, s12, v2
	v_ashrrev_i32_e32 v3, 31, v2
	s_and_b32 s0, s0, vcc_lo
	s_and_b32 s0, s24, s0
	s_and_saveexec_b32 s2, s0
	s_cbranch_execz .LBB236_10
; %bb.9:
	v_mad_i64_i32 v[5:6], null, s18, v34, 0
	v_lshlrev_b64 v[7:8], 1, v[2:3]
	v_lshlrev_b64 v[5:6], 1, v[5:6]
	v_add_co_u32 v5, s0, s16, v5
	v_add_co_ci_u32_e64 v6, null, s17, v6, s0
	v_add_co_u32 v5, s0, v5, v7
	v_add_co_ci_u32_e64 v6, null, v6, v8, s0
	flat_load_ushort v5, v[5:6]
	s_waitcnt vmcnt(0) lgkmcnt(0)
	v_mul_f16_e32 v11, s15, v5
.LBB236_10:
	s_or_b32 exec_lo, exec_lo, s2
	v_and_b32_e32 v35, 3, v0
	s_add_i32 s27, s14, -1
	s_load_dword s6, s[4:5], 0x30
	v_lshrrev_b32_e32 v12, 2, v4
	s_lshl_b32 s26, s1, 7
	v_min_i32_e32 v5, s27, v35
	v_cmp_le_i32_e64 s0, s14, v35
	s_xor_b32 s3, s24, -1
	v_add_nc_u32_e32 v4, s26, v12
	v_ashrrev_i32_e32 v6, 31, v5
	v_cmp_le_i32_e64 s1, s13, v4
	v_lshlrev_b64 v[5:6], 1, v[5:6]
	s_or_b32 s28, s1, s3
	s_nor_b32 s1, s0, s28
	v_add_co_u32 v7, s2, s8, v5
	v_add_co_ci_u32_e64 v8, null, s9, v6, s2
	s_and_saveexec_b32 s2, s1
	s_cbranch_execz .LBB236_12
; %bb.11:
	s_waitcnt lgkmcnt(0)
	v_mad_i64_i32 v[5:6], null, v4, s6, 0
	v_lshlrev_b64 v[5:6], 1, v[5:6]
	v_add_co_u32 v5, s1, v7, v5
	v_add_co_ci_u32_e64 v6, null, v8, v6, s1
	flat_load_ushort v5, v[5:6]
	s_waitcnt vmcnt(0) lgkmcnt(0)
	v_mul_f16_e32 v10, s15, v5
.LBB236_12:
	s_or_b32 exec_lo, exec_lo, s2
	v_add_nc_u32_e32 v5, 64, v4
	v_mov_b32_e32 v6, 0
	v_mov_b32_e32 v13, 0
	v_cmp_le_i32_e64 s1, s13, v5
	s_or_b32 s29, s1, s3
	s_nor_b32 s0, s0, s29
	s_and_saveexec_b32 s1, s0
	s_cbranch_execz .LBB236_14
; %bb.13:
	s_waitcnt lgkmcnt(0)
	v_mad_i64_i32 v[13:14], null, v5, s6, 0
	v_lshlrev_b64 v[13:14], 1, v[13:14]
	v_add_co_u32 v7, s0, v7, v13
	v_add_co_ci_u32_e64 v8, null, v8, v14, s0
	flat_load_ushort v7, v[7:8]
	s_waitcnt vmcnt(0) lgkmcnt(0)
	v_mul_f16_e32 v13, s15, v7
.LBB236_14:
	s_or_b32 exec_lo, exec_lo, s1
	v_add_nc_u32_e32 v7, 4, v34
	v_cmp_gt_i32_e64 s0, s14, v7
	s_and_b32 s0, vcc_lo, s0
	s_and_b32 s0, s24, s0
	s_and_saveexec_b32 s1, s0
	s_cbranch_execz .LBB236_16
; %bb.15:
	v_mad_u64_u32 v[14:15], null, s18, v7, 0
	v_mov_b32_e32 v6, v15
	v_mad_u64_u32 v[6:7], null, s19, v7, v[6:7]
	v_mov_b32_e32 v15, v6
	v_lshlrev_b64 v[6:7], 1, v[14:15]
	v_lshlrev_b64 v[14:15], 1, v[2:3]
	v_add_co_u32 v6, s0, s16, v6
	v_add_co_ci_u32_e64 v7, null, s17, v7, s0
	v_add_co_u32 v6, s0, v6, v14
	v_add_co_ci_u32_e64 v7, null, v7, v15, s0
	flat_load_ushort v6, v[6:7]
	s_waitcnt vmcnt(0) lgkmcnt(0)
	v_mul_f16_e32 v6, s15, v6
.LBB236_16:
	s_or_b32 exec_lo, exec_lo, s1
	v_or_b32_e32 v16, 4, v35
	v_min_i32_e32 v7, s27, v16
	v_cmp_le_i32_e64 s0, s14, v16
	v_ashrrev_i32_e32 v8, 31, v7
	v_lshlrev_b64 v[14:15], 1, v[7:8]
	v_mov_b32_e32 v7, 0
	v_mov_b32_e32 v8, 0
	v_add_co_u32 v14, s1, s8, v14
	v_add_co_ci_u32_e64 v15, null, s9, v15, s1
	s_nor_b32 s1, s0, s28
	s_and_saveexec_b32 s2, s1
	s_cbranch_execz .LBB236_18
; %bb.17:
	s_waitcnt lgkmcnt(0)
	v_mad_i64_i32 v[16:17], null, v4, s6, 0
	v_lshlrev_b64 v[16:17], 1, v[16:17]
	v_add_co_u32 v16, s1, v14, v16
	v_add_co_ci_u32_e64 v17, null, v15, v17, s1
	flat_load_ushort v8, v[16:17]
	s_waitcnt vmcnt(0) lgkmcnt(0)
	v_mul_f16_e32 v8, s15, v8
.LBB236_18:
	s_or_b32 exec_lo, exec_lo, s2
	s_nor_b32 s0, s0, s29
	s_and_saveexec_b32 s1, s0
	s_cbranch_execz .LBB236_20
; %bb.19:
	s_waitcnt lgkmcnt(0)
	v_mad_i64_i32 v[16:17], null, v5, s6, 0
	v_lshlrev_b64 v[16:17], 1, v[16:17]
	v_add_co_u32 v14, s0, v14, v16
	v_add_co_ci_u32_e64 v15, null, v15, v17, s0
	flat_load_ushort v7, v[14:15]
	s_waitcnt vmcnt(0) lgkmcnt(0)
	v_mul_f16_e32 v7, s15, v7
.LBB236_20:
	s_or_b32 exec_lo, exec_lo, s1
	v_lshlrev_b32_e32 v9, 3, v9
	v_lshlrev_b32_e32 v12, 3, v12
	;; [unrolled: 1-line block ×4, first 2 shown]
	s_load_dwordx2 s[2:3], s[20:21], 0x0
	v_lshl_add_u32 v9, v34, 1, v9
	v_lshl_or_b32 v38, v35, 1, v12
	v_add_nc_u32_e32 v30, 0x800, v37
	s_mov_b32 s20, 0
	s_cmp_lt_i32 s14, 9
	ds_write_b16 v9, v11 offset:2048
	ds_write_b16 v38, v10
	ds_write_b16 v38, v13 offset:512
	s_waitcnt lgkmcnt(0)
	s_barrier
	buffer_gl0_inv
	ds_read2_b64 v[10:13], v36 offset1:32
	ds_read2_b64 v[14:17], v30 offset0:48 offset1:56
	ds_read2_b64 v[18:21], v36 offset0:64 offset1:96
	ds_read2_b64 v[22:25], v30 offset1:8
	ds_read2_b64 v[26:29], v30 offset0:16 offset1:24
	ds_read2_b64 v[30:33], v30 offset0:32 offset1:40
	ds_write_b16 v9, v6 offset:2560
	ds_write_b16 v38, v8 offset:1024
	;; [unrolled: 1-line block ×3, first 2 shown]
	s_waitcnt lgkmcnt(0)
	s_barrier
	buffer_gl0_inv
	v_pk_max_f16 v10, v10, v10
	v_pk_max_f16 v16, v16, v16
	;; [unrolled: 1-line block ×6, first 2 shown]
	v_pk_min_f16 v39, v16, v10
	v_pk_max_f16 v22, v22, v22
	v_pk_max_f16 v20, v20, v20
	;; [unrolled: 1-line block ×4, first 2 shown]
	v_pk_min_f16 v40, v16, v12
	v_pk_max_f16 v28, v28, v28
	v_pk_max_f16 v30, v30, v30
	;; [unrolled: 1-line block ×5, first 2 shown]
	v_pk_add_f16 v39, v39, 0
	v_pk_min_f16 v50, v17, v11
	v_pk_min_f16 v41, v16, v18
	v_pk_min_f16 v42, v22, v10
	v_pk_min_f16 v43, v22, v12
	v_pk_min_f16 v44, v22, v18
	v_pk_min_f16 v22, v22, v20
	v_pk_min_f16 v45, v24, v10
	v_pk_min_f16 v46, v24, v12
	v_pk_min_f16 v47, v24, v18
	v_pk_min_f16 v24, v24, v20
	v_pk_min_f16 v48, v26, v10
	v_pk_min_f16 v49, v26, v12
	v_pk_min_f16 v51, v26, v18
	v_pk_min_f16 v26, v26, v20
	v_pk_min_f16 v52, v28, v10
	v_pk_min_f16 v53, v28, v12
	v_pk_min_f16 v54, v28, v18
	v_pk_min_f16 v28, v28, v20
	v_pk_min_f16 v55, v30, v10
	v_pk_max_f16 v19, v19, v19
	v_pk_max_f16 v21, v21, v21
	v_pk_min_f16 v56, v30, v12
	v_pk_min_f16 v59, v30, v18
	v_pk_max_f16 v23, v23, v23
	v_pk_min_f16 v30, v30, v20
	v_pk_min_f16 v60, v32, v10
	;; [unrolled: 1-line block ×10, first 2 shown]
	v_pk_add_f16 v68, v39, v50
	v_pk_add_f16 v20, v40, 0
	v_pk_min_f16 v39, v17, v13
	v_pk_max_f16 v25, v25, v25
	v_pk_add_f16 v42, v42, 0
	v_pk_min_f16 v57, v23, v11
	v_pk_min_f16 v63, v23, v13
	;; [unrolled: 1-line block ×3, first 2 shown]
	v_pk_add_f16 v58, v20, v39
	v_pk_add_f16 v20, v22, 0
	v_pk_min_f16 v23, v23, v21
	v_pk_add_f16 v72, v42, v57
	v_pk_add_f16 v22, v45, 0
	;; [unrolled: 1-line block ×5, first 2 shown]
	v_pk_min_f16 v20, v25, v11
	v_pk_min_f16 v41, v17, v19
	v_pk_add_f16 v39, v46, 0
	v_pk_max_f16 v27, v27, v27
	v_pk_add_f16 v43, v43, 0
	v_pk_add_f16 v71, v22, v20
	v_pk_min_f16 v20, v25, v13
	v_pk_add_f16 v50, v40, v41
	v_pk_add_f16 v40, v47, 0
	v_pk_add_f16 v24, v24, 0
	v_pk_max_f16 v29, v29, v29
	v_pk_add_f16 v65, v39, v20
	v_pk_min_f16 v20, v25, v19
	v_pk_min_f16 v25, v25, v21
	v_pk_add_f16 v44, v44, 0
	v_pk_add_f16 v66, v43, v63
	;; [unrolled: 1-line block ×7, first 2 shown]
	v_pk_min_f16 v20, v27, v11
	v_pk_min_f16 v24, v27, v13
	v_pk_add_f16 v57, v44, v64
	v_pk_add_f16 v26, v26, 0
	;; [unrolled: 1-line block ×5, first 2 shown]
	v_pk_min_f16 v20, v27, v19
	v_pk_min_f16 v24, v27, v21
	;; [unrolled: 1-line block ×3, first 2 shown]
	v_pk_add_f16 v44, v53, 0
	v_pk_add_f16 v45, v54, 0
	;; [unrolled: 1-line block ×7, first 2 shown]
	v_pk_min_f16 v20, v29, v13
	v_pk_min_f16 v23, v29, v19
	;; [unrolled: 1-line block ×3, first 2 shown]
	v_pk_max_f16 v26, v31, v31
	v_pk_add_f16 v52, v59, 0
	v_pk_add_f16 v63, v44, v20
	;; [unrolled: 1-line block ×4, first 2 shown]
	v_pk_min_f16 v20, v26, v11
	v_pk_min_f16 v23, v26, v13
	;; [unrolled: 1-line block ×3, first 2 shown]
	v_pk_max_f16 v27, v33, v33
	v_pk_max_f16 v15, v15, v15
	v_pk_add_f16 v30, v30, 0
	v_pk_add_f16 v39, v60, 0
	;; [unrolled: 1-line block ×10, first 2 shown]
	v_pk_min_f16 v26, v26, v21
	v_pk_add_f16 v41, v22, v20
	v_pk_add_f16 v62, v51, v23
	;; [unrolled: 1-line block ×3, first 2 shown]
	v_pk_min_f16 v20, v27, v11
	v_pk_min_f16 v22, v27, v13
	;; [unrolled: 1-line block ×9, first 2 shown]
	v_pk_add_f16 v45, v30, v26
	v_pk_add_f16 v39, v39, v20
	;; [unrolled: 1-line block ×10, first 2 shown]
	s_cbranch_scc1 .LBB236_35
; %bb.21:
	v_add_nc_u32_e32 v6, v36, v0
	v_or_b32_e32 v59, 0x800, v9
	v_add_nc_u32_e32 v73, 0xa00, v9
	v_lshlrev_b64 v[2:3], 1, v[2:3]
	v_or_b32_e32 v67, 0x800, v37
	v_lshrrev_b32_e32 v6, 6, v6
	v_add_nc_u32_e32 v74, 0x400, v38
	v_lshl_add_u32 v75, v0, 3, 0xa00
	v_add_nc_u32_e32 v78, 0x400, v36
	v_add_co_u32 v76, s0, s16, v2
	v_add_nc_u32_e32 v8, 12, v6
	v_add_nc_u32_e32 v10, 8, v6
	v_mad_i64_i32 v[6:7], null, v4, s6, 0
	v_mad_i64_i32 v[4:5], null, v5, s6, 0
	;; [unrolled: 1-line block ×4, first 2 shown]
	v_lshlrev_b64 v[30:31], 1, v[6:7]
	v_add_co_ci_u32_e64 v77, null, s17, v3, s0
	v_lshlrev_b64 v[32:33], 1, v[4:5]
	v_lshlrev_b64 v[26:27], 1, v[8:9]
	s_add_i32 s16, s14, -8
	v_lshlrev_b64 v[28:29], 1, v[10:11]
	s_lshl_b64 s[6:7], s[18:19], 4
	s_branch .LBB236_23
.LBB236_22:                             ;   in Loop: Header=BB236_23 Depth=1
	s_or_b32 exec_lo, exec_lo, s1
	v_pk_max_f16 v4, v4, v4
	v_pk_max_f16 v22, v22, v22
	;; [unrolled: 1-line block ×7, first 2 shown]
	v_pk_min_f16 v82, v4, v22
	v_pk_min_f16 v83, v4, v24
	;; [unrolled: 1-line block ×3, first 2 shown]
	v_pk_max_f16 v16, v16, v16
	v_pk_min_f16 v91, v10, v22
	v_pk_max_f16 v12, v12, v12
	v_pk_min_f16 v92, v10, v24
	v_pk_min_f16 v93, v10, v18
	;; [unrolled: 1-line block ×3, first 2 shown]
	v_pk_max_f16 v6, v6, v6
	v_pk_max_f16 v23, v23, v23
	;; [unrolled: 1-line block ×15, first 2 shown]
	v_pk_min_f16 v85, v14, v22
	v_pk_min_f16 v86, v14, v24
	;; [unrolled: 1-line block ×57, first 2 shown]
	v_pk_add_f16 v3, v68, v82
	v_pk_add_f16 v5, v58, v83
	;; [unrolled: 1-line block ×18, first 2 shown]
	ds_read2_b64 v[2:5], v67 offset0:48 offset1:56
	ds_read2_b64 v[6:9], v36 offset1:32
	v_pk_add_f16 v69, v10, v11
	ds_read2_b64 v[10:13], v36 offset0:64 offset1:96
	v_pk_add_f16 v24, v60, v24
	v_pk_add_f16 v60, v66, v103
	;; [unrolled: 1-line block ×4, first 2 shown]
	ds_read2_b64 v[14:17], v67 offset1:8
	v_pk_add_f16 v58, v72, v85
	v_pk_add_f16 v57, v57, v87
	;; [unrolled: 1-line block ×9, first 2 shown]
	ds_read2_b64 v[18:21], v67 offset0:16 offset1:24
	v_pk_add_f16 v57, v57, v104
	s_waitcnt lgkmcnt(4)
	v_pk_max_f16 v4, v4, v4
	s_waitcnt lgkmcnt(3)
	v_pk_max_f16 v6, v6, v6
	v_pk_max_f16 v8, v8, v8
	s_waitcnt lgkmcnt(2)
	v_pk_max_f16 v10, v10, v10
	v_pk_max_f16 v12, v12, v12
	v_pk_add_f16 v65, v65, v89
	v_pk_min_f16 v22, v4, v6
	v_pk_min_f16 v23, v4, v8
	;; [unrolled: 1-line block ×3, first 2 shown]
	s_waitcnt lgkmcnt(1)
	v_pk_max_f16 v14, v14, v14
	v_pk_max_f16 v16, v16, v16
	v_pk_add_f16 v43, v43, v22
	v_pk_add_f16 v51, v51, v23
	;; [unrolled: 1-line block ×3, first 2 shown]
	v_pk_min_f16 v22, v14, v6
	v_pk_min_f16 v23, v14, v8
	;; [unrolled: 1-line block ×3, first 2 shown]
	v_pk_add_f16 v56, v56, v90
	v_pk_add_f16 v49, v49, v105
	;; [unrolled: 1-line block ×5, first 2 shown]
	ds_read2_b64 v[22:25], v67 offset0:32 offset1:40
	v_pk_min_f16 v14, v14, v12
	v_pk_min_f16 v58, v16, v6
	s_waitcnt lgkmcnt(1)
	v_pk_max_f16 v18, v18, v18
	v_pk_add_f16 v64, v64, v92
	v_pk_add_f16 v65, v65, v106
	v_pk_add_f16 v56, v56, v107
	v_pk_add_f16 v48, v48, v108
	v_pk_add_f16 v14, v66, v14
	v_pk_min_f16 v66, v16, v8
	v_pk_min_f16 v83, v16, v10
	v_pk_add_f16 v84, v49, v58
	v_pk_min_f16 v49, v18, v6
	v_pk_max_f16 v20, v20, v20
	v_pk_add_f16 v41, v41, v97
	v_pk_add_f16 v64, v64, v109
	;; [unrolled: 1-line block ×5, first 2 shown]
	v_pk_min_f16 v58, v18, v8
	v_pk_min_f16 v66, v18, v10
	;; [unrolled: 1-line block ×3, first 2 shown]
	v_pk_add_f16 v83, v48, v49
	v_pk_min_f16 v48, v20, v6
	s_waitcnt lgkmcnt(0)
	v_pk_max_f16 v22, v22, v22
	v_pk_add_f16 v62, v62, v98
	v_pk_add_f16 v46, v46, v114
	;; [unrolled: 1-line block ×5, first 2 shown]
	v_pk_min_f16 v49, v20, v8
	v_pk_min_f16 v58, v20, v10
	;; [unrolled: 1-line block ×3, first 2 shown]
	v_pk_add_f16 v69, v47, v48
	v_pk_min_f16 v47, v22, v6
	v_pk_add_f16 v62, v62, v116
	v_pk_add_f16 v45, v45, v118
	;; [unrolled: 1-line block ×3, first 2 shown]
	v_pk_min_f16 v46, v22, v8
	v_pk_max_f16 v24, v24, v24
	v_pk_add_f16 v41, v41, v47
	v_pk_min_f16 v47, v22, v10
	v_pk_min_f16 v22, v22, v12
	v_pk_max_f16 v2, v2, v2
	v_pk_max_f16 v5, v5, v5
	;; [unrolled: 1-line block ×3, first 2 shown]
	v_pk_add_f16 v54, v54, v96
	v_pk_add_f16 v40, v40, v123
	v_pk_min_f16 v16, v16, v12
	v_pk_add_f16 v62, v62, v46
	v_pk_min_f16 v46, v24, v6
	v_pk_min_f16 v48, v24, v8
	v_pk_add_f16 v22, v45, v22
	v_pk_min_f16 v45, v24, v10
	v_pk_min_f16 v24, v24, v12
	;; [unrolled: 1-line block ×6, first 2 shown]
	v_pk_max_f16 v9, v9, v9
	v_pk_min_f16 v4, v4, v12
	v_pk_max_f16 v11, v11, v11
	v_pk_min_f16 v12, v5, v7
	v_pk_add_f16 v63, v63, v95
	v_pk_add_f16 v54, v54, v113
	;; [unrolled: 1-line block ×4, first 2 shown]
	v_pk_min_f16 v40, v5, v9
	v_pk_add_f16 v4, v42, v4
	v_pk_min_f16 v42, v5, v11
	v_pk_max_f16 v15, v15, v15
	v_pk_add_f16 v68, v43, v12
	v_pk_max_f16 v12, v13, v13
	v_pk_add_f16 v55, v55, v93
	v_pk_add_f16 v61, v61, v101
	;; [unrolled: 1-line block ×6, first 2 shown]
	v_pk_min_f16 v13, v15, v7
	v_pk_min_f16 v40, v15, v9
	;; [unrolled: 1-line block ×4, first 2 shown]
	v_pk_max_f16 v17, v17, v17
	v_pk_add_f16 v53, v53, v99
	v_pk_add_f16 v55, v55, v110
	;; [unrolled: 1-line block ×7, first 2 shown]
	v_pk_min_f16 v13, v17, v7
	v_pk_min_f16 v14, v17, v9
	;; [unrolled: 1-line block ×4, first 2 shown]
	v_pk_max_f16 v19, v19, v19
	v_pk_add_f16 v39, v39, v100
	v_pk_add_f16 v53, v53, v117
	;; [unrolled: 1-line block ×9, first 2 shown]
	v_pk_min_f16 v13, v19, v7
	v_pk_min_f16 v14, v19, v9
	;; [unrolled: 1-line block ×4, first 2 shown]
	v_pk_max_f16 v17, v21, v21
	v_pk_add_f16 v52, v52, v102
	v_pk_add_f16 v39, v39, v119
	;; [unrolled: 1-line block ×8, first 2 shown]
	v_pk_min_f16 v13, v17, v7
	v_pk_min_f16 v14, v17, v9
	;; [unrolled: 1-line block ×4, first 2 shown]
	v_pk_max_f16 v17, v23, v23
	v_pk_add_f16 v52, v52, v121
	v_pk_add_f16 v44, v44, v122
	v_pk_add_f16 v39, v39, v46
	v_pk_add_f16 v69, v69, v13
	v_pk_add_f16 v63, v63, v14
	v_pk_add_f16 v54, v54, v15
	v_pk_add_f16 v46, v20, v16
	v_pk_min_f16 v13, v17, v7
	v_pk_min_f16 v14, v17, v9
	;; [unrolled: 1-line block ×4, first 2 shown]
	v_pk_max_f16 v17, v25, v25
	v_pk_max_f16 v3, v3, v3
	v_pk_add_f16 v52, v52, v45
	v_pk_add_f16 v24, v44, v24
	;; [unrolled: 1-line block ×6, first 2 shown]
	v_pk_min_f16 v13, v17, v7
	v_pk_min_f16 v14, v17, v9
	;; [unrolled: 1-line block ×9, first 2 shown]
	v_add_co_u32 v76, s0, v76, s6
	v_pk_add_f16 v66, v60, v40
	v_pk_add_f16 v57, v57, v42
	;; [unrolled: 1-line block ×11, first 2 shown]
	v_add_co_ci_u32_e64 v77, null, s7, v77, s0
	s_add_i32 s20, s20, 8
	ds_write_b16 v73, v79
	ds_write_b16 v74, v81
	ds_write_b16 v74, v80 offset:512
	s_cmp_ge_i32 s20, s16
	s_waitcnt lgkmcnt(0)
	s_barrier
	buffer_gl0_inv
	s_cbranch_scc1 .LBB236_35
.LBB236_23:                             ; =>This Inner Loop Header: Depth=1
	v_add_nc_u32_e32 v81, s20, v34
	v_mov_b32_e32 v82, 0
	v_mov_b32_e32 v83, 0
	v_add_nc_u32_e32 v2, 8, v81
	v_cmp_gt_i32_e64 s0, s14, v2
	s_and_b32 s0, vcc_lo, s0
	s_and_b32 s0, s24, s0
	s_and_saveexec_b32 s1, s0
	s_cbranch_execz .LBB236_25
; %bb.24:                               ;   in Loop: Header=BB236_23 Depth=1
	v_add_co_u32 v2, s0, v76, v28
	v_add_co_ci_u32_e64 v3, null, v77, v29, s0
	flat_load_ushort v2, v[2:3]
	s_waitcnt vmcnt(0) lgkmcnt(0)
	v_mul_f16_e32 v83, s15, v2
.LBB236_25:                             ;   in Loop: Header=BB236_23 Depth=1
	s_or_b32 exec_lo, exec_lo, s1
	v_add_nc_u32_e32 v80, s20, v35
	v_add_nc_u32_e32 v4, 8, v80
	v_min_i32_e32 v2, s27, v4
	v_cmp_le_i32_e64 s0, s14, v4
	v_ashrrev_i32_e32 v3, 31, v2
	v_lshlrev_b64 v[2:3], 1, v[2:3]
	v_add_co_u32 v2, s1, s8, v2
	v_add_co_ci_u32_e64 v3, null, s9, v3, s1
	s_nor_b32 s1, s28, s0
	s_and_saveexec_b32 s17, s1
	s_cbranch_execz .LBB236_27
; %bb.26:                               ;   in Loop: Header=BB236_23 Depth=1
	v_add_co_u32 v4, s1, v2, v30
	v_add_co_ci_u32_e64 v5, null, v3, v31, s1
	flat_load_ushort v4, v[4:5]
	s_waitcnt vmcnt(0) lgkmcnt(0)
	v_mul_f16_e32 v82, s15, v4
.LBB236_27:                             ;   in Loop: Header=BB236_23 Depth=1
	s_or_b32 exec_lo, exec_lo, s17
	v_mov_b32_e32 v79, 0
	v_mov_b32_e32 v84, 0
	s_nor_b32 s0, s29, s0
	s_and_saveexec_b32 s1, s0
	s_cbranch_execz .LBB236_29
; %bb.28:                               ;   in Loop: Header=BB236_23 Depth=1
	v_add_co_u32 v2, s0, v2, v32
	v_add_co_ci_u32_e64 v3, null, v3, v33, s0
	flat_load_ushort v2, v[2:3]
	s_waitcnt vmcnt(0) lgkmcnt(0)
	v_mul_f16_e32 v84, s15, v2
.LBB236_29:                             ;   in Loop: Header=BB236_23 Depth=1
	s_or_b32 exec_lo, exec_lo, s1
	ds_read2_b64 v[2:5], v75 offset0:48 offset1:56
	ds_read2_b64 v[18:21], v78 offset0:64 offset1:96
	ds_read2_b64 v[22:25], v78 offset1:32
	ds_read2_b64 v[14:17], v75 offset1:8
	ds_read2_b64 v[10:13], v75 offset0:16 offset1:24
	ds_read2_b64 v[6:9], v75 offset0:32 offset1:40
	v_add_nc_u32_e32 v81, 12, v81
	ds_write_b16 v59, v83
	ds_write_b16 v38, v82
	ds_write_b16 v38, v84 offset:512
	s_waitcnt lgkmcnt(0)
	s_barrier
	buffer_gl0_inv
	v_cmp_gt_i32_e64 s0, s14, v81
	s_and_b32 s0, vcc_lo, s0
	s_and_b32 s0, s24, s0
	s_and_saveexec_b32 s1, s0
	s_xor_b32 s1, exec_lo, s1
	s_cbranch_execz .LBB236_31
; %bb.30:                               ;   in Loop: Header=BB236_23 Depth=1
	v_add_co_u32 v81, s0, v76, v26
	v_add_co_ci_u32_e64 v82, null, v77, v27, s0
	flat_load_ushort v79, v[81:82]
	s_waitcnt vmcnt(0) lgkmcnt(0)
	v_mul_f16_e32 v79, s15, v79
.LBB236_31:                             ;   in Loop: Header=BB236_23 Depth=1
	s_or_b32 exec_lo, exec_lo, s1
	v_add_nc_u32_e32 v84, 12, v80
	v_min_i32_e32 v80, s27, v84
	v_cmp_le_i32_e64 s0, s14, v84
	v_ashrrev_i32_e32 v81, 31, v80
	v_lshlrev_b64 v[82:83], 1, v[80:81]
	v_mov_b32_e32 v80, 0
	v_mov_b32_e32 v81, 0
	v_add_co_u32 v82, s1, s8, v82
	v_add_co_ci_u32_e64 v83, null, s9, v83, s1
	s_nor_b32 s1, s28, s0
	s_and_saveexec_b32 s17, s1
	s_cbranch_execz .LBB236_33
; %bb.32:                               ;   in Loop: Header=BB236_23 Depth=1
	v_add_co_u32 v84, s1, v82, v30
	v_add_co_ci_u32_e64 v85, null, v83, v31, s1
	flat_load_ushort v81, v[84:85]
	s_waitcnt vmcnt(0) lgkmcnt(0)
	v_mul_f16_e32 v81, s15, v81
.LBB236_33:                             ;   in Loop: Header=BB236_23 Depth=1
	s_or_b32 exec_lo, exec_lo, s17
	s_nor_b32 s0, s29, s0
	s_and_saveexec_b32 s1, s0
	s_cbranch_execz .LBB236_22
; %bb.34:                               ;   in Loop: Header=BB236_23 Depth=1
	v_add_co_u32 v82, s0, v82, v32
	v_add_co_ci_u32_e64 v83, null, v83, v33, s0
	flat_load_ushort v80, v[82:83]
	s_waitcnt vmcnt(0) lgkmcnt(0)
	v_mul_f16_e32 v80, s15, v80
	s_branch .LBB236_22
.LBB236_35:
	s_clause 0x2
	s_load_dword s14, s[4:5], 0x50
	s_load_dword s9, s[4:5], 0x68
	s_load_dwordx2 s[4:5], s[4:5], 0x70
	v_add_nc_u32_e32 v67, s26, v1
	v_add_nc_u32_e32 v10, 0x800, v37
	ds_read2_b64 v[2:5], v36 offset0:192 offset1:224
	ds_read2_b64 v[22:25], v36 offset0:128 offset1:160
	v_add_nc_u32_e32 v0, s25, v0
	ds_read2_b64 v[6:9], v10 offset0:112 offset1:120
	ds_read2_b64 v[18:21], v10 offset0:64 offset1:72
	;; [unrolled: 1-line block ×4, first 2 shown]
	v_cmp_gt_i32_e64 s8, s13, v67
	v_cmp_gt_i32_e64 s0, s12, v0
	v_ashrrev_i32_e32 v1, 31, v0
	v_cndmask_b32_e64 v59, 0, 1, s23
	s_waitcnt lgkmcnt(0)
	v_mad_i64_i32 v[26:27], null, v67, s14, 0
	v_mad_i64_i32 v[28:29], null, v67, s9, 0
	s_lshl_b64 s[4:5], s[4:5], 1
	s_add_u32 s15, s2, s4
	s_addc_u32 s16, s3, s5
	v_lshlrev_b64 v[26:27], 1, v[26:27]
	s_and_b32 s1, s0, s8
	v_lshlrev_b64 v[28:29], 1, v[28:29]
	v_add_co_u32 v75, vcc_lo, s10, v26
	v_add_co_ci_u32_e64 v76, null, s11, v27, vcc_lo
	v_add_co_u32 v73, vcc_lo, s15, v28
	v_add_co_ci_u32_e64 v74, null, s16, v29, vcc_lo
	s_and_saveexec_b32 s2, s1
	s_xor_b32 s1, exec_lo, s2
	s_cbranch_execz .LBB236_40
; %bb.36:
	v_lshlrev_b64 v[26:27], 1, v[0:1]
	s_andn2_b32 vcc_lo, exec_lo, s23
	s_cbranch_vccnz .LBB236_38
; %bb.37:
	v_add_co_u32 v28, vcc_lo, v75, v26
	v_add_co_ci_u32_e64 v29, null, v76, v27, vcc_lo
	flat_load_ushort v28, v[28:29]
	s_waitcnt vmcnt(0) lgkmcnt(0)
	v_mul_f16_e32 v28, s22, v28
	s_branch .LBB236_39
.LBB236_38:
	v_mov_b32_e32 v28, 0
.LBB236_39:
	v_pk_max_f16 v29, v22, v22
	v_pk_max_f16 v30, v18, v18
	;; [unrolled: 1-line block ×4, first 2 shown]
	v_add_co_u32 v26, vcc_lo, v73, v26
	v_pk_min_f16 v29, v30, v29
	v_add_co_ci_u32_e64 v27, null, v74, v27, vcc_lo
	v_pk_min_f16 v30, v32, v31
	v_pk_add_f16 v29, v72, v29
	v_pk_add_f16 v29, v29, v30
	v_add_f16_sdwa v29, v29, v29 dst_sel:DWORD dst_unused:UNUSED_PAD src0_sel:DWORD src1_sel:WORD_1
	v_add_f16_e32 v28, v29, v28
	flat_store_short v[26:27], v28
.LBB236_40:
	s_or_b32 exec_lo, exec_lo, s1
	v_add_nc_u32_e32 v26, 8, v0
	v_cmp_gt_i32_e64 s1, s12, v26
	v_ashrrev_i32_e32 v27, 31, v26
	s_and_b32 s3, s1, s8
	s_and_saveexec_b32 s2, s3
	s_cbranch_execz .LBB236_45
; %bb.41:
	v_cmp_ne_u32_e32 vcc_lo, 1, v59
	v_lshlrev_b64 v[28:29], 1, v[26:27]
	s_cbranch_vccnz .LBB236_43
; %bb.42:
	v_add_co_u32 v30, vcc_lo, v75, v28
	v_add_co_ci_u32_e64 v31, null, v76, v29, vcc_lo
	flat_load_ushort v30, v[30:31]
	s_waitcnt vmcnt(0) lgkmcnt(0)
	v_mul_f16_e32 v30, s22, v30
	s_branch .LBB236_44
.LBB236_43:
	v_mov_b32_e32 v30, 0
.LBB236_44:
	v_pk_max_f16 v31, v22, v22
	v_pk_max_f16 v32, v20, v20
	v_pk_max_f16 v33, v23, v23
	v_pk_max_f16 v34, v21, v21
	v_add_co_u32 v28, vcc_lo, v73, v28
	v_pk_min_f16 v31, v32, v31
	v_add_co_ci_u32_e64 v29, null, v74, v29, vcc_lo
	v_pk_min_f16 v32, v34, v33
	v_pk_add_f16 v31, v71, v31
	v_pk_add_f16 v31, v31, v32
	v_add_f16_sdwa v31, v31, v31 dst_sel:DWORD dst_unused:UNUSED_PAD src0_sel:DWORD src1_sel:WORD_1
	v_add_f16_e32 v30, v31, v30
	flat_store_short v[28:29], v30
.LBB236_45:
	s_or_b32 exec_lo, exec_lo, s2
	v_add_nc_u32_e32 v28, 16, v0
	v_cmp_gt_i32_e64 s2, s12, v28
	v_ashrrev_i32_e32 v29, 31, v28
	s_and_b32 s4, s2, s8
	s_and_saveexec_b32 s3, s4
	s_cbranch_execz .LBB236_50
; %bb.46:
	v_cmp_ne_u32_e32 vcc_lo, 1, v59
	v_lshlrev_b64 v[30:31], 1, v[28:29]
	s_cbranch_vccnz .LBB236_48
; %bb.47:
	v_add_co_u32 v32, vcc_lo, v75, v30
	v_add_co_ci_u32_e64 v33, null, v76, v31, vcc_lo
	flat_load_ushort v32, v[32:33]
	s_waitcnt vmcnt(0) lgkmcnt(0)
	v_mul_f16_e32 v32, s22, v32
	s_branch .LBB236_49
.LBB236_48:
	v_mov_b32_e32 v32, 0
.LBB236_49:
	v_pk_max_f16 v33, v22, v22
	v_pk_max_f16 v34, v14, v14
	v_pk_max_f16 v35, v23, v23
	v_pk_max_f16 v36, v15, v15
	v_add_co_u32 v30, vcc_lo, v73, v30
	v_pk_min_f16 v33, v34, v33
	v_add_co_ci_u32_e64 v31, null, v74, v31, vcc_lo
	v_pk_min_f16 v34, v36, v35
	v_pk_add_f16 v33, v70, v33
	v_pk_add_f16 v33, v33, v34
	v_add_f16_sdwa v33, v33, v33 dst_sel:DWORD dst_unused:UNUSED_PAD src0_sel:DWORD src1_sel:WORD_1
	v_add_f16_e32 v32, v33, v32
	flat_store_short v[30:31], v32
.LBB236_50:
	;; [unrolled: 35-line block ×6, first 2 shown]
	s_or_b32 exec_lo, exec_lo, s7
	v_add_nc_u32_e32 v38, 56, v0
	v_cmp_gt_i32_e64 s7, s12, v38
	v_ashrrev_i32_e32 v39, 31, v38
	s_and_b32 s12, s7, s8
	s_and_saveexec_b32 s8, s12
	s_cbranch_execz .LBB236_75
; %bb.71:
	v_cmp_ne_u32_e32 vcc_lo, 1, v59
	v_lshlrev_b64 v[40:41], 1, v[38:39]
	s_cbranch_vccnz .LBB236_73
; %bb.72:
	v_add_co_u32 v69, vcc_lo, v75, v40
	v_add_co_ci_u32_e64 v70, null, v76, v41, vcc_lo
	flat_load_ushort v69, v[69:70]
	s_waitcnt vmcnt(0) lgkmcnt(0)
	v_mul_f16_e32 v69, s22, v69
	s_branch .LBB236_74
.LBB236_73:
	v_mov_b32_e32 v69, 0
.LBB236_74:
	v_pk_max_f16 v22, v22, v22
	v_pk_max_f16 v70, v8, v8
	;; [unrolled: 1-line block ×4, first 2 shown]
	v_pk_min_f16 v22, v70, v22
	v_pk_min_f16 v23, v71, v23
	v_pk_add_f16 v22, v68, v22
	v_pk_add_f16 v22, v22, v23
	v_add_f16_sdwa v22, v22, v22 dst_sel:DWORD dst_unused:UNUSED_PAD src0_sel:DWORD src1_sel:WORD_1
	v_add_f16_e32 v68, v22, v69
	v_add_co_u32 v22, vcc_lo, v73, v40
	v_add_co_ci_u32_e64 v23, null, v74, v41, vcc_lo
	flat_store_short v[22:23], v68
.LBB236_75:
	s_or_b32 exec_lo, exec_lo, s8
	v_add_nc_u32_e32 v68, 32, v67
	v_mad_i64_i32 v[22:23], null, v68, s14, 0
	v_mad_i64_i32 v[40:41], null, v68, s9, 0
	v_cmp_gt_i32_e64 s8, s13, v68
	v_lshlrev_b64 v[22:23], 1, v[22:23]
	s_and_b32 s17, s0, s8
	v_lshlrev_b64 v[40:41], 1, v[40:41]
	v_add_co_u32 v68, vcc_lo, s10, v22
	v_add_co_ci_u32_e64 v69, null, s11, v23, vcc_lo
	v_add_co_u32 v40, vcc_lo, s15, v40
	v_add_co_ci_u32_e64 v41, null, s16, v41, vcc_lo
	s_and_saveexec_b32 s12, s17
	s_cbranch_execnz .LBB236_83
; %bb.76:
	s_or_b32 exec_lo, exec_lo, s12
	s_and_b32 s17, s1, s8
	s_and_saveexec_b32 s12, s17
	s_cbranch_execnz .LBB236_87
.LBB236_77:
	s_or_b32 exec_lo, exec_lo, s12
	s_and_b32 s17, s2, s8
	s_and_saveexec_b32 s12, s17
	s_cbranch_execnz .LBB236_91
.LBB236_78:
	s_or_b32 exec_lo, exec_lo, s12
	s_and_b32 s17, s3, s8
	s_and_saveexec_b32 s12, s17
	s_cbranch_execnz .LBB236_95
.LBB236_79:
	s_or_b32 exec_lo, exec_lo, s12
	s_and_b32 s17, s4, s8
	s_and_saveexec_b32 s12, s17
	s_cbranch_execnz .LBB236_99
.LBB236_80:
	s_or_b32 exec_lo, exec_lo, s12
	s_and_b32 s17, s5, s8
	s_and_saveexec_b32 s12, s17
	s_cbranch_execnz .LBB236_103
.LBB236_81:
	s_or_b32 exec_lo, exec_lo, s12
	s_and_b32 s17, s6, s8
	s_and_saveexec_b32 s12, s17
	s_cbranch_execnz .LBB236_107
.LBB236_82:
	s_or_b32 exec_lo, exec_lo, s12
	s_and_b32 s12, s7, s8
	s_and_saveexec_b32 s8, s12
	s_cbranch_execnz .LBB236_111
	s_branch .LBB236_115
.LBB236_83:
	v_cmp_ne_u32_e32 vcc_lo, 1, v59
	v_lshlrev_b64 v[22:23], 1, v[0:1]
	s_cbranch_vccnz .LBB236_85
; %bb.84:
	v_add_co_u32 v70, vcc_lo, v68, v22
	v_add_co_ci_u32_e64 v71, null, v69, v23, vcc_lo
	flat_load_ushort v70, v[70:71]
	s_waitcnt vmcnt(0) lgkmcnt(0)
	v_mul_f16_e32 v70, s22, v70
	s_branch .LBB236_86
.LBB236_85:
	v_mov_b32_e32 v70, 0
.LBB236_86:
	v_pk_max_f16 v71, v24, v24
	v_pk_max_f16 v72, v18, v18
	;; [unrolled: 1-line block ×4, first 2 shown]
	v_add_co_u32 v22, vcc_lo, v40, v22
	v_pk_min_f16 v71, v72, v71
	v_add_co_ci_u32_e64 v23, null, v41, v23, vcc_lo
	v_pk_min_f16 v72, v74, v73
	v_pk_add_f16 v66, v66, v71
	v_pk_add_f16 v66, v66, v72
	v_add_f16_sdwa v66, v66, v66 dst_sel:DWORD dst_unused:UNUSED_PAD src0_sel:DWORD src1_sel:WORD_1
	v_add_f16_e32 v66, v66, v70
	flat_store_short v[22:23], v66
	s_or_b32 exec_lo, exec_lo, s12
	s_and_b32 s17, s1, s8
	s_and_saveexec_b32 s12, s17
	s_cbranch_execz .LBB236_77
.LBB236_87:
	v_cmp_ne_u32_e32 vcc_lo, 1, v59
	v_lshlrev_b64 v[22:23], 1, v[26:27]
	s_cbranch_vccnz .LBB236_89
; %bb.88:
	v_add_co_u32 v70, vcc_lo, v68, v22
	v_add_co_ci_u32_e64 v71, null, v69, v23, vcc_lo
	flat_load_ushort v66, v[70:71]
	s_waitcnt vmcnt(0) lgkmcnt(0)
	v_mul_f16_e32 v66, s22, v66
	s_branch .LBB236_90
.LBB236_89:
	v_mov_b32_e32 v66, 0
.LBB236_90:
	v_pk_max_f16 v70, v24, v24
	v_pk_max_f16 v71, v20, v20
	;; [unrolled: 1-line block ×4, first 2 shown]
	v_add_co_u32 v22, vcc_lo, v40, v22
	v_pk_min_f16 v70, v71, v70
	v_add_co_ci_u32_e64 v23, null, v41, v23, vcc_lo
	v_pk_min_f16 v71, v73, v72
	v_pk_add_f16 v65, v65, v70
	v_pk_add_f16 v65, v65, v71
	v_add_f16_sdwa v65, v65, v65 dst_sel:DWORD dst_unused:UNUSED_PAD src0_sel:DWORD src1_sel:WORD_1
	v_add_f16_e32 v65, v65, v66
	flat_store_short v[22:23], v65
	s_or_b32 exec_lo, exec_lo, s12
	s_and_b32 s17, s2, s8
	s_and_saveexec_b32 s12, s17
	s_cbranch_execz .LBB236_78
.LBB236_91:
	v_cmp_ne_u32_e32 vcc_lo, 1, v59
	v_lshlrev_b64 v[22:23], 1, v[28:29]
	s_cbranch_vccnz .LBB236_93
; %bb.92:
	v_add_co_u32 v65, vcc_lo, v68, v22
	v_add_co_ci_u32_e64 v66, null, v69, v23, vcc_lo
	flat_load_ushort v65, v[65:66]
	s_waitcnt vmcnt(0) lgkmcnt(0)
	v_mul_f16_e32 v65, s22, v65
	s_branch .LBB236_94
.LBB236_93:
	v_mov_b32_e32 v65, 0
.LBB236_94:
	v_pk_max_f16 v66, v24, v24
	v_pk_max_f16 v70, v14, v14
	;; [unrolled: 1-line block ×4, first 2 shown]
	v_add_co_u32 v22, vcc_lo, v40, v22
	v_pk_min_f16 v66, v70, v66
	v_add_co_ci_u32_e64 v23, null, v41, v23, vcc_lo
	v_pk_min_f16 v70, v72, v71
	v_pk_add_f16 v64, v64, v66
	v_pk_add_f16 v64, v64, v70
	v_add_f16_sdwa v64, v64, v64 dst_sel:DWORD dst_unused:UNUSED_PAD src0_sel:DWORD src1_sel:WORD_1
	v_add_f16_e32 v64, v64, v65
	flat_store_short v[22:23], v64
	s_or_b32 exec_lo, exec_lo, s12
	s_and_b32 s17, s3, s8
	s_and_saveexec_b32 s12, s17
	s_cbranch_execz .LBB236_79
.LBB236_95:
	v_cmp_ne_u32_e32 vcc_lo, 1, v59
	v_lshlrev_b64 v[22:23], 1, v[30:31]
	s_cbranch_vccnz .LBB236_97
; %bb.96:
	v_add_co_u32 v64, vcc_lo, v68, v22
	v_add_co_ci_u32_e64 v65, null, v69, v23, vcc_lo
	flat_load_ushort v64, v[64:65]
	s_waitcnt vmcnt(0) lgkmcnt(0)
	v_mul_f16_e32 v64, s22, v64
	s_branch .LBB236_98
.LBB236_97:
	v_mov_b32_e32 v64, 0
.LBB236_98:
	v_pk_max_f16 v65, v24, v24
	v_pk_max_f16 v66, v16, v16
	;; [unrolled: 1-line block ×4, first 2 shown]
	v_add_co_u32 v22, vcc_lo, v40, v22
	v_pk_min_f16 v65, v66, v65
	v_add_co_ci_u32_e64 v23, null, v41, v23, vcc_lo
	v_pk_min_f16 v66, v71, v70
	v_pk_add_f16 v63, v63, v65
	v_pk_add_f16 v63, v63, v66
	v_add_f16_sdwa v63, v63, v63 dst_sel:DWORD dst_unused:UNUSED_PAD src0_sel:DWORD src1_sel:WORD_1
	v_add_f16_e32 v63, v63, v64
	flat_store_short v[22:23], v63
	s_or_b32 exec_lo, exec_lo, s12
	s_and_b32 s17, s4, s8
	s_and_saveexec_b32 s12, s17
	s_cbranch_execz .LBB236_80
.LBB236_99:
	v_cmp_ne_u32_e32 vcc_lo, 1, v59
	v_lshlrev_b64 v[22:23], 1, v[32:33]
	s_cbranch_vccnz .LBB236_101
; %bb.100:
	v_add_co_u32 v63, vcc_lo, v68, v22
	v_add_co_ci_u32_e64 v64, null, v69, v23, vcc_lo
	flat_load_ushort v63, v[63:64]
	s_waitcnt vmcnt(0) lgkmcnt(0)
	v_mul_f16_e32 v63, s22, v63
	s_branch .LBB236_102
.LBB236_101:
	v_mov_b32_e32 v63, 0
.LBB236_102:
	v_pk_max_f16 v64, v24, v24
	v_pk_max_f16 v65, v10, v10
	;; [unrolled: 1-line block ×4, first 2 shown]
	v_add_co_u32 v22, vcc_lo, v40, v22
	v_pk_min_f16 v64, v65, v64
	v_add_co_ci_u32_e64 v23, null, v41, v23, vcc_lo
	v_pk_min_f16 v65, v70, v66
	v_pk_add_f16 v62, v62, v64
	v_pk_add_f16 v62, v62, v65
	v_add_f16_sdwa v62, v62, v62 dst_sel:DWORD dst_unused:UNUSED_PAD src0_sel:DWORD src1_sel:WORD_1
	v_add_f16_e32 v62, v62, v63
	flat_store_short v[22:23], v62
	s_or_b32 exec_lo, exec_lo, s12
	s_and_b32 s17, s5, s8
	s_and_saveexec_b32 s12, s17
	s_cbranch_execz .LBB236_81
.LBB236_103:
	v_cmp_ne_u32_e32 vcc_lo, 1, v59
	v_lshlrev_b64 v[22:23], 1, v[34:35]
	s_cbranch_vccnz .LBB236_105
; %bb.104:
	v_add_co_u32 v62, vcc_lo, v68, v22
	v_add_co_ci_u32_e64 v63, null, v69, v23, vcc_lo
	flat_load_ushort v62, v[62:63]
	s_waitcnt vmcnt(0) lgkmcnt(0)
	v_mul_f16_e32 v62, s22, v62
	s_branch .LBB236_106
.LBB236_105:
	v_mov_b32_e32 v62, 0
.LBB236_106:
	v_pk_max_f16 v63, v24, v24
	v_pk_max_f16 v64, v12, v12
	v_pk_max_f16 v65, v25, v25
	v_pk_max_f16 v66, v13, v13
	v_add_co_u32 v22, vcc_lo, v40, v22
	v_pk_min_f16 v63, v64, v63
	v_add_co_ci_u32_e64 v23, null, v41, v23, vcc_lo
	v_pk_min_f16 v64, v66, v65
	v_pk_add_f16 v61, v61, v63
	v_pk_add_f16 v61, v61, v64
	v_add_f16_sdwa v61, v61, v61 dst_sel:DWORD dst_unused:UNUSED_PAD src0_sel:DWORD src1_sel:WORD_1
	v_add_f16_e32 v61, v61, v62
	flat_store_short v[22:23], v61
	s_or_b32 exec_lo, exec_lo, s12
	s_and_b32 s17, s6, s8
	s_and_saveexec_b32 s12, s17
	s_cbranch_execz .LBB236_82
.LBB236_107:
	v_cmp_ne_u32_e32 vcc_lo, 1, v59
	v_lshlrev_b64 v[22:23], 1, v[36:37]
	s_cbranch_vccnz .LBB236_109
; %bb.108:
	v_add_co_u32 v61, vcc_lo, v68, v22
	v_add_co_ci_u32_e64 v62, null, v69, v23, vcc_lo
	flat_load_ushort v61, v[61:62]
	s_waitcnt vmcnt(0) lgkmcnt(0)
	v_mul_f16_e32 v61, s22, v61
	s_branch .LBB236_110
.LBB236_109:
	v_mov_b32_e32 v61, 0
.LBB236_110:
	v_pk_max_f16 v62, v24, v24
	v_pk_max_f16 v63, v6, v6
	;; [unrolled: 1-line block ×4, first 2 shown]
	v_add_co_u32 v22, vcc_lo, v40, v22
	v_pk_min_f16 v62, v63, v62
	v_add_co_ci_u32_e64 v23, null, v41, v23, vcc_lo
	v_pk_min_f16 v63, v65, v64
	v_pk_add_f16 v60, v60, v62
	v_pk_add_f16 v60, v60, v63
	v_add_f16_sdwa v60, v60, v60 dst_sel:DWORD dst_unused:UNUSED_PAD src0_sel:DWORD src1_sel:WORD_1
	v_add_f16_e32 v60, v60, v61
	flat_store_short v[22:23], v60
	s_or_b32 exec_lo, exec_lo, s12
	s_and_b32 s12, s7, s8
	s_and_saveexec_b32 s8, s12
	s_cbranch_execz .LBB236_115
.LBB236_111:
	v_cmp_ne_u32_e32 vcc_lo, 1, v59
	v_lshlrev_b64 v[22:23], 1, v[38:39]
	s_cbranch_vccnz .LBB236_113
; %bb.112:
	v_add_co_u32 v60, vcc_lo, v68, v22
	v_add_co_ci_u32_e64 v61, null, v69, v23, vcc_lo
	flat_load_ushort v60, v[60:61]
	s_waitcnt vmcnt(0) lgkmcnt(0)
	v_mul_f16_e32 v60, s22, v60
	s_branch .LBB236_114
.LBB236_113:
	v_mov_b32_e32 v60, 0
.LBB236_114:
	v_pk_max_f16 v24, v24, v24
	v_pk_max_f16 v61, v8, v8
	;; [unrolled: 1-line block ×4, first 2 shown]
	v_add_co_u32 v22, vcc_lo, v40, v22
	v_pk_min_f16 v24, v61, v24
	v_add_co_ci_u32_e64 v23, null, v41, v23, vcc_lo
	v_pk_min_f16 v25, v62, v25
	v_pk_add_f16 v24, v58, v24
	v_pk_add_f16 v24, v24, v25
	v_add_f16_sdwa v24, v24, v24 dst_sel:DWORD dst_unused:UNUSED_PAD src0_sel:DWORD src1_sel:WORD_1
	v_add_f16_e32 v24, v24, v60
	flat_store_short v[22:23], v24
.LBB236_115:
	s_or_b32 exec_lo, exec_lo, s8
	v_add_nc_u32_e32 v40, 64, v67
	v_mad_i64_i32 v[22:23], null, v40, s14, 0
	v_mad_i64_i32 v[24:25], null, v40, s9, 0
	v_cmp_gt_i32_e64 s8, s13, v40
	v_lshlrev_b64 v[22:23], 1, v[22:23]
	s_and_b32 s17, s0, s8
	v_lshlrev_b64 v[24:25], 1, v[24:25]
	v_add_co_u32 v40, vcc_lo, s10, v22
	v_add_co_ci_u32_e64 v41, null, s11, v23, vcc_lo
	v_add_co_u32 v24, vcc_lo, s15, v24
	v_add_co_ci_u32_e64 v25, null, s16, v25, vcc_lo
	s_and_saveexec_b32 s12, s17
	s_cbranch_execnz .LBB236_123
; %bb.116:
	s_or_b32 exec_lo, exec_lo, s12
	s_and_b32 s17, s1, s8
	s_and_saveexec_b32 s12, s17
	s_cbranch_execnz .LBB236_127
.LBB236_117:
	s_or_b32 exec_lo, exec_lo, s12
	s_and_b32 s17, s2, s8
	s_and_saveexec_b32 s12, s17
	s_cbranch_execnz .LBB236_131
.LBB236_118:
	s_or_b32 exec_lo, exec_lo, s12
	s_and_b32 s17, s3, s8
	s_and_saveexec_b32 s12, s17
	s_cbranch_execnz .LBB236_135
.LBB236_119:
	s_or_b32 exec_lo, exec_lo, s12
	s_and_b32 s17, s4, s8
	s_and_saveexec_b32 s12, s17
	s_cbranch_execnz .LBB236_139
.LBB236_120:
	s_or_b32 exec_lo, exec_lo, s12
	s_and_b32 s17, s5, s8
	s_and_saveexec_b32 s12, s17
	s_cbranch_execnz .LBB236_143
.LBB236_121:
	s_or_b32 exec_lo, exec_lo, s12
	s_and_b32 s17, s6, s8
	s_and_saveexec_b32 s12, s17
	s_cbranch_execnz .LBB236_147
.LBB236_122:
	s_or_b32 exec_lo, exec_lo, s12
	s_and_b32 s12, s7, s8
	s_and_saveexec_b32 s8, s12
	s_cbranch_execnz .LBB236_151
	s_branch .LBB236_155
.LBB236_123:
	v_cmp_ne_u32_e32 vcc_lo, 1, v59
	v_lshlrev_b64 v[22:23], 1, v[0:1]
	s_cbranch_vccnz .LBB236_125
; %bb.124:
	v_add_co_u32 v60, vcc_lo, v40, v22
	v_add_co_ci_u32_e64 v61, null, v41, v23, vcc_lo
	flat_load_ushort v58, v[60:61]
	s_waitcnt vmcnt(0) lgkmcnt(0)
	v_mul_f16_e32 v58, s22, v58
	s_branch .LBB236_126
.LBB236_125:
	v_mov_b32_e32 v58, 0
.LBB236_126:
	v_pk_max_f16 v60, v2, v2
	v_pk_max_f16 v61, v18, v18
	;; [unrolled: 1-line block ×4, first 2 shown]
	v_add_co_u32 v22, vcc_lo, v24, v22
	v_pk_min_f16 v60, v61, v60
	v_add_co_ci_u32_e64 v23, null, v25, v23, vcc_lo
	v_pk_min_f16 v61, v63, v62
	v_pk_add_f16 v57, v57, v60
	v_pk_add_f16 v57, v57, v61
	v_add_f16_sdwa v57, v57, v57 dst_sel:DWORD dst_unused:UNUSED_PAD src0_sel:DWORD src1_sel:WORD_1
	v_add_f16_e32 v57, v57, v58
	flat_store_short v[22:23], v57
	s_or_b32 exec_lo, exec_lo, s12
	s_and_b32 s17, s1, s8
	s_and_saveexec_b32 s12, s17
	s_cbranch_execz .LBB236_117
.LBB236_127:
	v_cmp_ne_u32_e32 vcc_lo, 1, v59
	v_lshlrev_b64 v[22:23], 1, v[26:27]
	s_cbranch_vccnz .LBB236_129
; %bb.128:
	v_add_co_u32 v57, vcc_lo, v40, v22
	v_add_co_ci_u32_e64 v58, null, v41, v23, vcc_lo
	flat_load_ushort v57, v[57:58]
	s_waitcnt vmcnt(0) lgkmcnt(0)
	v_mul_f16_e32 v57, s22, v57
	s_branch .LBB236_130
.LBB236_129:
	v_mov_b32_e32 v57, 0
.LBB236_130:
	v_pk_max_f16 v58, v2, v2
	v_pk_max_f16 v60, v20, v20
	v_pk_max_f16 v61, v3, v3
	v_pk_max_f16 v62, v21, v21
	v_add_co_u32 v22, vcc_lo, v24, v22
	v_pk_min_f16 v58, v60, v58
	v_add_co_ci_u32_e64 v23, null, v25, v23, vcc_lo
	v_pk_min_f16 v60, v62, v61
	v_pk_add_f16 v56, v56, v58
	v_pk_add_f16 v56, v56, v60
	v_add_f16_sdwa v56, v56, v56 dst_sel:DWORD dst_unused:UNUSED_PAD src0_sel:DWORD src1_sel:WORD_1
	v_add_f16_e32 v56, v56, v57
	flat_store_short v[22:23], v56
	s_or_b32 exec_lo, exec_lo, s12
	s_and_b32 s17, s2, s8
	s_and_saveexec_b32 s12, s17
	s_cbranch_execz .LBB236_118
.LBB236_131:
	v_cmp_ne_u32_e32 vcc_lo, 1, v59
	v_lshlrev_b64 v[22:23], 1, v[28:29]
	s_cbranch_vccnz .LBB236_133
; %bb.132:
	v_add_co_u32 v56, vcc_lo, v40, v22
	v_add_co_ci_u32_e64 v57, null, v41, v23, vcc_lo
	flat_load_ushort v56, v[56:57]
	s_waitcnt vmcnt(0) lgkmcnt(0)
	v_mul_f16_e32 v56, s22, v56
	s_branch .LBB236_134
.LBB236_133:
	v_mov_b32_e32 v56, 0
.LBB236_134:
	v_pk_max_f16 v57, v2, v2
	v_pk_max_f16 v58, v14, v14
	;; [unrolled: 1-line block ×4, first 2 shown]
	v_add_co_u32 v22, vcc_lo, v24, v22
	v_pk_min_f16 v57, v58, v57
	v_add_co_ci_u32_e64 v23, null, v25, v23, vcc_lo
	v_pk_min_f16 v58, v61, v60
	v_pk_add_f16 v55, v55, v57
	v_pk_add_f16 v55, v55, v58
	v_add_f16_sdwa v55, v55, v55 dst_sel:DWORD dst_unused:UNUSED_PAD src0_sel:DWORD src1_sel:WORD_1
	v_add_f16_e32 v55, v55, v56
	flat_store_short v[22:23], v55
	s_or_b32 exec_lo, exec_lo, s12
	s_and_b32 s17, s3, s8
	s_and_saveexec_b32 s12, s17
	s_cbranch_execz .LBB236_119
.LBB236_135:
	v_cmp_ne_u32_e32 vcc_lo, 1, v59
	v_lshlrev_b64 v[22:23], 1, v[30:31]
	s_cbranch_vccnz .LBB236_137
; %bb.136:
	v_add_co_u32 v55, vcc_lo, v40, v22
	v_add_co_ci_u32_e64 v56, null, v41, v23, vcc_lo
	flat_load_ushort v55, v[55:56]
	s_waitcnt vmcnt(0) lgkmcnt(0)
	v_mul_f16_e32 v55, s22, v55
	s_branch .LBB236_138
.LBB236_137:
	v_mov_b32_e32 v55, 0
.LBB236_138:
	v_pk_max_f16 v56, v2, v2
	v_pk_max_f16 v57, v16, v16
	;; [unrolled: 1-line block ×4, first 2 shown]
	v_add_co_u32 v22, vcc_lo, v24, v22
	v_pk_min_f16 v56, v57, v56
	v_add_co_ci_u32_e64 v23, null, v25, v23, vcc_lo
	v_pk_min_f16 v57, v60, v58
	v_pk_add_f16 v54, v54, v56
	v_pk_add_f16 v54, v54, v57
	v_add_f16_sdwa v54, v54, v54 dst_sel:DWORD dst_unused:UNUSED_PAD src0_sel:DWORD src1_sel:WORD_1
	v_add_f16_e32 v54, v54, v55
	flat_store_short v[22:23], v54
	s_or_b32 exec_lo, exec_lo, s12
	s_and_b32 s17, s4, s8
	s_and_saveexec_b32 s12, s17
	s_cbranch_execz .LBB236_120
.LBB236_139:
	v_cmp_ne_u32_e32 vcc_lo, 1, v59
	v_lshlrev_b64 v[22:23], 1, v[32:33]
	s_cbranch_vccnz .LBB236_141
; %bb.140:
	v_add_co_u32 v54, vcc_lo, v40, v22
	v_add_co_ci_u32_e64 v55, null, v41, v23, vcc_lo
	flat_load_ushort v54, v[54:55]
	s_waitcnt vmcnt(0) lgkmcnt(0)
	v_mul_f16_e32 v54, s22, v54
	s_branch .LBB236_142
.LBB236_141:
	v_mov_b32_e32 v54, 0
.LBB236_142:
	v_pk_max_f16 v55, v2, v2
	v_pk_max_f16 v56, v10, v10
	;; [unrolled: 1-line block ×4, first 2 shown]
	v_add_co_u32 v22, vcc_lo, v24, v22
	v_pk_min_f16 v55, v56, v55
	v_add_co_ci_u32_e64 v23, null, v25, v23, vcc_lo
	v_pk_min_f16 v56, v58, v57
	v_pk_add_f16 v53, v53, v55
	v_pk_add_f16 v53, v53, v56
	v_add_f16_sdwa v53, v53, v53 dst_sel:DWORD dst_unused:UNUSED_PAD src0_sel:DWORD src1_sel:WORD_1
	v_add_f16_e32 v53, v53, v54
	flat_store_short v[22:23], v53
	s_or_b32 exec_lo, exec_lo, s12
	s_and_b32 s17, s5, s8
	s_and_saveexec_b32 s12, s17
	s_cbranch_execz .LBB236_121
.LBB236_143:
	v_cmp_ne_u32_e32 vcc_lo, 1, v59
	v_lshlrev_b64 v[22:23], 1, v[34:35]
	s_cbranch_vccnz .LBB236_145
; %bb.144:
	v_add_co_u32 v53, vcc_lo, v40, v22
	v_add_co_ci_u32_e64 v54, null, v41, v23, vcc_lo
	flat_load_ushort v53, v[53:54]
	s_waitcnt vmcnt(0) lgkmcnt(0)
	v_mul_f16_e32 v53, s22, v53
	s_branch .LBB236_146
.LBB236_145:
	v_mov_b32_e32 v53, 0
.LBB236_146:
	v_pk_max_f16 v54, v2, v2
	v_pk_max_f16 v55, v12, v12
	;; [unrolled: 1-line block ×4, first 2 shown]
	v_add_co_u32 v22, vcc_lo, v24, v22
	v_pk_min_f16 v54, v55, v54
	v_add_co_ci_u32_e64 v23, null, v25, v23, vcc_lo
	v_pk_min_f16 v55, v57, v56
	v_pk_add_f16 v52, v52, v54
	v_pk_add_f16 v52, v52, v55
	v_add_f16_sdwa v52, v52, v52 dst_sel:DWORD dst_unused:UNUSED_PAD src0_sel:DWORD src1_sel:WORD_1
	v_add_f16_e32 v52, v52, v53
	flat_store_short v[22:23], v52
	s_or_b32 exec_lo, exec_lo, s12
	s_and_b32 s17, s6, s8
	s_and_saveexec_b32 s12, s17
	s_cbranch_execz .LBB236_122
.LBB236_147:
	v_cmp_ne_u32_e32 vcc_lo, 1, v59
	v_lshlrev_b64 v[22:23], 1, v[36:37]
	s_cbranch_vccnz .LBB236_149
; %bb.148:
	v_add_co_u32 v52, vcc_lo, v40, v22
	v_add_co_ci_u32_e64 v53, null, v41, v23, vcc_lo
	flat_load_ushort v52, v[52:53]
	s_waitcnt vmcnt(0) lgkmcnt(0)
	v_mul_f16_e32 v52, s22, v52
	s_branch .LBB236_150
.LBB236_149:
	v_mov_b32_e32 v52, 0
.LBB236_150:
	v_pk_max_f16 v53, v2, v2
	v_pk_max_f16 v54, v6, v6
	;; [unrolled: 1-line block ×4, first 2 shown]
	v_add_co_u32 v22, vcc_lo, v24, v22
	v_pk_min_f16 v53, v54, v53
	v_add_co_ci_u32_e64 v23, null, v25, v23, vcc_lo
	v_pk_min_f16 v54, v56, v55
	v_pk_add_f16 v51, v51, v53
	v_pk_add_f16 v51, v51, v54
	v_add_f16_sdwa v51, v51, v51 dst_sel:DWORD dst_unused:UNUSED_PAD src0_sel:DWORD src1_sel:WORD_1
	v_add_f16_e32 v51, v51, v52
	flat_store_short v[22:23], v51
	s_or_b32 exec_lo, exec_lo, s12
	s_and_b32 s12, s7, s8
	s_and_saveexec_b32 s8, s12
	s_cbranch_execz .LBB236_155
.LBB236_151:
	v_cmp_ne_u32_e32 vcc_lo, 1, v59
	v_lshlrev_b64 v[22:23], 1, v[38:39]
	s_cbranch_vccnz .LBB236_153
; %bb.152:
	v_add_co_u32 v40, vcc_lo, v40, v22
	v_add_co_ci_u32_e64 v41, null, v41, v23, vcc_lo
	flat_load_ushort v40, v[40:41]
	s_waitcnt vmcnt(0) lgkmcnt(0)
	v_mul_f16_e32 v40, s22, v40
	s_branch .LBB236_154
.LBB236_153:
	v_mov_b32_e32 v40, 0
.LBB236_154:
	v_pk_max_f16 v2, v2, v2
	v_pk_max_f16 v41, v8, v8
	;; [unrolled: 1-line block ×4, first 2 shown]
	v_pk_min_f16 v2, v41, v2
	v_pk_min_f16 v3, v51, v3
	v_pk_add_f16 v2, v50, v2
	v_pk_add_f16 v2, v2, v3
	v_add_f16_sdwa v2, v2, v2 dst_sel:DWORD dst_unused:UNUSED_PAD src0_sel:DWORD src1_sel:WORD_1
	v_add_f16_e32 v40, v2, v40
	v_add_co_u32 v2, vcc_lo, v24, v22
	v_add_co_ci_u32_e64 v3, null, v25, v23, vcc_lo
	flat_store_short v[2:3], v40
.LBB236_155:
	s_or_b32 exec_lo, exec_lo, s8
	v_add_nc_u32_e32 v24, 0x60, v67
	v_mad_i64_i32 v[2:3], null, v24, s14, 0
	v_mad_i64_i32 v[22:23], null, v24, s9, 0
	v_cmp_gt_i32_e64 s8, s13, v24
	v_lshlrev_b64 v[2:3], 1, v[2:3]
	s_and_b32 s9, s0, s8
	v_lshlrev_b64 v[24:25], 1, v[22:23]
	v_add_co_u32 v22, vcc_lo, s10, v2
	v_add_co_ci_u32_e64 v23, null, s11, v3, vcc_lo
	v_add_co_u32 v2, vcc_lo, s15, v24
	v_add_co_ci_u32_e64 v3, null, s16, v25, vcc_lo
	s_and_saveexec_b32 s0, s9
	s_cbranch_execnz .LBB236_164
; %bb.156:
	s_or_b32 exec_lo, exec_lo, s0
	s_and_b32 s1, s1, s8
	s_and_saveexec_b32 s0, s1
	s_cbranch_execnz .LBB236_168
.LBB236_157:
	s_or_b32 exec_lo, exec_lo, s0
	s_and_b32 s1, s2, s8
	s_and_saveexec_b32 s0, s1
	s_cbranch_execnz .LBB236_172
.LBB236_158:
	s_or_b32 exec_lo, exec_lo, s0
	s_and_b32 s1, s3, s8
	s_and_saveexec_b32 s0, s1
	s_cbranch_execnz .LBB236_176
.LBB236_159:
	s_or_b32 exec_lo, exec_lo, s0
	s_and_b32 s1, s4, s8
	s_and_saveexec_b32 s0, s1
	s_cbranch_execnz .LBB236_180
.LBB236_160:
	s_or_b32 exec_lo, exec_lo, s0
	s_and_b32 s1, s5, s8
	s_and_saveexec_b32 s0, s1
	s_cbranch_execnz .LBB236_184
.LBB236_161:
	s_or_b32 exec_lo, exec_lo, s0
	s_and_b32 s1, s6, s8
	s_and_saveexec_b32 s0, s1
	s_cbranch_execnz .LBB236_188
.LBB236_162:
	s_or_b32 exec_lo, exec_lo, s0
	s_and_b32 s0, s7, s8
	s_and_saveexec_b32 s1, s0
	s_cbranch_execnz .LBB236_192
.LBB236_163:
	s_endpgm
.LBB236_164:
	v_cmp_ne_u32_e32 vcc_lo, 1, v59
	v_lshlrev_b64 v[0:1], 1, v[0:1]
	s_cbranch_vccnz .LBB236_166
; %bb.165:
	v_add_co_u32 v24, vcc_lo, v22, v0
	v_add_co_ci_u32_e64 v25, null, v23, v1, vcc_lo
	flat_load_ushort v24, v[24:25]
	s_waitcnt vmcnt(0) lgkmcnt(0)
	v_mul_f16_e32 v24, s22, v24
	s_branch .LBB236_167
.LBB236_166:
	v_mov_b32_e32 v24, 0
.LBB236_167:
	v_pk_max_f16 v25, v4, v4
	v_pk_max_f16 v18, v18, v18
	;; [unrolled: 1-line block ×4, first 2 shown]
	v_add_co_u32 v0, vcc_lo, v2, v0
	v_pk_min_f16 v18, v18, v25
	v_add_co_ci_u32_e64 v1, null, v3, v1, vcc_lo
	v_pk_min_f16 v19, v19, v40
	v_pk_add_f16 v18, v49, v18
	v_pk_add_f16 v18, v18, v19
	v_add_f16_sdwa v18, v18, v18 dst_sel:DWORD dst_unused:UNUSED_PAD src0_sel:DWORD src1_sel:WORD_1
	v_add_f16_e32 v18, v18, v24
	flat_store_short v[0:1], v18
	s_or_b32 exec_lo, exec_lo, s0
	s_and_b32 s1, s1, s8
	s_and_saveexec_b32 s0, s1
	s_cbranch_execz .LBB236_157
.LBB236_168:
	v_cmp_ne_u32_e32 vcc_lo, 1, v59
	v_lshlrev_b64 v[0:1], 1, v[26:27]
	s_cbranch_vccnz .LBB236_170
; %bb.169:
	v_add_co_u32 v18, vcc_lo, v22, v0
	v_add_co_ci_u32_e64 v19, null, v23, v1, vcc_lo
	flat_load_ushort v18, v[18:19]
	s_waitcnt vmcnt(0) lgkmcnt(0)
	v_mul_f16_e32 v18, s22, v18
	s_branch .LBB236_171
.LBB236_170:
	v_mov_b32_e32 v18, 0
.LBB236_171:
	v_pk_max_f16 v19, v4, v4
	v_pk_max_f16 v20, v20, v20
	;; [unrolled: 1-line block ×4, first 2 shown]
	v_add_co_u32 v0, vcc_lo, v2, v0
	v_pk_min_f16 v19, v20, v19
	v_add_co_ci_u32_e64 v1, null, v3, v1, vcc_lo
	v_pk_min_f16 v20, v21, v24
	v_pk_add_f16 v19, v48, v19
	v_pk_add_f16 v19, v19, v20
	v_add_f16_sdwa v19, v19, v19 dst_sel:DWORD dst_unused:UNUSED_PAD src0_sel:DWORD src1_sel:WORD_1
	v_add_f16_e32 v18, v19, v18
	flat_store_short v[0:1], v18
	s_or_b32 exec_lo, exec_lo, s0
	s_and_b32 s1, s2, s8
	s_and_saveexec_b32 s0, s1
	s_cbranch_execz .LBB236_158
.LBB236_172:
	v_cmp_ne_u32_e32 vcc_lo, 1, v59
	v_lshlrev_b64 v[0:1], 1, v[28:29]
	s_cbranch_vccnz .LBB236_174
; %bb.173:
	v_add_co_u32 v18, vcc_lo, v22, v0
	v_add_co_ci_u32_e64 v19, null, v23, v1, vcc_lo
	flat_load_ushort v18, v[18:19]
	s_waitcnt vmcnt(0) lgkmcnt(0)
	v_mul_f16_e32 v18, s22, v18
	s_branch .LBB236_175
.LBB236_174:
	v_mov_b32_e32 v18, 0
.LBB236_175:
	v_pk_max_f16 v19, v4, v4
	v_pk_max_f16 v14, v14, v14
	;; [unrolled: 1-line block ×4, first 2 shown]
	v_add_co_u32 v0, vcc_lo, v2, v0
	v_pk_min_f16 v14, v14, v19
	v_add_co_ci_u32_e64 v1, null, v3, v1, vcc_lo
	v_pk_min_f16 v15, v15, v20
	v_pk_add_f16 v14, v47, v14
	v_pk_add_f16 v14, v14, v15
	v_add_f16_sdwa v14, v14, v14 dst_sel:DWORD dst_unused:UNUSED_PAD src0_sel:DWORD src1_sel:WORD_1
	v_add_f16_e32 v14, v14, v18
	flat_store_short v[0:1], v14
	s_or_b32 exec_lo, exec_lo, s0
	s_and_b32 s1, s3, s8
	s_and_saveexec_b32 s0, s1
	s_cbranch_execz .LBB236_159
.LBB236_176:
	v_cmp_ne_u32_e32 vcc_lo, 1, v59
	v_lshlrev_b64 v[0:1], 1, v[30:31]
	s_cbranch_vccnz .LBB236_178
; %bb.177:
	v_add_co_u32 v14, vcc_lo, v22, v0
	v_add_co_ci_u32_e64 v15, null, v23, v1, vcc_lo
	flat_load_ushort v14, v[14:15]
	s_waitcnt vmcnt(0) lgkmcnt(0)
	v_mul_f16_e32 v14, s22, v14
	s_branch .LBB236_179
.LBB236_178:
	v_mov_b32_e32 v14, 0
.LBB236_179:
	v_pk_max_f16 v15, v4, v4
	v_pk_max_f16 v16, v16, v16
	;; [unrolled: 1-line block ×4, first 2 shown]
	v_add_co_u32 v0, vcc_lo, v2, v0
	v_pk_min_f16 v15, v16, v15
	v_add_co_ci_u32_e64 v1, null, v3, v1, vcc_lo
	v_pk_min_f16 v16, v17, v18
	v_pk_add_f16 v15, v46, v15
	v_pk_add_f16 v15, v15, v16
	v_add_f16_sdwa v15, v15, v15 dst_sel:DWORD dst_unused:UNUSED_PAD src0_sel:DWORD src1_sel:WORD_1
	v_add_f16_e32 v14, v15, v14
	flat_store_short v[0:1], v14
	s_or_b32 exec_lo, exec_lo, s0
	s_and_b32 s1, s4, s8
	s_and_saveexec_b32 s0, s1
	s_cbranch_execz .LBB236_160
.LBB236_180:
	v_cmp_ne_u32_e32 vcc_lo, 1, v59
	v_lshlrev_b64 v[0:1], 1, v[32:33]
	s_cbranch_vccnz .LBB236_182
; %bb.181:
	v_add_co_u32 v14, vcc_lo, v22, v0
	v_add_co_ci_u32_e64 v15, null, v23, v1, vcc_lo
	flat_load_ushort v14, v[14:15]
	s_waitcnt vmcnt(0) lgkmcnt(0)
	v_mul_f16_e32 v14, s22, v14
	s_branch .LBB236_183
.LBB236_182:
	v_mov_b32_e32 v14, 0
.LBB236_183:
	v_pk_max_f16 v15, v4, v4
	v_pk_max_f16 v10, v10, v10
	;; [unrolled: 1-line block ×4, first 2 shown]
	v_add_co_u32 v0, vcc_lo, v2, v0
	v_pk_min_f16 v10, v10, v15
	v_add_co_ci_u32_e64 v1, null, v3, v1, vcc_lo
	v_pk_min_f16 v11, v11, v16
	v_pk_add_f16 v10, v45, v10
	v_pk_add_f16 v10, v10, v11
	v_add_f16_sdwa v10, v10, v10 dst_sel:DWORD dst_unused:UNUSED_PAD src0_sel:DWORD src1_sel:WORD_1
	v_add_f16_e32 v10, v10, v14
	flat_store_short v[0:1], v10
	s_or_b32 exec_lo, exec_lo, s0
	s_and_b32 s1, s5, s8
	s_and_saveexec_b32 s0, s1
	s_cbranch_execz .LBB236_161
.LBB236_184:
	v_cmp_ne_u32_e32 vcc_lo, 1, v59
	v_lshlrev_b64 v[0:1], 1, v[34:35]
	s_cbranch_vccnz .LBB236_186
; %bb.185:
	v_add_co_u32 v10, vcc_lo, v22, v0
	v_add_co_ci_u32_e64 v11, null, v23, v1, vcc_lo
	flat_load_ushort v10, v[10:11]
	s_waitcnt vmcnt(0) lgkmcnt(0)
	v_mul_f16_e32 v10, s22, v10
	s_branch .LBB236_187
.LBB236_186:
	v_mov_b32_e32 v10, 0
.LBB236_187:
	v_pk_max_f16 v11, v4, v4
	v_pk_max_f16 v12, v12, v12
	;; [unrolled: 1-line block ×4, first 2 shown]
	v_add_co_u32 v0, vcc_lo, v2, v0
	v_pk_min_f16 v11, v12, v11
	v_add_co_ci_u32_e64 v1, null, v3, v1, vcc_lo
	v_pk_min_f16 v12, v13, v14
	v_pk_add_f16 v11, v44, v11
	v_pk_add_f16 v11, v11, v12
	v_add_f16_sdwa v11, v11, v11 dst_sel:DWORD dst_unused:UNUSED_PAD src0_sel:DWORD src1_sel:WORD_1
	v_add_f16_e32 v10, v11, v10
	flat_store_short v[0:1], v10
	s_or_b32 exec_lo, exec_lo, s0
	s_and_b32 s1, s6, s8
	s_and_saveexec_b32 s0, s1
	s_cbranch_execz .LBB236_162
.LBB236_188:
	v_cmp_ne_u32_e32 vcc_lo, 1, v59
	v_lshlrev_b64 v[0:1], 1, v[36:37]
	s_cbranch_vccnz .LBB236_190
; %bb.189:
	v_add_co_u32 v10, vcc_lo, v22, v0
	v_add_co_ci_u32_e64 v11, null, v23, v1, vcc_lo
	flat_load_ushort v10, v[10:11]
	s_waitcnt vmcnt(0) lgkmcnt(0)
	v_mul_f16_e32 v10, s22, v10
	s_branch .LBB236_191
.LBB236_190:
	v_mov_b32_e32 v10, 0
.LBB236_191:
	v_pk_max_f16 v11, v4, v4
	v_pk_max_f16 v6, v6, v6
	;; [unrolled: 1-line block ×4, first 2 shown]
	v_add_co_u32 v0, vcc_lo, v2, v0
	v_pk_min_f16 v6, v6, v11
	v_add_co_ci_u32_e64 v1, null, v3, v1, vcc_lo
	v_pk_min_f16 v7, v7, v12
	v_pk_add_f16 v6, v43, v6
	v_pk_add_f16 v6, v6, v7
	v_add_f16_sdwa v6, v6, v6 dst_sel:DWORD dst_unused:UNUSED_PAD src0_sel:DWORD src1_sel:WORD_1
	v_add_f16_e32 v6, v6, v10
	flat_store_short v[0:1], v6
	s_or_b32 exec_lo, exec_lo, s0
	s_and_b32 s0, s7, s8
	s_and_saveexec_b32 s1, s0
	s_cbranch_execz .LBB236_163
.LBB236_192:
	v_cmp_ne_u32_e32 vcc_lo, 1, v59
	v_lshlrev_b64 v[0:1], 1, v[38:39]
	s_cbranch_vccnz .LBB236_194
; %bb.193:
	v_add_co_u32 v6, vcc_lo, v22, v0
	v_add_co_ci_u32_e64 v7, null, v23, v1, vcc_lo
	flat_load_ushort v6, v[6:7]
	s_waitcnt vmcnt(0) lgkmcnt(0)
	v_mul_f16_e32 v6, s22, v6
	s_branch .LBB236_195
.LBB236_194:
	v_mov_b32_e32 v6, 0
.LBB236_195:
	v_pk_max_f16 v4, v4, v4
	v_pk_max_f16 v7, v8, v8
	;; [unrolled: 1-line block ×4, first 2 shown]
	v_add_co_u32 v0, vcc_lo, v2, v0
	v_pk_min_f16 v4, v7, v4
	v_add_co_ci_u32_e64 v1, null, v3, v1, vcc_lo
	v_pk_min_f16 v5, v8, v5
	v_pk_add_f16 v4, v42, v4
	v_pk_add_f16 v4, v4, v5
	v_add_f16_sdwa v4, v4, v4 dst_sel:DWORD dst_unused:UNUSED_PAD src0_sel:DWORD src1_sel:WORD_1
	v_add_f16_e32 v4, v4, v6
	flat_store_short v[0:1], v4
	s_endpgm
	.section	.rodata,"a",@progbits
	.p2align	6, 0x0
	.amdhsa_kernel _ZN12_GLOBAL__N_120geam_min_plus_kernelIDF16_Dv2_DF16_S1_Li8ELi32ELi64ELi128ELi4ELi64ELi4ELi4ELi64ELc78ELc78ELb0ELb1ELb0EDF16_KPKDF16_KPDF16_EEviiiT16_PT17_ilS9_ilS7_S9_ilPT18_ili26rocblas_geam_ex_operation_
		.amdhsa_group_segment_fixed_size 3072
		.amdhsa_private_segment_fixed_size 0
		.amdhsa_kernarg_size 128
		.amdhsa_user_sgpr_count 6
		.amdhsa_user_sgpr_private_segment_buffer 1
		.amdhsa_user_sgpr_dispatch_ptr 0
		.amdhsa_user_sgpr_queue_ptr 0
		.amdhsa_user_sgpr_kernarg_segment_ptr 1
		.amdhsa_user_sgpr_dispatch_id 0
		.amdhsa_user_sgpr_flat_scratch_init 0
		.amdhsa_user_sgpr_private_segment_size 0
		.amdhsa_wavefront_size32 1
		.amdhsa_uses_dynamic_stack 0
		.amdhsa_system_sgpr_private_segment_wavefront_offset 0
		.amdhsa_system_sgpr_workgroup_id_x 1
		.amdhsa_system_sgpr_workgroup_id_y 0
		.amdhsa_system_sgpr_workgroup_id_z 1
		.amdhsa_system_sgpr_workgroup_info 0
		.amdhsa_system_vgpr_workitem_id 1
		.amdhsa_next_free_vgpr 124
		.amdhsa_next_free_sgpr 30
		.amdhsa_reserve_vcc 1
		.amdhsa_reserve_flat_scratch 0
		.amdhsa_float_round_mode_32 0
		.amdhsa_float_round_mode_16_64 0
		.amdhsa_float_denorm_mode_32 3
		.amdhsa_float_denorm_mode_16_64 3
		.amdhsa_dx10_clamp 1
		.amdhsa_ieee_mode 1
		.amdhsa_fp16_overflow 0
		.amdhsa_workgroup_processor_mode 1
		.amdhsa_memory_ordered 1
		.amdhsa_forward_progress 1
		.amdhsa_shared_vgpr_count 0
		.amdhsa_exception_fp_ieee_invalid_op 0
		.amdhsa_exception_fp_denorm_src 0
		.amdhsa_exception_fp_ieee_div_zero 0
		.amdhsa_exception_fp_ieee_overflow 0
		.amdhsa_exception_fp_ieee_underflow 0
		.amdhsa_exception_fp_ieee_inexact 0
		.amdhsa_exception_int_div_zero 0
	.end_amdhsa_kernel
	.section	.text._ZN12_GLOBAL__N_120geam_min_plus_kernelIDF16_Dv2_DF16_S1_Li8ELi32ELi64ELi128ELi4ELi64ELi4ELi4ELi64ELc78ELc78ELb0ELb1ELb0EDF16_KPKDF16_KPDF16_EEviiiT16_PT17_ilS9_ilS7_S9_ilPT18_ili26rocblas_geam_ex_operation_,"axG",@progbits,_ZN12_GLOBAL__N_120geam_min_plus_kernelIDF16_Dv2_DF16_S1_Li8ELi32ELi64ELi128ELi4ELi64ELi4ELi4ELi64ELc78ELc78ELb0ELb1ELb0EDF16_KPKDF16_KPDF16_EEviiiT16_PT17_ilS9_ilS7_S9_ilPT18_ili26rocblas_geam_ex_operation_,comdat
.Lfunc_end236:
	.size	_ZN12_GLOBAL__N_120geam_min_plus_kernelIDF16_Dv2_DF16_S1_Li8ELi32ELi64ELi128ELi4ELi64ELi4ELi4ELi64ELc78ELc78ELb0ELb1ELb0EDF16_KPKDF16_KPDF16_EEviiiT16_PT17_ilS9_ilS7_S9_ilPT18_ili26rocblas_geam_ex_operation_, .Lfunc_end236-_ZN12_GLOBAL__N_120geam_min_plus_kernelIDF16_Dv2_DF16_S1_Li8ELi32ELi64ELi128ELi4ELi64ELi4ELi4ELi64ELc78ELc78ELb0ELb1ELb0EDF16_KPKDF16_KPDF16_EEviiiT16_PT17_ilS9_ilS7_S9_ilPT18_ili26rocblas_geam_ex_operation_
                                        ; -- End function
	.set _ZN12_GLOBAL__N_120geam_min_plus_kernelIDF16_Dv2_DF16_S1_Li8ELi32ELi64ELi128ELi4ELi64ELi4ELi4ELi64ELc78ELc78ELb0ELb1ELb0EDF16_KPKDF16_KPDF16_EEviiiT16_PT17_ilS9_ilS7_S9_ilPT18_ili26rocblas_geam_ex_operation_.num_vgpr, 124
	.set _ZN12_GLOBAL__N_120geam_min_plus_kernelIDF16_Dv2_DF16_S1_Li8ELi32ELi64ELi128ELi4ELi64ELi4ELi4ELi64ELc78ELc78ELb0ELb1ELb0EDF16_KPKDF16_KPDF16_EEviiiT16_PT17_ilS9_ilS7_S9_ilPT18_ili26rocblas_geam_ex_operation_.num_agpr, 0
	.set _ZN12_GLOBAL__N_120geam_min_plus_kernelIDF16_Dv2_DF16_S1_Li8ELi32ELi64ELi128ELi4ELi64ELi4ELi4ELi64ELc78ELc78ELb0ELb1ELb0EDF16_KPKDF16_KPDF16_EEviiiT16_PT17_ilS9_ilS7_S9_ilPT18_ili26rocblas_geam_ex_operation_.numbered_sgpr, 30
	.set _ZN12_GLOBAL__N_120geam_min_plus_kernelIDF16_Dv2_DF16_S1_Li8ELi32ELi64ELi128ELi4ELi64ELi4ELi4ELi64ELc78ELc78ELb0ELb1ELb0EDF16_KPKDF16_KPDF16_EEviiiT16_PT17_ilS9_ilS7_S9_ilPT18_ili26rocblas_geam_ex_operation_.num_named_barrier, 0
	.set _ZN12_GLOBAL__N_120geam_min_plus_kernelIDF16_Dv2_DF16_S1_Li8ELi32ELi64ELi128ELi4ELi64ELi4ELi4ELi64ELc78ELc78ELb0ELb1ELb0EDF16_KPKDF16_KPDF16_EEviiiT16_PT17_ilS9_ilS7_S9_ilPT18_ili26rocblas_geam_ex_operation_.private_seg_size, 0
	.set _ZN12_GLOBAL__N_120geam_min_plus_kernelIDF16_Dv2_DF16_S1_Li8ELi32ELi64ELi128ELi4ELi64ELi4ELi4ELi64ELc78ELc78ELb0ELb1ELb0EDF16_KPKDF16_KPDF16_EEviiiT16_PT17_ilS9_ilS7_S9_ilPT18_ili26rocblas_geam_ex_operation_.uses_vcc, 1
	.set _ZN12_GLOBAL__N_120geam_min_plus_kernelIDF16_Dv2_DF16_S1_Li8ELi32ELi64ELi128ELi4ELi64ELi4ELi4ELi64ELc78ELc78ELb0ELb1ELb0EDF16_KPKDF16_KPDF16_EEviiiT16_PT17_ilS9_ilS7_S9_ilPT18_ili26rocblas_geam_ex_operation_.uses_flat_scratch, 0
	.set _ZN12_GLOBAL__N_120geam_min_plus_kernelIDF16_Dv2_DF16_S1_Li8ELi32ELi64ELi128ELi4ELi64ELi4ELi4ELi64ELc78ELc78ELb0ELb1ELb0EDF16_KPKDF16_KPDF16_EEviiiT16_PT17_ilS9_ilS7_S9_ilPT18_ili26rocblas_geam_ex_operation_.has_dyn_sized_stack, 0
	.set _ZN12_GLOBAL__N_120geam_min_plus_kernelIDF16_Dv2_DF16_S1_Li8ELi32ELi64ELi128ELi4ELi64ELi4ELi4ELi64ELc78ELc78ELb0ELb1ELb0EDF16_KPKDF16_KPDF16_EEviiiT16_PT17_ilS9_ilS7_S9_ilPT18_ili26rocblas_geam_ex_operation_.has_recursion, 0
	.set _ZN12_GLOBAL__N_120geam_min_plus_kernelIDF16_Dv2_DF16_S1_Li8ELi32ELi64ELi128ELi4ELi64ELi4ELi4ELi64ELc78ELc78ELb0ELb1ELb0EDF16_KPKDF16_KPDF16_EEviiiT16_PT17_ilS9_ilS7_S9_ilPT18_ili26rocblas_geam_ex_operation_.has_indirect_call, 0
	.section	.AMDGPU.csdata,"",@progbits
; Kernel info:
; codeLenInByte = 12224
; TotalNumSgprs: 32
; NumVgprs: 124
; ScratchSize: 0
; MemoryBound: 0
; FloatMode: 240
; IeeeMode: 1
; LDSByteSize: 3072 bytes/workgroup (compile time only)
; SGPRBlocks: 0
; VGPRBlocks: 15
; NumSGPRsForWavesPerEU: 32
; NumVGPRsForWavesPerEU: 124
; Occupancy: 8
; WaveLimiterHint : 1
; COMPUTE_PGM_RSRC2:SCRATCH_EN: 0
; COMPUTE_PGM_RSRC2:USER_SGPR: 6
; COMPUTE_PGM_RSRC2:TRAP_HANDLER: 0
; COMPUTE_PGM_RSRC2:TGID_X_EN: 1
; COMPUTE_PGM_RSRC2:TGID_Y_EN: 0
; COMPUTE_PGM_RSRC2:TGID_Z_EN: 1
; COMPUTE_PGM_RSRC2:TIDIG_COMP_CNT: 1
	.section	.text._ZN12_GLOBAL__N_120geam_min_plus_kernelIDF16_Dv2_DF16_S1_Li8ELi32ELi64ELi128ELi4ELi4ELi64ELi4ELi64ELc84ELc78ELb0ELb0ELb0EPKDF16_KS3_KPDF16_EEviiiT16_PT17_ilS9_ilS7_S9_ilPT18_ili26rocblas_geam_ex_operation_,"axG",@progbits,_ZN12_GLOBAL__N_120geam_min_plus_kernelIDF16_Dv2_DF16_S1_Li8ELi32ELi64ELi128ELi4ELi4ELi64ELi4ELi64ELc84ELc78ELb0ELb0ELb0EPKDF16_KS3_KPDF16_EEviiiT16_PT17_ilS9_ilS7_S9_ilPT18_ili26rocblas_geam_ex_operation_,comdat
	.globl	_ZN12_GLOBAL__N_120geam_min_plus_kernelIDF16_Dv2_DF16_S1_Li8ELi32ELi64ELi128ELi4ELi4ELi64ELi4ELi64ELc84ELc78ELb0ELb0ELb0EPKDF16_KS3_KPDF16_EEviiiT16_PT17_ilS9_ilS7_S9_ilPT18_ili26rocblas_geam_ex_operation_ ; -- Begin function _ZN12_GLOBAL__N_120geam_min_plus_kernelIDF16_Dv2_DF16_S1_Li8ELi32ELi64ELi128ELi4ELi4ELi64ELi4ELi64ELc84ELc78ELb0ELb0ELb0EPKDF16_KS3_KPDF16_EEviiiT16_PT17_ilS9_ilS7_S9_ilPT18_ili26rocblas_geam_ex_operation_
	.p2align	8
	.type	_ZN12_GLOBAL__N_120geam_min_plus_kernelIDF16_Dv2_DF16_S1_Li8ELi32ELi64ELi128ELi4ELi4ELi64ELi4ELi64ELc84ELc78ELb0ELb0ELb0EPKDF16_KS3_KPDF16_EEviiiT16_PT17_ilS9_ilS7_S9_ilPT18_ili26rocblas_geam_ex_operation_,@function
_ZN12_GLOBAL__N_120geam_min_plus_kernelIDF16_Dv2_DF16_S1_Li8ELi32ELi64ELi128ELi4ELi4ELi64ELi4ELi64ELc84ELc78ELb0ELb0ELb0EPKDF16_KS3_KPDF16_EEviiiT16_PT17_ilS9_ilS7_S9_ilPT18_ili26rocblas_geam_ex_operation_: ; @_ZN12_GLOBAL__N_120geam_min_plus_kernelIDF16_Dv2_DF16_S1_Li8ELi32ELi64ELi128ELi4ELi4ELi64ELi4ELi64ELc84ELc78ELb0ELb0ELb0EPKDF16_KS3_KPDF16_EEviiiT16_PT17_ilS9_ilS7_S9_ilPT18_ili26rocblas_geam_ex_operation_
; %bb.0:
	s_clause 0x1
	s_load_dwordx4 s[16:19], s[4:5], 0x10
	s_load_dwordx4 s[8:11], s[4:5], 0x28
	s_mov_b32 s20, s7
	s_mov_b32 s21, 0
	v_mov_b32_e32 v2, 0
	s_lshl_b64 s[0:1], s[20:21], 1
	s_waitcnt lgkmcnt(0)
	s_add_u32 s2, s16, s0
	s_addc_u32 s3, s17, s1
	s_mov_b64 s[16:17], 0
	global_load_ushort v27, v2, s[2:3]
	s_clause 0x1
	s_load_dwordx4 s[12:15], s[4:5], 0x40
	s_load_dwordx2 s[22:23], s[4:5], 0x50
	s_waitcnt lgkmcnt(0)
	s_add_u32 s24, s14, s0
	s_addc_u32 s25, s15, s1
	s_mov_b64 s[14:15], 0
	s_waitcnt vmcnt(0)
	v_cmp_eq_f16_e32 vcc_lo, 0, v27
	v_cmp_neq_f16_e64 s2, 0, v27
	s_and_b32 s0, exec_lo, vcc_lo
	s_mov_b32 vcc_lo, s0
	s_cbranch_vccnz .LBB237_2
; %bb.1:
	s_lshl_b64 s[16:17], s[20:21], 3
	s_add_u32 s16, s18, s16
	s_addc_u32 s17, s19, s17
	s_lshl_b64 s[8:9], s[8:9], 1
	s_load_dwordx2 s[16:17], s[16:17], 0x0
	s_waitcnt lgkmcnt(0)
	s_add_u32 s16, s16, s8
	s_addc_u32 s17, s17, s9
.LBB237_2:
	global_load_ushort v26, v2, s[24:25]
	v_cndmask_b32_e64 v2, 0, 1, s2
	s_andn2_b32 vcc_lo, exec_lo, s2
	v_cmp_ne_u32_e64 s1, 1, v2
	s_cbranch_vccnz .LBB237_4
; %bb.3:
	s_lshl_b64 s[2:3], s[20:21], 3
	s_add_u32 s2, s10, s2
	s_addc_u32 s3, s11, s3
	s_lshl_b64 s[8:9], s[12:13], 1
	s_load_dwordx2 s[2:3], s[2:3], 0x0
	s_waitcnt lgkmcnt(0)
	s_add_u32 s14, s2, s8
	s_addc_u32 s15, s3, s9
.LBB237_4:
	s_load_dwordx4 s[8:11], s[4:5], 0x60
	s_waitcnt vmcnt(0)
	v_cmp_eq_f16_e32 vcc_lo, 0, v26
	s_cbranch_vccnz .LBB237_6
; %bb.5:
	s_lshl_b64 s[2:3], s[20:21], 3
	s_add_u32 s2, s22, s2
	s_addc_u32 s3, s23, s3
	s_waitcnt lgkmcnt(0)
	s_lshl_b64 s[8:9], s[8:9], 1
	s_load_dwordx2 s[2:3], s[2:3], 0x0
	s_waitcnt lgkmcnt(0)
	s_add_u32 s8, s2, s8
	s_addc_u32 s9, s3, s9
	s_branch .LBB237_7
.LBB237_6:
	s_waitcnt lgkmcnt(0)
	s_mov_b64 s[8:9], 0
.LBB237_7:
	s_load_dword s13, s[4:5], 0x0
	s_lshl_b64 s[2:3], s[20:21], 3
	s_clause 0x1
	s_load_dword s12, s[4:5], 0x20
	s_load_dword s7, s[4:5], 0x38
	s_add_u32 s2, s10, s2
	s_addc_u32 s3, s11, s3
	v_and_b32_e32 v10, 3, v0
	v_mov_b32_e32 v7, 0
	v_lshlrev_b32_e32 v28, 1, v10
	s_waitcnt lgkmcnt(0)
	s_add_i32 s10, s13, -1
	s_ashr_i32 s11, s10, 31
	s_lshr_b32 s11, s11, 26
	s_add_i32 s10, s10, s11
	s_ashr_i32 s10, s10, 6
	s_add_i32 s11, s10, 1
	s_not_b32 s10, s10
	v_cvt_f32_u32_e32 v2, s11
	v_rcp_iflag_f32_e32 v2, v2
	v_mul_f32_e32 v2, 0x4f7ffffe, v2
	v_cvt_u32_f32_e32 v2, v2
	v_readfirstlane_b32 s13, v2
	v_lshl_add_u32 v2, v1, 3, v0
	s_mul_i32 s10, s10, s13
	v_lshrrev_b32_e32 v11, 2, v2
	s_mul_hi_u32 s10, s13, s10
	s_add_i32 s13, s13, s10
	s_mul_hi_u32 s10, s6, s13
	s_mul_i32 s13, s10, s11
	s_add_i32 s18, s10, 1
	s_sub_i32 s13, s6, s13
	s_sub_i32 s19, s13, s11
	s_cmp_ge_u32 s13, s11
	s_cselect_b32 s10, s18, s10
	s_cselect_b32 s13, s19, s13
	s_add_i32 s18, s10, 1
	s_cmp_ge_u32 s13, s11
	s_cselect_b32 s10, s18, s10
	s_and_b32 vcc_lo, exec_lo, s1
	s_mul_i32 s11, s10, s11
	s_lshl_b32 s10, s10, 7
	s_sub_i32 s6, s6, s11
	v_add_nc_u32_e32 v2, s10, v11
	s_lshl_b32 s11, s6, 6
	v_add_nc_u32_e32 v4, s11, v11
	v_add_nc_u32_e32 v3, 64, v2
	s_cbranch_vccnz .LBB237_10
; %bb.8:
	v_mad_i64_i32 v[5:6], null, v4, s12, 0
	v_mad_i64_i32 v[8:9], null, v2, s7, 0
	;; [unrolled: 1-line block ×3, first 2 shown]
	v_add_co_u32 v14, s6, s14, v28
	v_lshlrev_b64 v[5:6], 1, v[5:6]
	v_add_co_ci_u32_e64 v15, null, s15, 0, s6
	v_lshlrev_b64 v[8:9], 1, v[8:9]
	v_add_co_u32 v16, vcc_lo, s16, v5
	v_add_co_ci_u32_e64 v17, null, s17, v6, vcc_lo
	v_add_co_u32 v5, vcc_lo, v14, v8
	v_add_co_ci_u32_e64 v6, null, v15, v9, vcc_lo
	v_lshlrev_b64 v[8:9], 1, v[12:13]
	v_add_co_u32 v12, vcc_lo, v16, v28
	v_add_co_ci_u32_e64 v13, null, 0, v17, vcc_lo
	flat_load_ushort v16, v[5:6]
	v_add_co_u32 v5, vcc_lo, v14, v8
	v_add_co_ci_u32_e64 v6, null, v15, v9, vcc_lo
	flat_load_ushort v8, v[12:13]
	flat_load_ushort v6, v[5:6]
	s_waitcnt vmcnt(2) lgkmcnt(2)
	v_mul_f16_e32 v5, v27, v16
	v_pack_b32_f16 v5, v5, 0
	s_waitcnt vmcnt(1) lgkmcnt(1)
	v_mul_f16_e32 v12, v27, v8
	s_waitcnt vmcnt(0) lgkmcnt(0)
	v_mul_f16_e32 v6, v27, v6
	s_and_b32 vcc_lo, exec_lo, s1
	s_cbranch_vccnz .LBB237_11
.LBB237_9:
	v_mad_i64_i32 v[7:8], null, v4, s12, 0
	v_mad_i64_i32 v[13:14], null, v2, s7, 0
	;; [unrolled: 1-line block ×3, first 2 shown]
	v_add_co_u32 v9, s1, s14, v28
	v_lshlrev_b64 v[7:8], 1, v[7:8]
	v_add_co_ci_u32_e64 v17, null, s15, 0, s1
	v_lshlrev_b64 v[13:14], 1, v[13:14]
	v_add_co_u32 v18, vcc_lo, s16, v7
	v_add_co_ci_u32_e64 v19, null, s17, v8, vcc_lo
	v_add_co_u32 v7, vcc_lo, v9, v13
	v_add_co_ci_u32_e64 v8, null, v17, v14, vcc_lo
	v_lshlrev_b64 v[13:14], 1, v[15:16]
	v_add_co_u32 v15, vcc_lo, v18, v28
	v_add_co_ci_u32_e64 v16, null, 0, v19, vcc_lo
	flat_load_ushort v18, v[7:8] offset:8
	v_add_co_u32 v7, vcc_lo, v9, v13
	v_add_co_ci_u32_e64 v8, null, v17, v14, vcc_lo
	flat_load_ushort v9, v[15:16] offset:8
	flat_load_ushort v13, v[7:8] offset:8
	s_waitcnt vmcnt(2) lgkmcnt(2)
	v_mul_f16_e32 v8, v27, v18
	v_pack_b32_f16 v8, v8, 0
	s_waitcnt vmcnt(1) lgkmcnt(1)
	v_mul_f16_e32 v7, v27, v9
	s_waitcnt vmcnt(0) lgkmcnt(0)
	v_mul_f16_e32 v9, v27, v13
	s_branch .LBB237_12
.LBB237_10:
	v_mov_b32_e32 v5, 0
	v_mov_b32_e32 v12, 0
	v_mov_b32_e32 v6, 0
	s_and_b32 vcc_lo, exec_lo, s1
	s_cbranch_vccz .LBB237_9
.LBB237_11:
	v_mov_b32_e32 v8, 0
	v_mov_b32_e32 v9, 0
.LBB237_12:
	v_lshlrev_b32_e32 v11, 3, v11
	v_lshlrev_b32_e32 v30, 3, v0
	;; [unrolled: 1-line block ×3, first 2 shown]
	s_load_dwordx2 s[2:3], s[2:3], 0x0
	s_load_dword s1, s[4:5], 0x8
	v_lshl_or_b32 v31, v10, 1, v11
	v_add_nc_u32_e32 v32, 0x800, v30
	ds_write_b16 v31, v12 offset:2048
	ds_write_b16 v31, v5
	ds_write_b16 v31, v6 offset:512
	s_waitcnt lgkmcnt(0)
	s_barrier
	buffer_gl0_inv
	ds_read2_b64 v[10:13], v29 offset1:32
	ds_read2_b64 v[14:17], v32 offset0:48 offset1:56
	ds_read2_b64 v[18:21], v29 offset0:64 offset1:96
	ds_read2_b64 v[22:25], v32 offset1:8
	ds_read2_b64 v[42:45], v32 offset0:16 offset1:24
	ds_read2_b64 v[50:53], v32 offset0:32 offset1:40
	ds_write_b16 v31, v7 offset:2560
	ds_write_b16 v31, v8 offset:1024
	;; [unrolled: 1-line block ×3, first 2 shown]
	s_waitcnt lgkmcnt(0)
	s_barrier
	buffer_gl0_inv
	s_cmp_lt_i32 s1, 9
	v_pk_max_f16 v10, v10, v10
	v_pk_max_f16 v16, v16, v16
	;; [unrolled: 1-line block ×9, first 2 shown]
	v_pk_min_f16 v33, v16, v10
	v_pk_min_f16 v42, v32, v10
	v_pk_min_f16 v44, v32, v12
	v_pk_min_f16 v46, v32, v18
	v_pk_min_f16 v47, v32, v20
	v_pk_max_f16 v32, v50, v50
	v_pk_min_f16 v48, v41, v10
	v_pk_min_f16 v49, v41, v12
	;; [unrolled: 1-line block ×4, first 2 shown]
	v_pk_max_f16 v11, v11, v11
	v_pk_max_f16 v41, v52, v52
	;; [unrolled: 1-line block ×4, first 2 shown]
	v_pk_min_f16 v34, v16, v12
	v_pk_min_f16 v35, v22, v10
	;; [unrolled: 1-line block ×10, first 2 shown]
	v_pk_max_f16 v13, v13, v13
	v_pk_min_f16 v56, v32, v12
	v_pk_min_f16 v57, v32, v18
	v_pk_max_f16 v19, v19, v19
	v_pk_min_f16 v52, v32, v20
	v_pk_max_f16 v23, v23, v23
	v_pk_min_f16 v58, v41, v10
	v_pk_min_f16 v59, v41, v12
	;; [unrolled: 1-line block ×10, first 2 shown]
	v_pk_add_f16 v20, v33, 0
	v_pk_min_f16 v33, v17, v11
	v_pk_max_f16 v21, v21, v21
	v_pk_max_f16 v25, v25, v25
	v_pk_add_f16 v34, v34, 0
	v_pk_min_f16 v41, v17, v13
	v_pk_add_f16 v62, v32, 0
	v_pk_min_f16 v63, v17, v19
	;; [unrolled: 2-line block ×3, first 2 shown]
	v_pk_add_f16 v32, v20, v33
	v_pk_add_f16 v20, v37, 0
	v_pk_min_f16 v37, v23, v19
	v_pk_min_f16 v65, v23, v13
	v_pk_add_f16 v33, v34, v41
	v_pk_add_f16 v34, v62, v63
	;; [unrolled: 1-line block ×4, first 2 shown]
	v_pk_min_f16 v23, v23, v21
	v_pk_min_f16 v62, v25, v11
	v_pk_min_f16 v64, v25, v13
	v_pk_min_f16 v66, v25, v19
	v_pk_add_f16 v37, v20, v37
	v_pk_add_f16 v20, v24, 0
	v_pk_min_f16 v25, v25, v21
	v_pk_add_f16 v41, v38, 0
	v_pk_add_f16 v38, v22, v23
	;; [unrolled: 1-line block ×5, first 2 shown]
	v_pk_max_f16 v20, v43, v43
	v_pk_add_f16 v24, v46, 0
	v_pk_add_f16 v46, v47, 0
	v_pk_max_f16 v25, v45, v45
	v_pk_add_f16 v47, v48, 0
	v_pk_min_f16 v43, v20, v11
	v_pk_min_f16 v44, v20, v13
	;; [unrolled: 1-line block ×4, first 2 shown]
	v_pk_add_f16 v48, v49, 0
	v_pk_add_f16 v49, v50, 0
	;; [unrolled: 1-line block ×7, first 2 shown]
	v_pk_min_f16 v20, v25, v11
	v_pk_min_f16 v22, v25, v13
	;; [unrolled: 1-line block ×4, first 2 shown]
	v_pk_max_f16 v25, v51, v51
	v_pk_add_f16 v36, v36, 0
	v_pk_add_f16 v63, v39, 0
	;; [unrolled: 1-line block ×11, first 2 shown]
	v_pk_min_f16 v20, v25, v11
	v_pk_min_f16 v22, v25, v13
	;; [unrolled: 1-line block ×4, first 2 shown]
	v_pk_max_f16 v25, v53, v53
	v_pk_max_f16 v15, v15, v15
	v_pk_add_f16 v36, v36, v65
	v_pk_add_f16 v65, v40, 0
	v_pk_add_f16 v58, v58, 0
	v_pk_add_f16 v59, v59, 0
	v_pk_add_f16 v60, v60, 0
	v_pk_add_f16 v61, v61, 0
	v_pk_add_f16 v10, v10, 0
	v_pk_add_f16 v12, v12, 0
	v_pk_add_f16 v18, v18, 0
	v_pk_add_f16 v14, v14, 0
	v_pk_add_f16 v16, v16, 0
	v_pk_add_f16 v56, v54, v20
	v_pk_add_f16 v55, v55, v22
	v_pk_add_f16 v53, v57, v23
	v_pk_add_f16 v54, v62, v24
	v_pk_min_f16 v20, v25, v11
	v_pk_min_f16 v22, v25, v13
	;; [unrolled: 1-line block ×9, first 2 shown]
	v_pk_add_f16 v40, v63, v64
	v_pk_add_f16 v41, v65, v66
	v_pk_add_f16 v63, v58, v20
	v_pk_add_f16 v64, v59, v22
	v_pk_add_f16 v57, v60, v23
	v_pk_add_f16 v58, v61, v24
	v_pk_add_f16 v68, v10, v11
	v_pk_add_f16 v69, v12, v13
	v_pk_add_f16 v70, v18, v19
	v_pk_add_f16 v62, v14, v15
	v_pk_add_f16 v61, v16, v17
	s_cbranch_scc1 .LBB237_23
; %bb.13:
	v_mad_i64_i32 v[10:11], null, v4, s12, 0
	v_mad_i64_i32 v[12:13], null, s7, v3, 0
	v_perm_b32 v3, v6, v5, 0x5040100
	v_mad_i64_i32 v[6:7], null, s7, v2, 0
	v_perm_b32 v81, v9, v8, 0x5040100
	v_lshlrev_b64 v[4:5], 1, v[10:11]
	v_add_nc_u32_e32 v47, 0x800, v31
	v_lshlrev_b64 v[8:9], 1, v[12:13]
	v_or_b32_e32 v48, 0x800, v30
	v_add_nc_u32_e32 v59, 0xa00, v31
	v_add_nc_u32_e32 v60, 0x400, v31
	v_add_co_u32 v65, vcc_lo, s16, v4
	v_add_co_ci_u32_e64 v66, null, s17, v5, vcc_lo
	v_lshlrev_b64 v[4:5], 1, v[6:7]
	v_add_co_u32 v72, vcc_lo, s14, v8
	v_add_co_ci_u32_e64 v73, null, s15, v9, vcc_lo
	v_lshl_add_u32 v67, v0, 3, 0xa00
	v_add_co_u32 v74, vcc_lo, s14, v4
	v_lshl_add_u32 v71, v1, 3, 0x400
	v_add_co_ci_u32_e64 v75, null, s15, v5, vcc_lo
	s_add_i32 s1, s1, -8
	s_mov_b32 s6, 0
	s_branch .LBB237_15
.LBB237_14:                             ;   in Loop: Header=BB237_15 Depth=1
	v_pk_max_f16 v4, v4, v4
	v_pk_max_f16 v22, v22, v22
	;; [unrolled: 1-line block ×7, first 2 shown]
	v_pk_min_f16 v81, v4, v22
	v_pk_min_f16 v82, v4, v24
	;; [unrolled: 1-line block ×3, first 2 shown]
	v_pk_max_f16 v20, v20, v20
	v_pk_min_f16 v90, v10, v22
	v_pk_min_f16 v91, v10, v24
	v_pk_max_f16 v12, v12, v12
	v_pk_max_f16 v23, v23, v23
	;; [unrolled: 1-line block ×3, first 2 shown]
	v_pk_min_f16 v92, v10, v14
	v_pk_min_f16 v10, v10, v16
	v_pk_max_f16 v15, v15, v15
	v_pk_max_f16 v17, v17, v17
	;; [unrolled: 1-line block ×13, first 2 shown]
	v_pk_min_f16 v84, v18, v22
	v_pk_min_f16 v85, v18, v24
	;; [unrolled: 1-line block ×57, first 2 shown]
	v_pk_add_f16 v5, v32, v81
	v_pk_add_f16 v15, v33, v82
	;; [unrolled: 1-line block ×29, first 2 shown]
	ds_read2_b64 v[4:7], v48 offset0:48 offset1:56
	ds_read2_b64 v[8:11], v29 offset1:32
	ds_read2_b64 v[12:15], v29 offset0:64 offset1:96
	v_pk_add_f16 v2, v62, v2
	v_pk_add_f16 v32, v32, v16
	;; [unrolled: 1-line block ×3, first 2 shown]
	ds_read2_b64 v[16:19], v48 offset1:8
	v_pk_add_f16 v34, v37, v86
	v_pk_add_f16 v37, v41, v89
	;; [unrolled: 1-line block ×11, first 2 shown]
	ds_read2_b64 v[20:23], v48 offset0:16 offset1:24
	v_pk_add_f16 v33, v33, v102
	s_waitcnt lgkmcnt(4)
	v_pk_max_f16 v6, v6, v6
	s_waitcnt lgkmcnt(3)
	v_pk_max_f16 v8, v8, v8
	v_pk_max_f16 v10, v10, v10
	s_waitcnt lgkmcnt(2)
	v_pk_max_f16 v12, v12, v12
	v_pk_add_f16 v34, v34, v103
	v_pk_add_f16 v24, v24, v25
	v_pk_min_f16 v50, v6, v8
	v_pk_min_f16 v51, v6, v10
	;; [unrolled: 1-line block ×3, first 2 shown]
	s_waitcnt lgkmcnt(1)
	v_pk_max_f16 v16, v16, v16
	v_pk_add_f16 v25, v55, v122
	v_pk_add_f16 v55, v56, v123
	;; [unrolled: 1-line block ×5, first 2 shown]
	v_pk_min_f16 v50, v16, v8
	v_pk_min_f16 v51, v16, v10
	;; [unrolled: 1-line block ×3, first 2 shown]
	v_pk_add_f16 v81, v53, v120
	v_pk_add_f16 v2, v2, v3
	v_perm_b32 v3, v80, v79, 0x5040100
	v_pk_add_f16 v61, v32, v50
	v_pk_add_f16 v79, v33, v51
	;; [unrolled: 1-line block ×3, first 2 shown]
	ds_read2_b64 v[50:53], v48 offset0:32 offset1:40
	v_pk_max_f16 v14, v14, v14
	v_pk_max_f16 v18, v18, v18
	v_pk_add_f16 v35, v35, v104
	v_pk_add_f16 v37, v37, v106
	s_waitcnt lgkmcnt(1)
	v_pk_max_f16 v20, v20, v20
	v_pk_min_f16 v16, v16, v14
	v_pk_min_f16 v32, v18, v8
	;; [unrolled: 1-line block ×3, first 2 shown]
	v_pk_add_f16 v36, v36, v105
	v_pk_add_f16 v38, v38, v107
	;; [unrolled: 1-line block ×4, first 2 shown]
	v_pk_min_f16 v33, v18, v10
	v_pk_min_f16 v18, v18, v14
	v_pk_add_f16 v62, v35, v32
	v_pk_add_f16 v84, v37, v34
	v_pk_min_f16 v32, v20, v8
	v_pk_min_f16 v34, v20, v12
	v_pk_max_f16 v22, v22, v22
	v_pk_add_f16 v39, v39, v108
	v_pk_add_f16 v41, v41, v110
	v_pk_add_f16 v83, v36, v33
	v_pk_add_f16 v18, v63, v18
	v_pk_min_f16 v33, v20, v10
	v_pk_add_f16 v63, v38, v32
	v_pk_add_f16 v86, v40, v34
	v_pk_min_f16 v32, v22, v8
	s_waitcnt lgkmcnt(0)
	v_pk_max_f16 v34, v50, v50
	v_pk_add_f16 v42, v42, v111
	v_pk_add_f16 v43, v43, v112
	;; [unrolled: 1-line block ×3, first 2 shown]
	v_pk_min_f16 v20, v20, v14
	v_pk_add_f16 v85, v39, v33
	v_pk_min_f16 v33, v22, v10
	v_pk_min_f16 v35, v22, v12
	v_pk_add_f16 v50, v41, v32
	v_pk_min_f16 v32, v34, v8
	v_pk_add_f16 v46, v46, v115
	v_pk_add_f16 v49, v49, v116
	;; [unrolled: 1-line block ×5, first 2 shown]
	v_pk_min_f16 v33, v34, v10
	v_pk_max_f16 v35, v52, v52
	v_pk_add_f16 v88, v45, v32
	v_pk_min_f16 v32, v34, v12
	v_pk_max_f16 v4, v4, v4
	v_pk_add_f16 v89, v46, v33
	v_pk_min_f16 v33, v35, v8
	v_pk_min_f16 v36, v35, v10
	v_pk_add_f16 v90, v49, v32
	v_pk_min_f16 v32, v35, v12
	v_pk_min_f16 v8, v4, v8
	;; [unrolled: 1-line block ×5, first 2 shown]
	v_pk_max_f16 v7, v7, v7
	v_pk_max_f16 v9, v9, v9
	;; [unrolled: 1-line block ×4, first 2 shown]
	v_pk_add_f16 v2, v2, v4
	v_pk_add_f16 v54, v54, v121
	v_pk_min_f16 v4, v7, v9
	v_pk_min_f16 v22, v22, v14
	;; [unrolled: 1-line block ×3, first 2 shown]
	v_pk_add_f16 v69, v69, v33
	v_pk_min_f16 v33, v35, v14
	v_pk_add_f16 v81, v81, v32
	v_pk_add_f16 v10, v24, v10
	v_pk_min_f16 v6, v6, v14
	v_pk_min_f16 v14, v7, v11
	;; [unrolled: 1-line block ×3, first 2 shown]
	v_pk_max_f16 v17, v17, v17
	v_pk_add_f16 v32, v56, v4
	v_pk_max_f16 v4, v15, v15
	v_pk_add_f16 v68, v68, v34
	v_pk_add_f16 v91, v54, v33
	;; [unrolled: 1-line block ×4, first 2 shown]
	v_pk_min_f16 v14, v17, v9
	v_pk_min_f16 v15, v17, v11
	;; [unrolled: 1-line block ×4, first 2 shown]
	v_pk_max_f16 v19, v19, v19
	v_pk_add_f16 v70, v70, v36
	v_pk_add_f16 v35, v61, v14
	v_pk_add_f16 v36, v79, v15
	v_pk_add_f16 v38, v16, v17
	v_pk_min_f16 v14, v19, v9
	v_pk_min_f16 v15, v19, v11
	v_pk_min_f16 v16, v19, v13
	v_pk_min_f16 v17, v19, v4
	v_pk_max_f16 v19, v21, v21
	v_pk_add_f16 v44, v44, v113
	v_pk_add_f16 v39, v62, v14
	v_pk_add_f16 v40, v83, v15
	v_pk_add_f16 v41, v84, v16
	v_pk_add_f16 v42, v18, v17
	v_pk_min_f16 v14, v19, v9
	v_pk_min_f16 v15, v19, v11
	v_pk_min_f16 v16, v19, v13
	v_pk_min_f16 v17, v19, v4
	v_pk_max_f16 v18, v23, v23
	v_pk_add_f16 v22, v44, v22
	v_pk_add_f16 v43, v63, v14
	v_pk_add_f16 v44, v85, v15
	v_pk_add_f16 v45, v86, v16
	v_pk_add_f16 v46, v20, v17
	v_pk_min_f16 v14, v18, v9
	v_pk_min_f16 v15, v18, v11
	v_pk_min_f16 v16, v18, v13
	v_pk_min_f16 v17, v18, v4
	v_pk_max_f16 v18, v51, v51
	v_pk_add_f16 v51, v50, v14
	v_pk_add_f16 v52, v64, v15
	v_pk_add_f16 v49, v87, v16
	;; [unrolled: 1-line block ×3, first 2 shown]
	v_pk_min_f16 v14, v18, v9
	v_pk_min_f16 v15, v18, v11
	;; [unrolled: 1-line block ×4, first 2 shown]
	v_pk_max_f16 v18, v53, v53
	v_pk_max_f16 v5, v5, v5
	v_add_co_u32 v72, vcc_lo, v72, 16
	v_pk_add_f16 v8, v82, v8
	v_pk_add_f16 v12, v25, v12
	;; [unrolled: 1-line block ×7, first 2 shown]
	v_pk_min_f16 v14, v18, v9
	v_pk_min_f16 v15, v18, v11
	;; [unrolled: 1-line block ×9, first 2 shown]
	v_add_co_ci_u32_e64 v73, null, 0, v73, vcc_lo
	v_add_co_u32 v74, vcc_lo, v74, 16
	v_add_co_ci_u32_e64 v75, null, 0, v75, vcc_lo
	v_add_co_u32 v65, vcc_lo, v65, 16
	v_pk_add_f16 v37, v80, v24
	v_pk_add_f16 v63, v69, v14
	;; [unrolled: 1-line block ×10, first 2 shown]
	v_perm_b32 v81, v78, v76, 0x5040100
	v_add_co_ci_u32_e64 v66, null, 0, v66, vcc_lo
	s_add_i32 s6, s6, 8
	ds_write_b16 v59, v77
	ds_write_b16 v60, v76
	ds_write_b16 v60, v78 offset:512
	s_cmp_ge_i32 s6, s1
	s_waitcnt lgkmcnt(0)
	s_barrier
	buffer_gl0_inv
	s_cbranch_scc1 .LBB237_23
.LBB237_15:                             ; =>This Inner Loop Header: Depth=1
	s_mov_b32 s7, -1
	s_mov_b32 vcc_lo, s0
                                        ; implicit-def: $vgpr79
	s_cbranch_vccz .LBB237_17
; %bb.16:                               ;   in Loop: Header=BB237_15 Depth=1
	v_and_b32_e32 v79, 0xffff0000, v3
	s_mov_b32 s7, 0
.LBB237_17:                             ;   in Loop: Header=BB237_15 Depth=1
	v_mov_b32_e32 v76, 0
	v_mov_b32_e32 v80, 0
	s_andn2_b32 vcc_lo, exec_lo, s7
	s_cbranch_vccnz .LBB237_19
; %bb.18:                               ;   in Loop: Header=BB237_15 Depth=1
	v_add_co_u32 v4, vcc_lo, v74, v28
	v_add_co_ci_u32_e64 v5, null, 0, v75, vcc_lo
	v_add_co_u32 v6, vcc_lo, v65, v28
	v_add_co_ci_u32_e64 v7, null, 0, v66, vcc_lo
	flat_load_ushort v2, v[4:5] offset:16
	v_add_co_u32 v4, vcc_lo, v72, v28
	v_add_co_ci_u32_e64 v5, null, 0, v73, vcc_lo
	flat_load_ushort v6, v[6:7] offset:16
	flat_load_ushort v4, v[4:5] offset:16
	s_waitcnt vmcnt(2) lgkmcnt(2)
	v_mul_f16_e32 v2, v27, v2
	v_bfi_b32 v79, 0xffff, v2, v3
	s_waitcnt vmcnt(1) lgkmcnt(1)
	v_mul_f16_e32 v76, v27, v6
	s_waitcnt vmcnt(0) lgkmcnt(0)
	v_mul_f16_e32 v80, v27, v4
.LBB237_19:                             ;   in Loop: Header=BB237_15 Depth=1
	ds_read2_b64 v[2:5], v67 offset0:48 offset1:56
	ds_read2_b64 v[14:17], v71 offset0:64 offset1:96
	ds_read2_b64 v[22:25], v71 offset1:32
	ds_read2_b64 v[18:21], v67 offset1:8
	ds_read2_b64 v[10:13], v67 offset0:16 offset1:24
	ds_read2_b64 v[6:9], v67 offset0:32 offset1:40
	s_mov_b32 s7, -1
	s_mov_b32 vcc_lo, s0
	ds_write_b16 v47, v76
	ds_write_b16 v31, v79
	ds_write_b16 v31, v80 offset:512
	s_waitcnt lgkmcnt(0)
	s_barrier
	buffer_gl0_inv
                                        ; implicit-def: $vgpr76
	s_cbranch_vccz .LBB237_21
; %bb.20:                               ;   in Loop: Header=BB237_15 Depth=1
	v_and_b32_e32 v76, 0xffff0000, v81
	s_mov_b32 s7, 0
.LBB237_21:                             ;   in Loop: Header=BB237_15 Depth=1
	v_mov_b32_e32 v77, 0
	v_mov_b32_e32 v78, 0
	s_andn2_b32 vcc_lo, exec_lo, s7
	s_cbranch_vccnz .LBB237_14
; %bb.22:                               ;   in Loop: Header=BB237_15 Depth=1
	v_add_co_u32 v76, vcc_lo, v74, v28
	v_add_co_ci_u32_e64 v77, null, 0, v75, vcc_lo
	v_add_co_u32 v82, vcc_lo, v65, v28
	v_add_co_ci_u32_e64 v83, null, 0, v66, vcc_lo
	flat_load_ushort v78, v[76:77] offset:24
	v_add_co_u32 v76, vcc_lo, v72, v28
	v_add_co_ci_u32_e64 v77, null, 0, v73, vcc_lo
	flat_load_ushort v82, v[82:83] offset:24
	flat_load_ushort v83, v[76:77] offset:24
	s_waitcnt vmcnt(2) lgkmcnt(2)
	v_mul_f16_e32 v76, v27, v78
	v_bfi_b32 v76, 0xffff, v76, v81
	s_waitcnt vmcnt(1) lgkmcnt(1)
	v_mul_f16_e32 v77, v27, v82
	s_waitcnt vmcnt(0) lgkmcnt(0)
	v_mul_f16_e32 v78, v27, v83
	s_branch .LBB237_14
.LBB237_23:
	v_add_nc_u32_e32 v18, 0x800, v30
	s_load_dwordx2 s[12:13], s[4:5], 0x78
	v_cmp_neq_f16_e64 s0, 0, v26
	v_add_nc_u32_e32 v1, s10, v1
	ds_read2_b64 v[2:5], v29 offset0:128 offset1:160
	ds_read2_b64 v[6:9], v18 offset0:112 offset1:120
	;; [unrolled: 1-line block ×4, first 2 shown]
	s_clause 0x1
	s_load_dword s6, s[4:5], 0x58
	s_load_dword s7, s[4:5], 0x70
	ds_read2_b64 v[27:30], v18 offset0:80 offset1:88
	ds_read2_b64 v[71:74], v18 offset0:96 offset1:104
	s_waitcnt lgkmcnt(0)
	s_lshl_b64 s[4:5], s[12:13], 1
	v_pk_max_f16 v2, v2, v2
	v_pk_max_f16 v4, v4, v4
	;; [unrolled: 1-line block ×7, first 2 shown]
	v_pk_min_f16 v18, v8, v2
	v_pk_min_f16 v19, v8, v4
	v_pk_min_f16 v20, v8, v10
	v_pk_min_f16 v24, v16, v2
	v_pk_min_f16 v25, v16, v4
	v_pk_max_f16 v27, v27, v27
	v_pk_min_f16 v21, v14, v2
	v_pk_min_f16 v23, v14, v10
	v_pk_add_f16 v18, v32, v18
	v_pk_add_f16 v19, v33, v19
	;; [unrolled: 1-line block ×5, first 2 shown]
	v_pk_min_f16 v24, v27, v2
	v_pk_min_f16 v25, v27, v4
	;; [unrolled: 1-line block ×4, first 2 shown]
	v_pk_max_f16 v29, v29, v29
	v_pk_min_f16 v22, v14, v4
	v_pk_min_f16 v14, v14, v12
	v_pk_add_f16 v21, v35, v21
	v_pk_add_f16 v23, v37, v23
	;; [unrolled: 1-line block ×4, first 2 shown]
	v_pk_min_f16 v24, v29, v2
	v_pk_max_f16 v27, v71, v71
	v_pk_min_f16 v31, v16, v10
	v_pk_min_f16 v16, v16, v12
	v_pk_add_f16 v22, v36, v22
	v_pk_add_f16 v14, v38, v14
	;; [unrolled: 1-line block ×3, first 2 shown]
	v_pk_min_f16 v25, v29, v4
	v_pk_min_f16 v38, v29, v10
	;; [unrolled: 1-line block ×3, first 2 shown]
	v_pk_add_f16 v39, v51, v24
	v_pk_min_f16 v24, v27, v2
	v_pk_add_f16 v31, v41, v31
	v_pk_add_f16 v16, v42, v16
	;; [unrolled: 1-line block ×4, first 2 shown]
	v_pk_min_f16 v25, v27, v4
	v_pk_max_f16 v29, v73, v73
	v_pk_add_f16 v42, v56, v24
	v_pk_min_f16 v24, v27, v10
	v_pk_max_f16 v6, v6, v6
	v_pk_add_f16 v34, v45, v34
	v_pk_add_f16 v43, v55, v25
	v_pk_min_f16 v25, v29, v2
	v_pk_min_f16 v44, v29, v4
	v_pk_add_f16 v45, v53, v24
	v_pk_min_f16 v24, v29, v10
	v_pk_min_f16 v2, v6, v2
	;; [unrolled: 1-line block ×5, first 2 shown]
	v_pk_max_f16 v3, v3, v3
	v_pk_max_f16 v9, v9, v9
	v_pk_min_f16 v27, v27, v12
	v_pk_add_f16 v47, v63, v25
	v_pk_min_f16 v25, v29, v12
	v_pk_max_f16 v5, v5, v5
	v_pk_min_f16 v8, v8, v12
	v_pk_max_f16 v11, v11, v11
	v_pk_add_f16 v12, v62, v6
	v_pk_min_f16 v6, v9, v3
	v_pk_add_f16 v38, v49, v38
	v_pk_add_f16 v48, v57, v24
	;; [unrolled: 1-line block ×3, first 2 shown]
	v_pk_min_f16 v24, v9, v5
	v_pk_min_f16 v25, v9, v11
	v_pk_max_f16 v15, v15, v15
	v_pk_add_f16 v18, v18, v6
	v_pk_max_f16 v6, v13, v13
	v_pk_add_f16 v19, v19, v24
	v_pk_add_f16 v20, v20, v25
	v_pk_min_f16 v13, v15, v3
	v_pk_min_f16 v24, v15, v5
	;; [unrolled: 1-line block ×4, first 2 shown]
	v_pk_max_f16 v17, v17, v17
	v_pk_add_f16 v21, v21, v13
	v_pk_add_f16 v22, v22, v24
	v_pk_max_f16 v50, v28, v28
	v_pk_add_f16 v24, v14, v15
	v_pk_min_f16 v13, v17, v3
	v_pk_min_f16 v14, v17, v5
	v_pk_min_f16 v15, v17, v11
	v_pk_min_f16 v17, v17, v6
	v_pk_add_f16 v46, v54, v27
	v_pk_add_f16 v23, v23, v25
	;; [unrolled: 1-line block ×6, first 2 shown]
	v_pk_min_f16 v13, v50, v3
	v_pk_min_f16 v14, v50, v5
	;; [unrolled: 1-line block ×4, first 2 shown]
	v_pk_max_f16 v17, v30, v30
	v_pk_add_f16 v30, v35, v13
	v_pk_add_f16 v31, v36, v14
	;; [unrolled: 1-line block ×4, first 2 shown]
	v_pk_min_f16 v13, v17, v3
	v_pk_min_f16 v14, v17, v5
	;; [unrolled: 1-line block ×4, first 2 shown]
	v_pk_max_f16 v17, v72, v72
	v_pk_add_f16 v34, v39, v13
	v_pk_add_f16 v35, v40, v14
	v_pk_max_f16 v7, v7, v7
	v_pk_add_f16 v37, v41, v16
	v_pk_min_f16 v13, v17, v3
	v_pk_min_f16 v14, v17, v5
	v_pk_max_f16 v16, v74, v74
	v_pk_add_f16 v2, v68, v2
	v_pk_add_f16 v4, v69, v4
	;; [unrolled: 1-line block ×3, first 2 shown]
	v_pk_min_f16 v15, v17, v11
	v_pk_min_f16 v17, v17, v6
	v_pk_add_f16 v38, v42, v13
	v_pk_add_f16 v39, v43, v14
	v_pk_min_f16 v13, v16, v3
	v_pk_min_f16 v14, v16, v5
	;; [unrolled: 1-line block ×4, first 2 shown]
	v_pk_add_f16 v44, v64, v44
	v_pk_add_f16 v10, v70, v10
	;; [unrolled: 1-line block ×5, first 2 shown]
	v_pk_min_f16 v15, v16, v11
	v_pk_add_f16 v42, v47, v13
	v_pk_min_f16 v13, v16, v6
	v_pk_add_f16 v46, v2, v3
	v_pk_min_f16 v3, v7, v11
	v_add_nc_u32_e32 v2, s11, v0
	v_pk_add_f16 v0, v4, v5
	v_pk_min_f16 v5, v7, v6
	v_pk_min_f16 v7, v9, v6
	v_pk_add_f16 v43, v44, v14
	v_pk_add_f16 v44, v48, v15
	;; [unrolled: 1-line block ×4, first 2 shown]
	v_add_nc_u32_e32 v4, 8, v2
	v_add_nc_u32_e32 v6, 16, v2
	v_pk_add_f16 v48, v12, v5
	v_pk_add_f16 v49, v8, v7
	v_add_nc_u32_e32 v8, 24, v2
	v_add_nc_u32_e32 v10, 32, v2
	;; [unrolled: 1-line block ×5, first 2 shown]
	v_ashrrev_i32_e32 v3, 31, v2
	v_ashrrev_i32_e32 v5, 31, v4
	;; [unrolled: 1-line block ×8, first 2 shown]
	v_lshlrev_b64 v[2:3], 1, v[2:3]
	v_lshlrev_b64 v[4:5], 1, v[4:5]
	;; [unrolled: 1-line block ×8, first 2 shown]
	s_add_u32 s10, s2, s4
	s_addc_u32 s3, s3, s5
	s_mov_b64 s[4:5], 15
	s_branch .LBB237_25
.LBB237_24:                             ;   in Loop: Header=BB237_25 Depth=1
	s_add_i32 s1, s4, -1
	v_add_nc_u32_e32 v1, 32, v1
	s_cmp_eq_u32 s1, 1
	s_cselect_b32 vcc_lo, -1, 0
	s_cmp_eq_u32 s1, 2
	v_cndmask_b32_e32 v82, v21, v50, vcc_lo
	s_cselect_b32 vcc_lo, -1, 0
	s_cmp_eq_u32 s1, 3
	v_cndmask_b32_e32 v82, v82, v25, vcc_lo
	;; [unrolled: 3-line block ×62, first 2 shown]
	s_cselect_b32 vcc_lo, -1, 0
	s_cmp_eq_u32 s4, 1
	s_cselect_b32 s1, -1, 0
	s_cmp_eq_u32 s4, 2
	v_cndmask_b32_e64 v50, v21, v50, s1
	s_cselect_b32 s1, -1, 0
	s_cmp_eq_u32 s4, 3
	v_cndmask_b32_e64 v50, v50, v25, s1
	;; [unrolled: 3-line block ×3, first 2 shown]
	s_cselect_b32 s1, -1, 0
	s_cmp_eq_u32 s4, 5
	v_cndmask_b32_e32 v51, v82, v81, vcc_lo
	v_cndmask_b32_e64 v50, v50, v30, s1
	s_cselect_b32 s1, -1, 0
	s_cmp_eq_u32 s4, 6
	v_cndmask_b32_e64 v50, v50, v52, s1
	s_cselect_b32 s1, -1, 0
	s_cmp_eq_u32 s4, 7
	;; [unrolled: 3-line block ×58, first 2 shown]
	s_cselect_b32 vcc_lo, -1, 0
	v_cndmask_b32_e64 v50, v50, v49, s1
	s_add_u32 s4, s4, 16
	s_addc_u32 s5, s5, 0
	s_cmpk_lg_i32 s4, 0x4f
	v_cndmask_b32_e32 v50, v50, v81, vcc_lo
	v_add_f16_e32 v52, v51, v50
	v_add_co_u32 v50, vcc_lo, v84, v16
	v_add_co_ci_u32_e64 v51, null, v85, v17, vcc_lo
	v_add_f16_e32 v52, v52, v86
	flat_store_short v[50:51], v52
	s_cbranch_scc0 .LBB237_41
.LBB237_25:                             ; =>This Inner Loop Header: Depth=1
	v_mad_i64_i32 v[50:51], null, v1, s6, 0
	v_cndmask_b32_e64 v52, 0, 1, s0
	v_mov_b32_e32 v86, 0
	v_mov_b32_e32 v87, 0
	v_cmp_ne_u32_e64 s1, 1, v52
	v_lshlrev_b64 v[50:51], 1, v[50:51]
	v_add_co_u32 v82, vcc_lo, s8, v50
	v_add_co_ci_u32_e64 v83, null, s9, v51, vcc_lo
	s_andn2_b32 vcc_lo, exec_lo, s0
	s_cbranch_vccnz .LBB237_27
; %bb.26:                               ;   in Loop: Header=BB237_25 Depth=1
	v_add_co_u32 v50, vcc_lo, v82, v2
	v_add_co_ci_u32_e64 v51, null, v83, v3, vcc_lo
	flat_load_ushort v50, v[50:51]
	s_waitcnt vmcnt(0) lgkmcnt(0)
	v_mul_f16_e32 v87, v26, v50
.LBB237_27:                             ;   in Loop: Header=BB237_25 Depth=1
	s_add_i32 s2, s4, -15
	v_lshrrev_b32_e32 v50, 16, v21
	s_cmp_eq_u32 s2, 1
	v_lshrrev_b32_e32 v51, 16, v25
	s_cselect_b32 vcc_lo, -1, 0
	s_cmp_eq_u32 s2, 2
	v_cndmask_b32_e32 v52, v21, v50, vcc_lo
	s_cselect_b32 vcc_lo, -1, 0
	s_cmp_eq_u32 s2, 3
	v_cndmask_b32_e32 v52, v52, v25, vcc_lo
	;; [unrolled: 3-line block ×3, first 2 shown]
	s_cselect_b32 vcc_lo, -1, 0
	v_lshrrev_b32_e32 v52, 16, v30
	s_cmp_eq_u32 s2, 5
	v_cndmask_b32_e32 v53, v53, v30, vcc_lo
	s_cselect_b32 vcc_lo, -1, 0
	s_cmp_eq_u32 s2, 6
	v_cndmask_b32_e32 v54, v53, v52, vcc_lo
	s_cselect_b32 vcc_lo, -1, 0
	v_lshrrev_b32_e32 v53, 16, v34
	s_cmp_eq_u32 s2, 7
	v_cndmask_b32_e32 v54, v54, v34, vcc_lo
	s_cselect_b32 vcc_lo, -1, 0
	s_cmp_eq_u32 s2, 8
	v_cndmask_b32_e32 v55, v54, v53, vcc_lo
	;; [unrolled: 7-line block ×29, first 2 shown]
	s_cselect_b32 vcc_lo, -1, 0
	s_cmp_eq_u32 s2, 63
	v_lshrrev_b32_e32 v81, 16, v49
	v_cndmask_b32_e32 v88, v84, v49, vcc_lo
	s_cselect_b32 vcc_lo, -1, 0
	s_add_i32 s11, s4, -14
	s_cmp_eq_u32 s11, 1
	v_cndmask_b32_e32 v88, v88, v81, vcc_lo
	s_cselect_b32 s2, -1, 0
	s_cmp_eq_u32 s11, 2
	v_cndmask_b32_e64 v84, v21, v50, s2
	s_cselect_b32 s2, -1, 0
	s_cmp_eq_u32 s11, 3
	v_cndmask_b32_e64 v84, v84, v25, s2
	s_cselect_b32 s2, -1, 0
	s_cmp_eq_u32 s11, 4
	v_cndmask_b32_e64 v84, v84, v51, s2
	s_cselect_b32 s2, -1, 0
	s_cmp_eq_u32 s11, 5
	v_cndmask_b32_e64 v84, v84, v30, s2
	s_cselect_b32 s2, -1, 0
	s_cmp_eq_u32 s11, 6
	v_cndmask_b32_e64 v84, v84, v52, s2
	s_cselect_b32 s2, -1, 0
	s_cmp_eq_u32 s11, 7
	v_cndmask_b32_e64 v84, v84, v34, s2
	s_cselect_b32 s2, -1, 0
	s_cmp_eq_u32 s11, 8
	v_cndmask_b32_e64 v84, v84, v53, s2
	s_cselect_b32 s2, -1, 0
	s_cmp_eq_u32 s11, 9
	v_cndmask_b32_e64 v84, v84, v38, s2
	s_cselect_b32 s2, -1, 0
	s_cmp_eq_u32 s11, 10
	v_cndmask_b32_e64 v84, v84, v54, s2
	s_cselect_b32 s2, -1, 0
	s_cmp_eq_u32 s11, 11
	v_cndmask_b32_e64 v84, v84, v42, s2
	s_cselect_b32 s2, -1, 0
	s_cmp_eq_u32 s11, 12
	v_cndmask_b32_e64 v84, v84, v55, s2
	s_cselect_b32 s2, -1, 0
	s_cmp_eq_u32 s11, 13
	v_cndmask_b32_e64 v84, v84, v46, s2
	s_cselect_b32 s2, -1, 0
	s_cmp_eq_u32 s11, 14
	v_cndmask_b32_e64 v84, v84, v56, s2
	s_cselect_b32 s2, -1, 0
	s_cmp_eq_u32 s11, 15
	v_cndmask_b32_e64 v84, v84, v18, s2
	s_cselect_b32 s2, -1, 0
	s_cmp_eq_u32 s11, 16
	v_cndmask_b32_e64 v84, v84, v57, s2
	s_cselect_b32 s2, -1, 0
	s_cmp_eq_u32 s11, 17
	v_cndmask_b32_e64 v84, v84, v22, s2
	s_cselect_b32 s2, -1, 0
	s_cmp_eq_u32 s11, 18
	v_cndmask_b32_e64 v84, v84, v58, s2
	s_cselect_b32 s2, -1, 0
	s_cmp_eq_u32 s11, 19
	v_cndmask_b32_e64 v84, v84, v27, s2
	s_cselect_b32 s2, -1, 0
	s_cmp_eq_u32 s11, 20
	v_cndmask_b32_e64 v84, v84, v59, s2
	s_cselect_b32 s2, -1, 0
	s_cmp_eq_u32 s11, 21
	v_cndmask_b32_e64 v84, v84, v31, s2
	s_cselect_b32 s2, -1, 0
	s_cmp_eq_u32 s11, 22
	v_cndmask_b32_e64 v84, v84, v60, s2
	s_cselect_b32 s2, -1, 0
	s_cmp_eq_u32 s11, 23
	v_cndmask_b32_e64 v84, v84, v35, s2
	s_cselect_b32 s2, -1, 0
	s_cmp_eq_u32 s11, 24
	v_cndmask_b32_e64 v84, v84, v61, s2
	s_cselect_b32 s2, -1, 0
	s_cmp_eq_u32 s11, 25
	v_cndmask_b32_e64 v84, v84, v39, s2
	s_cselect_b32 s2, -1, 0
	s_cmp_eq_u32 s11, 26
	v_cndmask_b32_e64 v84, v84, v62, s2
	s_cselect_b32 s2, -1, 0
	s_cmp_eq_u32 s11, 27
	v_cndmask_b32_e64 v84, v84, v43, s2
	s_cselect_b32 s2, -1, 0
	s_cmp_eq_u32 s11, 28
	v_cndmask_b32_e64 v84, v84, v63, s2
	s_cselect_b32 s2, -1, 0
	s_cmp_eq_u32 s11, 29
	v_cndmask_b32_e64 v84, v84, v0, s2
	s_cselect_b32 s2, -1, 0
	s_cmp_eq_u32 s11, 30
	v_cndmask_b32_e64 v84, v84, v64, s2
	s_cselect_b32 s2, -1, 0
	s_cmp_eq_u32 s11, 31
	v_cndmask_b32_e64 v84, v84, v19, s2
	s_cselect_b32 s2, -1, 0
	s_cmp_eq_u32 s11, 32
	v_cndmask_b32_e64 v84, v84, v65, s2
	s_cselect_b32 s2, -1, 0
	s_cmp_eq_u32 s11, 33
	v_cndmask_b32_e64 v84, v84, v23, s2
	s_cselect_b32 s2, -1, 0
	s_cmp_eq_u32 s11, 34
	v_cndmask_b32_e64 v84, v84, v66, s2
	s_cselect_b32 s2, -1, 0
	s_cmp_eq_u32 s11, 35
	v_cndmask_b32_e64 v84, v84, v28, s2
	s_cselect_b32 s2, -1, 0
	s_cmp_eq_u32 s11, 36
	v_cndmask_b32_e64 v84, v84, v67, s2
	s_cselect_b32 s2, -1, 0
	s_cmp_eq_u32 s11, 37
	v_cndmask_b32_e64 v84, v84, v32, s2
	s_cselect_b32 s2, -1, 0
	s_cmp_eq_u32 s11, 38
	v_cndmask_b32_e64 v84, v84, v68, s2
	s_cselect_b32 s2, -1, 0
	s_cmp_eq_u32 s11, 39
	v_cndmask_b32_e64 v84, v84, v36, s2
	s_cselect_b32 s2, -1, 0
	s_cmp_eq_u32 s11, 40
	v_cndmask_b32_e64 v84, v84, v69, s2
	s_cselect_b32 s2, -1, 0
	s_cmp_eq_u32 s11, 41
	v_cndmask_b32_e64 v84, v84, v40, s2
	s_cselect_b32 s2, -1, 0
	s_cmp_eq_u32 s11, 42
	v_cndmask_b32_e64 v84, v84, v70, s2
	s_cselect_b32 s2, -1, 0
	s_cmp_eq_u32 s11, 43
	v_cndmask_b32_e64 v84, v84, v44, s2
	s_cselect_b32 s2, -1, 0
	s_cmp_eq_u32 s11, 44
	v_cndmask_b32_e64 v84, v84, v71, s2
	s_cselect_b32 s2, -1, 0
	s_cmp_eq_u32 s11, 45
	v_cndmask_b32_e64 v84, v84, v47, s2
	s_cselect_b32 s2, -1, 0
	s_cmp_eq_u32 s11, 46
	v_cndmask_b32_e64 v84, v84, v72, s2
	s_cselect_b32 s2, -1, 0
	s_cmp_eq_u32 s11, 47
	v_cndmask_b32_e64 v84, v84, v20, s2
	s_cselect_b32 s2, -1, 0
	s_cmp_eq_u32 s11, 48
	v_cndmask_b32_e64 v84, v84, v73, s2
	s_cselect_b32 s2, -1, 0
	s_cmp_eq_u32 s11, 49
	v_cndmask_b32_e64 v84, v84, v24, s2
	s_cselect_b32 s2, -1, 0
	s_cmp_eq_u32 s11, 50
	v_cndmask_b32_e64 v84, v84, v74, s2
	s_cselect_b32 s2, -1, 0
	s_cmp_eq_u32 s11, 51
	v_cndmask_b32_e64 v84, v84, v29, s2
	s_cselect_b32 s2, -1, 0
	s_cmp_eq_u32 s11, 52
	v_cndmask_b32_e64 v84, v84, v75, s2
	s_cselect_b32 s2, -1, 0
	s_cmp_eq_u32 s11, 53
	v_cndmask_b32_e64 v84, v84, v33, s2
	s_cselect_b32 s2, -1, 0
	s_cmp_eq_u32 s11, 54
	v_cndmask_b32_e64 v84, v84, v76, s2
	s_cselect_b32 s2, -1, 0
	s_cmp_eq_u32 s11, 55
	v_cndmask_b32_e64 v84, v84, v37, s2
	s_cselect_b32 s2, -1, 0
	s_cmp_eq_u32 s11, 56
	v_cndmask_b32_e64 v84, v84, v77, s2
	s_cselect_b32 s2, -1, 0
	s_cmp_eq_u32 s11, 57
	v_cndmask_b32_e64 v84, v84, v41, s2
	s_cselect_b32 s2, -1, 0
	s_cmp_eq_u32 s11, 58
	v_cndmask_b32_e64 v84, v84, v78, s2
	s_cselect_b32 s2, -1, 0
	s_cmp_eq_u32 s11, 59
	v_cndmask_b32_e64 v84, v84, v45, s2
	s_cselect_b32 s2, -1, 0
	s_cmp_eq_u32 s11, 60
	v_cndmask_b32_e64 v84, v84, v79, s2
	s_cselect_b32 s2, -1, 0
	s_cmp_eq_u32 s11, 61
	v_cndmask_b32_e64 v84, v84, v48, s2
	s_cselect_b32 s2, -1, 0
	s_cmp_eq_u32 s11, 62
	v_cndmask_b32_e64 v89, v84, v80, s2
	v_mad_i64_i32 v[84:85], null, v1, s7, 0
	s_cselect_b32 s2, -1, 0
	s_cmp_eq_u32 s11, 63
	v_cndmask_b32_e64 v89, v89, v49, s2
	s_cselect_b32 vcc_lo, -1, 0
	v_lshlrev_b64 v[84:85], 1, v[84:85]
	v_cndmask_b32_e32 v89, v89, v81, vcc_lo
	v_add_co_u32 v84, vcc_lo, s10, v84
	v_add_f16_e32 v88, v88, v89
	v_add_co_ci_u32_e64 v85, null, s3, v85, vcc_lo
	v_add_f16_e32 v89, v88, v87
	v_add_co_u32 v87, vcc_lo, v84, v2
	v_add_co_ci_u32_e64 v88, null, v85, v3, vcc_lo
	s_and_b32 vcc_lo, exec_lo, s1
	flat_store_short v[87:88], v89
	s_cbranch_vccnz .LBB237_29
; %bb.28:                               ;   in Loop: Header=BB237_25 Depth=1
	v_add_co_u32 v86, vcc_lo, v82, v4
	v_add_co_ci_u32_e64 v87, null, v83, v5, vcc_lo
	flat_load_ushort v86, v[86:87]
	s_waitcnt vmcnt(0) lgkmcnt(0)
	v_mul_f16_e32 v86, v26, v86
.LBB237_29:                             ;   in Loop: Header=BB237_25 Depth=1
	s_add_i32 s2, s4, -13
	s_cmp_eq_u32 s2, 1
	s_cselect_b32 vcc_lo, -1, 0
	s_cmp_eq_u32 s2, 2
	v_cndmask_b32_e32 v87, v21, v50, vcc_lo
	s_cselect_b32 vcc_lo, -1, 0
	s_cmp_eq_u32 s2, 3
	v_cndmask_b32_e32 v87, v87, v25, vcc_lo
	;; [unrolled: 3-line block ×62, first 2 shown]
	s_cselect_b32 vcc_lo, -1, 0
	s_add_i32 s11, s4, -12
	s_cmp_eq_u32 s11, 1
	v_cndmask_b32_e32 v87, v87, v81, vcc_lo
	s_cselect_b32 s2, -1, 0
	s_cmp_eq_u32 s11, 2
	v_cndmask_b32_e64 v88, v21, v50, s2
	s_cselect_b32 s2, -1, 0
	s_cmp_eq_u32 s11, 3
	v_cndmask_b32_e64 v88, v88, v25, s2
	;; [unrolled: 3-line block ×61, first 2 shown]
	s_cselect_b32 s2, -1, 0
	s_cmp_eq_u32 s11, 63
	s_cselect_b32 vcc_lo, -1, 0
	v_cndmask_b32_e64 v88, v88, v49, s2
	v_cndmask_b32_e32 v88, v88, v81, vcc_lo
	v_add_f16_e32 v87, v87, v88
	v_add_co_u32 v88, vcc_lo, v84, v4
	v_add_co_ci_u32_e64 v89, null, v85, v5, vcc_lo
	v_add_f16_e32 v90, v87, v86
	v_mov_b32_e32 v86, 0
	v_mov_b32_e32 v87, 0
	s_and_b32 vcc_lo, exec_lo, s1
	flat_store_short v[88:89], v90
	s_cbranch_vccnz .LBB237_31
; %bb.30:                               ;   in Loop: Header=BB237_25 Depth=1
	v_add_co_u32 v87, vcc_lo, v82, v6
	v_add_co_ci_u32_e64 v88, null, v83, v7, vcc_lo
	flat_load_ushort v87, v[87:88]
	s_waitcnt vmcnt(0) lgkmcnt(0)
	v_mul_f16_e32 v87, v26, v87
.LBB237_31:                             ;   in Loop: Header=BB237_25 Depth=1
	s_add_i32 s2, s4, -11
	s_cmp_eq_u32 s2, 1
	s_cselect_b32 vcc_lo, -1, 0
	s_cmp_eq_u32 s2, 2
	v_cndmask_b32_e32 v88, v21, v50, vcc_lo
	s_cselect_b32 vcc_lo, -1, 0
	s_cmp_eq_u32 s2, 3
	v_cndmask_b32_e32 v88, v88, v25, vcc_lo
	;; [unrolled: 3-line block ×62, first 2 shown]
	s_cselect_b32 vcc_lo, -1, 0
	s_add_i32 s11, s4, -10
	s_cmp_eq_u32 s11, 1
	v_cndmask_b32_e32 v88, v88, v81, vcc_lo
	s_cselect_b32 s2, -1, 0
	s_cmp_eq_u32 s11, 2
	v_cndmask_b32_e64 v89, v21, v50, s2
	s_cselect_b32 s2, -1, 0
	s_cmp_eq_u32 s11, 3
	v_cndmask_b32_e64 v89, v89, v25, s2
	s_cselect_b32 s2, -1, 0
	s_cmp_eq_u32 s11, 4
	v_cndmask_b32_e64 v89, v89, v51, s2
	s_cselect_b32 s2, -1, 0
	s_cmp_eq_u32 s11, 5
	v_cndmask_b32_e64 v89, v89, v30, s2
	s_cselect_b32 s2, -1, 0
	s_cmp_eq_u32 s11, 6
	v_cndmask_b32_e64 v89, v89, v52, s2
	s_cselect_b32 s2, -1, 0
	s_cmp_eq_u32 s11, 7
	v_cndmask_b32_e64 v89, v89, v34, s2
	s_cselect_b32 s2, -1, 0
	s_cmp_eq_u32 s11, 8
	v_cndmask_b32_e64 v89, v89, v53, s2
	s_cselect_b32 s2, -1, 0
	s_cmp_eq_u32 s11, 9
	v_cndmask_b32_e64 v89, v89, v38, s2
	s_cselect_b32 s2, -1, 0
	s_cmp_eq_u32 s11, 10
	v_cndmask_b32_e64 v89, v89, v54, s2
	s_cselect_b32 s2, -1, 0
	s_cmp_eq_u32 s11, 11
	v_cndmask_b32_e64 v89, v89, v42, s2
	s_cselect_b32 s2, -1, 0
	s_cmp_eq_u32 s11, 12
	v_cndmask_b32_e64 v89, v89, v55, s2
	s_cselect_b32 s2, -1, 0
	s_cmp_eq_u32 s11, 13
	v_cndmask_b32_e64 v89, v89, v46, s2
	s_cselect_b32 s2, -1, 0
	s_cmp_eq_u32 s11, 14
	v_cndmask_b32_e64 v89, v89, v56, s2
	s_cselect_b32 s2, -1, 0
	s_cmp_eq_u32 s11, 15
	v_cndmask_b32_e64 v89, v89, v18, s2
	s_cselect_b32 s2, -1, 0
	s_cmp_eq_u32 s11, 16
	v_cndmask_b32_e64 v89, v89, v57, s2
	s_cselect_b32 s2, -1, 0
	s_cmp_eq_u32 s11, 17
	v_cndmask_b32_e64 v89, v89, v22, s2
	s_cselect_b32 s2, -1, 0
	s_cmp_eq_u32 s11, 18
	v_cndmask_b32_e64 v89, v89, v58, s2
	s_cselect_b32 s2, -1, 0
	s_cmp_eq_u32 s11, 19
	v_cndmask_b32_e64 v89, v89, v27, s2
	s_cselect_b32 s2, -1, 0
	s_cmp_eq_u32 s11, 20
	v_cndmask_b32_e64 v89, v89, v59, s2
	s_cselect_b32 s2, -1, 0
	s_cmp_eq_u32 s11, 21
	v_cndmask_b32_e64 v89, v89, v31, s2
	s_cselect_b32 s2, -1, 0
	s_cmp_eq_u32 s11, 22
	v_cndmask_b32_e64 v89, v89, v60, s2
	s_cselect_b32 s2, -1, 0
	s_cmp_eq_u32 s11, 23
	v_cndmask_b32_e64 v89, v89, v35, s2
	s_cselect_b32 s2, -1, 0
	s_cmp_eq_u32 s11, 24
	v_cndmask_b32_e64 v89, v89, v61, s2
	s_cselect_b32 s2, -1, 0
	s_cmp_eq_u32 s11, 25
	v_cndmask_b32_e64 v89, v89, v39, s2
	s_cselect_b32 s2, -1, 0
	s_cmp_eq_u32 s11, 26
	v_cndmask_b32_e64 v89, v89, v62, s2
	s_cselect_b32 s2, -1, 0
	s_cmp_eq_u32 s11, 27
	v_cndmask_b32_e64 v89, v89, v43, s2
	s_cselect_b32 s2, -1, 0
	s_cmp_eq_u32 s11, 28
	v_cndmask_b32_e64 v89, v89, v63, s2
	s_cselect_b32 s2, -1, 0
	s_cmp_eq_u32 s11, 29
	v_cndmask_b32_e64 v89, v89, v0, s2
	s_cselect_b32 s2, -1, 0
	s_cmp_eq_u32 s11, 30
	v_cndmask_b32_e64 v89, v89, v64, s2
	s_cselect_b32 s2, -1, 0
	s_cmp_eq_u32 s11, 31
	v_cndmask_b32_e64 v89, v89, v19, s2
	s_cselect_b32 s2, -1, 0
	s_cmp_eq_u32 s11, 32
	v_cndmask_b32_e64 v89, v89, v65, s2
	s_cselect_b32 s2, -1, 0
	s_cmp_eq_u32 s11, 33
	v_cndmask_b32_e64 v89, v89, v23, s2
	s_cselect_b32 s2, -1, 0
	s_cmp_eq_u32 s11, 34
	v_cndmask_b32_e64 v89, v89, v66, s2
	s_cselect_b32 s2, -1, 0
	s_cmp_eq_u32 s11, 35
	v_cndmask_b32_e64 v89, v89, v28, s2
	s_cselect_b32 s2, -1, 0
	s_cmp_eq_u32 s11, 36
	v_cndmask_b32_e64 v89, v89, v67, s2
	s_cselect_b32 s2, -1, 0
	s_cmp_eq_u32 s11, 37
	v_cndmask_b32_e64 v89, v89, v32, s2
	s_cselect_b32 s2, -1, 0
	s_cmp_eq_u32 s11, 38
	v_cndmask_b32_e64 v89, v89, v68, s2
	s_cselect_b32 s2, -1, 0
	s_cmp_eq_u32 s11, 39
	v_cndmask_b32_e64 v89, v89, v36, s2
	s_cselect_b32 s2, -1, 0
	s_cmp_eq_u32 s11, 40
	v_cndmask_b32_e64 v89, v89, v69, s2
	s_cselect_b32 s2, -1, 0
	s_cmp_eq_u32 s11, 41
	v_cndmask_b32_e64 v89, v89, v40, s2
	s_cselect_b32 s2, -1, 0
	s_cmp_eq_u32 s11, 42
	v_cndmask_b32_e64 v89, v89, v70, s2
	s_cselect_b32 s2, -1, 0
	s_cmp_eq_u32 s11, 43
	v_cndmask_b32_e64 v89, v89, v44, s2
	s_cselect_b32 s2, -1, 0
	s_cmp_eq_u32 s11, 44
	v_cndmask_b32_e64 v89, v89, v71, s2
	s_cselect_b32 s2, -1, 0
	s_cmp_eq_u32 s11, 45
	v_cndmask_b32_e64 v89, v89, v47, s2
	s_cselect_b32 s2, -1, 0
	s_cmp_eq_u32 s11, 46
	v_cndmask_b32_e64 v89, v89, v72, s2
	s_cselect_b32 s2, -1, 0
	s_cmp_eq_u32 s11, 47
	v_cndmask_b32_e64 v89, v89, v20, s2
	s_cselect_b32 s2, -1, 0
	s_cmp_eq_u32 s11, 48
	v_cndmask_b32_e64 v89, v89, v73, s2
	s_cselect_b32 s2, -1, 0
	s_cmp_eq_u32 s11, 49
	v_cndmask_b32_e64 v89, v89, v24, s2
	s_cselect_b32 s2, -1, 0
	s_cmp_eq_u32 s11, 50
	v_cndmask_b32_e64 v89, v89, v74, s2
	s_cselect_b32 s2, -1, 0
	s_cmp_eq_u32 s11, 51
	v_cndmask_b32_e64 v89, v89, v29, s2
	s_cselect_b32 s2, -1, 0
	s_cmp_eq_u32 s11, 52
	v_cndmask_b32_e64 v89, v89, v75, s2
	s_cselect_b32 s2, -1, 0
	s_cmp_eq_u32 s11, 53
	v_cndmask_b32_e64 v89, v89, v33, s2
	s_cselect_b32 s2, -1, 0
	s_cmp_eq_u32 s11, 54
	v_cndmask_b32_e64 v89, v89, v76, s2
	s_cselect_b32 s2, -1, 0
	s_cmp_eq_u32 s11, 55
	v_cndmask_b32_e64 v89, v89, v37, s2
	s_cselect_b32 s2, -1, 0
	s_cmp_eq_u32 s11, 56
	v_cndmask_b32_e64 v89, v89, v77, s2
	s_cselect_b32 s2, -1, 0
	s_cmp_eq_u32 s11, 57
	v_cndmask_b32_e64 v89, v89, v41, s2
	s_cselect_b32 s2, -1, 0
	s_cmp_eq_u32 s11, 58
	v_cndmask_b32_e64 v89, v89, v78, s2
	s_cselect_b32 s2, -1, 0
	s_cmp_eq_u32 s11, 59
	v_cndmask_b32_e64 v89, v89, v45, s2
	s_cselect_b32 s2, -1, 0
	s_cmp_eq_u32 s11, 60
	v_cndmask_b32_e64 v89, v89, v79, s2
	s_cselect_b32 s2, -1, 0
	s_cmp_eq_u32 s11, 61
	v_cndmask_b32_e64 v89, v89, v48, s2
	s_cselect_b32 s2, -1, 0
	s_cmp_eq_u32 s11, 62
	v_cndmask_b32_e64 v89, v89, v80, s2
	s_cselect_b32 s2, -1, 0
	s_cmp_eq_u32 s11, 63
	s_cselect_b32 vcc_lo, -1, 0
	v_cndmask_b32_e64 v89, v89, v49, s2
	v_cndmask_b32_e32 v89, v89, v81, vcc_lo
	v_add_f16_e32 v88, v88, v89
	v_add_f16_e32 v89, v88, v87
	v_add_co_u32 v87, vcc_lo, v84, v6
	v_add_co_ci_u32_e64 v88, null, v85, v7, vcc_lo
	s_and_b32 vcc_lo, exec_lo, s1
	flat_store_short v[87:88], v89
	s_cbranch_vccnz .LBB237_33
; %bb.32:                               ;   in Loop: Header=BB237_25 Depth=1
	v_add_co_u32 v86, vcc_lo, v82, v8
	v_add_co_ci_u32_e64 v87, null, v83, v9, vcc_lo
	flat_load_ushort v86, v[86:87]
	s_waitcnt vmcnt(0) lgkmcnt(0)
	v_mul_f16_e32 v86, v26, v86
.LBB237_33:                             ;   in Loop: Header=BB237_25 Depth=1
	s_add_i32 s2, s4, -9
	s_cmp_eq_u32 s2, 1
	s_cselect_b32 vcc_lo, -1, 0
	s_cmp_eq_u32 s2, 2
	v_cndmask_b32_e32 v87, v21, v50, vcc_lo
	s_cselect_b32 vcc_lo, -1, 0
	s_cmp_eq_u32 s2, 3
	v_cndmask_b32_e32 v87, v87, v25, vcc_lo
	;; [unrolled: 3-line block ×62, first 2 shown]
	s_cselect_b32 vcc_lo, -1, 0
	s_add_i32 s11, s4, -8
	s_cmp_eq_u32 s11, 1
	v_cndmask_b32_e32 v87, v87, v81, vcc_lo
	s_cselect_b32 s2, -1, 0
	s_cmp_eq_u32 s11, 2
	v_cndmask_b32_e64 v88, v21, v50, s2
	s_cselect_b32 s2, -1, 0
	s_cmp_eq_u32 s11, 3
	v_cndmask_b32_e64 v88, v88, v25, s2
	;; [unrolled: 3-line block ×61, first 2 shown]
	s_cselect_b32 s2, -1, 0
	s_cmp_eq_u32 s11, 63
	s_cselect_b32 vcc_lo, -1, 0
	v_cndmask_b32_e64 v88, v88, v49, s2
	v_cndmask_b32_e32 v88, v88, v81, vcc_lo
	v_add_f16_e32 v87, v87, v88
	v_add_co_u32 v88, vcc_lo, v84, v8
	v_add_co_ci_u32_e64 v89, null, v85, v9, vcc_lo
	v_add_f16_e32 v90, v87, v86
	v_mov_b32_e32 v86, 0
	v_mov_b32_e32 v87, 0
	s_and_b32 vcc_lo, exec_lo, s1
	flat_store_short v[88:89], v90
	s_cbranch_vccnz .LBB237_35
; %bb.34:                               ;   in Loop: Header=BB237_25 Depth=1
	v_add_co_u32 v87, vcc_lo, v82, v10
	v_add_co_ci_u32_e64 v88, null, v83, v11, vcc_lo
	flat_load_ushort v87, v[87:88]
	s_waitcnt vmcnt(0) lgkmcnt(0)
	v_mul_f16_e32 v87, v26, v87
.LBB237_35:                             ;   in Loop: Header=BB237_25 Depth=1
	s_add_i32 s2, s4, -7
	s_cmp_eq_u32 s2, 1
	s_cselect_b32 vcc_lo, -1, 0
	s_cmp_eq_u32 s2, 2
	v_cndmask_b32_e32 v88, v21, v50, vcc_lo
	s_cselect_b32 vcc_lo, -1, 0
	s_cmp_eq_u32 s2, 3
	v_cndmask_b32_e32 v88, v88, v25, vcc_lo
	;; [unrolled: 3-line block ×62, first 2 shown]
	s_cselect_b32 vcc_lo, -1, 0
	s_add_i32 s11, s4, -6
	s_cmp_eq_u32 s11, 1
	v_cndmask_b32_e32 v88, v88, v81, vcc_lo
	s_cselect_b32 s2, -1, 0
	s_cmp_eq_u32 s11, 2
	v_cndmask_b32_e64 v89, v21, v50, s2
	s_cselect_b32 s2, -1, 0
	s_cmp_eq_u32 s11, 3
	v_cndmask_b32_e64 v89, v89, v25, s2
	;; [unrolled: 3-line block ×61, first 2 shown]
	s_cselect_b32 s2, -1, 0
	s_cmp_eq_u32 s11, 63
	s_cselect_b32 vcc_lo, -1, 0
	v_cndmask_b32_e64 v89, v89, v49, s2
	v_cndmask_b32_e32 v89, v89, v81, vcc_lo
	v_add_f16_e32 v88, v88, v89
	v_add_f16_e32 v89, v88, v87
	v_add_co_u32 v87, vcc_lo, v84, v10
	v_add_co_ci_u32_e64 v88, null, v85, v11, vcc_lo
	s_and_b32 vcc_lo, exec_lo, s1
	flat_store_short v[87:88], v89
	s_cbranch_vccnz .LBB237_37
; %bb.36:                               ;   in Loop: Header=BB237_25 Depth=1
	v_add_co_u32 v86, vcc_lo, v82, v12
	v_add_co_ci_u32_e64 v87, null, v83, v13, vcc_lo
	flat_load_ushort v86, v[86:87]
	s_waitcnt vmcnt(0) lgkmcnt(0)
	v_mul_f16_e32 v86, v26, v86
.LBB237_37:                             ;   in Loop: Header=BB237_25 Depth=1
	s_add_i32 s2, s4, -5
	s_cmp_eq_u32 s2, 1
	s_cselect_b32 vcc_lo, -1, 0
	s_cmp_eq_u32 s2, 2
	v_cndmask_b32_e32 v87, v21, v50, vcc_lo
	s_cselect_b32 vcc_lo, -1, 0
	s_cmp_eq_u32 s2, 3
	v_cndmask_b32_e32 v87, v87, v25, vcc_lo
	;; [unrolled: 3-line block ×62, first 2 shown]
	s_cselect_b32 vcc_lo, -1, 0
	s_add_i32 s11, s4, -4
	s_cmp_eq_u32 s11, 1
	v_cndmask_b32_e32 v87, v87, v81, vcc_lo
	s_cselect_b32 s2, -1, 0
	s_cmp_eq_u32 s11, 2
	v_cndmask_b32_e64 v88, v21, v50, s2
	s_cselect_b32 s2, -1, 0
	s_cmp_eq_u32 s11, 3
	v_cndmask_b32_e64 v88, v88, v25, s2
	;; [unrolled: 3-line block ×61, first 2 shown]
	s_cselect_b32 s2, -1, 0
	s_cmp_eq_u32 s11, 63
	s_cselect_b32 vcc_lo, -1, 0
	v_cndmask_b32_e64 v88, v88, v49, s2
	v_cndmask_b32_e32 v88, v88, v81, vcc_lo
	v_add_f16_e32 v87, v87, v88
	v_add_co_u32 v88, vcc_lo, v84, v12
	v_add_co_ci_u32_e64 v89, null, v85, v13, vcc_lo
	v_add_f16_e32 v90, v87, v86
	v_mov_b32_e32 v86, 0
	v_mov_b32_e32 v87, 0
	s_and_b32 vcc_lo, exec_lo, s1
	flat_store_short v[88:89], v90
	s_cbranch_vccnz .LBB237_39
; %bb.38:                               ;   in Loop: Header=BB237_25 Depth=1
	v_add_co_u32 v87, vcc_lo, v82, v14
	v_add_co_ci_u32_e64 v88, null, v83, v15, vcc_lo
	flat_load_ushort v87, v[87:88]
	s_waitcnt vmcnt(0) lgkmcnt(0)
	v_mul_f16_e32 v87, v26, v87
.LBB237_39:                             ;   in Loop: Header=BB237_25 Depth=1
	s_add_i32 s2, s4, -3
	s_cmp_eq_u32 s2, 1
	s_cselect_b32 vcc_lo, -1, 0
	s_cmp_eq_u32 s2, 2
	v_cndmask_b32_e32 v88, v21, v50, vcc_lo
	s_cselect_b32 vcc_lo, -1, 0
	s_cmp_eq_u32 s2, 3
	v_cndmask_b32_e32 v88, v88, v25, vcc_lo
	s_cselect_b32 vcc_lo, -1, 0
	s_cmp_eq_u32 s2, 4
	v_cndmask_b32_e32 v88, v88, v51, vcc_lo
	s_cselect_b32 vcc_lo, -1, 0
	s_cmp_eq_u32 s2, 5
	v_cndmask_b32_e32 v88, v88, v30, vcc_lo
	s_cselect_b32 vcc_lo, -1, 0
	s_cmp_eq_u32 s2, 6
	v_cndmask_b32_e32 v88, v88, v52, vcc_lo
	s_cselect_b32 vcc_lo, -1, 0
	s_cmp_eq_u32 s2, 7
	v_cndmask_b32_e32 v88, v88, v34, vcc_lo
	s_cselect_b32 vcc_lo, -1, 0
	s_cmp_eq_u32 s2, 8
	v_cndmask_b32_e32 v88, v88, v53, vcc_lo
	s_cselect_b32 vcc_lo, -1, 0
	s_cmp_eq_u32 s2, 9
	v_cndmask_b32_e32 v88, v88, v38, vcc_lo
	s_cselect_b32 vcc_lo, -1, 0
	s_cmp_eq_u32 s2, 10
	v_cndmask_b32_e32 v88, v88, v54, vcc_lo
	s_cselect_b32 vcc_lo, -1, 0
	s_cmp_eq_u32 s2, 11
	v_cndmask_b32_e32 v88, v88, v42, vcc_lo
	s_cselect_b32 vcc_lo, -1, 0
	s_cmp_eq_u32 s2, 12
	v_cndmask_b32_e32 v88, v88, v55, vcc_lo
	s_cselect_b32 vcc_lo, -1, 0
	s_cmp_eq_u32 s2, 13
	v_cndmask_b32_e32 v88, v88, v46, vcc_lo
	s_cselect_b32 vcc_lo, -1, 0
	s_cmp_eq_u32 s2, 14
	v_cndmask_b32_e32 v88, v88, v56, vcc_lo
	s_cselect_b32 vcc_lo, -1, 0
	s_cmp_eq_u32 s2, 15
	v_cndmask_b32_e32 v88, v88, v18, vcc_lo
	s_cselect_b32 vcc_lo, -1, 0
	s_cmp_eq_u32 s2, 16
	v_cndmask_b32_e32 v88, v88, v57, vcc_lo
	s_cselect_b32 vcc_lo, -1, 0
	s_cmp_eq_u32 s2, 17
	v_cndmask_b32_e32 v88, v88, v22, vcc_lo
	s_cselect_b32 vcc_lo, -1, 0
	s_cmp_eq_u32 s2, 18
	v_cndmask_b32_e32 v88, v88, v58, vcc_lo
	s_cselect_b32 vcc_lo, -1, 0
	s_cmp_eq_u32 s2, 19
	v_cndmask_b32_e32 v88, v88, v27, vcc_lo
	s_cselect_b32 vcc_lo, -1, 0
	s_cmp_eq_u32 s2, 20
	v_cndmask_b32_e32 v88, v88, v59, vcc_lo
	s_cselect_b32 vcc_lo, -1, 0
	s_cmp_eq_u32 s2, 21
	v_cndmask_b32_e32 v88, v88, v31, vcc_lo
	s_cselect_b32 vcc_lo, -1, 0
	s_cmp_eq_u32 s2, 22
	v_cndmask_b32_e32 v88, v88, v60, vcc_lo
	s_cselect_b32 vcc_lo, -1, 0
	s_cmp_eq_u32 s2, 23
	v_cndmask_b32_e32 v88, v88, v35, vcc_lo
	s_cselect_b32 vcc_lo, -1, 0
	s_cmp_eq_u32 s2, 24
	v_cndmask_b32_e32 v88, v88, v61, vcc_lo
	s_cselect_b32 vcc_lo, -1, 0
	s_cmp_eq_u32 s2, 25
	v_cndmask_b32_e32 v88, v88, v39, vcc_lo
	s_cselect_b32 vcc_lo, -1, 0
	s_cmp_eq_u32 s2, 26
	v_cndmask_b32_e32 v88, v88, v62, vcc_lo
	s_cselect_b32 vcc_lo, -1, 0
	s_cmp_eq_u32 s2, 27
	v_cndmask_b32_e32 v88, v88, v43, vcc_lo
	s_cselect_b32 vcc_lo, -1, 0
	s_cmp_eq_u32 s2, 28
	v_cndmask_b32_e32 v88, v88, v63, vcc_lo
	s_cselect_b32 vcc_lo, -1, 0
	s_cmp_eq_u32 s2, 29
	v_cndmask_b32_e32 v88, v88, v0, vcc_lo
	s_cselect_b32 vcc_lo, -1, 0
	s_cmp_eq_u32 s2, 30
	v_cndmask_b32_e32 v88, v88, v64, vcc_lo
	s_cselect_b32 vcc_lo, -1, 0
	s_cmp_eq_u32 s2, 31
	v_cndmask_b32_e32 v88, v88, v19, vcc_lo
	s_cselect_b32 vcc_lo, -1, 0
	s_cmp_eq_u32 s2, 32
	v_cndmask_b32_e32 v88, v88, v65, vcc_lo
	s_cselect_b32 vcc_lo, -1, 0
	s_cmp_eq_u32 s2, 33
	v_cndmask_b32_e32 v88, v88, v23, vcc_lo
	s_cselect_b32 vcc_lo, -1, 0
	s_cmp_eq_u32 s2, 34
	v_cndmask_b32_e32 v88, v88, v66, vcc_lo
	s_cselect_b32 vcc_lo, -1, 0
	s_cmp_eq_u32 s2, 35
	v_cndmask_b32_e32 v88, v88, v28, vcc_lo
	s_cselect_b32 vcc_lo, -1, 0
	s_cmp_eq_u32 s2, 36
	v_cndmask_b32_e32 v88, v88, v67, vcc_lo
	s_cselect_b32 vcc_lo, -1, 0
	s_cmp_eq_u32 s2, 37
	v_cndmask_b32_e32 v88, v88, v32, vcc_lo
	s_cselect_b32 vcc_lo, -1, 0
	s_cmp_eq_u32 s2, 38
	v_cndmask_b32_e32 v88, v88, v68, vcc_lo
	s_cselect_b32 vcc_lo, -1, 0
	s_cmp_eq_u32 s2, 39
	v_cndmask_b32_e32 v88, v88, v36, vcc_lo
	s_cselect_b32 vcc_lo, -1, 0
	s_cmp_eq_u32 s2, 40
	v_cndmask_b32_e32 v88, v88, v69, vcc_lo
	s_cselect_b32 vcc_lo, -1, 0
	s_cmp_eq_u32 s2, 41
	v_cndmask_b32_e32 v88, v88, v40, vcc_lo
	s_cselect_b32 vcc_lo, -1, 0
	s_cmp_eq_u32 s2, 42
	v_cndmask_b32_e32 v88, v88, v70, vcc_lo
	s_cselect_b32 vcc_lo, -1, 0
	s_cmp_eq_u32 s2, 43
	v_cndmask_b32_e32 v88, v88, v44, vcc_lo
	s_cselect_b32 vcc_lo, -1, 0
	s_cmp_eq_u32 s2, 44
	v_cndmask_b32_e32 v88, v88, v71, vcc_lo
	s_cselect_b32 vcc_lo, -1, 0
	s_cmp_eq_u32 s2, 45
	v_cndmask_b32_e32 v88, v88, v47, vcc_lo
	s_cselect_b32 vcc_lo, -1, 0
	s_cmp_eq_u32 s2, 46
	v_cndmask_b32_e32 v88, v88, v72, vcc_lo
	s_cselect_b32 vcc_lo, -1, 0
	s_cmp_eq_u32 s2, 47
	v_cndmask_b32_e32 v88, v88, v20, vcc_lo
	s_cselect_b32 vcc_lo, -1, 0
	s_cmp_eq_u32 s2, 48
	v_cndmask_b32_e32 v88, v88, v73, vcc_lo
	s_cselect_b32 vcc_lo, -1, 0
	s_cmp_eq_u32 s2, 49
	v_cndmask_b32_e32 v88, v88, v24, vcc_lo
	s_cselect_b32 vcc_lo, -1, 0
	s_cmp_eq_u32 s2, 50
	v_cndmask_b32_e32 v88, v88, v74, vcc_lo
	s_cselect_b32 vcc_lo, -1, 0
	s_cmp_eq_u32 s2, 51
	v_cndmask_b32_e32 v88, v88, v29, vcc_lo
	s_cselect_b32 vcc_lo, -1, 0
	s_cmp_eq_u32 s2, 52
	v_cndmask_b32_e32 v88, v88, v75, vcc_lo
	s_cselect_b32 vcc_lo, -1, 0
	s_cmp_eq_u32 s2, 53
	v_cndmask_b32_e32 v88, v88, v33, vcc_lo
	s_cselect_b32 vcc_lo, -1, 0
	s_cmp_eq_u32 s2, 54
	v_cndmask_b32_e32 v88, v88, v76, vcc_lo
	s_cselect_b32 vcc_lo, -1, 0
	s_cmp_eq_u32 s2, 55
	v_cndmask_b32_e32 v88, v88, v37, vcc_lo
	s_cselect_b32 vcc_lo, -1, 0
	s_cmp_eq_u32 s2, 56
	v_cndmask_b32_e32 v88, v88, v77, vcc_lo
	s_cselect_b32 vcc_lo, -1, 0
	s_cmp_eq_u32 s2, 57
	v_cndmask_b32_e32 v88, v88, v41, vcc_lo
	s_cselect_b32 vcc_lo, -1, 0
	s_cmp_eq_u32 s2, 58
	v_cndmask_b32_e32 v88, v88, v78, vcc_lo
	s_cselect_b32 vcc_lo, -1, 0
	s_cmp_eq_u32 s2, 59
	v_cndmask_b32_e32 v88, v88, v45, vcc_lo
	s_cselect_b32 vcc_lo, -1, 0
	s_cmp_eq_u32 s2, 60
	v_cndmask_b32_e32 v88, v88, v79, vcc_lo
	s_cselect_b32 vcc_lo, -1, 0
	s_cmp_eq_u32 s2, 61
	v_cndmask_b32_e32 v88, v88, v48, vcc_lo
	s_cselect_b32 vcc_lo, -1, 0
	s_cmp_eq_u32 s2, 62
	v_cndmask_b32_e32 v88, v88, v80, vcc_lo
	s_cselect_b32 vcc_lo, -1, 0
	s_cmp_eq_u32 s2, 63
	v_cndmask_b32_e32 v88, v88, v49, vcc_lo
	s_cselect_b32 vcc_lo, -1, 0
	s_add_i32 s11, s4, -2
	s_cmp_eq_u32 s11, 1
	v_cndmask_b32_e32 v88, v88, v81, vcc_lo
	s_cselect_b32 s2, -1, 0
	s_cmp_eq_u32 s11, 2
	v_cndmask_b32_e64 v89, v21, v50, s2
	s_cselect_b32 s2, -1, 0
	s_cmp_eq_u32 s11, 3
	v_cndmask_b32_e64 v89, v89, v25, s2
	;; [unrolled: 3-line block ×61, first 2 shown]
	s_cselect_b32 s2, -1, 0
	s_cmp_eq_u32 s11, 63
	s_cselect_b32 vcc_lo, -1, 0
	v_cndmask_b32_e64 v89, v89, v49, s2
	v_cndmask_b32_e32 v89, v89, v81, vcc_lo
	v_add_f16_e32 v88, v88, v89
	v_add_f16_e32 v89, v88, v87
	v_add_co_u32 v87, vcc_lo, v84, v14
	v_add_co_ci_u32_e64 v88, null, v85, v15, vcc_lo
	s_and_b32 vcc_lo, exec_lo, s1
	flat_store_short v[87:88], v89
	s_cbranch_vccnz .LBB237_24
; %bb.40:                               ;   in Loop: Header=BB237_25 Depth=1
	v_add_co_u32 v82, vcc_lo, v82, v16
	v_add_co_ci_u32_e64 v83, null, v83, v17, vcc_lo
	flat_load_ushort v82, v[82:83]
	s_waitcnt vmcnt(0) lgkmcnt(0)
	v_mul_f16_e32 v86, v26, v82
	s_branch .LBB237_24
.LBB237_41:
	s_endpgm
	.section	.rodata,"a",@progbits
	.p2align	6, 0x0
	.amdhsa_kernel _ZN12_GLOBAL__N_120geam_min_plus_kernelIDF16_Dv2_DF16_S1_Li8ELi32ELi64ELi128ELi4ELi4ELi64ELi4ELi64ELc84ELc78ELb0ELb0ELb0EPKDF16_KS3_KPDF16_EEviiiT16_PT17_ilS9_ilS7_S9_ilPT18_ili26rocblas_geam_ex_operation_
		.amdhsa_group_segment_fixed_size 3072
		.amdhsa_private_segment_fixed_size 0
		.amdhsa_kernarg_size 136
		.amdhsa_user_sgpr_count 6
		.amdhsa_user_sgpr_private_segment_buffer 1
		.amdhsa_user_sgpr_dispatch_ptr 0
		.amdhsa_user_sgpr_queue_ptr 0
		.amdhsa_user_sgpr_kernarg_segment_ptr 1
		.amdhsa_user_sgpr_dispatch_id 0
		.amdhsa_user_sgpr_flat_scratch_init 0
		.amdhsa_user_sgpr_private_segment_size 0
		.amdhsa_wavefront_size32 1
		.amdhsa_uses_dynamic_stack 0
		.amdhsa_system_sgpr_private_segment_wavefront_offset 0
		.amdhsa_system_sgpr_workgroup_id_x 1
		.amdhsa_system_sgpr_workgroup_id_y 0
		.amdhsa_system_sgpr_workgroup_id_z 1
		.amdhsa_system_sgpr_workgroup_info 0
		.amdhsa_system_vgpr_workitem_id 1
		.amdhsa_next_free_vgpr 124
		.amdhsa_next_free_sgpr 26
		.amdhsa_reserve_vcc 1
		.amdhsa_reserve_flat_scratch 0
		.amdhsa_float_round_mode_32 0
		.amdhsa_float_round_mode_16_64 0
		.amdhsa_float_denorm_mode_32 3
		.amdhsa_float_denorm_mode_16_64 3
		.amdhsa_dx10_clamp 1
		.amdhsa_ieee_mode 1
		.amdhsa_fp16_overflow 0
		.amdhsa_workgroup_processor_mode 1
		.amdhsa_memory_ordered 1
		.amdhsa_forward_progress 1
		.amdhsa_shared_vgpr_count 0
		.amdhsa_exception_fp_ieee_invalid_op 0
		.amdhsa_exception_fp_denorm_src 0
		.amdhsa_exception_fp_ieee_div_zero 0
		.amdhsa_exception_fp_ieee_overflow 0
		.amdhsa_exception_fp_ieee_underflow 0
		.amdhsa_exception_fp_ieee_inexact 0
		.amdhsa_exception_int_div_zero 0
	.end_amdhsa_kernel
	.section	.text._ZN12_GLOBAL__N_120geam_min_plus_kernelIDF16_Dv2_DF16_S1_Li8ELi32ELi64ELi128ELi4ELi4ELi64ELi4ELi64ELc84ELc78ELb0ELb0ELb0EPKDF16_KS3_KPDF16_EEviiiT16_PT17_ilS9_ilS7_S9_ilPT18_ili26rocblas_geam_ex_operation_,"axG",@progbits,_ZN12_GLOBAL__N_120geam_min_plus_kernelIDF16_Dv2_DF16_S1_Li8ELi32ELi64ELi128ELi4ELi4ELi64ELi4ELi64ELc84ELc78ELb0ELb0ELb0EPKDF16_KS3_KPDF16_EEviiiT16_PT17_ilS9_ilS7_S9_ilPT18_ili26rocblas_geam_ex_operation_,comdat
.Lfunc_end237:
	.size	_ZN12_GLOBAL__N_120geam_min_plus_kernelIDF16_Dv2_DF16_S1_Li8ELi32ELi64ELi128ELi4ELi4ELi64ELi4ELi64ELc84ELc78ELb0ELb0ELb0EPKDF16_KS3_KPDF16_EEviiiT16_PT17_ilS9_ilS7_S9_ilPT18_ili26rocblas_geam_ex_operation_, .Lfunc_end237-_ZN12_GLOBAL__N_120geam_min_plus_kernelIDF16_Dv2_DF16_S1_Li8ELi32ELi64ELi128ELi4ELi4ELi64ELi4ELi64ELc84ELc78ELb0ELb0ELb0EPKDF16_KS3_KPDF16_EEviiiT16_PT17_ilS9_ilS7_S9_ilPT18_ili26rocblas_geam_ex_operation_
                                        ; -- End function
	.set _ZN12_GLOBAL__N_120geam_min_plus_kernelIDF16_Dv2_DF16_S1_Li8ELi32ELi64ELi128ELi4ELi4ELi64ELi4ELi64ELc84ELc78ELb0ELb0ELb0EPKDF16_KS3_KPDF16_EEviiiT16_PT17_ilS9_ilS7_S9_ilPT18_ili26rocblas_geam_ex_operation_.num_vgpr, 124
	.set _ZN12_GLOBAL__N_120geam_min_plus_kernelIDF16_Dv2_DF16_S1_Li8ELi32ELi64ELi128ELi4ELi4ELi64ELi4ELi64ELc84ELc78ELb0ELb0ELb0EPKDF16_KS3_KPDF16_EEviiiT16_PT17_ilS9_ilS7_S9_ilPT18_ili26rocblas_geam_ex_operation_.num_agpr, 0
	.set _ZN12_GLOBAL__N_120geam_min_plus_kernelIDF16_Dv2_DF16_S1_Li8ELi32ELi64ELi128ELi4ELi4ELi64ELi4ELi64ELc84ELc78ELb0ELb0ELb0EPKDF16_KS3_KPDF16_EEviiiT16_PT17_ilS9_ilS7_S9_ilPT18_ili26rocblas_geam_ex_operation_.numbered_sgpr, 26
	.set _ZN12_GLOBAL__N_120geam_min_plus_kernelIDF16_Dv2_DF16_S1_Li8ELi32ELi64ELi128ELi4ELi4ELi64ELi4ELi64ELc84ELc78ELb0ELb0ELb0EPKDF16_KS3_KPDF16_EEviiiT16_PT17_ilS9_ilS7_S9_ilPT18_ili26rocblas_geam_ex_operation_.num_named_barrier, 0
	.set _ZN12_GLOBAL__N_120geam_min_plus_kernelIDF16_Dv2_DF16_S1_Li8ELi32ELi64ELi128ELi4ELi4ELi64ELi4ELi64ELc84ELc78ELb0ELb0ELb0EPKDF16_KS3_KPDF16_EEviiiT16_PT17_ilS9_ilS7_S9_ilPT18_ili26rocblas_geam_ex_operation_.private_seg_size, 0
	.set _ZN12_GLOBAL__N_120geam_min_plus_kernelIDF16_Dv2_DF16_S1_Li8ELi32ELi64ELi128ELi4ELi4ELi64ELi4ELi64ELc84ELc78ELb0ELb0ELb0EPKDF16_KS3_KPDF16_EEviiiT16_PT17_ilS9_ilS7_S9_ilPT18_ili26rocblas_geam_ex_operation_.uses_vcc, 1
	.set _ZN12_GLOBAL__N_120geam_min_plus_kernelIDF16_Dv2_DF16_S1_Li8ELi32ELi64ELi128ELi4ELi4ELi64ELi4ELi64ELc84ELc78ELb0ELb0ELb0EPKDF16_KS3_KPDF16_EEviiiT16_PT17_ilS9_ilS7_S9_ilPT18_ili26rocblas_geam_ex_operation_.uses_flat_scratch, 0
	.set _ZN12_GLOBAL__N_120geam_min_plus_kernelIDF16_Dv2_DF16_S1_Li8ELi32ELi64ELi128ELi4ELi4ELi64ELi4ELi64ELc84ELc78ELb0ELb0ELb0EPKDF16_KS3_KPDF16_EEviiiT16_PT17_ilS9_ilS7_S9_ilPT18_ili26rocblas_geam_ex_operation_.has_dyn_sized_stack, 0
	.set _ZN12_GLOBAL__N_120geam_min_plus_kernelIDF16_Dv2_DF16_S1_Li8ELi32ELi64ELi128ELi4ELi4ELi64ELi4ELi64ELc84ELc78ELb0ELb0ELb0EPKDF16_KS3_KPDF16_EEviiiT16_PT17_ilS9_ilS7_S9_ilPT18_ili26rocblas_geam_ex_operation_.has_recursion, 0
	.set _ZN12_GLOBAL__N_120geam_min_plus_kernelIDF16_Dv2_DF16_S1_Li8ELi32ELi64ELi128ELi4ELi4ELi64ELi4ELi64ELc84ELc78ELb0ELb0ELb0EPKDF16_KS3_KPDF16_EEviiiT16_PT17_ilS9_ilS7_S9_ilPT18_ili26rocblas_geam_ex_operation_.has_indirect_call, 0
	.section	.AMDGPU.csdata,"",@progbits
; Kernel info:
; codeLenInByte = 21968
; TotalNumSgprs: 28
; NumVgprs: 124
; ScratchSize: 0
; MemoryBound: 0
; FloatMode: 240
; IeeeMode: 1
; LDSByteSize: 3072 bytes/workgroup (compile time only)
; SGPRBlocks: 0
; VGPRBlocks: 15
; NumSGPRsForWavesPerEU: 28
; NumVGPRsForWavesPerEU: 124
; Occupancy: 8
; WaveLimiterHint : 1
; COMPUTE_PGM_RSRC2:SCRATCH_EN: 0
; COMPUTE_PGM_RSRC2:USER_SGPR: 6
; COMPUTE_PGM_RSRC2:TRAP_HANDLER: 0
; COMPUTE_PGM_RSRC2:TGID_X_EN: 1
; COMPUTE_PGM_RSRC2:TGID_Y_EN: 0
; COMPUTE_PGM_RSRC2:TGID_Z_EN: 1
; COMPUTE_PGM_RSRC2:TIDIG_COMP_CNT: 1
	.section	.text._ZN12_GLOBAL__N_120geam_min_plus_kernelIDF16_Dv2_DF16_S1_Li8ELi32ELi64ELi128ELi4ELi4ELi64ELi4ELi64ELc84ELc78ELb1ELb0ELb0EDF16_KPKDF16_KPDF16_EEviiiT16_PT17_ilS9_ilS7_S9_ilPT18_ili26rocblas_geam_ex_operation_,"axG",@progbits,_ZN12_GLOBAL__N_120geam_min_plus_kernelIDF16_Dv2_DF16_S1_Li8ELi32ELi64ELi128ELi4ELi4ELi64ELi4ELi64ELc84ELc78ELb1ELb0ELb0EDF16_KPKDF16_KPDF16_EEviiiT16_PT17_ilS9_ilS7_S9_ilPT18_ili26rocblas_geam_ex_operation_,comdat
	.globl	_ZN12_GLOBAL__N_120geam_min_plus_kernelIDF16_Dv2_DF16_S1_Li8ELi32ELi64ELi128ELi4ELi4ELi64ELi4ELi64ELc84ELc78ELb1ELb0ELb0EDF16_KPKDF16_KPDF16_EEviiiT16_PT17_ilS9_ilS7_S9_ilPT18_ili26rocblas_geam_ex_operation_ ; -- Begin function _ZN12_GLOBAL__N_120geam_min_plus_kernelIDF16_Dv2_DF16_S1_Li8ELi32ELi64ELi128ELi4ELi4ELi64ELi4ELi64ELc84ELc78ELb1ELb0ELb0EDF16_KPKDF16_KPDF16_EEviiiT16_PT17_ilS9_ilS7_S9_ilPT18_ili26rocblas_geam_ex_operation_
	.p2align	8
	.type	_ZN12_GLOBAL__N_120geam_min_plus_kernelIDF16_Dv2_DF16_S1_Li8ELi32ELi64ELi128ELi4ELi4ELi64ELi4ELi64ELc84ELc78ELb1ELb0ELb0EDF16_KPKDF16_KPDF16_EEviiiT16_PT17_ilS9_ilS7_S9_ilPT18_ili26rocblas_geam_ex_operation_,@function
_ZN12_GLOBAL__N_120geam_min_plus_kernelIDF16_Dv2_DF16_S1_Li8ELi32ELi64ELi128ELi4ELi4ELi64ELi4ELi64ELc84ELc78ELb1ELb0ELb0EDF16_KPKDF16_KPDF16_EEviiiT16_PT17_ilS9_ilS7_S9_ilPT18_ili26rocblas_geam_ex_operation_: ; @_ZN12_GLOBAL__N_120geam_min_plus_kernelIDF16_Dv2_DF16_S1_Li8ELi32ELi64ELi128ELi4ELi4ELi64ELi4ELi64ELc84ELc78ELb1ELb0ELb0EDF16_KPKDF16_KPDF16_EEviiiT16_PT17_ilS9_ilS7_S9_ilPT18_ili26rocblas_geam_ex_operation_
; %bb.0:
	s_clause 0x1
	s_load_dwordx2 s[10:11], s[4:5], 0x8
	s_load_dwordx4 s[0:3], s[4:5], 0x20
	s_mov_b32 s16, s7
	s_mov_b32 s17, 0
	s_waitcnt lgkmcnt(0)
	v_cmp_eq_f16_e64 s7, s11, 0
	s_and_b32 vcc_lo, exec_lo, s7
	s_cbranch_vccnz .LBB238_3
; %bb.1:
	s_load_dwordx2 s[8:9], s[4:5], 0x10
	s_lshl_b64 s[12:13], s[16:17], 3
	s_waitcnt lgkmcnt(0)
	s_add_u32 s8, s8, s12
	s_addc_u32 s9, s9, s13
	s_lshl_b64 s[0:1], s[0:1], 1
	s_load_dwordx2 s[8:9], s[8:9], 0x0
	s_waitcnt lgkmcnt(0)
	s_add_u32 s14, s8, s0
	s_addc_u32 s15, s9, s1
	s_andn2_b32 vcc_lo, exec_lo, s7
	s_cbranch_vccnz .LBB238_4
.LBB238_2:
	s_mov_b32 s19, 0
	s_mov_b32 s18, s16
	;; [unrolled: 1-line block ×3, first 2 shown]
	s_mov_b64 s[8:9], 0
	s_andn2_b32 vcc_lo, exec_lo, s0
	s_mov_b64 s[12:13], 0
	s_cbranch_vccz .LBB238_5
	s_branch .LBB238_6
.LBB238_3:
	s_mov_b64 s[14:15], 0
	s_andn2_b32 vcc_lo, exec_lo, s7
	s_cbranch_vccz .LBB238_2
.LBB238_4:
	s_mov_b64 s[18:19], s[16:17]
	s_mov_b64 s[8:9], 0
	;; [unrolled: 1-line block ×3, first 2 shown]
.LBB238_5:
	s_lshl_b64 s[0:1], s[16:17], 3
	s_load_dwordx2 s[12:13], s[4:5], 0x38
	s_add_u32 s0, s2, s0
	s_addc_u32 s1, s3, s1
	s_load_dwordx2 s[0:1], s[0:1], 0x0
	s_waitcnt lgkmcnt(0)
	s_lshl_b64 s[2:3], s[12:13], 1
	s_add_u32 s12, s0, s2
	s_addc_u32 s13, s1, s3
.LBB238_6:
	s_clause 0x1
	s_load_dword s7, s[4:5], 0x40
	s_load_dwordx4 s[0:3], s[4:5], 0x58
	s_waitcnt lgkmcnt(0)
	v_cmp_eq_f16_e64 s11, s7, 0
	s_and_b32 vcc_lo, exec_lo, s11
	s_cbranch_vccnz .LBB238_8
; %bb.7:
	s_load_dwordx2 s[8:9], s[4:5], 0x48
	s_lshl_b64 s[16:17], s[18:19], 3
	s_waitcnt lgkmcnt(0)
	s_add_u32 s8, s8, s16
	s_addc_u32 s9, s9, s17
	s_lshl_b64 s[0:1], s[0:1], 1
	s_load_dwordx2 s[8:9], s[8:9], 0x0
	s_waitcnt lgkmcnt(0)
	s_add_u32 s8, s8, s0
	s_addc_u32 s9, s9, s1
.LBB238_8:
	s_load_dword s11, s[4:5], 0x0
	s_lshl_b64 s[0:1], s[18:19], 3
	s_clause 0x1
	s_load_dword s17, s[4:5], 0x18
	s_load_dword s18, s[4:5], 0x30
	s_add_u32 s0, s2, s0
	s_addc_u32 s1, s3, s1
	v_lshlrev_b32_e32 v8, 3, v1
	v_and_b32_e32 v5, 3, v0
	v_lshlrev_b32_e32 v10, 1, v5
	s_waitcnt lgkmcnt(0)
	s_add_i32 s2, s11, -1
	s_ashr_i32 s3, s2, 31
	s_lshr_b32 s3, s3, 26
	s_add_i32 s2, s2, s3
	s_ashr_i32 s2, s2, 6
	s_add_i32 s3, s2, 1
	s_not_b32 s2, s2
	v_cvt_f32_u32_e32 v2, s3
	v_rcp_iflag_f32_e32 v2, v2
	v_mul_f32_e32 v2, 0x4f7ffffe, v2
	v_cvt_u32_f32_e32 v2, v2
	v_readfirstlane_b32 s11, v2
	v_add_nc_u32_e32 v2, v8, v0
	s_mul_i32 s2, s2, s11
	v_lshrrev_b32_e32 v17, 2, v2
	s_mul_hi_u32 s2, s11, s2
	s_add_i32 s11, s11, s2
	s_mul_hi_u32 s2, s6, s11
	s_mul_i32 s11, s2, s3
	s_add_i32 s16, s2, 1
	s_sub_i32 s11, s6, s11
	s_sub_i32 s19, s11, s3
	s_cmp_ge_u32 s11, s3
	s_cselect_b32 s2, s16, s2
	s_cselect_b32 s11, s19, s11
	s_add_i32 s16, s2, 1
	s_cmp_ge_u32 s11, s3
	s_cselect_b32 s2, s16, s2
	s_mul_i32 s3, s2, s3
	s_lshl_b32 s11, s2, 7
	s_sub_i32 s2, s6, s3
	v_add_nc_u32_e32 v4, s11, v17
	s_lshl_b32 s16, s2, 6
	v_add_co_u32 v9, s2, s12, v10
	v_add_nc_u32_e32 v6, s16, v17
	v_mad_i64_i32 v[2:3], null, v4, s18, 0
	v_add_nc_u32_e32 v7, 64, v4
	v_add_co_ci_u32_e64 v14, null, s13, 0, s2
	v_mad_i64_i32 v[4:5], null, v6, s17, 0
	v_mad_i64_i32 v[6:7], null, v7, s18, 0
	v_lshlrev_b64 v[2:3], 1, v[2:3]
	s_cmp_lt_i32 s10, 9
	v_lshlrev_b64 v[11:12], 1, v[4:5]
	v_lshlrev_b64 v[4:5], 1, v[6:7]
	v_add_co_u32 v6, vcc_lo, v9, v2
	v_add_co_ci_u32_e64 v7, null, v14, v3, vcc_lo
	v_add_co_u32 v11, vcc_lo, s14, v11
	v_add_co_ci_u32_e64 v12, null, s15, v12, vcc_lo
	;; [unrolled: 2-line block ×4, first 2 shown]
	s_clause 0x1
	flat_load_ushort v18, v[6:7]
	flat_load_ushort v19, v[13:14]
	s_clause 0x1
	flat_load_ushort v20, v[15:16]
	flat_load_ushort v38, v[15:16] offset:8
	s_clause 0x1
	flat_load_ushort v46, v[13:14] offset:8
	flat_load_ushort v6, v[6:7] offset:8
	v_lshlrev_b32_e32 v9, 3, v0
	v_lshl_or_b32 v13, v17, 3, v10
	s_load_dwordx2 s[0:1], s[0:1], 0x0
	s_waitcnt vmcnt(5) lgkmcnt(0)
	ds_write_b16 v13, v18
	s_waitcnt vmcnt(4)
	ds_write_b16 v13, v19 offset:512
	s_waitcnt vmcnt(3)
	ds_write_b16 v13, v20 offset:2048
	v_add_nc_u32_e32 v7, 0x800, v9
	s_waitcnt vmcnt(0) lgkmcnt(0)
	s_barrier
	buffer_gl0_inv
	ds_read2_b64 v[14:17], v8 offset1:32
	ds_read2_b64 v[18:21], v7 offset0:48 offset1:56
	ds_read2_b64 v[22:25], v8 offset0:64 offset1:96
	ds_read2_b64 v[26:29], v7 offset1:8
	ds_read2_b64 v[30:33], v7 offset0:16 offset1:24
	ds_read2_b64 v[34:37], v7 offset0:32 offset1:40
	ds_write_b16 v13, v38 offset:2560
	ds_write_b16 v13, v6 offset:1024
	;; [unrolled: 1-line block ×3, first 2 shown]
	s_waitcnt lgkmcnt(0)
	s_barrier
	buffer_gl0_inv
	v_pk_max_f16 v6, v14, v14
	v_pk_max_f16 v7, v20, v20
	v_pk_max_f16 v14, v16, v16
	v_pk_max_f16 v16, v22, v22
	v_pk_max_f16 v20, v26, v26
	v_pk_max_f16 v22, v24, v24
	v_pk_max_f16 v24, v28, v28
	v_pk_max_f16 v26, v30, v30
	v_pk_max_f16 v28, v32, v32
	v_pk_max_f16 v30, v34, v34
	v_pk_max_f16 v32, v36, v36
	v_pk_max_f16 v18, v18, v18
	v_pk_max_f16 v15, v15, v15
	v_pk_max_f16 v21, v21, v21
	v_pk_max_f16 v17, v17, v17
	v_pk_max_f16 v23, v23, v23
	v_pk_max_f16 v27, v27, v27
	v_pk_max_f16 v25, v25, v25
	v_pk_max_f16 v29, v29, v29
	v_pk_max_f16 v31, v31, v31
	v_pk_max_f16 v33, v33, v33
	v_pk_max_f16 v34, v35, v35
	v_pk_max_f16 v35, v37, v37
	v_pk_max_f16 v19, v19, v19
	v_pk_min_f16 v36, v7, v6
	v_pk_min_f16 v37, v7, v14
	;; [unrolled: 1-line block ×64, first 2 shown]
	v_pk_add_f16 v19, v36, 0
	v_pk_add_f16 v21, v37, 0
	;; [unrolled: 1-line block ×64, first 2 shown]
	s_cbranch_scc1 .LBB238_11
; %bb.9:
	v_add_co_u32 v52, vcc_lo, s12, v4
	v_add_co_ci_u32_e64 v53, null, s13, v5, vcc_lo
	v_add_co_u32 v54, vcc_lo, s12, v2
	v_add_nc_u32_e32 v46, 0x800, v13
	v_or_b32_e32 v47, 0x800, v9
	v_add_nc_u32_e32 v48, 0xa00, v13
	v_add_nc_u32_e32 v49, 0x400, v13
	v_lshl_add_u32 v50, v0, 3, 0xa00
	v_lshl_add_u32 v51, v1, 3, 0x400
	v_add_co_ci_u32_e64 v55, null, s13, v3, vcc_lo
	s_add_i32 s2, s10, -8
	s_mov_b32 s3, 0
.LBB238_10:                             ; =>This Inner Loop Header: Depth=1
	v_add_co_u32 v6, vcc_lo, v54, v10
	v_add_co_ci_u32_e64 v7, null, 0, v55, vcc_lo
	v_add_co_u32 v76, vcc_lo, v11, v10
	v_add_co_ci_u32_e64 v77, null, 0, v12, vcc_lo
	;; [unrolled: 2-line block ×3, first 2 shown]
	flat_load_ushort v80, v[76:77] offset:16
	flat_load_ushort v81, v[6:7] offset:16
	flat_load_ushort v82, v[78:79] offset:16
	ds_read2_b64 v[56:59], v50 offset1:8
	ds_read2_b64 v[60:63], v50 offset0:16 offset1:24
	ds_read2_b64 v[64:67], v50 offset0:32 offset1:40
	;; [unrolled: 1-line block ×3, first 2 shown]
	ds_read2_b64 v[72:75], v51 offset1:32
	ds_read2_b64 v[2:5], v51 offset0:64 offset1:96
	v_add_co_u32 v52, vcc_lo, v52, 16
	v_add_co_ci_u32_e64 v53, null, 0, v53, vcc_lo
	v_add_co_u32 v54, vcc_lo, v54, 16
	v_add_co_ci_u32_e64 v55, null, 0, v55, vcc_lo
	;; [unrolled: 2-line block ×3, first 2 shown]
	s_add_i32 s3, s3, 8
	s_waitcnt vmcnt(2) lgkmcnt(8)
	ds_write_b16 v46, v80
	s_waitcnt vmcnt(1) lgkmcnt(8)
	ds_write_b16 v13, v81
	s_waitcnt vmcnt(0) lgkmcnt(8)
	ds_write_b16 v13, v82 offset:512
	s_waitcnt lgkmcnt(0)
	s_barrier
	buffer_gl0_inv
	flat_load_ushort v76, v[76:77] offset:24
	flat_load_ushort v6, v[6:7] offset:24
	;; [unrolled: 1-line block ×3, first 2 shown]
	v_pk_max_f16 v56, v56, v56
	v_pk_max_f16 v58, v58, v58
	v_pk_max_f16 v60, v60, v60
	v_pk_max_f16 v62, v62, v62
	v_pk_max_f16 v64, v64, v64
	v_pk_max_f16 v66, v66, v66
	v_pk_max_f16 v68, v68, v68
	v_pk_max_f16 v70, v70, v70
	v_pk_max_f16 v72, v72, v72
	v_pk_max_f16 v74, v74, v74
	v_pk_max_f16 v2, v2, v2
	v_pk_max_f16 v4, v4, v4
	v_pk_max_f16 v57, v57, v57
	v_pk_max_f16 v59, v59, v59
	v_pk_max_f16 v61, v61, v61
	v_pk_max_f16 v63, v63, v63
	v_pk_max_f16 v65, v65, v65
	v_pk_max_f16 v67, v67, v67
	v_pk_max_f16 v69, v69, v69
	v_pk_max_f16 v71, v71, v71
	v_pk_max_f16 v73, v73, v73
	v_pk_max_f16 v75, v75, v75
	v_pk_max_f16 v3, v3, v3
	v_pk_max_f16 v5, v5, v5
	v_pk_min_f16 v77, v56, v72
	v_pk_min_f16 v78, v58, v72
	;; [unrolled: 1-line block ×64, first 2 shown]
	v_pk_add_f16 v43, v43, v77
	v_pk_add_f16 v31, v31, v82
	;; [unrolled: 1-line block ×44, first 2 shown]
	ds_read2_b64 v[2:5], v8 offset1:32
	ds_read2_b64 v[14:17], v8 offset0:64 offset1:96
	ds_read2_b64 v[18:21], v47 offset1:8
	ds_read2_b64 v[22:25], v47 offset0:16 offset1:24
	ds_read2_b64 v[26:29], v47 offset0:32 offset1:40
	ds_read2_b64 v[30:33], v47 offset0:48 offset1:56
	v_pk_add_f16 v45, v45, v78
	v_pk_add_f16 v44, v44, v79
	;; [unrolled: 1-line block ×14, first 2 shown]
	s_waitcnt lgkmcnt(5)
	v_pk_max_f16 v2, v2, v2
	v_pk_max_f16 v4, v4, v4
	s_waitcnt lgkmcnt(4)
	v_pk_max_f16 v14, v14, v14
	v_pk_max_f16 v16, v16, v16
	;; [unrolled: 3-line block ×6, first 2 shown]
	v_pk_add_f16 v39, v39, v104
	v_pk_add_f16 v41, v41, v105
	;; [unrolled: 1-line block ×6, first 2 shown]
	v_pk_max_f16 v3, v3, v3
	v_pk_max_f16 v5, v5, v5
	;; [unrolled: 1-line block ×12, first 2 shown]
	v_pk_min_f16 v77, v18, v2
	v_pk_min_f16 v78, v18, v4
	;; [unrolled: 1-line block ×64, first 2 shown]
	v_pk_add_f16 v17, v38, v95
	v_pk_add_f16 v31, v66, v96
	;; [unrolled: 1-line block ×64, first 2 shown]
	s_cmp_ge_i32 s3, s2
	s_waitcnt vmcnt(2)
	ds_write_b16 v48, v76
	s_waitcnt vmcnt(1)
	ds_write_b16 v49, v6
	s_waitcnt vmcnt(0)
	ds_write_b16 v49, v7 offset:512
	s_waitcnt lgkmcnt(0)
	s_barrier
	buffer_gl0_inv
	s_cbranch_scc0 .LBB238_10
.LBB238_11:
	v_add_nc_u32_e32 v6, 0x800, v9
	s_load_dwordx2 s[2:3], s[4:5], 0x70
	v_cmp_neq_f16_e64 s6, s7, 0
	v_add_nc_u32_e32 v1, s11, v1
	ds_read2_b64 v[2:5], v8 offset0:128 offset1:160
	ds_read2_b64 v[9:12], v6 offset0:112 offset1:120
	;; [unrolled: 1-line block ×4, first 2 shown]
	s_clause 0x1
	s_load_dword s10, s[4:5], 0x50
	s_load_dword s4, s[4:5], 0x68
	ds_read2_b64 v[54:57], v6 offset0:80 offset1:88
	ds_read2_b64 v[58:61], v6 offset0:96 offset1:104
	s_waitcnt lgkmcnt(0)
	s_lshl_b64 s[2:3], s[2:3], 1
	v_pk_max_f16 v2, v2, v2
	v_pk_max_f16 v4, v4, v4
	;; [unrolled: 1-line block ×7, first 2 shown]
	v_pk_min_f16 v46, v6, v2
	v_pk_min_f16 v48, v6, v4
	;; [unrolled: 1-line block ×11, first 2 shown]
	v_pk_add_f16 v11, v26, v11
	v_pk_max_f16 v26, v54, v54
	v_pk_add_f16 v38, v38, v46
	v_pk_add_f16 v32, v32, v48
	v_pk_add_f16 v24, v24, v50
	v_pk_add_f16 v13, v30, v13
	v_pk_min_f16 v30, v26, v2
	v_pk_min_f16 v46, v26, v4
	;; [unrolled: 1-line block ×4, first 2 shown]
	v_pk_max_f16 v50, v56, v56
	v_pk_add_f16 v30, v44, v30
	v_pk_add_f16 v40, v40, v46
	v_pk_max_f16 v46, v58, v58
	v_pk_add_f16 v44, v27, v26
	v_pk_min_f16 v26, v50, v2
	v_pk_add_f16 v34, v34, v48
	v_pk_min_f16 v27, v50, v4
	v_pk_min_f16 v48, v50, v7
	;; [unrolled: 1-line block ×3, first 2 shown]
	v_pk_add_f16 v42, v42, v26
	v_pk_min_f16 v26, v46, v2
	v_pk_add_f16 v36, v36, v27
	v_pk_add_f16 v48, v29, v48
	;; [unrolled: 1-line block ×3, first 2 shown]
	v_pk_min_f16 v22, v46, v4
	v_pk_max_f16 v27, v60, v60
	v_pk_add_f16 v37, v37, v26
	v_pk_min_f16 v26, v46, v7
	v_pk_min_f16 v29, v46, v8
	v_pk_max_f16 v9, v9, v9
	v_pk_add_f16 v43, v43, v52
	v_pk_add_f16 v46, v28, v22
	v_pk_min_f16 v22, v27, v2
	v_pk_min_f16 v28, v27, v4
	v_pk_add_f16 v52, v21, v26
	v_pk_add_f16 v54, v19, v29
	v_pk_min_f16 v19, v27, v7
	v_pk_min_f16 v21, v27, v8
	;; [unrolled: 1-line block ×6, first 2 shown]
	v_pk_max_f16 v3, v3, v3
	v_pk_max_f16 v12, v12, v12
	v_pk_min_f16 v6, v6, v8
	v_pk_max_f16 v8, v47, v47
	v_pk_add_f16 v16, v16, v21
	v_pk_add_f16 v9, v15, v9
	v_pk_min_f16 v15, v12, v3
	v_pk_add_f16 v14, v14, v6
	v_pk_min_f16 v6, v12, v8
	v_pk_max_f16 v21, v51, v51
	v_pk_add_f16 v2, v25, v2
	v_pk_add_f16 v4, v20, v4
	;; [unrolled: 1-line block ×3, first 2 shown]
	v_pk_max_f16 v5, v5, v5
	v_pk_add_f16 v18, v38, v15
	v_pk_max_f16 v15, v49, v49
	v_pk_add_f16 v20, v24, v6
	v_pk_min_f16 v6, v21, v3
	v_pk_max_f16 v25, v53, v53
	v_pk_add_f16 v33, v33, v63
	v_pk_add_f16 v45, v45, v64
	;; [unrolled: 1-line block ×4, first 2 shown]
	v_pk_min_f16 v22, v21, v5
	v_pk_min_f16 v23, v21, v8
	;; [unrolled: 1-line block ×3, first 2 shown]
	v_pk_add_f16 v21, v43, v6
	v_pk_min_f16 v6, v25, v3
	v_pk_max_f16 v29, v55, v55
	v_pk_add_f16 v39, v39, v62
	v_pk_add_f16 v41, v41, v65
	;; [unrolled: 1-line block ×3, first 2 shown]
	v_pk_min_f16 v19, v12, v5
	v_pk_add_f16 v23, v33, v23
	v_pk_add_f16 v24, v11, v24
	v_pk_min_f16 v11, v25, v5
	v_pk_min_f16 v27, v25, v8
	;; [unrolled: 1-line block ×3, first 2 shown]
	v_pk_add_f16 v25, v45, v6
	v_pk_min_f16 v6, v29, v3
	v_pk_max_f16 v33, v57, v57
	v_pk_add_f16 v19, v32, v19
	v_pk_add_f16 v22, v39, v22
	;; [unrolled: 1-line block ×4, first 2 shown]
	v_pk_min_f16 v11, v29, v5
	v_pk_min_f16 v13, v29, v8
	;; [unrolled: 1-line block ×3, first 2 shown]
	v_pk_add_f16 v29, v30, v6
	v_pk_min_f16 v6, v33, v3
	v_pk_max_f16 v39, v59, v59
	v_pk_add_f16 v35, v35, v66
	v_pk_add_f16 v30, v40, v11
	;; [unrolled: 1-line block ×3, first 2 shown]
	v_pk_min_f16 v11, v33, v5
	v_pk_min_f16 v13, v33, v8
	;; [unrolled: 1-line block ×3, first 2 shown]
	v_pk_add_f16 v33, v42, v6
	v_pk_min_f16 v6, v39, v3
	v_pk_max_f16 v42, v61, v61
	v_pk_max_f16 v10, v10, v10
	v_pk_add_f16 v27, v35, v27
	v_pk_add_f16 v34, v36, v11
	;; [unrolled: 1-line block ×3, first 2 shown]
	v_pk_min_f16 v11, v39, v5
	v_pk_min_f16 v13, v39, v8
	v_pk_add_f16 v37, v37, v6
	v_pk_min_f16 v6, v42, v3
	v_pk_min_f16 v3, v10, v3
	v_pk_add_f16 v36, v50, v38
	v_pk_min_f16 v40, v39, v15
	v_pk_add_f16 v38, v46, v11
	v_pk_add_f16 v39, v52, v13
	v_pk_min_f16 v11, v42, v5
	v_pk_min_f16 v13, v42, v8
	v_pk_add_f16 v41, v56, v6
	v_pk_min_f16 v6, v42, v15
	v_pk_min_f16 v5, v10, v5
	v_pk_add_f16 v45, v2, v3
	v_pk_min_f16 v3, v10, v8
	v_add_nc_u32_e32 v2, s16, v0
	v_pk_min_f16 v8, v12, v15
	v_pk_add_f16 v32, v44, v32
	v_pk_add_f16 v44, v16, v6
	v_pk_add_f16 v0, v4, v5
	v_pk_min_f16 v5, v10, v15
	v_add_nc_u32_e32 v4, 8, v2
	v_add_nc_u32_e32 v6, 16, v2
	v_pk_add_f16 v48, v14, v8
	v_add_nc_u32_e32 v8, 24, v2
	v_add_nc_u32_e32 v10, 32, v2
	;; [unrolled: 1-line block ×5, first 2 shown]
	v_pk_add_f16 v42, v58, v11
	v_pk_add_f16 v43, v17, v13
	v_pk_add_f16 v46, v7, v3
	v_pk_add_f16 v47, v9, v5
	v_ashrrev_i32_e32 v3, 31, v2
	v_ashrrev_i32_e32 v5, 31, v4
	;; [unrolled: 1-line block ×8, first 2 shown]
	v_lshlrev_b64 v[2:3], 1, v[2:3]
	v_lshlrev_b64 v[4:5], 1, v[4:5]
	;; [unrolled: 1-line block ×8, first 2 shown]
	v_pk_add_f16 v40, v54, v40
	s_add_u32 s5, s0, s2
	s_addc_u32 s11, s1, s3
	s_mov_b64 s[2:3], 15
	s_branch .LBB238_13
.LBB238_12:                             ;   in Loop: Header=BB238_13 Depth=1
	s_add_i32 s0, s2, -1
	v_add_nc_u32_e32 v1, 32, v1
	s_cmp_eq_u32 s0, 1
	s_cselect_b32 vcc_lo, -1, 0
	s_cmp_eq_u32 s0, 2
	v_cndmask_b32_e32 v81, v21, v49, vcc_lo
	s_cselect_b32 vcc_lo, -1, 0
	s_cmp_eq_u32 s0, 3
	v_cndmask_b32_e32 v81, v81, v25, vcc_lo
	;; [unrolled: 3-line block ×62, first 2 shown]
	s_cselect_b32 vcc_lo, -1, 0
	s_cmp_eq_u32 s2, 1
	s_cselect_b32 s0, -1, 0
	s_cmp_eq_u32 s2, 2
	v_cndmask_b32_e64 v49, v21, v49, s0
	s_cselect_b32 s0, -1, 0
	s_cmp_eq_u32 s2, 3
	v_cndmask_b32_e64 v49, v49, v25, s0
	;; [unrolled: 3-line block ×3, first 2 shown]
	s_cselect_b32 s0, -1, 0
	s_cmp_eq_u32 s2, 5
	v_cndmask_b32_e32 v50, v81, v80, vcc_lo
	v_cndmask_b32_e64 v49, v49, v29, s0
	s_cselect_b32 s0, -1, 0
	s_cmp_eq_u32 s2, 6
	v_cndmask_b32_e64 v49, v49, v51, s0
	s_cselect_b32 s0, -1, 0
	s_cmp_eq_u32 s2, 7
	;; [unrolled: 3-line block ×58, first 2 shown]
	s_cselect_b32 vcc_lo, -1, 0
	v_cndmask_b32_e64 v49, v49, v48, s0
	s_add_u32 s2, s2, 16
	s_addc_u32 s3, s3, 0
	s_cmpk_lg_i32 s2, 0x4f
	v_cndmask_b32_e32 v49, v49, v80, vcc_lo
	v_add_f16_e32 v51, v50, v49
	v_add_co_u32 v49, vcc_lo, v83, v16
	v_add_co_ci_u32_e64 v50, null, v84, v17, vcc_lo
	v_add_f16_e32 v51, v51, v85
	flat_store_short v[49:50], v51
	s_cbranch_scc0 .LBB238_29
.LBB238_13:                             ; =>This Inner Loop Header: Depth=1
	v_mad_i64_i32 v[49:50], null, v1, s10, 0
	v_cndmask_b32_e64 v51, 0, 1, s6
	v_mov_b32_e32 v85, 0
	v_mov_b32_e32 v86, 0
	v_cmp_ne_u32_e64 s0, 1, v51
	v_lshlrev_b64 v[49:50], 1, v[49:50]
	v_add_co_u32 v81, vcc_lo, s8, v49
	v_add_co_ci_u32_e64 v82, null, s9, v50, vcc_lo
	s_andn2_b32 vcc_lo, exec_lo, s6
	s_cbranch_vccnz .LBB238_15
; %bb.14:                               ;   in Loop: Header=BB238_13 Depth=1
	v_add_co_u32 v49, vcc_lo, v81, v2
	v_add_co_ci_u32_e64 v50, null, v82, v3, vcc_lo
	flat_load_ushort v49, v[49:50]
	s_waitcnt vmcnt(0) lgkmcnt(0)
	v_mul_f16_e32 v86, s7, v49
.LBB238_15:                             ;   in Loop: Header=BB238_13 Depth=1
	s_add_i32 s1, s2, -15
	v_lshrrev_b32_e32 v49, 16, v21
	s_cmp_eq_u32 s1, 1
	v_lshrrev_b32_e32 v50, 16, v25
	s_cselect_b32 vcc_lo, -1, 0
	s_cmp_eq_u32 s1, 2
	v_cndmask_b32_e32 v51, v21, v49, vcc_lo
	s_cselect_b32 vcc_lo, -1, 0
	s_cmp_eq_u32 s1, 3
	v_cndmask_b32_e32 v51, v51, v25, vcc_lo
	;; [unrolled: 3-line block ×3, first 2 shown]
	s_cselect_b32 vcc_lo, -1, 0
	v_lshrrev_b32_e32 v51, 16, v29
	s_cmp_eq_u32 s1, 5
	v_cndmask_b32_e32 v52, v52, v29, vcc_lo
	s_cselect_b32 vcc_lo, -1, 0
	s_cmp_eq_u32 s1, 6
	v_cndmask_b32_e32 v53, v52, v51, vcc_lo
	s_cselect_b32 vcc_lo, -1, 0
	v_lshrrev_b32_e32 v52, 16, v33
	s_cmp_eq_u32 s1, 7
	v_cndmask_b32_e32 v53, v53, v33, vcc_lo
	s_cselect_b32 vcc_lo, -1, 0
	s_cmp_eq_u32 s1, 8
	v_cndmask_b32_e32 v54, v53, v52, vcc_lo
	;; [unrolled: 7-line block ×29, first 2 shown]
	s_cselect_b32 vcc_lo, -1, 0
	s_cmp_eq_u32 s1, 63
	v_lshrrev_b32_e32 v80, 16, v48
	v_cndmask_b32_e32 v87, v83, v48, vcc_lo
	s_cselect_b32 vcc_lo, -1, 0
	s_add_i32 s12, s2, -14
	s_cmp_eq_u32 s12, 1
	v_cndmask_b32_e32 v87, v87, v80, vcc_lo
	s_cselect_b32 s1, -1, 0
	s_cmp_eq_u32 s12, 2
	v_cndmask_b32_e64 v83, v21, v49, s1
	s_cselect_b32 s1, -1, 0
	s_cmp_eq_u32 s12, 3
	v_cndmask_b32_e64 v83, v83, v25, s1
	;; [unrolled: 3-line block ×61, first 2 shown]
	v_mad_i64_i32 v[83:84], null, v1, s4, 0
	s_cselect_b32 s1, -1, 0
	s_cmp_eq_u32 s12, 63
	v_cndmask_b32_e64 v88, v88, v48, s1
	s_cselect_b32 vcc_lo, -1, 0
	v_lshlrev_b64 v[83:84], 1, v[83:84]
	v_cndmask_b32_e32 v88, v88, v80, vcc_lo
	v_add_co_u32 v83, vcc_lo, s5, v83
	v_add_f16_e32 v87, v87, v88
	v_add_co_ci_u32_e64 v84, null, s11, v84, vcc_lo
	v_add_f16_e32 v88, v87, v86
	v_add_co_u32 v86, vcc_lo, v83, v2
	v_add_co_ci_u32_e64 v87, null, v84, v3, vcc_lo
	s_and_b32 vcc_lo, exec_lo, s0
	flat_store_short v[86:87], v88
	s_cbranch_vccnz .LBB238_17
; %bb.16:                               ;   in Loop: Header=BB238_13 Depth=1
	v_add_co_u32 v85, vcc_lo, v81, v4
	v_add_co_ci_u32_e64 v86, null, v82, v5, vcc_lo
	flat_load_ushort v85, v[85:86]
	s_waitcnt vmcnt(0) lgkmcnt(0)
	v_mul_f16_e32 v85, s7, v85
.LBB238_17:                             ;   in Loop: Header=BB238_13 Depth=1
	s_add_i32 s1, s2, -13
	s_cmp_eq_u32 s1, 1
	s_cselect_b32 vcc_lo, -1, 0
	s_cmp_eq_u32 s1, 2
	v_cndmask_b32_e32 v86, v21, v49, vcc_lo
	s_cselect_b32 vcc_lo, -1, 0
	s_cmp_eq_u32 s1, 3
	v_cndmask_b32_e32 v86, v86, v25, vcc_lo
	;; [unrolled: 3-line block ×62, first 2 shown]
	s_cselect_b32 vcc_lo, -1, 0
	s_add_i32 s12, s2, -12
	s_cmp_eq_u32 s12, 1
	v_cndmask_b32_e32 v86, v86, v80, vcc_lo
	s_cselect_b32 s1, -1, 0
	s_cmp_eq_u32 s12, 2
	v_cndmask_b32_e64 v87, v21, v49, s1
	s_cselect_b32 s1, -1, 0
	s_cmp_eq_u32 s12, 3
	v_cndmask_b32_e64 v87, v87, v25, s1
	;; [unrolled: 3-line block ×61, first 2 shown]
	s_cselect_b32 s1, -1, 0
	s_cmp_eq_u32 s12, 63
	s_cselect_b32 vcc_lo, -1, 0
	v_cndmask_b32_e64 v87, v87, v48, s1
	v_cndmask_b32_e32 v87, v87, v80, vcc_lo
	v_add_f16_e32 v86, v86, v87
	v_add_co_u32 v87, vcc_lo, v83, v4
	v_add_co_ci_u32_e64 v88, null, v84, v5, vcc_lo
	v_add_f16_e32 v89, v86, v85
	v_mov_b32_e32 v85, 0
	v_mov_b32_e32 v86, 0
	s_and_b32 vcc_lo, exec_lo, s0
	flat_store_short v[87:88], v89
	s_cbranch_vccnz .LBB238_19
; %bb.18:                               ;   in Loop: Header=BB238_13 Depth=1
	v_add_co_u32 v86, vcc_lo, v81, v6
	v_add_co_ci_u32_e64 v87, null, v82, v7, vcc_lo
	flat_load_ushort v86, v[86:87]
	s_waitcnt vmcnt(0) lgkmcnt(0)
	v_mul_f16_e32 v86, s7, v86
.LBB238_19:                             ;   in Loop: Header=BB238_13 Depth=1
	s_add_i32 s1, s2, -11
	s_cmp_eq_u32 s1, 1
	s_cselect_b32 vcc_lo, -1, 0
	s_cmp_eq_u32 s1, 2
	v_cndmask_b32_e32 v87, v21, v49, vcc_lo
	s_cselect_b32 vcc_lo, -1, 0
	s_cmp_eq_u32 s1, 3
	v_cndmask_b32_e32 v87, v87, v25, vcc_lo
	;; [unrolled: 3-line block ×62, first 2 shown]
	s_cselect_b32 vcc_lo, -1, 0
	s_add_i32 s12, s2, -10
	s_cmp_eq_u32 s12, 1
	v_cndmask_b32_e32 v87, v87, v80, vcc_lo
	s_cselect_b32 s1, -1, 0
	s_cmp_eq_u32 s12, 2
	v_cndmask_b32_e64 v88, v21, v49, s1
	s_cselect_b32 s1, -1, 0
	s_cmp_eq_u32 s12, 3
	v_cndmask_b32_e64 v88, v88, v25, s1
	;; [unrolled: 3-line block ×61, first 2 shown]
	s_cselect_b32 s1, -1, 0
	s_cmp_eq_u32 s12, 63
	s_cselect_b32 vcc_lo, -1, 0
	v_cndmask_b32_e64 v88, v88, v48, s1
	v_cndmask_b32_e32 v88, v88, v80, vcc_lo
	v_add_f16_e32 v87, v87, v88
	v_add_f16_e32 v88, v87, v86
	v_add_co_u32 v86, vcc_lo, v83, v6
	v_add_co_ci_u32_e64 v87, null, v84, v7, vcc_lo
	s_and_b32 vcc_lo, exec_lo, s0
	flat_store_short v[86:87], v88
	s_cbranch_vccnz .LBB238_21
; %bb.20:                               ;   in Loop: Header=BB238_13 Depth=1
	v_add_co_u32 v85, vcc_lo, v81, v8
	v_add_co_ci_u32_e64 v86, null, v82, v9, vcc_lo
	flat_load_ushort v85, v[85:86]
	s_waitcnt vmcnt(0) lgkmcnt(0)
	v_mul_f16_e32 v85, s7, v85
.LBB238_21:                             ;   in Loop: Header=BB238_13 Depth=1
	s_add_i32 s1, s2, -9
	s_cmp_eq_u32 s1, 1
	s_cselect_b32 vcc_lo, -1, 0
	s_cmp_eq_u32 s1, 2
	v_cndmask_b32_e32 v86, v21, v49, vcc_lo
	s_cselect_b32 vcc_lo, -1, 0
	s_cmp_eq_u32 s1, 3
	v_cndmask_b32_e32 v86, v86, v25, vcc_lo
	;; [unrolled: 3-line block ×62, first 2 shown]
	s_cselect_b32 vcc_lo, -1, 0
	s_add_i32 s12, s2, -8
	s_cmp_eq_u32 s12, 1
	v_cndmask_b32_e32 v86, v86, v80, vcc_lo
	s_cselect_b32 s1, -1, 0
	s_cmp_eq_u32 s12, 2
	v_cndmask_b32_e64 v87, v21, v49, s1
	s_cselect_b32 s1, -1, 0
	s_cmp_eq_u32 s12, 3
	v_cndmask_b32_e64 v87, v87, v25, s1
	;; [unrolled: 3-line block ×61, first 2 shown]
	s_cselect_b32 s1, -1, 0
	s_cmp_eq_u32 s12, 63
	s_cselect_b32 vcc_lo, -1, 0
	v_cndmask_b32_e64 v87, v87, v48, s1
	v_cndmask_b32_e32 v87, v87, v80, vcc_lo
	v_add_f16_e32 v86, v86, v87
	v_add_co_u32 v87, vcc_lo, v83, v8
	v_add_co_ci_u32_e64 v88, null, v84, v9, vcc_lo
	v_add_f16_e32 v89, v86, v85
	v_mov_b32_e32 v85, 0
	v_mov_b32_e32 v86, 0
	s_and_b32 vcc_lo, exec_lo, s0
	flat_store_short v[87:88], v89
	s_cbranch_vccnz .LBB238_23
; %bb.22:                               ;   in Loop: Header=BB238_13 Depth=1
	v_add_co_u32 v86, vcc_lo, v81, v10
	v_add_co_ci_u32_e64 v87, null, v82, v11, vcc_lo
	flat_load_ushort v86, v[86:87]
	s_waitcnt vmcnt(0) lgkmcnt(0)
	v_mul_f16_e32 v86, s7, v86
.LBB238_23:                             ;   in Loop: Header=BB238_13 Depth=1
	s_add_i32 s1, s2, -7
	s_cmp_eq_u32 s1, 1
	s_cselect_b32 vcc_lo, -1, 0
	s_cmp_eq_u32 s1, 2
	v_cndmask_b32_e32 v87, v21, v49, vcc_lo
	s_cselect_b32 vcc_lo, -1, 0
	s_cmp_eq_u32 s1, 3
	v_cndmask_b32_e32 v87, v87, v25, vcc_lo
	;; [unrolled: 3-line block ×62, first 2 shown]
	s_cselect_b32 vcc_lo, -1, 0
	s_add_i32 s12, s2, -6
	s_cmp_eq_u32 s12, 1
	v_cndmask_b32_e32 v87, v87, v80, vcc_lo
	s_cselect_b32 s1, -1, 0
	s_cmp_eq_u32 s12, 2
	v_cndmask_b32_e64 v88, v21, v49, s1
	s_cselect_b32 s1, -1, 0
	s_cmp_eq_u32 s12, 3
	v_cndmask_b32_e64 v88, v88, v25, s1
	;; [unrolled: 3-line block ×61, first 2 shown]
	s_cselect_b32 s1, -1, 0
	s_cmp_eq_u32 s12, 63
	s_cselect_b32 vcc_lo, -1, 0
	v_cndmask_b32_e64 v88, v88, v48, s1
	v_cndmask_b32_e32 v88, v88, v80, vcc_lo
	v_add_f16_e32 v87, v87, v88
	v_add_f16_e32 v88, v87, v86
	v_add_co_u32 v86, vcc_lo, v83, v10
	v_add_co_ci_u32_e64 v87, null, v84, v11, vcc_lo
	s_and_b32 vcc_lo, exec_lo, s0
	flat_store_short v[86:87], v88
	s_cbranch_vccnz .LBB238_25
; %bb.24:                               ;   in Loop: Header=BB238_13 Depth=1
	v_add_co_u32 v85, vcc_lo, v81, v12
	v_add_co_ci_u32_e64 v86, null, v82, v13, vcc_lo
	flat_load_ushort v85, v[85:86]
	s_waitcnt vmcnt(0) lgkmcnt(0)
	v_mul_f16_e32 v85, s7, v85
.LBB238_25:                             ;   in Loop: Header=BB238_13 Depth=1
	s_add_i32 s1, s2, -5
	s_cmp_eq_u32 s1, 1
	s_cselect_b32 vcc_lo, -1, 0
	s_cmp_eq_u32 s1, 2
	v_cndmask_b32_e32 v86, v21, v49, vcc_lo
	s_cselect_b32 vcc_lo, -1, 0
	s_cmp_eq_u32 s1, 3
	v_cndmask_b32_e32 v86, v86, v25, vcc_lo
	;; [unrolled: 3-line block ×62, first 2 shown]
	s_cselect_b32 vcc_lo, -1, 0
	s_add_i32 s12, s2, -4
	s_cmp_eq_u32 s12, 1
	v_cndmask_b32_e32 v86, v86, v80, vcc_lo
	s_cselect_b32 s1, -1, 0
	s_cmp_eq_u32 s12, 2
	v_cndmask_b32_e64 v87, v21, v49, s1
	s_cselect_b32 s1, -1, 0
	s_cmp_eq_u32 s12, 3
	v_cndmask_b32_e64 v87, v87, v25, s1
	;; [unrolled: 3-line block ×61, first 2 shown]
	s_cselect_b32 s1, -1, 0
	s_cmp_eq_u32 s12, 63
	s_cselect_b32 vcc_lo, -1, 0
	v_cndmask_b32_e64 v87, v87, v48, s1
	v_cndmask_b32_e32 v87, v87, v80, vcc_lo
	v_add_f16_e32 v86, v86, v87
	v_add_co_u32 v87, vcc_lo, v83, v12
	v_add_co_ci_u32_e64 v88, null, v84, v13, vcc_lo
	v_add_f16_e32 v89, v86, v85
	v_mov_b32_e32 v85, 0
	v_mov_b32_e32 v86, 0
	s_and_b32 vcc_lo, exec_lo, s0
	flat_store_short v[87:88], v89
	s_cbranch_vccnz .LBB238_27
; %bb.26:                               ;   in Loop: Header=BB238_13 Depth=1
	v_add_co_u32 v86, vcc_lo, v81, v14
	v_add_co_ci_u32_e64 v87, null, v82, v15, vcc_lo
	flat_load_ushort v86, v[86:87]
	s_waitcnt vmcnt(0) lgkmcnt(0)
	v_mul_f16_e32 v86, s7, v86
.LBB238_27:                             ;   in Loop: Header=BB238_13 Depth=1
	s_add_i32 s1, s2, -3
	s_cmp_eq_u32 s1, 1
	s_cselect_b32 vcc_lo, -1, 0
	s_cmp_eq_u32 s1, 2
	v_cndmask_b32_e32 v87, v21, v49, vcc_lo
	s_cselect_b32 vcc_lo, -1, 0
	s_cmp_eq_u32 s1, 3
	v_cndmask_b32_e32 v87, v87, v25, vcc_lo
	;; [unrolled: 3-line block ×62, first 2 shown]
	s_cselect_b32 vcc_lo, -1, 0
	s_add_i32 s12, s2, -2
	s_cmp_eq_u32 s12, 1
	v_cndmask_b32_e32 v87, v87, v80, vcc_lo
	s_cselect_b32 s1, -1, 0
	s_cmp_eq_u32 s12, 2
	v_cndmask_b32_e64 v88, v21, v49, s1
	s_cselect_b32 s1, -1, 0
	s_cmp_eq_u32 s12, 3
	v_cndmask_b32_e64 v88, v88, v25, s1
	;; [unrolled: 3-line block ×61, first 2 shown]
	s_cselect_b32 s1, -1, 0
	s_cmp_eq_u32 s12, 63
	s_cselect_b32 vcc_lo, -1, 0
	v_cndmask_b32_e64 v88, v88, v48, s1
	v_cndmask_b32_e32 v88, v88, v80, vcc_lo
	v_add_f16_e32 v87, v87, v88
	v_add_f16_e32 v88, v87, v86
	v_add_co_u32 v86, vcc_lo, v83, v14
	v_add_co_ci_u32_e64 v87, null, v84, v15, vcc_lo
	s_and_b32 vcc_lo, exec_lo, s0
	flat_store_short v[86:87], v88
	s_cbranch_vccnz .LBB238_12
; %bb.28:                               ;   in Loop: Header=BB238_13 Depth=1
	v_add_co_u32 v81, vcc_lo, v81, v16
	v_add_co_ci_u32_e64 v82, null, v82, v17, vcc_lo
	flat_load_ushort v81, v[81:82]
	s_waitcnt vmcnt(0) lgkmcnt(0)
	v_mul_f16_e32 v85, s7, v81
	s_branch .LBB238_12
.LBB238_29:
	s_endpgm
	.section	.rodata,"a",@progbits
	.p2align	6, 0x0
	.amdhsa_kernel _ZN12_GLOBAL__N_120geam_min_plus_kernelIDF16_Dv2_DF16_S1_Li8ELi32ELi64ELi128ELi4ELi4ELi64ELi4ELi64ELc84ELc78ELb1ELb0ELb0EDF16_KPKDF16_KPDF16_EEviiiT16_PT17_ilS9_ilS7_S9_ilPT18_ili26rocblas_geam_ex_operation_
		.amdhsa_group_segment_fixed_size 3072
		.amdhsa_private_segment_fixed_size 0
		.amdhsa_kernarg_size 128
		.amdhsa_user_sgpr_count 6
		.amdhsa_user_sgpr_private_segment_buffer 1
		.amdhsa_user_sgpr_dispatch_ptr 0
		.amdhsa_user_sgpr_queue_ptr 0
		.amdhsa_user_sgpr_kernarg_segment_ptr 1
		.amdhsa_user_sgpr_dispatch_id 0
		.amdhsa_user_sgpr_flat_scratch_init 0
		.amdhsa_user_sgpr_private_segment_size 0
		.amdhsa_wavefront_size32 1
		.amdhsa_uses_dynamic_stack 0
		.amdhsa_system_sgpr_private_segment_wavefront_offset 0
		.amdhsa_system_sgpr_workgroup_id_x 1
		.amdhsa_system_sgpr_workgroup_id_y 0
		.amdhsa_system_sgpr_workgroup_id_z 1
		.amdhsa_system_sgpr_workgroup_info 0
		.amdhsa_system_vgpr_workitem_id 1
		.amdhsa_next_free_vgpr 121
		.amdhsa_next_free_sgpr 20
		.amdhsa_reserve_vcc 1
		.amdhsa_reserve_flat_scratch 1
		.amdhsa_float_round_mode_32 0
		.amdhsa_float_round_mode_16_64 0
		.amdhsa_float_denorm_mode_32 3
		.amdhsa_float_denorm_mode_16_64 3
		.amdhsa_dx10_clamp 1
		.amdhsa_ieee_mode 1
		.amdhsa_fp16_overflow 0
		.amdhsa_workgroup_processor_mode 1
		.amdhsa_memory_ordered 1
		.amdhsa_forward_progress 1
		.amdhsa_shared_vgpr_count 0
		.amdhsa_exception_fp_ieee_invalid_op 0
		.amdhsa_exception_fp_denorm_src 0
		.amdhsa_exception_fp_ieee_div_zero 0
		.amdhsa_exception_fp_ieee_overflow 0
		.amdhsa_exception_fp_ieee_underflow 0
		.amdhsa_exception_fp_ieee_inexact 0
		.amdhsa_exception_int_div_zero 0
	.end_amdhsa_kernel
	.section	.text._ZN12_GLOBAL__N_120geam_min_plus_kernelIDF16_Dv2_DF16_S1_Li8ELi32ELi64ELi128ELi4ELi4ELi64ELi4ELi64ELc84ELc78ELb1ELb0ELb0EDF16_KPKDF16_KPDF16_EEviiiT16_PT17_ilS9_ilS7_S9_ilPT18_ili26rocblas_geam_ex_operation_,"axG",@progbits,_ZN12_GLOBAL__N_120geam_min_plus_kernelIDF16_Dv2_DF16_S1_Li8ELi32ELi64ELi128ELi4ELi4ELi64ELi4ELi64ELc84ELc78ELb1ELb0ELb0EDF16_KPKDF16_KPDF16_EEviiiT16_PT17_ilS9_ilS7_S9_ilPT18_ili26rocblas_geam_ex_operation_,comdat
.Lfunc_end238:
	.size	_ZN12_GLOBAL__N_120geam_min_plus_kernelIDF16_Dv2_DF16_S1_Li8ELi32ELi64ELi128ELi4ELi4ELi64ELi4ELi64ELc84ELc78ELb1ELb0ELb0EDF16_KPKDF16_KPDF16_EEviiiT16_PT17_ilS9_ilS7_S9_ilPT18_ili26rocblas_geam_ex_operation_, .Lfunc_end238-_ZN12_GLOBAL__N_120geam_min_plus_kernelIDF16_Dv2_DF16_S1_Li8ELi32ELi64ELi128ELi4ELi4ELi64ELi4ELi64ELc84ELc78ELb1ELb0ELb0EDF16_KPKDF16_KPDF16_EEviiiT16_PT17_ilS9_ilS7_S9_ilPT18_ili26rocblas_geam_ex_operation_
                                        ; -- End function
	.set _ZN12_GLOBAL__N_120geam_min_plus_kernelIDF16_Dv2_DF16_S1_Li8ELi32ELi64ELi128ELi4ELi4ELi64ELi4ELi64ELc84ELc78ELb1ELb0ELb0EDF16_KPKDF16_KPDF16_EEviiiT16_PT17_ilS9_ilS7_S9_ilPT18_ili26rocblas_geam_ex_operation_.num_vgpr, 121
	.set _ZN12_GLOBAL__N_120geam_min_plus_kernelIDF16_Dv2_DF16_S1_Li8ELi32ELi64ELi128ELi4ELi4ELi64ELi4ELi64ELc84ELc78ELb1ELb0ELb0EDF16_KPKDF16_KPDF16_EEviiiT16_PT17_ilS9_ilS7_S9_ilPT18_ili26rocblas_geam_ex_operation_.num_agpr, 0
	.set _ZN12_GLOBAL__N_120geam_min_plus_kernelIDF16_Dv2_DF16_S1_Li8ELi32ELi64ELi128ELi4ELi4ELi64ELi4ELi64ELc84ELc78ELb1ELb0ELb0EDF16_KPKDF16_KPDF16_EEviiiT16_PT17_ilS9_ilS7_S9_ilPT18_ili26rocblas_geam_ex_operation_.numbered_sgpr, 20
	.set _ZN12_GLOBAL__N_120geam_min_plus_kernelIDF16_Dv2_DF16_S1_Li8ELi32ELi64ELi128ELi4ELi4ELi64ELi4ELi64ELc84ELc78ELb1ELb0ELb0EDF16_KPKDF16_KPDF16_EEviiiT16_PT17_ilS9_ilS7_S9_ilPT18_ili26rocblas_geam_ex_operation_.num_named_barrier, 0
	.set _ZN12_GLOBAL__N_120geam_min_plus_kernelIDF16_Dv2_DF16_S1_Li8ELi32ELi64ELi128ELi4ELi4ELi64ELi4ELi64ELc84ELc78ELb1ELb0ELb0EDF16_KPKDF16_KPDF16_EEviiiT16_PT17_ilS9_ilS7_S9_ilPT18_ili26rocblas_geam_ex_operation_.private_seg_size, 0
	.set _ZN12_GLOBAL__N_120geam_min_plus_kernelIDF16_Dv2_DF16_S1_Li8ELi32ELi64ELi128ELi4ELi4ELi64ELi4ELi64ELc84ELc78ELb1ELb0ELb0EDF16_KPKDF16_KPDF16_EEviiiT16_PT17_ilS9_ilS7_S9_ilPT18_ili26rocblas_geam_ex_operation_.uses_vcc, 1
	.set _ZN12_GLOBAL__N_120geam_min_plus_kernelIDF16_Dv2_DF16_S1_Li8ELi32ELi64ELi128ELi4ELi4ELi64ELi4ELi64ELc84ELc78ELb1ELb0ELb0EDF16_KPKDF16_KPDF16_EEviiiT16_PT17_ilS9_ilS7_S9_ilPT18_ili26rocblas_geam_ex_operation_.uses_flat_scratch, 1
	.set _ZN12_GLOBAL__N_120geam_min_plus_kernelIDF16_Dv2_DF16_S1_Li8ELi32ELi64ELi128ELi4ELi4ELi64ELi4ELi64ELc84ELc78ELb1ELb0ELb0EDF16_KPKDF16_KPDF16_EEviiiT16_PT17_ilS9_ilS7_S9_ilPT18_ili26rocblas_geam_ex_operation_.has_dyn_sized_stack, 0
	.set _ZN12_GLOBAL__N_120geam_min_plus_kernelIDF16_Dv2_DF16_S1_Li8ELi32ELi64ELi128ELi4ELi4ELi64ELi4ELi64ELc84ELc78ELb1ELb0ELb0EDF16_KPKDF16_KPDF16_EEviiiT16_PT17_ilS9_ilS7_S9_ilPT18_ili26rocblas_geam_ex_operation_.has_recursion, 0
	.set _ZN12_GLOBAL__N_120geam_min_plus_kernelIDF16_Dv2_DF16_S1_Li8ELi32ELi64ELi128ELi4ELi4ELi64ELi4ELi64ELc84ELc78ELb1ELb0ELb0EDF16_KPKDF16_KPDF16_EEviiiT16_PT17_ilS9_ilS7_S9_ilPT18_ili26rocblas_geam_ex_operation_.has_indirect_call, 0
	.section	.AMDGPU.csdata,"",@progbits
; Kernel info:
; codeLenInByte = 21428
; TotalNumSgprs: 22
; NumVgprs: 121
; ScratchSize: 0
; MemoryBound: 0
; FloatMode: 240
; IeeeMode: 1
; LDSByteSize: 3072 bytes/workgroup (compile time only)
; SGPRBlocks: 0
; VGPRBlocks: 15
; NumSGPRsForWavesPerEU: 22
; NumVGPRsForWavesPerEU: 121
; Occupancy: 8
; WaveLimiterHint : 1
; COMPUTE_PGM_RSRC2:SCRATCH_EN: 0
; COMPUTE_PGM_RSRC2:USER_SGPR: 6
; COMPUTE_PGM_RSRC2:TRAP_HANDLER: 0
; COMPUTE_PGM_RSRC2:TGID_X_EN: 1
; COMPUTE_PGM_RSRC2:TGID_Y_EN: 0
; COMPUTE_PGM_RSRC2:TGID_Z_EN: 1
; COMPUTE_PGM_RSRC2:TIDIG_COMP_CNT: 1
	.section	.text._ZN12_GLOBAL__N_120geam_min_plus_kernelIDF16_Dv2_DF16_S1_Li8ELi32ELi64ELi128ELi4ELi4ELi64ELi4ELi64ELc84ELc78ELb0ELb0ELb0EDF16_KPKDF16_KPDF16_EEviiiT16_PT17_ilS9_ilS7_S9_ilPT18_ili26rocblas_geam_ex_operation_,"axG",@progbits,_ZN12_GLOBAL__N_120geam_min_plus_kernelIDF16_Dv2_DF16_S1_Li8ELi32ELi64ELi128ELi4ELi4ELi64ELi4ELi64ELc84ELc78ELb0ELb0ELb0EDF16_KPKDF16_KPDF16_EEviiiT16_PT17_ilS9_ilS7_S9_ilPT18_ili26rocblas_geam_ex_operation_,comdat
	.globl	_ZN12_GLOBAL__N_120geam_min_plus_kernelIDF16_Dv2_DF16_S1_Li8ELi32ELi64ELi128ELi4ELi4ELi64ELi4ELi64ELc84ELc78ELb0ELb0ELb0EDF16_KPKDF16_KPDF16_EEviiiT16_PT17_ilS9_ilS7_S9_ilPT18_ili26rocblas_geam_ex_operation_ ; -- Begin function _ZN12_GLOBAL__N_120geam_min_plus_kernelIDF16_Dv2_DF16_S1_Li8ELi32ELi64ELi128ELi4ELi4ELi64ELi4ELi64ELc84ELc78ELb0ELb0ELb0EDF16_KPKDF16_KPDF16_EEviiiT16_PT17_ilS9_ilS7_S9_ilPT18_ili26rocblas_geam_ex_operation_
	.p2align	8
	.type	_ZN12_GLOBAL__N_120geam_min_plus_kernelIDF16_Dv2_DF16_S1_Li8ELi32ELi64ELi128ELi4ELi4ELi64ELi4ELi64ELc84ELc78ELb0ELb0ELb0EDF16_KPKDF16_KPDF16_EEviiiT16_PT17_ilS9_ilS7_S9_ilPT18_ili26rocblas_geam_ex_operation_,@function
_ZN12_GLOBAL__N_120geam_min_plus_kernelIDF16_Dv2_DF16_S1_Li8ELi32ELi64ELi128ELi4ELi4ELi64ELi4ELi64ELc84ELc78ELb0ELb0ELb0EDF16_KPKDF16_KPDF16_EEviiiT16_PT17_ilS9_ilS7_S9_ilPT18_ili26rocblas_geam_ex_operation_: ; @_ZN12_GLOBAL__N_120geam_min_plus_kernelIDF16_Dv2_DF16_S1_Li8ELi32ELi64ELi128ELi4ELi4ELi64ELi4ELi64ELc84ELc78ELb0ELb0ELb0EDF16_KPKDF16_KPDF16_EEviiiT16_PT17_ilS9_ilS7_S9_ilPT18_ili26rocblas_geam_ex_operation_
; %bb.0:
	s_clause 0x1
	s_load_dwordx2 s[12:13], s[4:5], 0x8
	s_load_dwordx4 s[8:11], s[4:5], 0x20
	s_mov_b32 s18, s7
	s_mov_b32 s19, 0
	s_waitcnt lgkmcnt(0)
	v_cmp_eq_f16_e64 s1, s13, 0
	s_and_b32 s0, exec_lo, s1
	s_mov_b32 vcc_lo, s0
	s_cbranch_vccnz .LBB239_3
; %bb.1:
	s_load_dwordx2 s[2:3], s[4:5], 0x10
	s_lshl_b64 s[14:15], s[18:19], 3
	s_waitcnt lgkmcnt(0)
	s_add_u32 s2, s2, s14
	s_addc_u32 s3, s3, s15
	s_lshl_b64 s[8:9], s[8:9], 1
	s_load_dwordx2 s[2:3], s[2:3], 0x0
	s_waitcnt lgkmcnt(0)
	s_add_u32 s14, s2, s8
	s_addc_u32 s15, s3, s9
	s_andn2_b32 vcc_lo, exec_lo, s1
	s_cbranch_vccnz .LBB239_4
.LBB239_2:
	s_mov_b32 s21, 0
	s_mov_b32 s20, s18
	;; [unrolled: 1-line block ×3, first 2 shown]
	s_mov_b64 s[2:3], 0
	s_andn2_b32 vcc_lo, exec_lo, s1
	s_mov_b64 s[16:17], 0
	s_cbranch_vccz .LBB239_5
	s_branch .LBB239_6
.LBB239_3:
	s_mov_b64 s[14:15], 0
	s_andn2_b32 vcc_lo, exec_lo, s1
	s_cbranch_vccz .LBB239_2
.LBB239_4:
	s_mov_b64 s[20:21], s[18:19]
	s_mov_b64 s[2:3], 0
	;; [unrolled: 1-line block ×3, first 2 shown]
.LBB239_5:
	s_lshl_b64 s[8:9], s[18:19], 3
	s_load_dwordx2 s[16:17], s[4:5], 0x38
	s_add_u32 s8, s10, s8
	s_addc_u32 s9, s11, s9
	s_load_dwordx2 s[8:9], s[8:9], 0x0
	s_waitcnt lgkmcnt(0)
	s_lshl_b64 s[10:11], s[16:17], 1
	s_add_u32 s16, s8, s10
	s_addc_u32 s17, s9, s11
.LBB239_6:
	s_clause 0x1
	s_load_dword s18, s[4:5], 0x40
	s_load_dwordx4 s[8:11], s[4:5], 0x58
	v_cmp_neq_f16_e64 s7, s13, 0
	s_waitcnt lgkmcnt(0)
	v_cmp_eq_f16_e64 s1, s18, 0
	s_and_b32 vcc_lo, exec_lo, s1
	s_cbranch_vccnz .LBB239_8
; %bb.7:
	s_load_dwordx2 s[2:3], s[4:5], 0x48
	s_lshl_b64 s[22:23], s[20:21], 3
	s_waitcnt lgkmcnt(0)
	s_add_u32 s2, s2, s22
	s_addc_u32 s3, s3, s23
	s_lshl_b64 s[8:9], s[8:9], 1
	s_load_dwordx2 s[2:3], s[2:3], 0x0
	s_waitcnt lgkmcnt(0)
	s_add_u32 s2, s2, s8
	s_addc_u32 s3, s3, s9
.LBB239_8:
	s_load_dword s1, s[4:5], 0x0
	s_lshl_b64 s[8:9], s[20:21], 3
	s_clause 0x1
	s_load_dword s21, s[4:5], 0x18
	s_load_dword s20, s[4:5], 0x30
	s_add_u32 s8, s10, s8
	s_addc_u32 s9, s11, s9
	v_and_b32_e32 v10, 3, v0
	v_cndmask_b32_e64 v3, 0, 1, s7
	v_mov_b32_e32 v7, 0
	v_lshlrev_b32_e32 v26, 1, v10
	s_waitcnt lgkmcnt(0)
	s_add_i32 s1, s1, -1
	s_ashr_i32 s10, s1, 31
	s_lshr_b32 s10, s10, 26
	s_add_i32 s1, s1, s10
	s_ashr_i32 s1, s1, 6
	s_add_i32 s10, s1, 1
	s_not_b32 s1, s1
	v_cvt_f32_u32_e32 v2, s10
	v_rcp_iflag_f32_e32 v2, v2
	v_mul_f32_e32 v2, 0x4f7ffffe, v2
	v_cvt_u32_f32_e32 v2, v2
	v_readfirstlane_b32 s11, v2
	v_lshl_add_u32 v2, v1, 3, v0
	s_mul_i32 s1, s1, s11
	v_lshrrev_b32_e32 v11, 2, v2
	s_mul_hi_u32 s1, s11, s1
	s_add_i32 s11, s11, s1
	s_mul_hi_u32 s1, s6, s11
	s_mul_i32 s11, s1, s10
	s_add_i32 s19, s1, 1
	s_sub_i32 s11, s6, s11
	s_sub_i32 s22, s11, s10
	s_cmp_ge_u32 s11, s10
	s_cselect_b32 s1, s19, s1
	s_cselect_b32 s11, s22, s11
	s_add_i32 s19, s1, 1
	s_cmp_ge_u32 s11, s10
	s_cselect_b32 s1, s19, s1
	s_andn2_b32 vcc_lo, exec_lo, s7
	s_lshl_b32 s11, s1, 7
	s_mul_i32 s10, s1, s10
	v_add_nc_u32_e32 v2, s11, v11
	s_sub_i32 s1, s6, s10
	s_lshl_b32 s19, s1, 6
	v_cmp_ne_u32_e64 s1, 1, v3
	v_add_nc_u32_e32 v4, s19, v11
	v_add_nc_u32_e32 v3, 64, v2
	s_cbranch_vccnz .LBB239_11
; %bb.9:
	v_mad_i64_i32 v[5:6], null, v4, s21, 0
	v_mad_i64_i32 v[8:9], null, v2, s20, 0
	;; [unrolled: 1-line block ×3, first 2 shown]
	v_add_co_u32 v14, s6, s16, v26
	v_lshlrev_b64 v[5:6], 1, v[5:6]
	v_add_co_ci_u32_e64 v15, null, s17, 0, s6
	v_lshlrev_b64 v[8:9], 1, v[8:9]
	v_add_co_u32 v16, vcc_lo, s14, v5
	v_add_co_ci_u32_e64 v17, null, s15, v6, vcc_lo
	v_add_co_u32 v5, vcc_lo, v14, v8
	v_add_co_ci_u32_e64 v6, null, v15, v9, vcc_lo
	v_lshlrev_b64 v[8:9], 1, v[12:13]
	v_add_co_u32 v12, vcc_lo, v16, v26
	v_add_co_ci_u32_e64 v13, null, 0, v17, vcc_lo
	flat_load_ushort v16, v[5:6]
	v_add_co_u32 v5, vcc_lo, v14, v8
	v_add_co_ci_u32_e64 v6, null, v15, v9, vcc_lo
	flat_load_ushort v8, v[12:13]
	flat_load_ushort v6, v[5:6]
	s_waitcnt vmcnt(2) lgkmcnt(2)
	v_mul_f16_e32 v5, s13, v16
	v_pack_b32_f16 v5, v5, 0
	s_waitcnt vmcnt(1) lgkmcnt(1)
	v_mul_f16_e32 v12, s13, v8
	s_waitcnt vmcnt(0) lgkmcnt(0)
	v_mul_f16_e32 v6, s13, v6
	s_and_b32 vcc_lo, exec_lo, s1
	s_cbranch_vccnz .LBB239_12
.LBB239_10:
	v_mad_i64_i32 v[7:8], null, v4, s21, 0
	v_mad_i64_i32 v[13:14], null, v2, s20, 0
	;; [unrolled: 1-line block ×3, first 2 shown]
	v_add_co_u32 v9, s1, s16, v26
	v_lshlrev_b64 v[7:8], 1, v[7:8]
	v_add_co_ci_u32_e64 v17, null, s17, 0, s1
	v_lshlrev_b64 v[13:14], 1, v[13:14]
	v_add_co_u32 v18, vcc_lo, s14, v7
	v_add_co_ci_u32_e64 v19, null, s15, v8, vcc_lo
	v_add_co_u32 v7, vcc_lo, v9, v13
	v_add_co_ci_u32_e64 v8, null, v17, v14, vcc_lo
	v_lshlrev_b64 v[13:14], 1, v[15:16]
	v_add_co_u32 v15, vcc_lo, v18, v26
	v_add_co_ci_u32_e64 v16, null, 0, v19, vcc_lo
	flat_load_ushort v18, v[7:8] offset:8
	v_add_co_u32 v7, vcc_lo, v9, v13
	v_add_co_ci_u32_e64 v8, null, v17, v14, vcc_lo
	flat_load_ushort v9, v[15:16] offset:8
	flat_load_ushort v13, v[7:8] offset:8
	s_waitcnt vmcnt(2) lgkmcnt(2)
	v_mul_f16_e32 v8, s13, v18
	v_pack_b32_f16 v8, v8, 0
	s_waitcnt vmcnt(1) lgkmcnt(1)
	v_mul_f16_e32 v7, s13, v9
	s_waitcnt vmcnt(0) lgkmcnt(0)
	v_mul_f16_e32 v9, s13, v13
	s_branch .LBB239_13
.LBB239_11:
	v_mov_b32_e32 v5, 0
	v_mov_b32_e32 v12, 0
	;; [unrolled: 1-line block ×3, first 2 shown]
	s_and_b32 vcc_lo, exec_lo, s1
	s_cbranch_vccz .LBB239_10
.LBB239_12:
	v_mov_b32_e32 v8, 0
	v_mov_b32_e32 v9, 0
.LBB239_13:
	v_lshlrev_b32_e32 v11, 3, v11
	v_lshlrev_b32_e32 v28, 3, v0
	;; [unrolled: 1-line block ×3, first 2 shown]
	s_load_dwordx2 s[6:7], s[8:9], 0x0
	s_cmp_lt_i32 s12, 9
	v_lshl_or_b32 v29, v10, 1, v11
	v_add_nc_u32_e32 v30, 0x800, v28
	ds_write_b16 v29, v12 offset:2048
	ds_write_b16 v29, v5
	ds_write_b16 v29, v6 offset:512
	s_waitcnt lgkmcnt(0)
	s_barrier
	buffer_gl0_inv
	ds_read2_b64 v[10:13], v27 offset1:32
	ds_read2_b64 v[14:17], v30 offset0:48 offset1:56
	ds_read2_b64 v[18:21], v27 offset0:64 offset1:96
	ds_read2_b64 v[22:25], v30 offset1:8
	ds_read2_b64 v[40:43], v30 offset0:16 offset1:24
	ds_read2_b64 v[48:51], v30 offset0:32 offset1:40
	ds_write_b16 v29, v7 offset:2560
	ds_write_b16 v29, v8 offset:1024
	;; [unrolled: 1-line block ×3, first 2 shown]
	s_waitcnt lgkmcnt(0)
	s_barrier
	buffer_gl0_inv
	v_pk_max_f16 v10, v10, v10
	v_pk_max_f16 v16, v16, v16
	;; [unrolled: 1-line block ×9, first 2 shown]
	v_pk_min_f16 v31, v16, v10
	v_pk_min_f16 v40, v30, v10
	;; [unrolled: 1-line block ×5, first 2 shown]
	v_pk_max_f16 v30, v48, v48
	v_pk_min_f16 v46, v39, v10
	v_pk_min_f16 v47, v39, v12
	;; [unrolled: 1-line block ×4, first 2 shown]
	v_pk_max_f16 v11, v11, v11
	v_pk_max_f16 v39, v50, v50
	;; [unrolled: 1-line block ×4, first 2 shown]
	v_pk_min_f16 v32, v16, v12
	v_pk_min_f16 v33, v22, v10
	;; [unrolled: 1-line block ×10, first 2 shown]
	v_pk_max_f16 v13, v13, v13
	v_pk_min_f16 v54, v30, v12
	v_pk_min_f16 v55, v30, v18
	v_pk_max_f16 v19, v19, v19
	v_pk_min_f16 v50, v30, v20
	v_pk_max_f16 v23, v23, v23
	v_pk_min_f16 v56, v39, v10
	v_pk_min_f16 v57, v39, v12
	;; [unrolled: 1-line block ×10, first 2 shown]
	v_pk_add_f16 v20, v31, 0
	v_pk_min_f16 v31, v17, v11
	v_pk_max_f16 v21, v21, v21
	v_pk_max_f16 v25, v25, v25
	v_pk_add_f16 v32, v32, 0
	v_pk_min_f16 v39, v17, v13
	v_pk_add_f16 v60, v30, 0
	v_pk_min_f16 v61, v17, v19
	;; [unrolled: 2-line block ×3, first 2 shown]
	v_pk_add_f16 v30, v20, v31
	v_pk_add_f16 v20, v35, 0
	v_pk_min_f16 v35, v23, v19
	v_pk_min_f16 v63, v23, v13
	v_pk_add_f16 v31, v32, v39
	v_pk_add_f16 v32, v60, v61
	;; [unrolled: 1-line block ×4, first 2 shown]
	v_pk_min_f16 v23, v23, v21
	v_pk_min_f16 v60, v25, v11
	;; [unrolled: 1-line block ×4, first 2 shown]
	v_pk_add_f16 v35, v20, v35
	v_pk_add_f16 v20, v24, 0
	v_pk_min_f16 v25, v25, v21
	v_pk_add_f16 v39, v36, 0
	v_pk_add_f16 v36, v22, v23
	;; [unrolled: 1-line block ×5, first 2 shown]
	v_pk_max_f16 v20, v41, v41
	v_pk_add_f16 v24, v44, 0
	v_pk_add_f16 v44, v45, 0
	v_pk_max_f16 v25, v43, v43
	v_pk_add_f16 v45, v46, 0
	v_pk_min_f16 v41, v20, v11
	v_pk_min_f16 v42, v20, v13
	;; [unrolled: 1-line block ×4, first 2 shown]
	v_pk_add_f16 v46, v47, 0
	v_pk_add_f16 v47, v48, 0
	;; [unrolled: 1-line block ×7, first 2 shown]
	v_pk_min_f16 v20, v25, v11
	v_pk_min_f16 v22, v25, v13
	;; [unrolled: 1-line block ×4, first 2 shown]
	v_pk_max_f16 v25, v49, v49
	v_pk_add_f16 v34, v34, 0
	v_pk_add_f16 v61, v37, 0
	;; [unrolled: 1-line block ×11, first 2 shown]
	v_pk_min_f16 v20, v25, v11
	v_pk_min_f16 v22, v25, v13
	v_pk_min_f16 v23, v25, v19
	v_pk_min_f16 v24, v25, v21
	v_pk_max_f16 v25, v51, v51
	v_pk_max_f16 v15, v15, v15
	v_pk_add_f16 v34, v34, v63
	v_pk_add_f16 v63, v38, 0
	;; [unrolled: 1-line block ×15, first 2 shown]
	v_pk_min_f16 v20, v25, v11
	v_pk_min_f16 v22, v25, v13
	;; [unrolled: 1-line block ×9, first 2 shown]
	v_pk_add_f16 v38, v61, v62
	v_pk_add_f16 v39, v63, v64
	;; [unrolled: 1-line block ×11, first 2 shown]
	s_cbranch_scc1 .LBB239_24
; %bb.14:
	v_mad_i64_i32 v[10:11], null, v4, s21, 0
	v_mad_i64_i32 v[12:13], null, s20, v3, 0
	v_perm_b32 v3, v6, v5, 0x5040100
	v_mad_i64_i32 v[6:7], null, s20, v2, 0
	v_perm_b32 v79, v9, v8, 0x5040100
	v_lshlrev_b64 v[4:5], 1, v[10:11]
	v_add_nc_u32_e32 v45, 0x800, v29
	v_lshlrev_b64 v[8:9], 1, v[12:13]
	v_or_b32_e32 v46, 0x800, v28
	v_add_nc_u32_e32 v57, 0xa00, v29
	v_add_nc_u32_e32 v58, 0x400, v29
	v_add_co_u32 v63, vcc_lo, s14, v4
	v_add_co_ci_u32_e64 v64, null, s15, v5, vcc_lo
	v_lshlrev_b64 v[4:5], 1, v[6:7]
	v_add_co_u32 v70, vcc_lo, s16, v8
	v_add_co_ci_u32_e64 v71, null, s17, v9, vcc_lo
	v_lshl_add_u32 v65, v0, 3, 0xa00
	v_add_co_u32 v72, vcc_lo, s16, v4
	v_lshl_add_u32 v69, v1, 3, 0x400
	v_add_co_ci_u32_e64 v73, null, s17, v5, vcc_lo
	s_add_i32 s1, s12, -8
	s_mov_b32 s8, 0
	s_branch .LBB239_16
.LBB239_15:                             ;   in Loop: Header=BB239_16 Depth=1
	v_pk_max_f16 v4, v4, v4
	v_pk_max_f16 v22, v22, v22
	;; [unrolled: 1-line block ×7, first 2 shown]
	v_pk_min_f16 v79, v4, v22
	v_pk_min_f16 v80, v4, v24
	;; [unrolled: 1-line block ×3, first 2 shown]
	v_pk_max_f16 v20, v20, v20
	v_pk_min_f16 v88, v10, v22
	v_pk_min_f16 v89, v10, v24
	v_pk_max_f16 v12, v12, v12
	v_pk_max_f16 v23, v23, v23
	v_pk_max_f16 v25, v25, v25
	v_pk_min_f16 v90, v10, v14
	v_pk_min_f16 v10, v10, v16
	v_pk_max_f16 v15, v15, v15
	v_pk_max_f16 v17, v17, v17
	;; [unrolled: 1-line block ×13, first 2 shown]
	v_pk_min_f16 v82, v18, v22
	v_pk_min_f16 v83, v18, v24
	;; [unrolled: 1-line block ×57, first 2 shown]
	v_pk_add_f16 v5, v30, v79
	v_pk_add_f16 v15, v31, v80
	;; [unrolled: 1-line block ×29, first 2 shown]
	ds_read2_b64 v[4:7], v46 offset0:48 offset1:56
	ds_read2_b64 v[8:11], v27 offset1:32
	ds_read2_b64 v[12:15], v27 offset0:64 offset1:96
	v_pk_add_f16 v2, v60, v2
	v_pk_add_f16 v30, v30, v16
	;; [unrolled: 1-line block ×3, first 2 shown]
	ds_read2_b64 v[16:19], v46 offset1:8
	v_pk_add_f16 v32, v35, v84
	v_pk_add_f16 v35, v39, v87
	;; [unrolled: 1-line block ×11, first 2 shown]
	ds_read2_b64 v[20:23], v46 offset0:16 offset1:24
	v_pk_add_f16 v31, v31, v100
	s_waitcnt lgkmcnt(4)
	v_pk_max_f16 v6, v6, v6
	s_waitcnt lgkmcnt(3)
	v_pk_max_f16 v8, v8, v8
	v_pk_max_f16 v10, v10, v10
	s_waitcnt lgkmcnt(2)
	v_pk_max_f16 v12, v12, v12
	v_pk_add_f16 v32, v32, v101
	v_pk_add_f16 v24, v24, v25
	v_pk_min_f16 v48, v6, v8
	v_pk_min_f16 v49, v6, v10
	;; [unrolled: 1-line block ×3, first 2 shown]
	s_waitcnt lgkmcnt(1)
	v_pk_max_f16 v16, v16, v16
	v_pk_add_f16 v25, v53, v120
	v_pk_add_f16 v53, v54, v121
	;; [unrolled: 1-line block ×5, first 2 shown]
	v_pk_min_f16 v48, v16, v8
	v_pk_min_f16 v49, v16, v10
	;; [unrolled: 1-line block ×3, first 2 shown]
	v_pk_add_f16 v79, v51, v118
	v_pk_add_f16 v2, v2, v3
	v_perm_b32 v3, v78, v77, 0x5040100
	v_pk_add_f16 v59, v30, v48
	v_pk_add_f16 v77, v31, v49
	;; [unrolled: 1-line block ×3, first 2 shown]
	ds_read2_b64 v[48:51], v46 offset0:32 offset1:40
	v_pk_max_f16 v14, v14, v14
	v_pk_max_f16 v18, v18, v18
	v_pk_add_f16 v33, v33, v102
	v_pk_add_f16 v35, v35, v104
	s_waitcnt lgkmcnt(1)
	v_pk_max_f16 v20, v20, v20
	v_pk_min_f16 v16, v16, v14
	v_pk_min_f16 v30, v18, v8
	;; [unrolled: 1-line block ×3, first 2 shown]
	v_pk_add_f16 v34, v34, v103
	v_pk_add_f16 v36, v36, v105
	;; [unrolled: 1-line block ×4, first 2 shown]
	v_pk_min_f16 v31, v18, v10
	v_pk_min_f16 v18, v18, v14
	v_pk_add_f16 v60, v33, v30
	v_pk_add_f16 v82, v35, v32
	v_pk_min_f16 v30, v20, v8
	v_pk_min_f16 v32, v20, v12
	v_pk_max_f16 v22, v22, v22
	v_pk_add_f16 v37, v37, v106
	v_pk_add_f16 v39, v39, v108
	;; [unrolled: 1-line block ×4, first 2 shown]
	v_pk_min_f16 v31, v20, v10
	v_pk_add_f16 v61, v36, v30
	v_pk_add_f16 v84, v38, v32
	v_pk_min_f16 v30, v22, v8
	s_waitcnt lgkmcnt(0)
	v_pk_max_f16 v32, v48, v48
	v_pk_add_f16 v40, v40, v109
	v_pk_add_f16 v41, v41, v110
	;; [unrolled: 1-line block ×3, first 2 shown]
	v_pk_min_f16 v20, v20, v14
	v_pk_add_f16 v83, v37, v31
	v_pk_min_f16 v31, v22, v10
	v_pk_min_f16 v33, v22, v12
	v_pk_add_f16 v48, v39, v30
	v_pk_min_f16 v30, v32, v8
	v_pk_add_f16 v44, v44, v113
	v_pk_add_f16 v47, v47, v114
	;; [unrolled: 1-line block ×5, first 2 shown]
	v_pk_min_f16 v31, v32, v10
	v_pk_max_f16 v33, v50, v50
	v_pk_add_f16 v86, v43, v30
	v_pk_min_f16 v30, v32, v12
	v_pk_max_f16 v4, v4, v4
	v_pk_add_f16 v87, v44, v31
	v_pk_min_f16 v31, v33, v8
	v_pk_min_f16 v34, v33, v10
	v_pk_add_f16 v88, v47, v30
	v_pk_min_f16 v30, v33, v12
	v_pk_min_f16 v8, v4, v8
	;; [unrolled: 1-line block ×5, first 2 shown]
	v_pk_max_f16 v7, v7, v7
	v_pk_max_f16 v9, v9, v9
	;; [unrolled: 1-line block ×4, first 2 shown]
	v_pk_add_f16 v2, v2, v4
	v_pk_add_f16 v52, v52, v119
	v_pk_min_f16 v4, v7, v9
	v_pk_min_f16 v22, v22, v14
	;; [unrolled: 1-line block ×3, first 2 shown]
	v_pk_add_f16 v67, v67, v31
	v_pk_min_f16 v31, v33, v14
	v_pk_add_f16 v79, v79, v30
	v_pk_add_f16 v10, v24, v10
	v_pk_min_f16 v6, v6, v14
	v_pk_min_f16 v14, v7, v11
	;; [unrolled: 1-line block ×3, first 2 shown]
	v_pk_max_f16 v17, v17, v17
	v_pk_add_f16 v30, v54, v4
	v_pk_max_f16 v4, v15, v15
	v_pk_add_f16 v66, v66, v32
	v_pk_add_f16 v89, v52, v31
	;; [unrolled: 1-line block ×4, first 2 shown]
	v_pk_min_f16 v14, v17, v9
	v_pk_min_f16 v15, v17, v11
	;; [unrolled: 1-line block ×4, first 2 shown]
	v_pk_max_f16 v19, v19, v19
	v_pk_add_f16 v68, v68, v34
	v_pk_add_f16 v33, v59, v14
	v_pk_add_f16 v34, v77, v15
	v_pk_add_f16 v36, v16, v17
	v_pk_min_f16 v14, v19, v9
	v_pk_min_f16 v15, v19, v11
	v_pk_min_f16 v16, v19, v13
	v_pk_min_f16 v17, v19, v4
	v_pk_max_f16 v19, v21, v21
	v_pk_add_f16 v42, v42, v111
	v_pk_add_f16 v37, v60, v14
	v_pk_add_f16 v38, v81, v15
	v_pk_add_f16 v39, v82, v16
	v_pk_add_f16 v40, v18, v17
	v_pk_min_f16 v14, v19, v9
	v_pk_min_f16 v15, v19, v11
	v_pk_min_f16 v16, v19, v13
	v_pk_min_f16 v17, v19, v4
	v_pk_max_f16 v18, v23, v23
	v_pk_add_f16 v22, v42, v22
	v_pk_add_f16 v41, v61, v14
	v_pk_add_f16 v42, v83, v15
	v_pk_add_f16 v43, v84, v16
	v_pk_add_f16 v44, v20, v17
	v_pk_min_f16 v14, v18, v9
	v_pk_min_f16 v15, v18, v11
	v_pk_min_f16 v16, v18, v13
	v_pk_min_f16 v17, v18, v4
	v_pk_max_f16 v18, v49, v49
	v_pk_add_f16 v49, v48, v14
	v_pk_add_f16 v50, v62, v15
	v_pk_add_f16 v47, v85, v16
	;; [unrolled: 1-line block ×3, first 2 shown]
	v_pk_min_f16 v14, v18, v9
	v_pk_min_f16 v15, v18, v11
	v_pk_min_f16 v16, v18, v13
	v_pk_min_f16 v17, v18, v4
	v_pk_max_f16 v18, v51, v51
	v_pk_max_f16 v5, v5, v5
	v_add_co_u32 v70, vcc_lo, v70, 16
	v_pk_add_f16 v8, v80, v8
	v_pk_add_f16 v12, v25, v12
	;; [unrolled: 1-line block ×7, first 2 shown]
	v_pk_min_f16 v14, v18, v9
	v_pk_min_f16 v15, v18, v11
	;; [unrolled: 1-line block ×9, first 2 shown]
	v_add_co_ci_u32_e64 v71, null, 0, v71, vcc_lo
	v_add_co_u32 v72, vcc_lo, v72, 16
	v_add_co_ci_u32_e64 v73, null, 0, v73, vcc_lo
	v_add_co_u32 v63, vcc_lo, v63, 16
	v_pk_add_f16 v35, v78, v24
	v_pk_add_f16 v61, v67, v14
	;; [unrolled: 1-line block ×10, first 2 shown]
	v_perm_b32 v79, v76, v74, 0x5040100
	v_add_co_ci_u32_e64 v64, null, 0, v64, vcc_lo
	s_add_i32 s8, s8, 8
	ds_write_b16 v57, v75
	ds_write_b16 v58, v74
	ds_write_b16 v58, v76 offset:512
	s_cmp_ge_i32 s8, s1
	s_waitcnt lgkmcnt(0)
	s_barrier
	buffer_gl0_inv
	s_cbranch_scc1 .LBB239_24
.LBB239_16:                             ; =>This Inner Loop Header: Depth=1
	s_mov_b32 s9, -1
	s_mov_b32 vcc_lo, s0
                                        ; implicit-def: $vgpr77
	s_cbranch_vccz .LBB239_18
; %bb.17:                               ;   in Loop: Header=BB239_16 Depth=1
	v_and_b32_e32 v77, 0xffff0000, v3
	s_mov_b32 s9, 0
.LBB239_18:                             ;   in Loop: Header=BB239_16 Depth=1
	v_mov_b32_e32 v74, 0
	v_mov_b32_e32 v78, 0
	s_andn2_b32 vcc_lo, exec_lo, s9
	s_cbranch_vccnz .LBB239_20
; %bb.19:                               ;   in Loop: Header=BB239_16 Depth=1
	v_add_co_u32 v4, vcc_lo, v72, v26
	v_add_co_ci_u32_e64 v5, null, 0, v73, vcc_lo
	v_add_co_u32 v6, vcc_lo, v63, v26
	v_add_co_ci_u32_e64 v7, null, 0, v64, vcc_lo
	flat_load_ushort v2, v[4:5] offset:16
	v_add_co_u32 v4, vcc_lo, v70, v26
	v_add_co_ci_u32_e64 v5, null, 0, v71, vcc_lo
	flat_load_ushort v6, v[6:7] offset:16
	flat_load_ushort v4, v[4:5] offset:16
	s_waitcnt vmcnt(2) lgkmcnt(2)
	v_mul_f16_e32 v2, s13, v2
	v_bfi_b32 v77, 0xffff, v2, v3
	s_waitcnt vmcnt(1) lgkmcnt(1)
	v_mul_f16_e32 v74, s13, v6
	s_waitcnt vmcnt(0) lgkmcnt(0)
	v_mul_f16_e32 v78, s13, v4
.LBB239_20:                             ;   in Loop: Header=BB239_16 Depth=1
	ds_read2_b64 v[2:5], v65 offset0:48 offset1:56
	ds_read2_b64 v[14:17], v69 offset0:64 offset1:96
	ds_read2_b64 v[22:25], v69 offset1:32
	ds_read2_b64 v[18:21], v65 offset1:8
	ds_read2_b64 v[10:13], v65 offset0:16 offset1:24
	ds_read2_b64 v[6:9], v65 offset0:32 offset1:40
	s_mov_b32 s9, -1
	s_mov_b32 vcc_lo, s0
	ds_write_b16 v45, v74
	ds_write_b16 v29, v77
	ds_write_b16 v29, v78 offset:512
	s_waitcnt lgkmcnt(0)
	s_barrier
	buffer_gl0_inv
                                        ; implicit-def: $vgpr74
	s_cbranch_vccz .LBB239_22
; %bb.21:                               ;   in Loop: Header=BB239_16 Depth=1
	v_and_b32_e32 v74, 0xffff0000, v79
	s_mov_b32 s9, 0
.LBB239_22:                             ;   in Loop: Header=BB239_16 Depth=1
	v_mov_b32_e32 v75, 0
	v_mov_b32_e32 v76, 0
	s_andn2_b32 vcc_lo, exec_lo, s9
	s_cbranch_vccnz .LBB239_15
; %bb.23:                               ;   in Loop: Header=BB239_16 Depth=1
	v_add_co_u32 v74, vcc_lo, v72, v26
	v_add_co_ci_u32_e64 v75, null, 0, v73, vcc_lo
	v_add_co_u32 v80, vcc_lo, v63, v26
	v_add_co_ci_u32_e64 v81, null, 0, v64, vcc_lo
	flat_load_ushort v76, v[74:75] offset:24
	v_add_co_u32 v74, vcc_lo, v70, v26
	v_add_co_ci_u32_e64 v75, null, 0, v71, vcc_lo
	flat_load_ushort v80, v[80:81] offset:24
	flat_load_ushort v81, v[74:75] offset:24
	s_waitcnt vmcnt(2) lgkmcnt(2)
	v_mul_f16_e32 v74, s13, v76
	v_bfi_b32 v74, 0xffff, v74, v79
	s_waitcnt vmcnt(1) lgkmcnt(1)
	v_mul_f16_e32 v75, s13, v80
	s_waitcnt vmcnt(0) lgkmcnt(0)
	v_mul_f16_e32 v76, s13, v81
	s_branch .LBB239_15
.LBB239_24:
	v_add_nc_u32_e32 v18, 0x800, v28
	s_load_dwordx2 s[0:1], s[4:5], 0x70
	v_cmp_neq_f16_e64 s8, s18, 0
	v_add_nc_u32_e32 v1, s11, v1
	ds_read2_b64 v[2:5], v27 offset0:128 offset1:160
	ds_read2_b64 v[6:9], v18 offset0:112 offset1:120
	;; [unrolled: 1-line block ×4, first 2 shown]
	s_clause 0x1
	s_load_dword s9, s[4:5], 0x50
	s_load_dword s10, s[4:5], 0x68
	ds_read2_b64 v[26:29], v18 offset0:80 offset1:88
	ds_read2_b64 v[69:72], v18 offset0:96 offset1:104
	s_mov_b64 s[4:5], 15
	s_waitcnt lgkmcnt(0)
	s_lshl_b64 s[0:1], s[0:1], 1
	v_pk_max_f16 v2, v2, v2
	v_pk_max_f16 v4, v4, v4
	;; [unrolled: 1-line block ×7, first 2 shown]
	v_pk_min_f16 v18, v8, v2
	v_pk_min_f16 v19, v8, v4
	;; [unrolled: 1-line block ×5, first 2 shown]
	v_pk_max_f16 v26, v26, v26
	v_pk_min_f16 v22, v14, v4
	v_pk_min_f16 v23, v14, v10
	v_pk_min_f16 v14, v14, v12
	v_pk_add_f16 v18, v30, v18
	v_pk_add_f16 v19, v31, v19
	;; [unrolled: 1-line block ×5, first 2 shown]
	v_pk_min_f16 v24, v26, v2
	v_pk_min_f16 v25, v26, v4
	;; [unrolled: 1-line block ×4, first 2 shown]
	v_pk_max_f16 v28, v28, v28
	v_pk_add_f16 v22, v34, v22
	v_pk_add_f16 v14, v36, v14
	;; [unrolled: 1-line block ×4, first 2 shown]
	v_pk_min_f16 v24, v28, v2
	v_pk_max_f16 v26, v69, v69
	v_pk_min_f16 v20, v8, v10
	v_pk_min_f16 v45, v16, v10
	;; [unrolled: 1-line block ×3, first 2 shown]
	v_pk_add_f16 v23, v35, v23
	v_pk_add_f16 v35, v42, v25
	v_pk_min_f16 v25, v28, v4
	v_pk_min_f16 v37, v28, v10
	;; [unrolled: 1-line block ×3, first 2 shown]
	v_pk_add_f16 v38, v49, v24
	v_pk_min_f16 v24, v26, v2
	v_pk_add_f16 v20, v32, v20
	v_pk_add_f16 v32, v39, v45
	;; [unrolled: 1-line block ×5, first 2 shown]
	v_pk_min_f16 v25, v26, v4
	v_pk_max_f16 v28, v71, v71
	v_pk_add_f16 v41, v54, v24
	v_pk_min_f16 v24, v26, v10
	v_pk_max_f16 v6, v6, v6
	v_pk_add_f16 v33, v43, v33
	v_pk_add_f16 v42, v53, v25
	v_pk_min_f16 v25, v28, v2
	v_pk_min_f16 v43, v28, v4
	v_pk_add_f16 v44, v51, v24
	v_pk_min_f16 v24, v28, v10
	v_pk_min_f16 v2, v6, v2
	;; [unrolled: 1-line block ×5, first 2 shown]
	v_pk_max_f16 v3, v3, v3
	v_pk_max_f16 v9, v9, v9
	v_pk_min_f16 v26, v26, v12
	v_pk_add_f16 v46, v61, v25
	v_pk_min_f16 v25, v28, v12
	v_pk_max_f16 v5, v5, v5
	v_pk_min_f16 v8, v8, v12
	v_pk_max_f16 v11, v11, v11
	v_pk_add_f16 v12, v60, v6
	v_pk_min_f16 v6, v9, v3
	v_pk_add_f16 v37, v47, v37
	v_pk_add_f16 v47, v55, v24
	;; [unrolled: 1-line block ×3, first 2 shown]
	v_pk_min_f16 v24, v9, v5
	v_pk_min_f16 v25, v9, v11
	v_pk_max_f16 v15, v15, v15
	v_pk_add_f16 v18, v18, v6
	v_pk_max_f16 v6, v13, v13
	v_pk_add_f16 v19, v19, v24
	v_pk_add_f16 v20, v20, v25
	v_pk_min_f16 v13, v15, v3
	v_pk_min_f16 v24, v15, v5
	;; [unrolled: 1-line block ×4, first 2 shown]
	v_pk_max_f16 v17, v17, v17
	v_pk_add_f16 v21, v21, v13
	v_pk_add_f16 v22, v22, v24
	v_pk_max_f16 v49, v27, v27
	v_pk_add_f16 v24, v14, v15
	v_pk_min_f16 v13, v17, v3
	v_pk_min_f16 v14, v17, v5
	;; [unrolled: 1-line block ×4, first 2 shown]
	v_pk_add_f16 v45, v52, v26
	v_pk_add_f16 v23, v23, v25
	;; [unrolled: 1-line block ×6, first 2 shown]
	v_pk_min_f16 v13, v49, v3
	v_pk_min_f16 v14, v49, v5
	;; [unrolled: 1-line block ×4, first 2 shown]
	v_pk_max_f16 v17, v29, v29
	v_pk_add_f16 v29, v34, v13
	v_pk_add_f16 v30, v35, v14
	;; [unrolled: 1-line block ×4, first 2 shown]
	v_pk_min_f16 v13, v17, v3
	v_pk_min_f16 v14, v17, v5
	;; [unrolled: 1-line block ×4, first 2 shown]
	v_pk_max_f16 v17, v70, v70
	v_pk_add_f16 v33, v38, v13
	v_pk_add_f16 v34, v39, v14
	v_pk_max_f16 v7, v7, v7
	v_pk_add_f16 v36, v40, v16
	v_pk_min_f16 v13, v17, v3
	v_pk_min_f16 v14, v17, v5
	v_pk_max_f16 v16, v72, v72
	v_pk_add_f16 v2, v66, v2
	v_pk_add_f16 v4, v67, v4
	;; [unrolled: 1-line block ×3, first 2 shown]
	v_pk_min_f16 v15, v17, v11
	v_pk_min_f16 v17, v17, v6
	v_pk_add_f16 v37, v41, v13
	v_pk_add_f16 v38, v42, v14
	v_pk_min_f16 v13, v16, v3
	v_pk_min_f16 v14, v16, v5
	;; [unrolled: 1-line block ×4, first 2 shown]
	v_pk_add_f16 v43, v62, v43
	v_pk_add_f16 v10, v68, v10
	;; [unrolled: 1-line block ×5, first 2 shown]
	v_pk_min_f16 v15, v16, v11
	v_pk_add_f16 v41, v46, v13
	v_pk_min_f16 v13, v16, v6
	v_pk_add_f16 v45, v2, v3
	v_pk_min_f16 v3, v7, v11
	v_add_nc_u32_e32 v2, s19, v0
	v_pk_add_f16 v0, v4, v5
	v_pk_min_f16 v5, v7, v6
	v_pk_min_f16 v7, v9, v6
	v_pk_add_f16 v42, v43, v14
	v_pk_add_f16 v43, v47, v15
	;; [unrolled: 1-line block ×4, first 2 shown]
	v_add_nc_u32_e32 v4, 8, v2
	v_add_nc_u32_e32 v6, 16, v2
	v_pk_add_f16 v47, v12, v5
	v_pk_add_f16 v48, v8, v7
	v_add_nc_u32_e32 v8, 24, v2
	v_add_nc_u32_e32 v10, 32, v2
	;; [unrolled: 1-line block ×5, first 2 shown]
	v_ashrrev_i32_e32 v3, 31, v2
	v_ashrrev_i32_e32 v5, 31, v4
	v_ashrrev_i32_e32 v7, 31, v6
	v_ashrrev_i32_e32 v9, 31, v8
	v_ashrrev_i32_e32 v11, 31, v10
	v_ashrrev_i32_e32 v13, 31, v12
	v_ashrrev_i32_e32 v15, 31, v14
	v_ashrrev_i32_e32 v17, 31, v16
	v_lshlrev_b64 v[2:3], 1, v[2:3]
	v_lshlrev_b64 v[4:5], 1, v[4:5]
	;; [unrolled: 1-line block ×8, first 2 shown]
	s_add_u32 s6, s6, s0
	s_addc_u32 s7, s7, s1
	s_branch .LBB239_26
.LBB239_25:                             ;   in Loop: Header=BB239_26 Depth=1
	s_add_i32 s0, s4, -1
	v_add_nc_u32_e32 v1, 32, v1
	s_cmp_eq_u32 s0, 1
	s_cselect_b32 vcc_lo, -1, 0
	s_cmp_eq_u32 s0, 2
	v_cndmask_b32_e32 v81, v21, v49, vcc_lo
	s_cselect_b32 vcc_lo, -1, 0
	s_cmp_eq_u32 s0, 3
	v_cndmask_b32_e32 v81, v81, v25, vcc_lo
	;; [unrolled: 3-line block ×62, first 2 shown]
	s_cselect_b32 vcc_lo, -1, 0
	s_cmp_eq_u32 s4, 1
	s_cselect_b32 s0, -1, 0
	s_cmp_eq_u32 s4, 2
	v_cndmask_b32_e64 v49, v21, v49, s0
	s_cselect_b32 s0, -1, 0
	s_cmp_eq_u32 s4, 3
	v_cndmask_b32_e64 v49, v49, v25, s0
	;; [unrolled: 3-line block ×3, first 2 shown]
	s_cselect_b32 s0, -1, 0
	s_cmp_eq_u32 s4, 5
	v_cndmask_b32_e32 v50, v81, v80, vcc_lo
	v_cndmask_b32_e64 v49, v49, v29, s0
	s_cselect_b32 s0, -1, 0
	s_cmp_eq_u32 s4, 6
	v_cndmask_b32_e64 v49, v49, v51, s0
	s_cselect_b32 s0, -1, 0
	s_cmp_eq_u32 s4, 7
	;; [unrolled: 3-line block ×58, first 2 shown]
	s_cselect_b32 vcc_lo, -1, 0
	v_cndmask_b32_e64 v49, v49, v48, s0
	s_add_u32 s4, s4, 16
	s_addc_u32 s5, s5, 0
	s_cmpk_lg_i32 s4, 0x4f
	v_cndmask_b32_e32 v49, v49, v80, vcc_lo
	v_add_f16_e32 v51, v50, v49
	v_add_co_u32 v49, vcc_lo, v83, v16
	v_add_co_ci_u32_e64 v50, null, v84, v17, vcc_lo
	v_add_f16_e32 v51, v51, v85
	flat_store_short v[49:50], v51
	s_cbranch_scc0 .LBB239_42
.LBB239_26:                             ; =>This Inner Loop Header: Depth=1
	v_mad_i64_i32 v[49:50], null, v1, s9, 0
	v_cndmask_b32_e64 v51, 0, 1, s8
	v_mov_b32_e32 v85, 0
	v_mov_b32_e32 v86, 0
	v_cmp_ne_u32_e64 s0, 1, v51
	v_lshlrev_b64 v[49:50], 1, v[49:50]
	v_add_co_u32 v81, vcc_lo, s2, v49
	v_add_co_ci_u32_e64 v82, null, s3, v50, vcc_lo
	s_andn2_b32 vcc_lo, exec_lo, s8
	s_cbranch_vccnz .LBB239_28
; %bb.27:                               ;   in Loop: Header=BB239_26 Depth=1
	v_add_co_u32 v49, vcc_lo, v81, v2
	v_add_co_ci_u32_e64 v50, null, v82, v3, vcc_lo
	flat_load_ushort v49, v[49:50]
	s_waitcnt vmcnt(0) lgkmcnt(0)
	v_mul_f16_e32 v86, s18, v49
.LBB239_28:                             ;   in Loop: Header=BB239_26 Depth=1
	s_add_i32 s1, s4, -15
	v_lshrrev_b32_e32 v49, 16, v21
	s_cmp_eq_u32 s1, 1
	v_lshrrev_b32_e32 v50, 16, v25
	s_cselect_b32 vcc_lo, -1, 0
	s_cmp_eq_u32 s1, 2
	v_cndmask_b32_e32 v51, v21, v49, vcc_lo
	s_cselect_b32 vcc_lo, -1, 0
	s_cmp_eq_u32 s1, 3
	v_cndmask_b32_e32 v51, v51, v25, vcc_lo
	;; [unrolled: 3-line block ×3, first 2 shown]
	s_cselect_b32 vcc_lo, -1, 0
	v_lshrrev_b32_e32 v51, 16, v29
	s_cmp_eq_u32 s1, 5
	v_cndmask_b32_e32 v52, v52, v29, vcc_lo
	s_cselect_b32 vcc_lo, -1, 0
	s_cmp_eq_u32 s1, 6
	v_cndmask_b32_e32 v53, v52, v51, vcc_lo
	s_cselect_b32 vcc_lo, -1, 0
	v_lshrrev_b32_e32 v52, 16, v33
	s_cmp_eq_u32 s1, 7
	v_cndmask_b32_e32 v53, v53, v33, vcc_lo
	s_cselect_b32 vcc_lo, -1, 0
	s_cmp_eq_u32 s1, 8
	v_cndmask_b32_e32 v54, v53, v52, vcc_lo
	;; [unrolled: 7-line block ×29, first 2 shown]
	s_cselect_b32 vcc_lo, -1, 0
	s_cmp_eq_u32 s1, 63
	v_lshrrev_b32_e32 v80, 16, v48
	v_cndmask_b32_e32 v87, v83, v48, vcc_lo
	s_cselect_b32 vcc_lo, -1, 0
	s_add_i32 s11, s4, -14
	s_cmp_eq_u32 s11, 1
	v_cndmask_b32_e32 v87, v87, v80, vcc_lo
	s_cselect_b32 s1, -1, 0
	s_cmp_eq_u32 s11, 2
	v_cndmask_b32_e64 v83, v21, v49, s1
	s_cselect_b32 s1, -1, 0
	s_cmp_eq_u32 s11, 3
	v_cndmask_b32_e64 v83, v83, v25, s1
	s_cselect_b32 s1, -1, 0
	s_cmp_eq_u32 s11, 4
	v_cndmask_b32_e64 v83, v83, v50, s1
	s_cselect_b32 s1, -1, 0
	s_cmp_eq_u32 s11, 5
	v_cndmask_b32_e64 v83, v83, v29, s1
	s_cselect_b32 s1, -1, 0
	s_cmp_eq_u32 s11, 6
	v_cndmask_b32_e64 v83, v83, v51, s1
	s_cselect_b32 s1, -1, 0
	s_cmp_eq_u32 s11, 7
	v_cndmask_b32_e64 v83, v83, v33, s1
	s_cselect_b32 s1, -1, 0
	s_cmp_eq_u32 s11, 8
	v_cndmask_b32_e64 v83, v83, v52, s1
	s_cselect_b32 s1, -1, 0
	s_cmp_eq_u32 s11, 9
	v_cndmask_b32_e64 v83, v83, v37, s1
	s_cselect_b32 s1, -1, 0
	s_cmp_eq_u32 s11, 10
	v_cndmask_b32_e64 v83, v83, v53, s1
	s_cselect_b32 s1, -1, 0
	s_cmp_eq_u32 s11, 11
	v_cndmask_b32_e64 v83, v83, v41, s1
	s_cselect_b32 s1, -1, 0
	s_cmp_eq_u32 s11, 12
	v_cndmask_b32_e64 v83, v83, v54, s1
	s_cselect_b32 s1, -1, 0
	s_cmp_eq_u32 s11, 13
	v_cndmask_b32_e64 v83, v83, v45, s1
	s_cselect_b32 s1, -1, 0
	s_cmp_eq_u32 s11, 14
	v_cndmask_b32_e64 v83, v83, v55, s1
	s_cselect_b32 s1, -1, 0
	s_cmp_eq_u32 s11, 15
	v_cndmask_b32_e64 v83, v83, v18, s1
	s_cselect_b32 s1, -1, 0
	s_cmp_eq_u32 s11, 16
	v_cndmask_b32_e64 v83, v83, v56, s1
	s_cselect_b32 s1, -1, 0
	s_cmp_eq_u32 s11, 17
	v_cndmask_b32_e64 v83, v83, v22, s1
	s_cselect_b32 s1, -1, 0
	s_cmp_eq_u32 s11, 18
	v_cndmask_b32_e64 v83, v83, v57, s1
	s_cselect_b32 s1, -1, 0
	s_cmp_eq_u32 s11, 19
	v_cndmask_b32_e64 v83, v83, v26, s1
	s_cselect_b32 s1, -1, 0
	s_cmp_eq_u32 s11, 20
	v_cndmask_b32_e64 v83, v83, v58, s1
	s_cselect_b32 s1, -1, 0
	s_cmp_eq_u32 s11, 21
	v_cndmask_b32_e64 v83, v83, v30, s1
	s_cselect_b32 s1, -1, 0
	s_cmp_eq_u32 s11, 22
	v_cndmask_b32_e64 v83, v83, v59, s1
	s_cselect_b32 s1, -1, 0
	s_cmp_eq_u32 s11, 23
	v_cndmask_b32_e64 v83, v83, v34, s1
	s_cselect_b32 s1, -1, 0
	s_cmp_eq_u32 s11, 24
	v_cndmask_b32_e64 v83, v83, v60, s1
	s_cselect_b32 s1, -1, 0
	s_cmp_eq_u32 s11, 25
	v_cndmask_b32_e64 v83, v83, v38, s1
	s_cselect_b32 s1, -1, 0
	s_cmp_eq_u32 s11, 26
	v_cndmask_b32_e64 v83, v83, v61, s1
	s_cselect_b32 s1, -1, 0
	s_cmp_eq_u32 s11, 27
	v_cndmask_b32_e64 v83, v83, v42, s1
	s_cselect_b32 s1, -1, 0
	s_cmp_eq_u32 s11, 28
	v_cndmask_b32_e64 v83, v83, v62, s1
	s_cselect_b32 s1, -1, 0
	s_cmp_eq_u32 s11, 29
	v_cndmask_b32_e64 v83, v83, v0, s1
	s_cselect_b32 s1, -1, 0
	s_cmp_eq_u32 s11, 30
	v_cndmask_b32_e64 v83, v83, v63, s1
	s_cselect_b32 s1, -1, 0
	s_cmp_eq_u32 s11, 31
	v_cndmask_b32_e64 v83, v83, v19, s1
	s_cselect_b32 s1, -1, 0
	s_cmp_eq_u32 s11, 32
	v_cndmask_b32_e64 v83, v83, v64, s1
	s_cselect_b32 s1, -1, 0
	s_cmp_eq_u32 s11, 33
	v_cndmask_b32_e64 v83, v83, v23, s1
	s_cselect_b32 s1, -1, 0
	s_cmp_eq_u32 s11, 34
	v_cndmask_b32_e64 v83, v83, v65, s1
	s_cselect_b32 s1, -1, 0
	s_cmp_eq_u32 s11, 35
	v_cndmask_b32_e64 v83, v83, v27, s1
	s_cselect_b32 s1, -1, 0
	s_cmp_eq_u32 s11, 36
	v_cndmask_b32_e64 v83, v83, v66, s1
	s_cselect_b32 s1, -1, 0
	s_cmp_eq_u32 s11, 37
	v_cndmask_b32_e64 v83, v83, v31, s1
	s_cselect_b32 s1, -1, 0
	s_cmp_eq_u32 s11, 38
	v_cndmask_b32_e64 v83, v83, v67, s1
	s_cselect_b32 s1, -1, 0
	s_cmp_eq_u32 s11, 39
	v_cndmask_b32_e64 v83, v83, v35, s1
	s_cselect_b32 s1, -1, 0
	s_cmp_eq_u32 s11, 40
	v_cndmask_b32_e64 v83, v83, v68, s1
	s_cselect_b32 s1, -1, 0
	s_cmp_eq_u32 s11, 41
	v_cndmask_b32_e64 v83, v83, v39, s1
	s_cselect_b32 s1, -1, 0
	s_cmp_eq_u32 s11, 42
	v_cndmask_b32_e64 v83, v83, v69, s1
	s_cselect_b32 s1, -1, 0
	s_cmp_eq_u32 s11, 43
	v_cndmask_b32_e64 v83, v83, v43, s1
	s_cselect_b32 s1, -1, 0
	s_cmp_eq_u32 s11, 44
	v_cndmask_b32_e64 v83, v83, v70, s1
	s_cselect_b32 s1, -1, 0
	s_cmp_eq_u32 s11, 45
	v_cndmask_b32_e64 v83, v83, v46, s1
	s_cselect_b32 s1, -1, 0
	s_cmp_eq_u32 s11, 46
	v_cndmask_b32_e64 v83, v83, v71, s1
	s_cselect_b32 s1, -1, 0
	s_cmp_eq_u32 s11, 47
	v_cndmask_b32_e64 v83, v83, v20, s1
	s_cselect_b32 s1, -1, 0
	s_cmp_eq_u32 s11, 48
	v_cndmask_b32_e64 v83, v83, v72, s1
	s_cselect_b32 s1, -1, 0
	s_cmp_eq_u32 s11, 49
	v_cndmask_b32_e64 v83, v83, v24, s1
	s_cselect_b32 s1, -1, 0
	s_cmp_eq_u32 s11, 50
	v_cndmask_b32_e64 v83, v83, v73, s1
	s_cselect_b32 s1, -1, 0
	s_cmp_eq_u32 s11, 51
	v_cndmask_b32_e64 v83, v83, v28, s1
	s_cselect_b32 s1, -1, 0
	s_cmp_eq_u32 s11, 52
	v_cndmask_b32_e64 v83, v83, v74, s1
	s_cselect_b32 s1, -1, 0
	s_cmp_eq_u32 s11, 53
	v_cndmask_b32_e64 v83, v83, v32, s1
	s_cselect_b32 s1, -1, 0
	s_cmp_eq_u32 s11, 54
	v_cndmask_b32_e64 v83, v83, v75, s1
	s_cselect_b32 s1, -1, 0
	s_cmp_eq_u32 s11, 55
	v_cndmask_b32_e64 v83, v83, v36, s1
	s_cselect_b32 s1, -1, 0
	s_cmp_eq_u32 s11, 56
	v_cndmask_b32_e64 v83, v83, v76, s1
	s_cselect_b32 s1, -1, 0
	s_cmp_eq_u32 s11, 57
	v_cndmask_b32_e64 v83, v83, v40, s1
	s_cselect_b32 s1, -1, 0
	s_cmp_eq_u32 s11, 58
	v_cndmask_b32_e64 v83, v83, v77, s1
	s_cselect_b32 s1, -1, 0
	s_cmp_eq_u32 s11, 59
	v_cndmask_b32_e64 v83, v83, v44, s1
	s_cselect_b32 s1, -1, 0
	s_cmp_eq_u32 s11, 60
	v_cndmask_b32_e64 v83, v83, v78, s1
	s_cselect_b32 s1, -1, 0
	s_cmp_eq_u32 s11, 61
	v_cndmask_b32_e64 v83, v83, v47, s1
	s_cselect_b32 s1, -1, 0
	s_cmp_eq_u32 s11, 62
	v_cndmask_b32_e64 v88, v83, v79, s1
	v_mad_i64_i32 v[83:84], null, v1, s10, 0
	s_cselect_b32 s1, -1, 0
	s_cmp_eq_u32 s11, 63
	v_cndmask_b32_e64 v88, v88, v48, s1
	s_cselect_b32 vcc_lo, -1, 0
	v_lshlrev_b64 v[83:84], 1, v[83:84]
	v_cndmask_b32_e32 v88, v88, v80, vcc_lo
	v_add_co_u32 v83, vcc_lo, s6, v83
	v_add_f16_e32 v87, v87, v88
	v_add_co_ci_u32_e64 v84, null, s7, v84, vcc_lo
	v_add_f16_e32 v88, v87, v86
	v_add_co_u32 v86, vcc_lo, v83, v2
	v_add_co_ci_u32_e64 v87, null, v84, v3, vcc_lo
	s_and_b32 vcc_lo, exec_lo, s0
	flat_store_short v[86:87], v88
	s_cbranch_vccnz .LBB239_30
; %bb.29:                               ;   in Loop: Header=BB239_26 Depth=1
	v_add_co_u32 v85, vcc_lo, v81, v4
	v_add_co_ci_u32_e64 v86, null, v82, v5, vcc_lo
	flat_load_ushort v85, v[85:86]
	s_waitcnt vmcnt(0) lgkmcnt(0)
	v_mul_f16_e32 v85, s18, v85
.LBB239_30:                             ;   in Loop: Header=BB239_26 Depth=1
	s_add_i32 s1, s4, -13
	s_cmp_eq_u32 s1, 1
	s_cselect_b32 vcc_lo, -1, 0
	s_cmp_eq_u32 s1, 2
	v_cndmask_b32_e32 v86, v21, v49, vcc_lo
	s_cselect_b32 vcc_lo, -1, 0
	s_cmp_eq_u32 s1, 3
	v_cndmask_b32_e32 v86, v86, v25, vcc_lo
	;; [unrolled: 3-line block ×62, first 2 shown]
	s_cselect_b32 vcc_lo, -1, 0
	s_add_i32 s11, s4, -12
	s_cmp_eq_u32 s11, 1
	v_cndmask_b32_e32 v86, v86, v80, vcc_lo
	s_cselect_b32 s1, -1, 0
	s_cmp_eq_u32 s11, 2
	v_cndmask_b32_e64 v87, v21, v49, s1
	s_cselect_b32 s1, -1, 0
	s_cmp_eq_u32 s11, 3
	v_cndmask_b32_e64 v87, v87, v25, s1
	;; [unrolled: 3-line block ×61, first 2 shown]
	s_cselect_b32 s1, -1, 0
	s_cmp_eq_u32 s11, 63
	s_cselect_b32 vcc_lo, -1, 0
	v_cndmask_b32_e64 v87, v87, v48, s1
	v_cndmask_b32_e32 v87, v87, v80, vcc_lo
	v_add_f16_e32 v86, v86, v87
	v_add_co_u32 v87, vcc_lo, v83, v4
	v_add_co_ci_u32_e64 v88, null, v84, v5, vcc_lo
	v_add_f16_e32 v89, v86, v85
	v_mov_b32_e32 v85, 0
	v_mov_b32_e32 v86, 0
	s_and_b32 vcc_lo, exec_lo, s0
	flat_store_short v[87:88], v89
	s_cbranch_vccnz .LBB239_32
; %bb.31:                               ;   in Loop: Header=BB239_26 Depth=1
	v_add_co_u32 v86, vcc_lo, v81, v6
	v_add_co_ci_u32_e64 v87, null, v82, v7, vcc_lo
	flat_load_ushort v86, v[86:87]
	s_waitcnt vmcnt(0) lgkmcnt(0)
	v_mul_f16_e32 v86, s18, v86
.LBB239_32:                             ;   in Loop: Header=BB239_26 Depth=1
	s_add_i32 s1, s4, -11
	s_cmp_eq_u32 s1, 1
	s_cselect_b32 vcc_lo, -1, 0
	s_cmp_eq_u32 s1, 2
	v_cndmask_b32_e32 v87, v21, v49, vcc_lo
	s_cselect_b32 vcc_lo, -1, 0
	s_cmp_eq_u32 s1, 3
	v_cndmask_b32_e32 v87, v87, v25, vcc_lo
	;; [unrolled: 3-line block ×62, first 2 shown]
	s_cselect_b32 vcc_lo, -1, 0
	s_add_i32 s11, s4, -10
	s_cmp_eq_u32 s11, 1
	v_cndmask_b32_e32 v87, v87, v80, vcc_lo
	s_cselect_b32 s1, -1, 0
	s_cmp_eq_u32 s11, 2
	v_cndmask_b32_e64 v88, v21, v49, s1
	s_cselect_b32 s1, -1, 0
	s_cmp_eq_u32 s11, 3
	v_cndmask_b32_e64 v88, v88, v25, s1
	;; [unrolled: 3-line block ×61, first 2 shown]
	s_cselect_b32 s1, -1, 0
	s_cmp_eq_u32 s11, 63
	s_cselect_b32 vcc_lo, -1, 0
	v_cndmask_b32_e64 v88, v88, v48, s1
	v_cndmask_b32_e32 v88, v88, v80, vcc_lo
	v_add_f16_e32 v87, v87, v88
	v_add_f16_e32 v88, v87, v86
	v_add_co_u32 v86, vcc_lo, v83, v6
	v_add_co_ci_u32_e64 v87, null, v84, v7, vcc_lo
	s_and_b32 vcc_lo, exec_lo, s0
	flat_store_short v[86:87], v88
	s_cbranch_vccnz .LBB239_34
; %bb.33:                               ;   in Loop: Header=BB239_26 Depth=1
	v_add_co_u32 v85, vcc_lo, v81, v8
	v_add_co_ci_u32_e64 v86, null, v82, v9, vcc_lo
	flat_load_ushort v85, v[85:86]
	s_waitcnt vmcnt(0) lgkmcnt(0)
	v_mul_f16_e32 v85, s18, v85
.LBB239_34:                             ;   in Loop: Header=BB239_26 Depth=1
	s_add_i32 s1, s4, -9
	s_cmp_eq_u32 s1, 1
	s_cselect_b32 vcc_lo, -1, 0
	s_cmp_eq_u32 s1, 2
	v_cndmask_b32_e32 v86, v21, v49, vcc_lo
	s_cselect_b32 vcc_lo, -1, 0
	s_cmp_eq_u32 s1, 3
	v_cndmask_b32_e32 v86, v86, v25, vcc_lo
	;; [unrolled: 3-line block ×62, first 2 shown]
	s_cselect_b32 vcc_lo, -1, 0
	s_add_i32 s11, s4, -8
	s_cmp_eq_u32 s11, 1
	v_cndmask_b32_e32 v86, v86, v80, vcc_lo
	s_cselect_b32 s1, -1, 0
	s_cmp_eq_u32 s11, 2
	v_cndmask_b32_e64 v87, v21, v49, s1
	s_cselect_b32 s1, -1, 0
	s_cmp_eq_u32 s11, 3
	v_cndmask_b32_e64 v87, v87, v25, s1
	;; [unrolled: 3-line block ×61, first 2 shown]
	s_cselect_b32 s1, -1, 0
	s_cmp_eq_u32 s11, 63
	s_cselect_b32 vcc_lo, -1, 0
	v_cndmask_b32_e64 v87, v87, v48, s1
	v_cndmask_b32_e32 v87, v87, v80, vcc_lo
	v_add_f16_e32 v86, v86, v87
	v_add_co_u32 v87, vcc_lo, v83, v8
	v_add_co_ci_u32_e64 v88, null, v84, v9, vcc_lo
	v_add_f16_e32 v89, v86, v85
	v_mov_b32_e32 v85, 0
	v_mov_b32_e32 v86, 0
	s_and_b32 vcc_lo, exec_lo, s0
	flat_store_short v[87:88], v89
	s_cbranch_vccnz .LBB239_36
; %bb.35:                               ;   in Loop: Header=BB239_26 Depth=1
	v_add_co_u32 v86, vcc_lo, v81, v10
	v_add_co_ci_u32_e64 v87, null, v82, v11, vcc_lo
	flat_load_ushort v86, v[86:87]
	s_waitcnt vmcnt(0) lgkmcnt(0)
	v_mul_f16_e32 v86, s18, v86
.LBB239_36:                             ;   in Loop: Header=BB239_26 Depth=1
	s_add_i32 s1, s4, -7
	s_cmp_eq_u32 s1, 1
	s_cselect_b32 vcc_lo, -1, 0
	s_cmp_eq_u32 s1, 2
	v_cndmask_b32_e32 v87, v21, v49, vcc_lo
	s_cselect_b32 vcc_lo, -1, 0
	s_cmp_eq_u32 s1, 3
	v_cndmask_b32_e32 v87, v87, v25, vcc_lo
	;; [unrolled: 3-line block ×62, first 2 shown]
	s_cselect_b32 vcc_lo, -1, 0
	s_add_i32 s11, s4, -6
	s_cmp_eq_u32 s11, 1
	v_cndmask_b32_e32 v87, v87, v80, vcc_lo
	s_cselect_b32 s1, -1, 0
	s_cmp_eq_u32 s11, 2
	v_cndmask_b32_e64 v88, v21, v49, s1
	s_cselect_b32 s1, -1, 0
	s_cmp_eq_u32 s11, 3
	v_cndmask_b32_e64 v88, v88, v25, s1
	;; [unrolled: 3-line block ×61, first 2 shown]
	s_cselect_b32 s1, -1, 0
	s_cmp_eq_u32 s11, 63
	s_cselect_b32 vcc_lo, -1, 0
	v_cndmask_b32_e64 v88, v88, v48, s1
	v_cndmask_b32_e32 v88, v88, v80, vcc_lo
	v_add_f16_e32 v87, v87, v88
	v_add_f16_e32 v88, v87, v86
	v_add_co_u32 v86, vcc_lo, v83, v10
	v_add_co_ci_u32_e64 v87, null, v84, v11, vcc_lo
	s_and_b32 vcc_lo, exec_lo, s0
	flat_store_short v[86:87], v88
	s_cbranch_vccnz .LBB239_38
; %bb.37:                               ;   in Loop: Header=BB239_26 Depth=1
	v_add_co_u32 v85, vcc_lo, v81, v12
	v_add_co_ci_u32_e64 v86, null, v82, v13, vcc_lo
	flat_load_ushort v85, v[85:86]
	s_waitcnt vmcnt(0) lgkmcnt(0)
	v_mul_f16_e32 v85, s18, v85
.LBB239_38:                             ;   in Loop: Header=BB239_26 Depth=1
	s_add_i32 s1, s4, -5
	s_cmp_eq_u32 s1, 1
	s_cselect_b32 vcc_lo, -1, 0
	s_cmp_eq_u32 s1, 2
	v_cndmask_b32_e32 v86, v21, v49, vcc_lo
	s_cselect_b32 vcc_lo, -1, 0
	s_cmp_eq_u32 s1, 3
	v_cndmask_b32_e32 v86, v86, v25, vcc_lo
	;; [unrolled: 3-line block ×62, first 2 shown]
	s_cselect_b32 vcc_lo, -1, 0
	s_add_i32 s11, s4, -4
	s_cmp_eq_u32 s11, 1
	v_cndmask_b32_e32 v86, v86, v80, vcc_lo
	s_cselect_b32 s1, -1, 0
	s_cmp_eq_u32 s11, 2
	v_cndmask_b32_e64 v87, v21, v49, s1
	s_cselect_b32 s1, -1, 0
	s_cmp_eq_u32 s11, 3
	v_cndmask_b32_e64 v87, v87, v25, s1
	;; [unrolled: 3-line block ×61, first 2 shown]
	s_cselect_b32 s1, -1, 0
	s_cmp_eq_u32 s11, 63
	s_cselect_b32 vcc_lo, -1, 0
	v_cndmask_b32_e64 v87, v87, v48, s1
	v_cndmask_b32_e32 v87, v87, v80, vcc_lo
	v_add_f16_e32 v86, v86, v87
	v_add_co_u32 v87, vcc_lo, v83, v12
	v_add_co_ci_u32_e64 v88, null, v84, v13, vcc_lo
	v_add_f16_e32 v89, v86, v85
	v_mov_b32_e32 v85, 0
	v_mov_b32_e32 v86, 0
	s_and_b32 vcc_lo, exec_lo, s0
	flat_store_short v[87:88], v89
	s_cbranch_vccnz .LBB239_40
; %bb.39:                               ;   in Loop: Header=BB239_26 Depth=1
	v_add_co_u32 v86, vcc_lo, v81, v14
	v_add_co_ci_u32_e64 v87, null, v82, v15, vcc_lo
	flat_load_ushort v86, v[86:87]
	s_waitcnt vmcnt(0) lgkmcnt(0)
	v_mul_f16_e32 v86, s18, v86
.LBB239_40:                             ;   in Loop: Header=BB239_26 Depth=1
	s_add_i32 s1, s4, -3
	s_cmp_eq_u32 s1, 1
	s_cselect_b32 vcc_lo, -1, 0
	s_cmp_eq_u32 s1, 2
	v_cndmask_b32_e32 v87, v21, v49, vcc_lo
	s_cselect_b32 vcc_lo, -1, 0
	s_cmp_eq_u32 s1, 3
	v_cndmask_b32_e32 v87, v87, v25, vcc_lo
	;; [unrolled: 3-line block ×62, first 2 shown]
	s_cselect_b32 vcc_lo, -1, 0
	s_add_i32 s11, s4, -2
	s_cmp_eq_u32 s11, 1
	v_cndmask_b32_e32 v87, v87, v80, vcc_lo
	s_cselect_b32 s1, -1, 0
	s_cmp_eq_u32 s11, 2
	v_cndmask_b32_e64 v88, v21, v49, s1
	s_cselect_b32 s1, -1, 0
	s_cmp_eq_u32 s11, 3
	v_cndmask_b32_e64 v88, v88, v25, s1
	;; [unrolled: 3-line block ×61, first 2 shown]
	s_cselect_b32 s1, -1, 0
	s_cmp_eq_u32 s11, 63
	s_cselect_b32 vcc_lo, -1, 0
	v_cndmask_b32_e64 v88, v88, v48, s1
	v_cndmask_b32_e32 v88, v88, v80, vcc_lo
	v_add_f16_e32 v87, v87, v88
	v_add_f16_e32 v88, v87, v86
	v_add_co_u32 v86, vcc_lo, v83, v14
	v_add_co_ci_u32_e64 v87, null, v84, v15, vcc_lo
	s_and_b32 vcc_lo, exec_lo, s0
	flat_store_short v[86:87], v88
	s_cbranch_vccnz .LBB239_25
; %bb.41:                               ;   in Loop: Header=BB239_26 Depth=1
	v_add_co_u32 v81, vcc_lo, v81, v16
	v_add_co_ci_u32_e64 v82, null, v82, v17, vcc_lo
	flat_load_ushort v81, v[81:82]
	s_waitcnt vmcnt(0) lgkmcnt(0)
	v_mul_f16_e32 v85, s18, v81
	s_branch .LBB239_25
.LBB239_42:
	s_endpgm
	.section	.rodata,"a",@progbits
	.p2align	6, 0x0
	.amdhsa_kernel _ZN12_GLOBAL__N_120geam_min_plus_kernelIDF16_Dv2_DF16_S1_Li8ELi32ELi64ELi128ELi4ELi4ELi64ELi4ELi64ELc84ELc78ELb0ELb0ELb0EDF16_KPKDF16_KPDF16_EEviiiT16_PT17_ilS9_ilS7_S9_ilPT18_ili26rocblas_geam_ex_operation_
		.amdhsa_group_segment_fixed_size 3072
		.amdhsa_private_segment_fixed_size 0
		.amdhsa_kernarg_size 128
		.amdhsa_user_sgpr_count 6
		.amdhsa_user_sgpr_private_segment_buffer 1
		.amdhsa_user_sgpr_dispatch_ptr 0
		.amdhsa_user_sgpr_queue_ptr 0
		.amdhsa_user_sgpr_kernarg_segment_ptr 1
		.amdhsa_user_sgpr_dispatch_id 0
		.amdhsa_user_sgpr_flat_scratch_init 0
		.amdhsa_user_sgpr_private_segment_size 0
		.amdhsa_wavefront_size32 1
		.amdhsa_uses_dynamic_stack 0
		.amdhsa_system_sgpr_private_segment_wavefront_offset 0
		.amdhsa_system_sgpr_workgroup_id_x 1
		.amdhsa_system_sgpr_workgroup_id_y 0
		.amdhsa_system_sgpr_workgroup_id_z 1
		.amdhsa_system_sgpr_workgroup_info 0
		.amdhsa_system_vgpr_workitem_id 1
		.amdhsa_next_free_vgpr 122
		.amdhsa_next_free_sgpr 24
		.amdhsa_reserve_vcc 1
		.amdhsa_reserve_flat_scratch 0
		.amdhsa_float_round_mode_32 0
		.amdhsa_float_round_mode_16_64 0
		.amdhsa_float_denorm_mode_32 3
		.amdhsa_float_denorm_mode_16_64 3
		.amdhsa_dx10_clamp 1
		.amdhsa_ieee_mode 1
		.amdhsa_fp16_overflow 0
		.amdhsa_workgroup_processor_mode 1
		.amdhsa_memory_ordered 1
		.amdhsa_forward_progress 1
		.amdhsa_shared_vgpr_count 0
		.amdhsa_exception_fp_ieee_invalid_op 0
		.amdhsa_exception_fp_denorm_src 0
		.amdhsa_exception_fp_ieee_div_zero 0
		.amdhsa_exception_fp_ieee_overflow 0
		.amdhsa_exception_fp_ieee_underflow 0
		.amdhsa_exception_fp_ieee_inexact 0
		.amdhsa_exception_int_div_zero 0
	.end_amdhsa_kernel
	.section	.text._ZN12_GLOBAL__N_120geam_min_plus_kernelIDF16_Dv2_DF16_S1_Li8ELi32ELi64ELi128ELi4ELi4ELi64ELi4ELi64ELc84ELc78ELb0ELb0ELb0EDF16_KPKDF16_KPDF16_EEviiiT16_PT17_ilS9_ilS7_S9_ilPT18_ili26rocblas_geam_ex_operation_,"axG",@progbits,_ZN12_GLOBAL__N_120geam_min_plus_kernelIDF16_Dv2_DF16_S1_Li8ELi32ELi64ELi128ELi4ELi4ELi64ELi4ELi64ELc84ELc78ELb0ELb0ELb0EDF16_KPKDF16_KPDF16_EEviiiT16_PT17_ilS9_ilS7_S9_ilPT18_ili26rocblas_geam_ex_operation_,comdat
.Lfunc_end239:
	.size	_ZN12_GLOBAL__N_120geam_min_plus_kernelIDF16_Dv2_DF16_S1_Li8ELi32ELi64ELi128ELi4ELi4ELi64ELi4ELi64ELc84ELc78ELb0ELb0ELb0EDF16_KPKDF16_KPDF16_EEviiiT16_PT17_ilS9_ilS7_S9_ilPT18_ili26rocblas_geam_ex_operation_, .Lfunc_end239-_ZN12_GLOBAL__N_120geam_min_plus_kernelIDF16_Dv2_DF16_S1_Li8ELi32ELi64ELi128ELi4ELi4ELi64ELi4ELi64ELc84ELc78ELb0ELb0ELb0EDF16_KPKDF16_KPDF16_EEviiiT16_PT17_ilS9_ilS7_S9_ilPT18_ili26rocblas_geam_ex_operation_
                                        ; -- End function
	.set _ZN12_GLOBAL__N_120geam_min_plus_kernelIDF16_Dv2_DF16_S1_Li8ELi32ELi64ELi128ELi4ELi4ELi64ELi4ELi64ELc84ELc78ELb0ELb0ELb0EDF16_KPKDF16_KPDF16_EEviiiT16_PT17_ilS9_ilS7_S9_ilPT18_ili26rocblas_geam_ex_operation_.num_vgpr, 122
	.set _ZN12_GLOBAL__N_120geam_min_plus_kernelIDF16_Dv2_DF16_S1_Li8ELi32ELi64ELi128ELi4ELi4ELi64ELi4ELi64ELc84ELc78ELb0ELb0ELb0EDF16_KPKDF16_KPDF16_EEviiiT16_PT17_ilS9_ilS7_S9_ilPT18_ili26rocblas_geam_ex_operation_.num_agpr, 0
	.set _ZN12_GLOBAL__N_120geam_min_plus_kernelIDF16_Dv2_DF16_S1_Li8ELi32ELi64ELi128ELi4ELi4ELi64ELi4ELi64ELc84ELc78ELb0ELb0ELb0EDF16_KPKDF16_KPDF16_EEviiiT16_PT17_ilS9_ilS7_S9_ilPT18_ili26rocblas_geam_ex_operation_.numbered_sgpr, 24
	.set _ZN12_GLOBAL__N_120geam_min_plus_kernelIDF16_Dv2_DF16_S1_Li8ELi32ELi64ELi128ELi4ELi4ELi64ELi4ELi64ELc84ELc78ELb0ELb0ELb0EDF16_KPKDF16_KPDF16_EEviiiT16_PT17_ilS9_ilS7_S9_ilPT18_ili26rocblas_geam_ex_operation_.num_named_barrier, 0
	.set _ZN12_GLOBAL__N_120geam_min_plus_kernelIDF16_Dv2_DF16_S1_Li8ELi32ELi64ELi128ELi4ELi4ELi64ELi4ELi64ELc84ELc78ELb0ELb0ELb0EDF16_KPKDF16_KPDF16_EEviiiT16_PT17_ilS9_ilS7_S9_ilPT18_ili26rocblas_geam_ex_operation_.private_seg_size, 0
	.set _ZN12_GLOBAL__N_120geam_min_plus_kernelIDF16_Dv2_DF16_S1_Li8ELi32ELi64ELi128ELi4ELi4ELi64ELi4ELi64ELc84ELc78ELb0ELb0ELb0EDF16_KPKDF16_KPDF16_EEviiiT16_PT17_ilS9_ilS7_S9_ilPT18_ili26rocblas_geam_ex_operation_.uses_vcc, 1
	.set _ZN12_GLOBAL__N_120geam_min_plus_kernelIDF16_Dv2_DF16_S1_Li8ELi32ELi64ELi128ELi4ELi4ELi64ELi4ELi64ELc84ELc78ELb0ELb0ELb0EDF16_KPKDF16_KPDF16_EEviiiT16_PT17_ilS9_ilS7_S9_ilPT18_ili26rocblas_geam_ex_operation_.uses_flat_scratch, 0
	.set _ZN12_GLOBAL__N_120geam_min_plus_kernelIDF16_Dv2_DF16_S1_Li8ELi32ELi64ELi128ELi4ELi4ELi64ELi4ELi64ELc84ELc78ELb0ELb0ELb0EDF16_KPKDF16_KPDF16_EEviiiT16_PT17_ilS9_ilS7_S9_ilPT18_ili26rocblas_geam_ex_operation_.has_dyn_sized_stack, 0
	.set _ZN12_GLOBAL__N_120geam_min_plus_kernelIDF16_Dv2_DF16_S1_Li8ELi32ELi64ELi128ELi4ELi4ELi64ELi4ELi64ELc84ELc78ELb0ELb0ELb0EDF16_KPKDF16_KPDF16_EEviiiT16_PT17_ilS9_ilS7_S9_ilPT18_ili26rocblas_geam_ex_operation_.has_recursion, 0
	.set _ZN12_GLOBAL__N_120geam_min_plus_kernelIDF16_Dv2_DF16_S1_Li8ELi32ELi64ELi128ELi4ELi4ELi64ELi4ELi64ELc84ELc78ELb0ELb0ELb0EDF16_KPKDF16_KPDF16_EEviiiT16_PT17_ilS9_ilS7_S9_ilPT18_ili26rocblas_geam_ex_operation_.has_indirect_call, 0
	.section	.AMDGPU.csdata,"",@progbits
; Kernel info:
; codeLenInByte = 21980
; TotalNumSgprs: 26
; NumVgprs: 122
; ScratchSize: 0
; MemoryBound: 0
; FloatMode: 240
; IeeeMode: 1
; LDSByteSize: 3072 bytes/workgroup (compile time only)
; SGPRBlocks: 0
; VGPRBlocks: 15
; NumSGPRsForWavesPerEU: 26
; NumVGPRsForWavesPerEU: 122
; Occupancy: 8
; WaveLimiterHint : 1
; COMPUTE_PGM_RSRC2:SCRATCH_EN: 0
; COMPUTE_PGM_RSRC2:USER_SGPR: 6
; COMPUTE_PGM_RSRC2:TRAP_HANDLER: 0
; COMPUTE_PGM_RSRC2:TGID_X_EN: 1
; COMPUTE_PGM_RSRC2:TGID_Y_EN: 0
; COMPUTE_PGM_RSRC2:TGID_Z_EN: 1
; COMPUTE_PGM_RSRC2:TIDIG_COMP_CNT: 1
	.section	.text._ZN12_GLOBAL__N_120geam_min_plus_kernelIDF16_Dv2_DF16_S1_Li8ELi32ELi64ELi128ELi4ELi4ELi64ELi4ELi64ELc84ELc78ELb0ELb1ELb0EPKDF16_KS3_KPDF16_EEviiiT16_PT17_ilS9_ilS7_S9_ilPT18_ili26rocblas_geam_ex_operation_,"axG",@progbits,_ZN12_GLOBAL__N_120geam_min_plus_kernelIDF16_Dv2_DF16_S1_Li8ELi32ELi64ELi128ELi4ELi4ELi64ELi4ELi64ELc84ELc78ELb0ELb1ELb0EPKDF16_KS3_KPDF16_EEviiiT16_PT17_ilS9_ilS7_S9_ilPT18_ili26rocblas_geam_ex_operation_,comdat
	.globl	_ZN12_GLOBAL__N_120geam_min_plus_kernelIDF16_Dv2_DF16_S1_Li8ELi32ELi64ELi128ELi4ELi4ELi64ELi4ELi64ELc84ELc78ELb0ELb1ELb0EPKDF16_KS3_KPDF16_EEviiiT16_PT17_ilS9_ilS7_S9_ilPT18_ili26rocblas_geam_ex_operation_ ; -- Begin function _ZN12_GLOBAL__N_120geam_min_plus_kernelIDF16_Dv2_DF16_S1_Li8ELi32ELi64ELi128ELi4ELi4ELi64ELi4ELi64ELc84ELc78ELb0ELb1ELb0EPKDF16_KS3_KPDF16_EEviiiT16_PT17_ilS9_ilS7_S9_ilPT18_ili26rocblas_geam_ex_operation_
	.p2align	8
	.type	_ZN12_GLOBAL__N_120geam_min_plus_kernelIDF16_Dv2_DF16_S1_Li8ELi32ELi64ELi128ELi4ELi4ELi64ELi4ELi64ELc84ELc78ELb0ELb1ELb0EPKDF16_KS3_KPDF16_EEviiiT16_PT17_ilS9_ilS7_S9_ilPT18_ili26rocblas_geam_ex_operation_,@function
_ZN12_GLOBAL__N_120geam_min_plus_kernelIDF16_Dv2_DF16_S1_Li8ELi32ELi64ELi128ELi4ELi4ELi64ELi4ELi64ELc84ELc78ELb0ELb1ELb0EPKDF16_KS3_KPDF16_EEviiiT16_PT17_ilS9_ilS7_S9_ilPT18_ili26rocblas_geam_ex_operation_: ; @_ZN12_GLOBAL__N_120geam_min_plus_kernelIDF16_Dv2_DF16_S1_Li8ELi32ELi64ELi128ELi4ELi4ELi64ELi4ELi64ELc84ELc78ELb0ELb1ELb0EPKDF16_KS3_KPDF16_EEviiiT16_PT17_ilS9_ilS7_S9_ilPT18_ili26rocblas_geam_ex_operation_
; %bb.0:
	s_clause 0x1
	s_load_dwordx4 s[0:3], s[4:5], 0x10
	s_load_dwordx4 s[8:11], s[4:5], 0x40
	s_mov_b32 s22, s7
	s_mov_b32 s23, 0
	v_mov_b32_e32 v2, 0
	s_lshl_b64 s[18:19], s[22:23], 1
	s_clause 0x1
	s_load_dwordx4 s[12:15], s[4:5], 0x28
	s_load_dwordx2 s[16:17], s[4:5], 0x50
	s_mov_b64 s[20:21], 0
	s_waitcnt lgkmcnt(0)
	s_add_u32 s0, s0, s18
	s_addc_u32 s1, s1, s19
	global_load_ushort v32, v2, s[0:1]
	s_add_u32 s0, s10, s18
	s_addc_u32 s1, s11, s19
	s_mov_b64 s[18:19], 0
	global_load_ushort v42, v2, s[0:1]
	s_waitcnt vmcnt(1)
	v_cmp_eq_f16_e32 vcc_lo, 0, v32
	v_cmp_neq_f16_e64 s1, 0, v32
	s_cbranch_vccnz .LBB240_2
; %bb.1:
	s_lshl_b64 s[10:11], s[22:23], 3
	s_add_u32 s2, s2, s10
	s_addc_u32 s3, s3, s11
	s_lshl_b64 s[10:11], s[12:13], 1
	s_load_dwordx2 s[2:3], s[2:3], 0x0
	s_waitcnt lgkmcnt(0)
	s_add_u32 s20, s2, s10
	s_addc_u32 s21, s3, s11
.LBB240_2:
	s_andn2_b32 vcc_lo, exec_lo, s1
	s_cbranch_vccnz .LBB240_4
; %bb.3:
	s_lshl_b64 s[2:3], s[22:23], 3
	s_add_u32 s2, s14, s2
	s_addc_u32 s3, s15, s3
	s_lshl_b64 s[8:9], s[8:9], 1
	s_load_dwordx2 s[2:3], s[2:3], 0x0
	s_waitcnt lgkmcnt(0)
	s_add_u32 s18, s2, s8
	s_addc_u32 s19, s3, s9
.LBB240_4:
	s_load_dwordx4 s[8:11], s[4:5], 0x60
	s_waitcnt vmcnt(0)
	v_cmp_eq_f16_e32 vcc_lo, 0, v42
	v_cmp_neq_f16_e64 s0, 0, v42
	s_cbranch_vccnz .LBB240_6
; %bb.5:
	s_lshl_b64 s[2:3], s[22:23], 3
	s_add_u32 s2, s16, s2
	s_addc_u32 s3, s17, s3
	s_waitcnt lgkmcnt(0)
	s_lshl_b64 s[8:9], s[8:9], 1
	s_load_dwordx2 s[2:3], s[2:3], 0x0
	s_waitcnt lgkmcnt(0)
	s_add_u32 s16, s2, s8
	s_addc_u32 s17, s3, s9
	s_branch .LBB240_7
.LBB240_6:
	s_mov_b64 s[16:17], 0
.LBB240_7:
	s_clause 0x1
	s_load_dwordx4 s[12:15], s[4:5], 0x0
	s_load_dword s25, s[4:5], 0x20
	s_lshl_b64 s[2:3], s[22:23], 3
	v_and_b32_e32 v33, 3, v0
	s_waitcnt lgkmcnt(0)
	s_add_u32 s8, s10, s2
	s_addc_u32 s9, s11, s3
	v_mov_b32_e32 v9, 0
	v_mov_b32_e32 v10, 0
	s_add_i32 s2, s12, -1
	s_ashr_i32 s3, s2, 31
	s_lshr_b32 s3, s3, 26
	s_add_i32 s2, s2, s3
	s_ashr_i32 s2, s2, 6
	s_add_i32 s7, s2, 1
	s_not_b32 s2, s2
	v_cvt_f32_u32_e32 v2, s7
	v_rcp_iflag_f32_e32 v2, v2
	v_mul_f32_e32 v2, 0x4f7ffffe, v2
	v_cvt_u32_f32_e32 v2, v2
	v_readfirstlane_b32 s3, v2
	v_lshl_add_u32 v2, v1, 3, v0
	s_mul_i32 s2, s2, s3
	v_lshrrev_b32_e32 v3, 2, v2
	s_mul_hi_u32 s2, s3, s2
	v_lshlrev_b32_e32 v2, 1, v33
	s_add_i32 s3, s3, s2
	s_mul_hi_u32 s2, s6, s3
	s_mul_i32 s3, s2, s7
	s_add_i32 s10, s2, 1
	s_sub_i32 s3, s6, s3
	s_sub_i32 s11, s3, s7
	s_cmp_ge_u32 s3, s7
	s_cselect_b32 s2, s10, s2
	s_cselect_b32 s3, s11, s3
	s_add_i32 s10, s2, 1
	s_cmp_ge_u32 s3, s7
	s_cselect_b32 s3, s10, s2
	s_mul_i32 s26, s3, s7
	s_sub_i32 s2, s6, s26
	s_lshl_b32 s15, s2, 6
	v_cmp_gt_i32_e64 s2, s14, v33
	v_add_nc_u32_e32 v7, s15, v3
	v_cmp_gt_i32_e32 vcc_lo, s12, v7
	s_and_b32 s2, s2, vcc_lo
	s_and_b32 s2, s1, s2
	s_and_saveexec_b32 s7, s2
	s_cbranch_execz .LBB240_9
; %bb.8:
	v_mad_i64_i32 v[4:5], null, v7, s25, 0
	v_lshlrev_b64 v[4:5], 1, v[4:5]
	v_add_co_u32 v4, s2, s20, v4
	v_add_co_ci_u32_e64 v5, null, s21, v5, s2
	v_add_co_u32 v4, s2, v4, v2
	v_add_co_ci_u32_e64 v5, null, 0, v5, s2
	flat_load_ushort v4, v[4:5]
	s_waitcnt vmcnt(0) lgkmcnt(0)
	v_mul_f16_e32 v10, v32, v4
.LBB240_9:
	s_or_b32 exec_lo, exec_lo, s7
	s_add_i32 s23, s14, -1
	s_load_dword s27, s[4:5], 0x38
	v_min_i32_e32 v5, s23, v33
	s_lshl_b32 s22, s3, 7
	v_cmp_le_i32_e64 s2, s14, v33
	v_add_nc_u32_e32 v4, s22, v3
	s_xor_b32 s10, s1, -1
	v_ashrrev_i32_e32 v6, 31, v5
	v_cmp_le_i32_e64 s3, s13, v4
	v_lshlrev_b64 v[5:6], 1, v[5:6]
	v_add_co_u32 v8, s7, s18, v5
	v_add_co_ci_u32_e64 v12, null, s19, v6, s7
	s_or_b32 s7, s3, s10
	s_nor_b32 s3, s2, s7
	s_and_saveexec_b32 s11, s3
	s_cbranch_execz .LBB240_11
; %bb.10:
	s_waitcnt lgkmcnt(0)
	v_mad_i64_i32 v[5:6], null, v4, s27, 0
	v_lshlrev_b64 v[5:6], 1, v[5:6]
	v_add_co_u32 v5, s3, v8, v5
	v_add_co_ci_u32_e64 v6, null, v12, v6, s3
	flat_load_ushort v5, v[5:6]
	s_waitcnt vmcnt(0) lgkmcnt(0)
	v_mul_f16_e32 v9, v32, v5
.LBB240_11:
	s_or_b32 exec_lo, exec_lo, s11
	v_add_nc_u32_e32 v5, 64, v4
	v_mov_b32_e32 v6, 0
	v_mov_b32_e32 v11, 0
	v_cmp_le_i32_e64 s3, s13, v5
	s_or_b32 s24, s3, s10
	s_nor_b32 s2, s2, s24
	s_and_saveexec_b32 s3, s2
	s_cbranch_execz .LBB240_13
; %bb.12:
	s_waitcnt lgkmcnt(0)
	v_mad_i64_i32 v[13:14], null, v5, s27, 0
	v_lshlrev_b64 v[13:14], 1, v[13:14]
	v_add_co_u32 v11, s2, v8, v13
	v_add_co_ci_u32_e64 v12, null, v12, v14, s2
	flat_load_ushort v8, v[11:12]
	s_waitcnt vmcnt(0) lgkmcnt(0)
	v_mul_f16_e32 v11, v32, v8
.LBB240_13:
	s_or_b32 exec_lo, exec_lo, s3
	v_or_b32_e32 v8, 4, v33
	v_cmp_gt_i32_e64 s2, s14, v8
	s_and_b32 s2, s2, vcc_lo
	s_and_b32 s2, s1, s2
	s_and_saveexec_b32 s3, s2
	s_cbranch_execz .LBB240_15
; %bb.14:
	v_mad_i64_i32 v[6:7], null, v7, s25, 0
	v_lshlrev_b64 v[6:7], 1, v[6:7]
	v_add_co_u32 v6, s2, s20, v6
	v_add_co_ci_u32_e64 v7, null, s21, v7, s2
	v_add_co_u32 v6, s2, v6, v2
	v_add_co_ci_u32_e64 v7, null, 0, v7, s2
	flat_load_ushort v6, v[6:7] offset:8
	s_waitcnt vmcnt(0) lgkmcnt(0)
	v_mul_f16_e32 v6, v32, v6
.LBB240_15:
	s_or_b32 exec_lo, exec_lo, s3
	v_min_i32_e32 v12, s23, v8
	v_cmp_le_i32_e64 s2, s14, v8
	v_mov_b32_e32 v7, 0
	v_mov_b32_e32 v8, 0
	v_ashrrev_i32_e32 v13, 31, v12
	v_lshlrev_b64 v[12:13], 1, v[12:13]
	v_add_co_u32 v12, s3, s18, v12
	v_add_co_ci_u32_e64 v13, null, s19, v13, s3
	s_nor_b32 s3, s2, s7
	s_and_saveexec_b32 s10, s3
	s_cbranch_execz .LBB240_17
; %bb.16:
	s_waitcnt lgkmcnt(0)
	v_mad_i64_i32 v[14:15], null, v4, s27, 0
	v_lshlrev_b64 v[14:15], 1, v[14:15]
	v_add_co_u32 v14, s3, v12, v14
	v_add_co_ci_u32_e64 v15, null, v13, v15, s3
	flat_load_ushort v8, v[14:15]
	s_waitcnt vmcnt(0) lgkmcnt(0)
	v_mul_f16_e32 v8, v32, v8
.LBB240_17:
	s_or_b32 exec_lo, exec_lo, s10
	s_nor_b32 s2, s2, s24
	s_and_saveexec_b32 s3, s2
	s_cbranch_execz .LBB240_19
; %bb.18:
	s_waitcnt lgkmcnt(0)
	v_mad_i64_i32 v[14:15], null, v5, s27, 0
	v_lshlrev_b64 v[14:15], 1, v[14:15]
	v_add_co_u32 v12, s2, v12, v14
	v_add_co_ci_u32_e64 v13, null, v13, v15, s2
	flat_load_ushort v7, v[12:13]
	s_waitcnt vmcnt(0) lgkmcnt(0)
	v_mul_f16_e32 v7, v32, v7
.LBB240_19:
	s_or_b32 exec_lo, exec_lo, s3
	v_lshlrev_b32_e32 v12, 3, v3
	v_lshlrev_b32_e32 v35, 3, v0
	;; [unrolled: 1-line block ×3, first 2 shown]
	s_load_dwordx2 s[10:11], s[8:9], 0x0
	s_mov_b32 s8, 0
	v_lshl_or_b32 v36, v33, 1, v12
	v_add_nc_u32_e32 v29, 0x800, v35
	s_cmp_lt_i32 s14, 9
	ds_write_b16 v36, v10 offset:2048
	ds_write_b16 v36, v9
	ds_write_b16 v36, v11 offset:512
	s_waitcnt lgkmcnt(0)
	s_barrier
	buffer_gl0_inv
	ds_read2_b64 v[9:12], v34 offset1:32
	ds_read2_b64 v[13:16], v29 offset0:48 offset1:56
	ds_read2_b64 v[17:20], v34 offset0:64 offset1:96
	ds_read2_b64 v[21:24], v29 offset1:8
	ds_read2_b64 v[25:28], v29 offset0:16 offset1:24
	ds_read2_b64 v[37:40], v29 offset0:32 offset1:40
	ds_write_b16 v36, v6 offset:2560
	ds_write_b16 v36, v8 offset:1024
	;; [unrolled: 1-line block ×3, first 2 shown]
	s_waitcnt lgkmcnt(0)
	s_barrier
	buffer_gl0_inv
	v_pk_max_f16 v9, v9, v9
	v_pk_max_f16 v15, v15, v15
	;; [unrolled: 1-line block ×8, first 2 shown]
	v_pk_min_f16 v29, v15, v9
	v_pk_max_f16 v27, v27, v27
	v_pk_max_f16 v37, v37, v37
	;; [unrolled: 1-line block ×6, first 2 shown]
	v_pk_min_f16 v30, v15, v11
	v_pk_min_f16 v31, v21, v9
	;; [unrolled: 1-line block ×18, first 2 shown]
	v_pk_max_f16 v12, v12, v12
	v_pk_min_f16 v56, v37, v11
	v_pk_min_f16 v60, v37, v17
	v_pk_max_f16 v18, v18, v18
	v_pk_min_f16 v37, v37, v19
	v_pk_max_f16 v22, v22, v22
	v_pk_min_f16 v61, v39, v9
	v_pk_min_f16 v62, v39, v11
	;; [unrolled: 1-line block ×10, first 2 shown]
	v_pk_add_f16 v19, v29, 0
	v_pk_min_f16 v29, v16, v10
	v_pk_max_f16 v20, v20, v20
	v_pk_max_f16 v24, v24, v24
	v_pk_add_f16 v31, v31, 0
	v_pk_min_f16 v58, v22, v10
	v_pk_add_f16 v41, v41, 0
	v_pk_min_f16 v64, v22, v12
	v_pk_add_f16 v69, v19, v29
	v_pk_add_f16 v19, v43, 0
	v_pk_min_f16 v29, v22, v18
	v_pk_add_f16 v71, v31, v58
	v_pk_add_f16 v67, v41, v64
	v_pk_min_f16 v31, v24, v10
	v_pk_add_f16 v41, v45, 0
	v_pk_min_f16 v43, v24, v12
	v_pk_min_f16 v45, v24, v18
	v_pk_add_f16 v58, v19, v29
	v_pk_add_f16 v19, v23, 0
	v_pk_min_f16 v24, v24, v20
	v_pk_add_f16 v30, v30, 0
	v_pk_min_f16 v51, v16, v12
	;; [unrolled: 2-line block ×4, first 2 shown]
	v_pk_add_f16 v23, v49, 0
	v_pk_add_f16 v49, v19, v24
	v_pk_max_f16 v19, v26, v26
	v_pk_add_f16 v59, v30, v51
	v_pk_add_f16 v51, v50, v57
	;; [unrolled: 1-line block ×9, first 2 shown]
	v_pk_max_f16 v24, v28, v28
	v_pk_min_f16 v26, v19, v10
	v_pk_min_f16 v28, v19, v12
	;; [unrolled: 1-line block ×4, first 2 shown]
	v_pk_add_f16 v70, v30, v31
	v_pk_add_f16 v66, v41, v43
	v_pk_add_f16 v57, v44, v45
	v_pk_add_f16 v29, v52, 0
	v_pk_add_f16 v30, v53, 0
	v_pk_add_f16 v31, v54, 0
	v_pk_add_f16 v27, v27, 0
	v_pk_add_f16 v44, v56, 0
	v_pk_add_f16 v41, v21, v26
	v_pk_add_f16 v65, v22, v28
	v_pk_add_f16 v56, v23, v37
	v_pk_add_f16 v48, v25, v19
	v_pk_min_f16 v19, v24, v10
	v_pk_min_f16 v21, v24, v12
	;; [unrolled: 1-line block ×4, first 2 shown]
	v_pk_max_f16 v24, v38, v38
	v_pk_add_f16 v43, v55, 0
	v_pk_add_f16 v45, v60, 0
	;; [unrolled: 1-line block ×8, first 2 shown]
	v_pk_min_f16 v19, v24, v10
	v_pk_min_f16 v21, v24, v12
	;; [unrolled: 1-line block ×4, first 2 shown]
	v_pk_max_f16 v24, v40, v40
	v_pk_max_f16 v14, v14, v14
	v_pk_add_f16 v53, v62, 0
	v_pk_add_f16 v60, v63, 0
	;; [unrolled: 1-line block ×11, first 2 shown]
	v_pk_min_f16 v19, v24, v10
	v_pk_min_f16 v21, v24, v12
	;; [unrolled: 1-line block ×9, first 2 shown]
	v_pk_add_f16 v38, v52, v19
	v_pk_add_f16 v62, v53, v21
	;; [unrolled: 1-line block ×9, first 2 shown]
	s_cbranch_scc1 .LBB240_34
; %bb.20:
	v_lshl_add_u32 v3, s6, 6, v3
	s_lshl_b32 s2, s26, 6
	v_mad_i64_i32 v[8:9], null, v5, s27, 0
	v_add_nc_u32_e32 v60, 0x800, v36
	v_subrev_nc_u32_e32 v3, s2, v3
	v_or_b32_e32 v68, 0x800, v35
	v_add_nc_u32_e32 v72, 0xa00, v36
	v_add_nc_u32_e32 v73, 0x400, v36
	v_lshl_add_u32 v74, v0, 3, 0xa00
	v_mad_i64_i32 v[6:7], null, s25, v3, 0
	v_mad_i64_i32 v[3:4], null, v4, s27, 0
	v_lshlrev_b64 v[28:29], 1, v[8:9]
	v_lshl_add_u32 v75, v1, 3, 0x400
	s_add_i32 s6, s14, -8
	v_lshlrev_b64 v[6:7], 1, v[6:7]
	v_lshlrev_b64 v[26:27], 1, v[3:4]
	v_add_co_u32 v2, s2, v6, v2
	v_add_co_ci_u32_e64 v5, null, 0, v7, s2
	v_add_co_u32 v2, s2, s20, v2
	v_add_co_ci_u32_e64 v3, null, s21, v5, s2
	;; [unrolled: 2-line block ×3, first 2 shown]
	s_branch .LBB240_22
.LBB240_21:                             ;   in Loop: Header=BB240_22 Depth=1
	s_or_b32 exec_lo, exec_lo, s3
	v_pk_max_f16 v4, v4, v4
	v_pk_max_f16 v22, v22, v22
	v_pk_max_f16 v24, v24, v24
	v_pk_max_f16 v18, v18, v18
	v_pk_max_f16 v14, v14, v14
	v_pk_max_f16 v20, v20, v20
	v_pk_max_f16 v10, v10, v10
	v_pk_min_f16 v79, v4, v22
	v_pk_min_f16 v80, v4, v24
	;; [unrolled: 1-line block ×3, first 2 shown]
	v_pk_max_f16 v16, v16, v16
	v_pk_min_f16 v83, v14, v24
	v_pk_min_f16 v88, v10, v22
	v_pk_max_f16 v12, v12, v12
	v_pk_min_f16 v89, v10, v24
	v_pk_min_f16 v90, v10, v18
	;; [unrolled: 1-line block ×3, first 2 shown]
	v_pk_max_f16 v6, v6, v6
	v_pk_max_f16 v23, v23, v23
	;; [unrolled: 1-line block ×15, first 2 shown]
	v_pk_min_f16 v82, v14, v22
	v_pk_min_f16 v84, v14, v18
	;; [unrolled: 1-line block ×56, first 2 shown]
	v_pk_add_f16 v3, v69, v79
	v_pk_add_f16 v5, v59, v80
	;; [unrolled: 1-line block ×20, first 2 shown]
	ds_read2_b64 v[2:5], v68 offset0:48 offset1:56
	ds_read2_b64 v[6:9], v34 offset1:32
	v_pk_add_f16 v67, v10, v11
	ds_read2_b64 v[10:13], v34 offset0:64 offset1:96
	v_pk_add_f16 v49, v65, v89
	v_pk_add_f16 v48, v64, v92
	;; [unrolled: 1-line block ×5, first 2 shown]
	ds_read2_b64 v[14:17], v68 offset1:8
	v_pk_add_f16 v59, v71, v82
	v_pk_add_f16 v58, v58, v84
	;; [unrolled: 1-line block ×8, first 2 shown]
	ds_read2_b64 v[18:21], v68 offset0:16 offset1:24
	v_pk_add_f16 v58, v58, v101
	s_waitcnt lgkmcnt(4)
	v_pk_max_f16 v4, v4, v4
	s_waitcnt lgkmcnt(3)
	v_pk_max_f16 v6, v6, v6
	v_pk_max_f16 v8, v8, v8
	s_waitcnt lgkmcnt(2)
	v_pk_max_f16 v10, v10, v10
	v_pk_add_f16 v41, v41, v88
	v_pk_add_f16 v50, v50, v102
	v_pk_min_f16 v22, v4, v6
	v_pk_min_f16 v23, v4, v8
	;; [unrolled: 1-line block ×3, first 2 shown]
	s_waitcnt lgkmcnt(1)
	v_pk_max_f16 v14, v14, v14
	v_pk_max_f16 v16, v16, v16
	v_pk_add_f16 v44, v44, v22
	v_pk_add_f16 v52, v52, v23
	;; [unrolled: 1-line block ×3, first 2 shown]
	v_pk_min_f16 v22, v14, v6
	v_pk_min_f16 v23, v14, v8
	;; [unrolled: 1-line block ×3, first 2 shown]
	v_pk_add_f16 v57, v57, v87
	s_waitcnt lgkmcnt(0)
	v_pk_max_f16 v18, v18, v18
	v_pk_add_f16 v79, v59, v22
	v_pk_add_f16 v61, v61, v23
	;; [unrolled: 1-line block ×3, first 2 shown]
	ds_read2_b64 v[22:25], v68 offset0:32 offset1:40
	v_pk_min_f16 v59, v16, v6
	v_pk_add_f16 v41, v41, v105
	v_pk_max_f16 v20, v20, v20
	v_pk_add_f16 v37, v37, v94
	v_pk_add_f16 v57, v57, v104
	;; [unrolled: 1-line block ×3, first 2 shown]
	v_pk_min_f16 v50, v18, v6
	v_pk_add_f16 v49, v49, v106
	v_pk_add_f16 v48, v48, v109
	v_pk_max_f16 v12, v12, v12
	v_pk_min_f16 v80, v16, v10
	v_pk_min_f16 v59, v18, v8
	v_pk_add_f16 v41, v41, v50
	v_pk_min_f16 v50, v20, v8
	v_pk_add_f16 v39, v39, v91
	v_pk_add_f16 v63, v63, v95
	;; [unrolled: 1-line block ×4, first 2 shown]
	v_pk_min_f16 v14, v14, v12
	s_waitcnt lgkmcnt(0)
	v_pk_max_f16 v22, v22, v22
	v_pk_add_f16 v57, v57, v80
	v_pk_add_f16 v80, v49, v59
	v_pk_min_f16 v49, v20, v6
	v_pk_min_f16 v59, v20, v10
	;; [unrolled: 1-line block ×3, first 2 shown]
	v_pk_add_f16 v82, v48, v50
	v_pk_min_f16 v48, v22, v6
	v_pk_add_f16 v39, v39, v108
	v_pk_add_f16 v63, v63, v113
	;; [unrolled: 1-line block ×4, first 2 shown]
	v_pk_min_f16 v64, v16, v8
	v_pk_add_f16 v20, v47, v20
	v_pk_min_f16 v47, v22, v8
	v_pk_max_f16 v24, v24, v24
	v_pk_add_f16 v37, v37, v48
	v_pk_min_f16 v48, v22, v10
	v_pk_min_f16 v22, v22, v12
	v_pk_max_f16 v2, v2, v2
	v_pk_max_f16 v5, v5, v5
	;; [unrolled: 1-line block ×3, first 2 shown]
	v_pk_add_f16 v55, v55, v93
	v_pk_add_f16 v40, v40, v120
	v_pk_min_f16 v16, v16, v12
	v_pk_add_f16 v64, v65, v64
	v_pk_min_f16 v65, v18, v10
	v_pk_min_f16 v18, v18, v12
	v_pk_add_f16 v39, v39, v49
	v_pk_add_f16 v63, v63, v47
	v_pk_min_f16 v47, v24, v6
	v_pk_min_f16 v49, v24, v8
	v_pk_add_f16 v22, v46, v22
	v_pk_min_f16 v46, v24, v10
	v_pk_min_f16 v24, v24, v12
	;; [unrolled: 1-line block ×6, first 2 shown]
	v_pk_max_f16 v9, v9, v9
	v_pk_min_f16 v4, v4, v12
	v_pk_max_f16 v11, v11, v11
	v_pk_min_f16 v12, v5, v7
	v_pk_add_f16 v55, v55, v110
	v_pk_add_f16 v6, v69, v6
	;; [unrolled: 1-line block ×3, first 2 shown]
	v_pk_min_f16 v40, v5, v9
	v_pk_add_f16 v4, v43, v4
	v_pk_min_f16 v43, v5, v11
	v_pk_max_f16 v15, v15, v15
	v_pk_add_f16 v69, v44, v12
	v_pk_max_f16 v12, v13, v13
	v_pk_add_f16 v56, v56, v90
	v_pk_add_f16 v62, v62, v98
	v_pk_add_f16 v55, v55, v59
	v_pk_add_f16 v59, v52, v40
	v_pk_add_f16 v51, v51, v43
	v_pk_min_f16 v13, v15, v7
	v_pk_min_f16 v40, v15, v9
	;; [unrolled: 1-line block ×4, first 2 shown]
	v_pk_max_f16 v17, v17, v17
	v_pk_add_f16 v54, v54, v96
	v_pk_add_f16 v56, v56, v107
	;; [unrolled: 1-line block ×7, first 2 shown]
	v_pk_min_f16 v13, v17, v7
	v_pk_min_f16 v14, v17, v9
	v_pk_min_f16 v15, v17, v11
	v_pk_min_f16 v17, v17, v12
	v_pk_max_f16 v19, v19, v19
	v_pk_add_f16 v38, v38, v97
	v_pk_add_f16 v54, v54, v114
	;; [unrolled: 1-line block ×10, first 2 shown]
	v_pk_min_f16 v13, v19, v7
	v_pk_min_f16 v14, v19, v9
	;; [unrolled: 1-line block ×4, first 2 shown]
	v_pk_max_f16 v17, v21, v21
	v_pk_add_f16 v53, v53, v99
	v_pk_add_f16 v38, v38, v116
	;; [unrolled: 1-line block ×7, first 2 shown]
	v_pk_min_f16 v13, v17, v7
	v_pk_min_f16 v14, v17, v9
	;; [unrolled: 1-line block ×4, first 2 shown]
	v_pk_max_f16 v17, v23, v23
	v_pk_add_f16 v53, v53, v118
	v_pk_add_f16 v45, v45, v119
	;; [unrolled: 1-line block ×7, first 2 shown]
	v_pk_min_f16 v13, v17, v7
	v_pk_min_f16 v14, v17, v9
	;; [unrolled: 1-line block ×4, first 2 shown]
	v_pk_max_f16 v17, v25, v25
	v_pk_max_f16 v3, v3, v3
	v_pk_add_f16 v53, v53, v46
	v_pk_add_f16 v24, v45, v24
	;; [unrolled: 1-line block ×6, first 2 shown]
	v_pk_min_f16 v13, v17, v7
	v_pk_min_f16 v14, v17, v9
	;; [unrolled: 1-line block ×9, first 2 shown]
	v_add_co_u32 v30, s2, v30, 16
	v_pk_add_f16 v67, v61, v40
	v_pk_add_f16 v58, v58, v43
	v_pk_add_f16 v38, v38, v13
	v_pk_add_f16 v62, v62, v14
	v_pk_add_f16 v53, v53, v15
	v_pk_add_f16 v45, v24, v16
	v_pk_add_f16 v40, v6, v7
	v_pk_add_f16 v61, v8, v9
	v_pk_add_f16 v52, v10, v11
	v_pk_add_f16 v44, v2, v3
	v_pk_add_f16 v43, v4, v5
	v_add_co_ci_u32_e64 v31, null, 0, v31, s2
	s_add_i32 s8, s8, 8
	ds_write_b16 v72, v76
	ds_write_b16 v73, v77
	ds_write_b16 v73, v78 offset:512
	s_cmp_ge_i32 s8, s6
	s_waitcnt lgkmcnt(0)
	s_barrier
	buffer_gl0_inv
	s_cbranch_scc1 .LBB240_34
.LBB240_22:                             ; =>This Inner Loop Header: Depth=1
	v_add_nc_u32_e32 v76, s8, v33
	v_mov_b32_e32 v77, 0
	v_add_nc_u32_e32 v2, 8, v76
	v_cmp_gt_i32_e64 s2, s14, v2
	s_and_b32 s2, s2, vcc_lo
	s_and_b32 s2, s1, s2
	s_and_saveexec_b32 s3, s2
	s_cbranch_execz .LBB240_24
; %bb.23:                               ;   in Loop: Header=BB240_22 Depth=1
	v_add_co_u32 v3, s2, -8, v30
	v_add_co_ci_u32_e64 v4, null, -1, v31, s2
	flat_load_ushort v3, v[3:4]
	s_waitcnt vmcnt(0) lgkmcnt(0)
	v_mul_f16_e32 v77, v32, v3
.LBB240_24:                             ;   in Loop: Header=BB240_22 Depth=1
	s_or_b32 exec_lo, exec_lo, s3
	v_min_i32_e32 v3, s23, v2
	v_cmp_le_i32_e64 s2, s14, v2
	v_mov_b32_e32 v78, 0
	v_mov_b32_e32 v79, 0
	v_ashrrev_i32_e32 v4, 31, v3
	v_lshlrev_b64 v[3:4], 1, v[3:4]
	v_add_co_u32 v2, s3, s18, v3
	v_add_co_ci_u32_e64 v3, null, s19, v4, s3
	s_nor_b32 s3, s7, s2
	s_and_saveexec_b32 s9, s3
	s_cbranch_execz .LBB240_26
; %bb.25:                               ;   in Loop: Header=BB240_22 Depth=1
	v_add_co_u32 v4, s3, v2, v26
	v_add_co_ci_u32_e64 v5, null, v3, v27, s3
	flat_load_ushort v4, v[4:5]
	s_waitcnt vmcnt(0) lgkmcnt(0)
	v_mul_f16_e32 v79, v32, v4
.LBB240_26:                             ;   in Loop: Header=BB240_22 Depth=1
	s_or_b32 exec_lo, exec_lo, s9
	s_nor_b32 s2, s24, s2
	s_and_saveexec_b32 s3, s2
	s_cbranch_execz .LBB240_28
; %bb.27:                               ;   in Loop: Header=BB240_22 Depth=1
	v_add_co_u32 v2, s2, v2, v28
	v_add_co_ci_u32_e64 v3, null, v3, v29, s2
	flat_load_ushort v2, v[2:3]
	s_waitcnt vmcnt(0) lgkmcnt(0)
	v_mul_f16_e32 v78, v32, v2
.LBB240_28:                             ;   in Loop: Header=BB240_22 Depth=1
	s_or_b32 exec_lo, exec_lo, s3
	ds_read2_b64 v[2:5], v74 offset0:48 offset1:56
	ds_read2_b64 v[18:21], v75 offset0:64 offset1:96
	ds_read2_b64 v[22:25], v75 offset1:32
	ds_read2_b64 v[14:17], v74 offset1:8
	ds_read2_b64 v[10:13], v74 offset0:16 offset1:24
	ds_read2_b64 v[6:9], v74 offset0:32 offset1:40
	v_add_nc_u32_e32 v80, 12, v76
	ds_write_b16 v60, v77
	ds_write_b16 v36, v79
	v_mov_b32_e32 v77, 0
	v_mov_b32_e32 v76, 0
	ds_write_b16 v36, v78 offset:512
	v_cmp_gt_i32_e64 s2, s14, v80
	s_waitcnt lgkmcnt(0)
	s_barrier
	buffer_gl0_inv
	s_and_b32 s2, s2, vcc_lo
	s_and_b32 s2, s1, s2
	s_and_saveexec_b32 s3, s2
	s_xor_b32 s2, exec_lo, s3
	s_cbranch_execz .LBB240_30
; %bb.29:                               ;   in Loop: Header=BB240_22 Depth=1
	flat_load_ushort v76, v[30:31]
	s_waitcnt vmcnt(0) lgkmcnt(0)
	v_mul_f16_e32 v76, v32, v76
.LBB240_30:                             ;   in Loop: Header=BB240_22 Depth=1
	s_or_b32 exec_lo, exec_lo, s2
	v_min_i32_e32 v78, s23, v80
	v_cmp_le_i32_e64 s2, s14, v80
	v_ashrrev_i32_e32 v79, 31, v78
	v_lshlrev_b64 v[81:82], 1, v[78:79]
	v_add_co_u32 v79, s3, s18, v81
	v_add_co_ci_u32_e64 v80, null, s19, v82, s3
	s_nor_b32 s3, s7, s2
	s_and_saveexec_b32 s9, s3
	s_cbranch_execz .LBB240_32
; %bb.31:                               ;   in Loop: Header=BB240_22 Depth=1
	v_add_co_u32 v77, s3, v79, v26
	v_add_co_ci_u32_e64 v78, null, v80, v27, s3
	flat_load_ushort v77, v[77:78]
	s_waitcnt vmcnt(0) lgkmcnt(0)
	v_mul_f16_e32 v77, v32, v77
.LBB240_32:                             ;   in Loop: Header=BB240_22 Depth=1
	s_or_b32 exec_lo, exec_lo, s9
	v_mov_b32_e32 v78, 0
	s_nor_b32 s2, s24, s2
	s_and_saveexec_b32 s3, s2
	s_cbranch_execz .LBB240_21
; %bb.33:                               ;   in Loop: Header=BB240_22 Depth=1
	v_add_co_u32 v78, s2, v79, v28
	v_add_co_ci_u32_e64 v79, null, v80, v29, s2
	flat_load_ushort v78, v[78:79]
	s_waitcnt vmcnt(0) lgkmcnt(0)
	v_mul_f16_e32 v78, v32, v78
	s_branch .LBB240_21
.LBB240_34:
	s_clause 0x2
	s_load_dword s14, s[4:5], 0x58
	s_load_dword s9, s[4:5], 0x70
	s_load_dwordx2 s[2:3], s[4:5], 0x78
	v_add_nc_u32_e32 v68, s22, v1
	v_add_nc_u32_e32 v10, 0x800, v35
	ds_read2_b64 v[2:5], v34 offset0:192 offset1:224
	ds_read2_b64 v[22:25], v34 offset0:128 offset1:160
	v_add_nc_u32_e32 v0, s15, v0
	ds_read2_b64 v[6:9], v10 offset0:112 offset1:120
	ds_read2_b64 v[18:21], v10 offset0:64 offset1:72
	;; [unrolled: 1-line block ×4, first 2 shown]
	v_cmp_gt_i32_e64 s8, s13, v68
	v_cmp_gt_i32_e64 s1, s12, v0
	v_ashrrev_i32_e32 v1, 31, v0
	v_cndmask_b32_e64 v60, 0, 1, s0
	s_waitcnt lgkmcnt(0)
	v_mad_i64_i32 v[26:27], null, v68, s14, 0
	v_mad_i64_i32 v[28:29], null, v68, s9, 0
	s_lshl_b64 s[2:3], s[2:3], 1
	s_add_u32 s10, s10, s2
	s_addc_u32 s11, s11, s3
	v_lshlrev_b64 v[26:27], 1, v[26:27]
	s_and_b32 s2, s1, s8
	v_lshlrev_b64 v[28:29], 1, v[28:29]
	v_add_co_u32 v74, vcc_lo, s16, v26
	v_add_co_ci_u32_e64 v75, null, s17, v27, vcc_lo
	v_add_co_u32 v72, vcc_lo, s10, v28
	v_add_co_ci_u32_e64 v73, null, s11, v29, vcc_lo
	s_and_saveexec_b32 s3, s2
	s_xor_b32 s2, exec_lo, s3
	s_cbranch_execz .LBB240_39
; %bb.35:
	v_lshlrev_b64 v[26:27], 1, v[0:1]
	s_andn2_b32 vcc_lo, exec_lo, s0
	s_cbranch_vccnz .LBB240_37
; %bb.36:
	v_add_co_u32 v28, vcc_lo, v74, v26
	v_add_co_ci_u32_e64 v29, null, v75, v27, vcc_lo
	flat_load_ushort v28, v[28:29]
	s_waitcnt vmcnt(0) lgkmcnt(0)
	v_mul_f16_e32 v28, v42, v28
	s_branch .LBB240_38
.LBB240_37:
	v_mov_b32_e32 v28, 0
.LBB240_38:
	v_pk_max_f16 v29, v22, v22
	v_pk_max_f16 v30, v18, v18
	;; [unrolled: 1-line block ×4, first 2 shown]
	v_add_co_u32 v26, vcc_lo, v72, v26
	v_pk_min_f16 v29, v30, v29
	v_add_co_ci_u32_e64 v27, null, v73, v27, vcc_lo
	v_pk_min_f16 v30, v32, v31
	v_pk_add_f16 v29, v71, v29
	v_pk_add_f16 v29, v29, v30
	v_add_f16_sdwa v29, v29, v29 dst_sel:DWORD dst_unused:UNUSED_PAD src0_sel:DWORD src1_sel:WORD_1
	v_add_f16_e32 v28, v29, v28
	flat_store_short v[26:27], v28
.LBB240_39:
	s_or_b32 exec_lo, exec_lo, s2
	v_add_nc_u32_e32 v26, 8, v0
	v_cmp_gt_i32_e64 s0, s12, v26
	v_ashrrev_i32_e32 v27, 31, v26
	s_and_b32 s3, s0, s8
	s_and_saveexec_b32 s2, s3
	s_cbranch_execz .LBB240_44
; %bb.40:
	v_cmp_ne_u32_e32 vcc_lo, 1, v60
	v_lshlrev_b64 v[28:29], 1, v[26:27]
	s_cbranch_vccnz .LBB240_42
; %bb.41:
	v_add_co_u32 v30, vcc_lo, v74, v28
	v_add_co_ci_u32_e64 v31, null, v75, v29, vcc_lo
	flat_load_ushort v30, v[30:31]
	s_waitcnt vmcnt(0) lgkmcnt(0)
	v_mul_f16_e32 v30, v42, v30
	s_branch .LBB240_43
.LBB240_42:
	v_mov_b32_e32 v30, 0
.LBB240_43:
	v_pk_max_f16 v31, v22, v22
	v_pk_max_f16 v32, v20, v20
	v_pk_max_f16 v33, v23, v23
	v_pk_max_f16 v34, v21, v21
	v_add_co_u32 v28, vcc_lo, v72, v28
	v_pk_min_f16 v31, v32, v31
	v_add_co_ci_u32_e64 v29, null, v73, v29, vcc_lo
	v_pk_min_f16 v32, v34, v33
	v_pk_add_f16 v31, v70, v31
	v_pk_add_f16 v31, v31, v32
	v_add_f16_sdwa v31, v31, v31 dst_sel:DWORD dst_unused:UNUSED_PAD src0_sel:DWORD src1_sel:WORD_1
	v_add_f16_e32 v30, v31, v30
	flat_store_short v[28:29], v30
.LBB240_44:
	s_or_b32 exec_lo, exec_lo, s2
	v_add_nc_u32_e32 v28, 16, v0
	v_cmp_gt_i32_e64 s2, s12, v28
	v_ashrrev_i32_e32 v29, 31, v28
	s_and_b32 s4, s2, s8
	s_and_saveexec_b32 s3, s4
	s_cbranch_execz .LBB240_49
; %bb.45:
	v_cmp_ne_u32_e32 vcc_lo, 1, v60
	v_lshlrev_b64 v[30:31], 1, v[28:29]
	s_cbranch_vccnz .LBB240_47
; %bb.46:
	v_add_co_u32 v32, vcc_lo, v74, v30
	v_add_co_ci_u32_e64 v33, null, v75, v31, vcc_lo
	flat_load_ushort v32, v[32:33]
	s_waitcnt vmcnt(0) lgkmcnt(0)
	v_mul_f16_e32 v32, v42, v32
	s_branch .LBB240_48
.LBB240_47:
	v_mov_b32_e32 v32, 0
.LBB240_48:
	v_pk_max_f16 v33, v22, v22
	v_pk_max_f16 v34, v14, v14
	v_pk_max_f16 v35, v23, v23
	v_pk_max_f16 v36, v15, v15
	v_add_co_u32 v30, vcc_lo, v72, v30
	v_pk_min_f16 v33, v34, v33
	v_add_co_ci_u32_e64 v31, null, v73, v31, vcc_lo
	v_pk_min_f16 v34, v36, v35
	v_pk_add_f16 v33, v41, v33
	v_pk_add_f16 v33, v33, v34
	v_add_f16_sdwa v33, v33, v33 dst_sel:DWORD dst_unused:UNUSED_PAD src0_sel:DWORD src1_sel:WORD_1
	v_add_f16_e32 v32, v33, v32
	flat_store_short v[30:31], v32
.LBB240_49:
	;; [unrolled: 35-line block ×6, first 2 shown]
	s_or_b32 exec_lo, exec_lo, s7
	v_add_nc_u32_e32 v38, 56, v0
	v_cmp_gt_i32_e64 s7, s12, v38
	v_ashrrev_i32_e32 v39, 31, v38
	s_and_b32 s12, s7, s8
	s_and_saveexec_b32 s8, s12
	s_cbranch_execz .LBB240_74
; %bb.70:
	v_cmp_ne_u32_e32 vcc_lo, 1, v60
	v_lshlrev_b64 v[40:41], 1, v[38:39]
	s_cbranch_vccnz .LBB240_72
; %bb.71:
	v_add_co_u32 v70, vcc_lo, v74, v40
	v_add_co_ci_u32_e64 v71, null, v75, v41, vcc_lo
	flat_load_ushort v70, v[70:71]
	s_waitcnt vmcnt(0) lgkmcnt(0)
	v_mul_f16_e32 v70, v42, v70
	s_branch .LBB240_73
.LBB240_72:
	v_mov_b32_e32 v70, 0
.LBB240_73:
	v_pk_max_f16 v22, v22, v22
	v_pk_max_f16 v71, v8, v8
	;; [unrolled: 1-line block ×4, first 2 shown]
	v_pk_min_f16 v22, v71, v22
	v_pk_min_f16 v23, v74, v23
	v_pk_add_f16 v22, v69, v22
	v_pk_add_f16 v22, v22, v23
	v_add_f16_sdwa v22, v22, v22 dst_sel:DWORD dst_unused:UNUSED_PAD src0_sel:DWORD src1_sel:WORD_1
	v_add_f16_e32 v69, v22, v70
	v_add_co_u32 v22, vcc_lo, v72, v40
	v_add_co_ci_u32_e64 v23, null, v73, v41, vcc_lo
	flat_store_short v[22:23], v69
.LBB240_74:
	s_or_b32 exec_lo, exec_lo, s8
	v_add_nc_u32_e32 v69, 32, v68
	v_mad_i64_i32 v[22:23], null, v69, s14, 0
	v_mad_i64_i32 v[40:41], null, v69, s9, 0
	v_cmp_gt_i32_e64 s8, s13, v69
	v_lshlrev_b64 v[22:23], 1, v[22:23]
	s_and_b32 s15, s1, s8
	v_lshlrev_b64 v[40:41], 1, v[40:41]
	v_add_co_u32 v69, vcc_lo, s16, v22
	v_add_co_ci_u32_e64 v70, null, s17, v23, vcc_lo
	v_add_co_u32 v40, vcc_lo, s10, v40
	v_add_co_ci_u32_e64 v41, null, s11, v41, vcc_lo
	s_and_saveexec_b32 s12, s15
	s_cbranch_execnz .LBB240_82
; %bb.75:
	s_or_b32 exec_lo, exec_lo, s12
	s_and_b32 s15, s0, s8
	s_and_saveexec_b32 s12, s15
	s_cbranch_execnz .LBB240_86
.LBB240_76:
	s_or_b32 exec_lo, exec_lo, s12
	s_and_b32 s15, s2, s8
	s_and_saveexec_b32 s12, s15
	s_cbranch_execnz .LBB240_90
.LBB240_77:
	s_or_b32 exec_lo, exec_lo, s12
	s_and_b32 s15, s3, s8
	s_and_saveexec_b32 s12, s15
	s_cbranch_execnz .LBB240_94
.LBB240_78:
	s_or_b32 exec_lo, exec_lo, s12
	s_and_b32 s15, s4, s8
	s_and_saveexec_b32 s12, s15
	s_cbranch_execnz .LBB240_98
.LBB240_79:
	s_or_b32 exec_lo, exec_lo, s12
	s_and_b32 s15, s5, s8
	s_and_saveexec_b32 s12, s15
	s_cbranch_execnz .LBB240_102
.LBB240_80:
	s_or_b32 exec_lo, exec_lo, s12
	s_and_b32 s15, s6, s8
	s_and_saveexec_b32 s12, s15
	s_cbranch_execnz .LBB240_106
.LBB240_81:
	s_or_b32 exec_lo, exec_lo, s12
	s_and_b32 s12, s7, s8
	s_and_saveexec_b32 s8, s12
	s_cbranch_execnz .LBB240_110
	s_branch .LBB240_114
.LBB240_82:
	v_cmp_ne_u32_e32 vcc_lo, 1, v60
	v_lshlrev_b64 v[22:23], 1, v[0:1]
	s_cbranch_vccnz .LBB240_84
; %bb.83:
	v_add_co_u32 v71, vcc_lo, v69, v22
	v_add_co_ci_u32_e64 v72, null, v70, v23, vcc_lo
	flat_load_ushort v71, v[71:72]
	s_waitcnt vmcnt(0) lgkmcnt(0)
	v_mul_f16_e32 v71, v42, v71
	s_branch .LBB240_85
.LBB240_84:
	v_mov_b32_e32 v71, 0
.LBB240_85:
	v_pk_max_f16 v72, v24, v24
	v_pk_max_f16 v73, v18, v18
	;; [unrolled: 1-line block ×4, first 2 shown]
	v_add_co_u32 v22, vcc_lo, v40, v22
	v_pk_min_f16 v72, v73, v72
	v_add_co_ci_u32_e64 v23, null, v41, v23, vcc_lo
	v_pk_min_f16 v73, v75, v74
	v_pk_add_f16 v67, v67, v72
	v_pk_add_f16 v67, v67, v73
	v_add_f16_sdwa v67, v67, v67 dst_sel:DWORD dst_unused:UNUSED_PAD src0_sel:DWORD src1_sel:WORD_1
	v_add_f16_e32 v67, v67, v71
	flat_store_short v[22:23], v67
	s_or_b32 exec_lo, exec_lo, s12
	s_and_b32 s15, s0, s8
	s_and_saveexec_b32 s12, s15
	s_cbranch_execz .LBB240_76
.LBB240_86:
	v_cmp_ne_u32_e32 vcc_lo, 1, v60
	v_lshlrev_b64 v[22:23], 1, v[26:27]
	s_cbranch_vccnz .LBB240_88
; %bb.87:
	v_add_co_u32 v71, vcc_lo, v69, v22
	v_add_co_ci_u32_e64 v72, null, v70, v23, vcc_lo
	flat_load_ushort v67, v[71:72]
	s_waitcnt vmcnt(0) lgkmcnt(0)
	v_mul_f16_e32 v67, v42, v67
	s_branch .LBB240_89
.LBB240_88:
	v_mov_b32_e32 v67, 0
.LBB240_89:
	v_pk_max_f16 v71, v24, v24
	v_pk_max_f16 v72, v20, v20
	v_pk_max_f16 v73, v25, v25
	v_pk_max_f16 v74, v21, v21
	v_add_co_u32 v22, vcc_lo, v40, v22
	v_pk_min_f16 v71, v72, v71
	v_add_co_ci_u32_e64 v23, null, v41, v23, vcc_lo
	v_pk_min_f16 v72, v74, v73
	v_pk_add_f16 v66, v66, v71
	v_pk_add_f16 v66, v66, v72
	v_add_f16_sdwa v66, v66, v66 dst_sel:DWORD dst_unused:UNUSED_PAD src0_sel:DWORD src1_sel:WORD_1
	v_add_f16_e32 v66, v66, v67
	flat_store_short v[22:23], v66
	s_or_b32 exec_lo, exec_lo, s12
	s_and_b32 s15, s2, s8
	s_and_saveexec_b32 s12, s15
	s_cbranch_execz .LBB240_77
.LBB240_90:
	v_cmp_ne_u32_e32 vcc_lo, 1, v60
	v_lshlrev_b64 v[22:23], 1, v[28:29]
	s_cbranch_vccnz .LBB240_92
; %bb.91:
	v_add_co_u32 v66, vcc_lo, v69, v22
	v_add_co_ci_u32_e64 v67, null, v70, v23, vcc_lo
	flat_load_ushort v66, v[66:67]
	s_waitcnt vmcnt(0) lgkmcnt(0)
	v_mul_f16_e32 v66, v42, v66
	s_branch .LBB240_93
.LBB240_92:
	v_mov_b32_e32 v66, 0
.LBB240_93:
	v_pk_max_f16 v67, v24, v24
	v_pk_max_f16 v71, v14, v14
	;; [unrolled: 1-line block ×4, first 2 shown]
	v_add_co_u32 v22, vcc_lo, v40, v22
	v_pk_min_f16 v67, v71, v67
	v_add_co_ci_u32_e64 v23, null, v41, v23, vcc_lo
	v_pk_min_f16 v71, v73, v72
	v_pk_add_f16 v65, v65, v67
	v_pk_add_f16 v65, v65, v71
	v_add_f16_sdwa v65, v65, v65 dst_sel:DWORD dst_unused:UNUSED_PAD src0_sel:DWORD src1_sel:WORD_1
	v_add_f16_e32 v65, v65, v66
	flat_store_short v[22:23], v65
	s_or_b32 exec_lo, exec_lo, s12
	s_and_b32 s15, s3, s8
	s_and_saveexec_b32 s12, s15
	s_cbranch_execz .LBB240_78
.LBB240_94:
	v_cmp_ne_u32_e32 vcc_lo, 1, v60
	v_lshlrev_b64 v[22:23], 1, v[30:31]
	s_cbranch_vccnz .LBB240_96
; %bb.95:
	v_add_co_u32 v65, vcc_lo, v69, v22
	v_add_co_ci_u32_e64 v66, null, v70, v23, vcc_lo
	flat_load_ushort v65, v[65:66]
	s_waitcnt vmcnt(0) lgkmcnt(0)
	v_mul_f16_e32 v65, v42, v65
	s_branch .LBB240_97
.LBB240_96:
	v_mov_b32_e32 v65, 0
.LBB240_97:
	v_pk_max_f16 v66, v24, v24
	v_pk_max_f16 v67, v16, v16
	;; [unrolled: 1-line block ×4, first 2 shown]
	v_add_co_u32 v22, vcc_lo, v40, v22
	v_pk_min_f16 v66, v67, v66
	v_add_co_ci_u32_e64 v23, null, v41, v23, vcc_lo
	v_pk_min_f16 v67, v72, v71
	v_pk_add_f16 v64, v64, v66
	v_pk_add_f16 v64, v64, v67
	v_add_f16_sdwa v64, v64, v64 dst_sel:DWORD dst_unused:UNUSED_PAD src0_sel:DWORD src1_sel:WORD_1
	v_add_f16_e32 v64, v64, v65
	flat_store_short v[22:23], v64
	s_or_b32 exec_lo, exec_lo, s12
	s_and_b32 s15, s4, s8
	s_and_saveexec_b32 s12, s15
	s_cbranch_execz .LBB240_79
.LBB240_98:
	v_cmp_ne_u32_e32 vcc_lo, 1, v60
	v_lshlrev_b64 v[22:23], 1, v[32:33]
	s_cbranch_vccnz .LBB240_100
; %bb.99:
	v_add_co_u32 v64, vcc_lo, v69, v22
	v_add_co_ci_u32_e64 v65, null, v70, v23, vcc_lo
	flat_load_ushort v64, v[64:65]
	s_waitcnt vmcnt(0) lgkmcnt(0)
	v_mul_f16_e32 v64, v42, v64
	s_branch .LBB240_101
.LBB240_100:
	v_mov_b32_e32 v64, 0
.LBB240_101:
	v_pk_max_f16 v65, v24, v24
	v_pk_max_f16 v66, v10, v10
	;; [unrolled: 1-line block ×4, first 2 shown]
	v_add_co_u32 v22, vcc_lo, v40, v22
	v_pk_min_f16 v65, v66, v65
	v_add_co_ci_u32_e64 v23, null, v41, v23, vcc_lo
	v_pk_min_f16 v66, v71, v67
	v_pk_add_f16 v63, v63, v65
	v_pk_add_f16 v63, v63, v66
	v_add_f16_sdwa v63, v63, v63 dst_sel:DWORD dst_unused:UNUSED_PAD src0_sel:DWORD src1_sel:WORD_1
	v_add_f16_e32 v63, v63, v64
	flat_store_short v[22:23], v63
	s_or_b32 exec_lo, exec_lo, s12
	s_and_b32 s15, s5, s8
	s_and_saveexec_b32 s12, s15
	s_cbranch_execz .LBB240_80
.LBB240_102:
	v_cmp_ne_u32_e32 vcc_lo, 1, v60
	v_lshlrev_b64 v[22:23], 1, v[34:35]
	s_cbranch_vccnz .LBB240_104
; %bb.103:
	v_add_co_u32 v63, vcc_lo, v69, v22
	v_add_co_ci_u32_e64 v64, null, v70, v23, vcc_lo
	flat_load_ushort v63, v[63:64]
	s_waitcnt vmcnt(0) lgkmcnt(0)
	v_mul_f16_e32 v63, v42, v63
	s_branch .LBB240_105
.LBB240_104:
	v_mov_b32_e32 v63, 0
.LBB240_105:
	v_pk_max_f16 v64, v24, v24
	v_pk_max_f16 v65, v12, v12
	;; [unrolled: 1-line block ×4, first 2 shown]
	v_add_co_u32 v22, vcc_lo, v40, v22
	v_pk_min_f16 v64, v65, v64
	v_add_co_ci_u32_e64 v23, null, v41, v23, vcc_lo
	v_pk_min_f16 v65, v67, v66
	v_pk_add_f16 v62, v62, v64
	v_pk_add_f16 v62, v62, v65
	v_add_f16_sdwa v62, v62, v62 dst_sel:DWORD dst_unused:UNUSED_PAD src0_sel:DWORD src1_sel:WORD_1
	v_add_f16_e32 v62, v62, v63
	flat_store_short v[22:23], v62
	s_or_b32 exec_lo, exec_lo, s12
	s_and_b32 s15, s6, s8
	s_and_saveexec_b32 s12, s15
	s_cbranch_execz .LBB240_81
.LBB240_106:
	v_cmp_ne_u32_e32 vcc_lo, 1, v60
	v_lshlrev_b64 v[22:23], 1, v[36:37]
	s_cbranch_vccnz .LBB240_108
; %bb.107:
	v_add_co_u32 v62, vcc_lo, v69, v22
	v_add_co_ci_u32_e64 v63, null, v70, v23, vcc_lo
	flat_load_ushort v62, v[62:63]
	s_waitcnt vmcnt(0) lgkmcnt(0)
	v_mul_f16_e32 v62, v42, v62
	s_branch .LBB240_109
.LBB240_108:
	v_mov_b32_e32 v62, 0
.LBB240_109:
	v_pk_max_f16 v63, v24, v24
	v_pk_max_f16 v64, v6, v6
	;; [unrolled: 1-line block ×4, first 2 shown]
	v_add_co_u32 v22, vcc_lo, v40, v22
	v_pk_min_f16 v63, v64, v63
	v_add_co_ci_u32_e64 v23, null, v41, v23, vcc_lo
	v_pk_min_f16 v64, v66, v65
	v_pk_add_f16 v61, v61, v63
	v_pk_add_f16 v61, v61, v64
	v_add_f16_sdwa v61, v61, v61 dst_sel:DWORD dst_unused:UNUSED_PAD src0_sel:DWORD src1_sel:WORD_1
	v_add_f16_e32 v61, v61, v62
	flat_store_short v[22:23], v61
	s_or_b32 exec_lo, exec_lo, s12
	s_and_b32 s12, s7, s8
	s_and_saveexec_b32 s8, s12
	s_cbranch_execz .LBB240_114
.LBB240_110:
	v_cmp_ne_u32_e32 vcc_lo, 1, v60
	v_lshlrev_b64 v[22:23], 1, v[38:39]
	s_cbranch_vccnz .LBB240_112
; %bb.111:
	v_add_co_u32 v61, vcc_lo, v69, v22
	v_add_co_ci_u32_e64 v62, null, v70, v23, vcc_lo
	flat_load_ushort v61, v[61:62]
	s_waitcnt vmcnt(0) lgkmcnt(0)
	v_mul_f16_e32 v61, v42, v61
	s_branch .LBB240_113
.LBB240_112:
	v_mov_b32_e32 v61, 0
.LBB240_113:
	v_pk_max_f16 v24, v24, v24
	v_pk_max_f16 v62, v8, v8
	;; [unrolled: 1-line block ×4, first 2 shown]
	v_add_co_u32 v22, vcc_lo, v40, v22
	v_pk_min_f16 v24, v62, v24
	v_add_co_ci_u32_e64 v23, null, v41, v23, vcc_lo
	v_pk_min_f16 v25, v63, v25
	v_pk_add_f16 v24, v59, v24
	v_pk_add_f16 v24, v24, v25
	v_add_f16_sdwa v24, v24, v24 dst_sel:DWORD dst_unused:UNUSED_PAD src0_sel:DWORD src1_sel:WORD_1
	v_add_f16_e32 v24, v24, v61
	flat_store_short v[22:23], v24
.LBB240_114:
	s_or_b32 exec_lo, exec_lo, s8
	v_add_nc_u32_e32 v40, 64, v68
	v_mad_i64_i32 v[22:23], null, v40, s14, 0
	v_mad_i64_i32 v[24:25], null, v40, s9, 0
	v_cmp_gt_i32_e64 s8, s13, v40
	v_lshlrev_b64 v[22:23], 1, v[22:23]
	s_and_b32 s15, s1, s8
	v_lshlrev_b64 v[24:25], 1, v[24:25]
	v_add_co_u32 v40, vcc_lo, s16, v22
	v_add_co_ci_u32_e64 v41, null, s17, v23, vcc_lo
	v_add_co_u32 v24, vcc_lo, s10, v24
	v_add_co_ci_u32_e64 v25, null, s11, v25, vcc_lo
	s_and_saveexec_b32 s12, s15
	s_cbranch_execnz .LBB240_122
; %bb.115:
	s_or_b32 exec_lo, exec_lo, s12
	s_and_b32 s15, s0, s8
	s_and_saveexec_b32 s12, s15
	s_cbranch_execnz .LBB240_126
.LBB240_116:
	s_or_b32 exec_lo, exec_lo, s12
	s_and_b32 s15, s2, s8
	s_and_saveexec_b32 s12, s15
	s_cbranch_execnz .LBB240_130
.LBB240_117:
	s_or_b32 exec_lo, exec_lo, s12
	s_and_b32 s15, s3, s8
	s_and_saveexec_b32 s12, s15
	s_cbranch_execnz .LBB240_134
.LBB240_118:
	s_or_b32 exec_lo, exec_lo, s12
	s_and_b32 s15, s4, s8
	s_and_saveexec_b32 s12, s15
	s_cbranch_execnz .LBB240_138
.LBB240_119:
	s_or_b32 exec_lo, exec_lo, s12
	s_and_b32 s15, s5, s8
	s_and_saveexec_b32 s12, s15
	s_cbranch_execnz .LBB240_142
.LBB240_120:
	s_or_b32 exec_lo, exec_lo, s12
	s_and_b32 s15, s6, s8
	s_and_saveexec_b32 s12, s15
	s_cbranch_execnz .LBB240_146
.LBB240_121:
	s_or_b32 exec_lo, exec_lo, s12
	s_and_b32 s12, s7, s8
	s_and_saveexec_b32 s8, s12
	s_cbranch_execnz .LBB240_150
	s_branch .LBB240_154
.LBB240_122:
	v_cmp_ne_u32_e32 vcc_lo, 1, v60
	v_lshlrev_b64 v[22:23], 1, v[0:1]
	s_cbranch_vccnz .LBB240_124
; %bb.123:
	v_add_co_u32 v61, vcc_lo, v40, v22
	v_add_co_ci_u32_e64 v62, null, v41, v23, vcc_lo
	flat_load_ushort v59, v[61:62]
	s_waitcnt vmcnt(0) lgkmcnt(0)
	v_mul_f16_e32 v59, v42, v59
	s_branch .LBB240_125
.LBB240_124:
	v_mov_b32_e32 v59, 0
.LBB240_125:
	v_pk_max_f16 v61, v2, v2
	v_pk_max_f16 v62, v18, v18
	;; [unrolled: 1-line block ×4, first 2 shown]
	v_add_co_u32 v22, vcc_lo, v24, v22
	v_pk_min_f16 v61, v62, v61
	v_add_co_ci_u32_e64 v23, null, v25, v23, vcc_lo
	v_pk_min_f16 v62, v64, v63
	v_pk_add_f16 v58, v58, v61
	v_pk_add_f16 v58, v58, v62
	v_add_f16_sdwa v58, v58, v58 dst_sel:DWORD dst_unused:UNUSED_PAD src0_sel:DWORD src1_sel:WORD_1
	v_add_f16_e32 v58, v58, v59
	flat_store_short v[22:23], v58
	s_or_b32 exec_lo, exec_lo, s12
	s_and_b32 s15, s0, s8
	s_and_saveexec_b32 s12, s15
	s_cbranch_execz .LBB240_116
.LBB240_126:
	v_cmp_ne_u32_e32 vcc_lo, 1, v60
	v_lshlrev_b64 v[22:23], 1, v[26:27]
	s_cbranch_vccnz .LBB240_128
; %bb.127:
	v_add_co_u32 v58, vcc_lo, v40, v22
	v_add_co_ci_u32_e64 v59, null, v41, v23, vcc_lo
	flat_load_ushort v58, v[58:59]
	s_waitcnt vmcnt(0) lgkmcnt(0)
	v_mul_f16_e32 v58, v42, v58
	s_branch .LBB240_129
.LBB240_128:
	v_mov_b32_e32 v58, 0
.LBB240_129:
	v_pk_max_f16 v59, v2, v2
	v_pk_max_f16 v61, v20, v20
	;; [unrolled: 1-line block ×4, first 2 shown]
	v_add_co_u32 v22, vcc_lo, v24, v22
	v_pk_min_f16 v59, v61, v59
	v_add_co_ci_u32_e64 v23, null, v25, v23, vcc_lo
	v_pk_min_f16 v61, v63, v62
	v_pk_add_f16 v57, v57, v59
	v_pk_add_f16 v57, v57, v61
	v_add_f16_sdwa v57, v57, v57 dst_sel:DWORD dst_unused:UNUSED_PAD src0_sel:DWORD src1_sel:WORD_1
	v_add_f16_e32 v57, v57, v58
	flat_store_short v[22:23], v57
	s_or_b32 exec_lo, exec_lo, s12
	s_and_b32 s15, s2, s8
	s_and_saveexec_b32 s12, s15
	s_cbranch_execz .LBB240_117
.LBB240_130:
	v_cmp_ne_u32_e32 vcc_lo, 1, v60
	v_lshlrev_b64 v[22:23], 1, v[28:29]
	s_cbranch_vccnz .LBB240_132
; %bb.131:
	v_add_co_u32 v57, vcc_lo, v40, v22
	v_add_co_ci_u32_e64 v58, null, v41, v23, vcc_lo
	flat_load_ushort v57, v[57:58]
	s_waitcnt vmcnt(0) lgkmcnt(0)
	v_mul_f16_e32 v57, v42, v57
	s_branch .LBB240_133
.LBB240_132:
	v_mov_b32_e32 v57, 0
.LBB240_133:
	v_pk_max_f16 v58, v2, v2
	v_pk_max_f16 v59, v14, v14
	;; [unrolled: 1-line block ×4, first 2 shown]
	v_add_co_u32 v22, vcc_lo, v24, v22
	v_pk_min_f16 v58, v59, v58
	v_add_co_ci_u32_e64 v23, null, v25, v23, vcc_lo
	v_pk_min_f16 v59, v62, v61
	v_pk_add_f16 v56, v56, v58
	v_pk_add_f16 v56, v56, v59
	v_add_f16_sdwa v56, v56, v56 dst_sel:DWORD dst_unused:UNUSED_PAD src0_sel:DWORD src1_sel:WORD_1
	v_add_f16_e32 v56, v56, v57
	flat_store_short v[22:23], v56
	s_or_b32 exec_lo, exec_lo, s12
	s_and_b32 s15, s3, s8
	s_and_saveexec_b32 s12, s15
	s_cbranch_execz .LBB240_118
.LBB240_134:
	v_cmp_ne_u32_e32 vcc_lo, 1, v60
	v_lshlrev_b64 v[22:23], 1, v[30:31]
	s_cbranch_vccnz .LBB240_136
; %bb.135:
	v_add_co_u32 v56, vcc_lo, v40, v22
	v_add_co_ci_u32_e64 v57, null, v41, v23, vcc_lo
	flat_load_ushort v56, v[56:57]
	s_waitcnt vmcnt(0) lgkmcnt(0)
	v_mul_f16_e32 v56, v42, v56
	s_branch .LBB240_137
.LBB240_136:
	v_mov_b32_e32 v56, 0
.LBB240_137:
	v_pk_max_f16 v57, v2, v2
	v_pk_max_f16 v58, v16, v16
	;; [unrolled: 1-line block ×4, first 2 shown]
	v_add_co_u32 v22, vcc_lo, v24, v22
	v_pk_min_f16 v57, v58, v57
	v_add_co_ci_u32_e64 v23, null, v25, v23, vcc_lo
	v_pk_min_f16 v58, v61, v59
	v_pk_add_f16 v55, v55, v57
	v_pk_add_f16 v55, v55, v58
	v_add_f16_sdwa v55, v55, v55 dst_sel:DWORD dst_unused:UNUSED_PAD src0_sel:DWORD src1_sel:WORD_1
	v_add_f16_e32 v55, v55, v56
	flat_store_short v[22:23], v55
	s_or_b32 exec_lo, exec_lo, s12
	s_and_b32 s15, s4, s8
	s_and_saveexec_b32 s12, s15
	s_cbranch_execz .LBB240_119
.LBB240_138:
	v_cmp_ne_u32_e32 vcc_lo, 1, v60
	v_lshlrev_b64 v[22:23], 1, v[32:33]
	s_cbranch_vccnz .LBB240_140
; %bb.139:
	v_add_co_u32 v55, vcc_lo, v40, v22
	v_add_co_ci_u32_e64 v56, null, v41, v23, vcc_lo
	flat_load_ushort v55, v[55:56]
	s_waitcnt vmcnt(0) lgkmcnt(0)
	v_mul_f16_e32 v55, v42, v55
	s_branch .LBB240_141
.LBB240_140:
	v_mov_b32_e32 v55, 0
.LBB240_141:
	v_pk_max_f16 v56, v2, v2
	v_pk_max_f16 v57, v10, v10
	v_pk_max_f16 v58, v3, v3
	v_pk_max_f16 v59, v11, v11
	v_add_co_u32 v22, vcc_lo, v24, v22
	v_pk_min_f16 v56, v57, v56
	v_add_co_ci_u32_e64 v23, null, v25, v23, vcc_lo
	v_pk_min_f16 v57, v59, v58
	v_pk_add_f16 v54, v54, v56
	v_pk_add_f16 v54, v54, v57
	v_add_f16_sdwa v54, v54, v54 dst_sel:DWORD dst_unused:UNUSED_PAD src0_sel:DWORD src1_sel:WORD_1
	v_add_f16_e32 v54, v54, v55
	flat_store_short v[22:23], v54
	s_or_b32 exec_lo, exec_lo, s12
	s_and_b32 s15, s5, s8
	s_and_saveexec_b32 s12, s15
	s_cbranch_execz .LBB240_120
.LBB240_142:
	v_cmp_ne_u32_e32 vcc_lo, 1, v60
	v_lshlrev_b64 v[22:23], 1, v[34:35]
	s_cbranch_vccnz .LBB240_144
; %bb.143:
	v_add_co_u32 v54, vcc_lo, v40, v22
	v_add_co_ci_u32_e64 v55, null, v41, v23, vcc_lo
	flat_load_ushort v54, v[54:55]
	s_waitcnt vmcnt(0) lgkmcnt(0)
	v_mul_f16_e32 v54, v42, v54
	s_branch .LBB240_145
.LBB240_144:
	v_mov_b32_e32 v54, 0
.LBB240_145:
	v_pk_max_f16 v55, v2, v2
	v_pk_max_f16 v56, v12, v12
	;; [unrolled: 1-line block ×4, first 2 shown]
	v_add_co_u32 v22, vcc_lo, v24, v22
	v_pk_min_f16 v55, v56, v55
	v_add_co_ci_u32_e64 v23, null, v25, v23, vcc_lo
	v_pk_min_f16 v56, v58, v57
	v_pk_add_f16 v53, v53, v55
	v_pk_add_f16 v53, v53, v56
	v_add_f16_sdwa v53, v53, v53 dst_sel:DWORD dst_unused:UNUSED_PAD src0_sel:DWORD src1_sel:WORD_1
	v_add_f16_e32 v53, v53, v54
	flat_store_short v[22:23], v53
	s_or_b32 exec_lo, exec_lo, s12
	s_and_b32 s15, s6, s8
	s_and_saveexec_b32 s12, s15
	s_cbranch_execz .LBB240_121
.LBB240_146:
	v_cmp_ne_u32_e32 vcc_lo, 1, v60
	v_lshlrev_b64 v[22:23], 1, v[36:37]
	s_cbranch_vccnz .LBB240_148
; %bb.147:
	v_add_co_u32 v53, vcc_lo, v40, v22
	v_add_co_ci_u32_e64 v54, null, v41, v23, vcc_lo
	flat_load_ushort v53, v[53:54]
	s_waitcnt vmcnt(0) lgkmcnt(0)
	v_mul_f16_e32 v53, v42, v53
	s_branch .LBB240_149
.LBB240_148:
	v_mov_b32_e32 v53, 0
.LBB240_149:
	v_pk_max_f16 v54, v2, v2
	v_pk_max_f16 v55, v6, v6
	;; [unrolled: 1-line block ×4, first 2 shown]
	v_add_co_u32 v22, vcc_lo, v24, v22
	v_pk_min_f16 v54, v55, v54
	v_add_co_ci_u32_e64 v23, null, v25, v23, vcc_lo
	v_pk_min_f16 v55, v57, v56
	v_pk_add_f16 v52, v52, v54
	v_pk_add_f16 v52, v52, v55
	v_add_f16_sdwa v52, v52, v52 dst_sel:DWORD dst_unused:UNUSED_PAD src0_sel:DWORD src1_sel:WORD_1
	v_add_f16_e32 v52, v52, v53
	flat_store_short v[22:23], v52
	s_or_b32 exec_lo, exec_lo, s12
	s_and_b32 s12, s7, s8
	s_and_saveexec_b32 s8, s12
	s_cbranch_execz .LBB240_154
.LBB240_150:
	v_cmp_ne_u32_e32 vcc_lo, 1, v60
	v_lshlrev_b64 v[22:23], 1, v[38:39]
	s_cbranch_vccnz .LBB240_152
; %bb.151:
	v_add_co_u32 v40, vcc_lo, v40, v22
	v_add_co_ci_u32_e64 v41, null, v41, v23, vcc_lo
	flat_load_ushort v40, v[40:41]
	s_waitcnt vmcnt(0) lgkmcnt(0)
	v_mul_f16_e32 v40, v42, v40
	s_branch .LBB240_153
.LBB240_152:
	v_mov_b32_e32 v40, 0
.LBB240_153:
	v_pk_max_f16 v2, v2, v2
	v_pk_max_f16 v41, v8, v8
	;; [unrolled: 1-line block ×4, first 2 shown]
	v_pk_min_f16 v2, v41, v2
	v_pk_min_f16 v3, v52, v3
	v_pk_add_f16 v2, v51, v2
	v_pk_add_f16 v2, v2, v3
	v_add_f16_sdwa v2, v2, v2 dst_sel:DWORD dst_unused:UNUSED_PAD src0_sel:DWORD src1_sel:WORD_1
	v_add_f16_e32 v40, v2, v40
	v_add_co_u32 v2, vcc_lo, v24, v22
	v_add_co_ci_u32_e64 v3, null, v25, v23, vcc_lo
	flat_store_short v[2:3], v40
.LBB240_154:
	s_or_b32 exec_lo, exec_lo, s8
	v_add_nc_u32_e32 v24, 0x60, v68
	v_mad_i64_i32 v[2:3], null, v24, s14, 0
	v_mad_i64_i32 v[22:23], null, v24, s9, 0
	v_cmp_gt_i32_e64 s8, s13, v24
	v_lshlrev_b64 v[2:3], 1, v[2:3]
	s_and_b32 s9, s1, s8
	v_lshlrev_b64 v[24:25], 1, v[22:23]
	v_add_co_u32 v22, vcc_lo, s16, v2
	v_add_co_ci_u32_e64 v23, null, s17, v3, vcc_lo
	v_add_co_u32 v2, vcc_lo, s10, v24
	v_add_co_ci_u32_e64 v3, null, s11, v25, vcc_lo
	s_and_saveexec_b32 s1, s9
	s_cbranch_execnz .LBB240_163
; %bb.155:
	s_or_b32 exec_lo, exec_lo, s1
	s_and_b32 s1, s0, s8
	s_and_saveexec_b32 s0, s1
	s_cbranch_execnz .LBB240_167
.LBB240_156:
	s_or_b32 exec_lo, exec_lo, s0
	s_and_b32 s1, s2, s8
	s_and_saveexec_b32 s0, s1
	s_cbranch_execnz .LBB240_171
.LBB240_157:
	s_or_b32 exec_lo, exec_lo, s0
	s_and_b32 s1, s3, s8
	s_and_saveexec_b32 s0, s1
	s_cbranch_execnz .LBB240_175
.LBB240_158:
	s_or_b32 exec_lo, exec_lo, s0
	s_and_b32 s1, s4, s8
	s_and_saveexec_b32 s0, s1
	s_cbranch_execnz .LBB240_179
.LBB240_159:
	s_or_b32 exec_lo, exec_lo, s0
	s_and_b32 s1, s5, s8
	s_and_saveexec_b32 s0, s1
	s_cbranch_execnz .LBB240_183
.LBB240_160:
	s_or_b32 exec_lo, exec_lo, s0
	s_and_b32 s1, s6, s8
	s_and_saveexec_b32 s0, s1
	s_cbranch_execnz .LBB240_187
.LBB240_161:
	s_or_b32 exec_lo, exec_lo, s0
	s_and_b32 s0, s7, s8
	s_and_saveexec_b32 s1, s0
	s_cbranch_execnz .LBB240_191
.LBB240_162:
	s_endpgm
.LBB240_163:
	v_cmp_ne_u32_e32 vcc_lo, 1, v60
	v_lshlrev_b64 v[0:1], 1, v[0:1]
	s_cbranch_vccnz .LBB240_165
; %bb.164:
	v_add_co_u32 v24, vcc_lo, v22, v0
	v_add_co_ci_u32_e64 v25, null, v23, v1, vcc_lo
	flat_load_ushort v24, v[24:25]
	s_waitcnt vmcnt(0) lgkmcnt(0)
	v_mul_f16_e32 v24, v42, v24
	s_branch .LBB240_166
.LBB240_165:
	v_mov_b32_e32 v24, 0
.LBB240_166:
	v_pk_max_f16 v25, v4, v4
	v_pk_max_f16 v18, v18, v18
	v_pk_max_f16 v40, v5, v5
	v_pk_max_f16 v19, v19, v19
	v_add_co_u32 v0, vcc_lo, v2, v0
	v_pk_min_f16 v18, v18, v25
	v_add_co_ci_u32_e64 v1, null, v3, v1, vcc_lo
	v_pk_min_f16 v19, v19, v40
	v_pk_add_f16 v18, v50, v18
	v_pk_add_f16 v18, v18, v19
	v_add_f16_sdwa v18, v18, v18 dst_sel:DWORD dst_unused:UNUSED_PAD src0_sel:DWORD src1_sel:WORD_1
	v_add_f16_e32 v18, v18, v24
	flat_store_short v[0:1], v18
	s_or_b32 exec_lo, exec_lo, s1
	s_and_b32 s1, s0, s8
	s_and_saveexec_b32 s0, s1
	s_cbranch_execz .LBB240_156
.LBB240_167:
	v_cmp_ne_u32_e32 vcc_lo, 1, v60
	v_lshlrev_b64 v[0:1], 1, v[26:27]
	s_cbranch_vccnz .LBB240_169
; %bb.168:
	v_add_co_u32 v18, vcc_lo, v22, v0
	v_add_co_ci_u32_e64 v19, null, v23, v1, vcc_lo
	flat_load_ushort v18, v[18:19]
	s_waitcnt vmcnt(0) lgkmcnt(0)
	v_mul_f16_e32 v18, v42, v18
	s_branch .LBB240_170
.LBB240_169:
	v_mov_b32_e32 v18, 0
.LBB240_170:
	v_pk_max_f16 v19, v4, v4
	v_pk_max_f16 v20, v20, v20
	;; [unrolled: 1-line block ×4, first 2 shown]
	v_add_co_u32 v0, vcc_lo, v2, v0
	v_pk_min_f16 v19, v20, v19
	v_add_co_ci_u32_e64 v1, null, v3, v1, vcc_lo
	v_pk_min_f16 v20, v21, v24
	v_pk_add_f16 v19, v49, v19
	v_pk_add_f16 v19, v19, v20
	v_add_f16_sdwa v19, v19, v19 dst_sel:DWORD dst_unused:UNUSED_PAD src0_sel:DWORD src1_sel:WORD_1
	v_add_f16_e32 v18, v19, v18
	flat_store_short v[0:1], v18
	s_or_b32 exec_lo, exec_lo, s0
	s_and_b32 s1, s2, s8
	s_and_saveexec_b32 s0, s1
	s_cbranch_execz .LBB240_157
.LBB240_171:
	v_cmp_ne_u32_e32 vcc_lo, 1, v60
	v_lshlrev_b64 v[0:1], 1, v[28:29]
	s_cbranch_vccnz .LBB240_173
; %bb.172:
	v_add_co_u32 v18, vcc_lo, v22, v0
	v_add_co_ci_u32_e64 v19, null, v23, v1, vcc_lo
	flat_load_ushort v18, v[18:19]
	s_waitcnt vmcnt(0) lgkmcnt(0)
	v_mul_f16_e32 v18, v42, v18
	s_branch .LBB240_174
.LBB240_173:
	v_mov_b32_e32 v18, 0
.LBB240_174:
	v_pk_max_f16 v19, v4, v4
	v_pk_max_f16 v14, v14, v14
	;; [unrolled: 1-line block ×4, first 2 shown]
	v_add_co_u32 v0, vcc_lo, v2, v0
	v_pk_min_f16 v14, v14, v19
	v_add_co_ci_u32_e64 v1, null, v3, v1, vcc_lo
	v_pk_min_f16 v15, v15, v20
	v_pk_add_f16 v14, v48, v14
	v_pk_add_f16 v14, v14, v15
	v_add_f16_sdwa v14, v14, v14 dst_sel:DWORD dst_unused:UNUSED_PAD src0_sel:DWORD src1_sel:WORD_1
	v_add_f16_e32 v14, v14, v18
	flat_store_short v[0:1], v14
	s_or_b32 exec_lo, exec_lo, s0
	s_and_b32 s1, s3, s8
	s_and_saveexec_b32 s0, s1
	s_cbranch_execz .LBB240_158
.LBB240_175:
	v_cmp_ne_u32_e32 vcc_lo, 1, v60
	v_lshlrev_b64 v[0:1], 1, v[30:31]
	s_cbranch_vccnz .LBB240_177
; %bb.176:
	v_add_co_u32 v14, vcc_lo, v22, v0
	v_add_co_ci_u32_e64 v15, null, v23, v1, vcc_lo
	flat_load_ushort v14, v[14:15]
	s_waitcnt vmcnt(0) lgkmcnt(0)
	v_mul_f16_e32 v14, v42, v14
	s_branch .LBB240_178
.LBB240_177:
	v_mov_b32_e32 v14, 0
.LBB240_178:
	v_pk_max_f16 v15, v4, v4
	v_pk_max_f16 v16, v16, v16
	v_pk_max_f16 v18, v5, v5
	v_pk_max_f16 v17, v17, v17
	v_add_co_u32 v0, vcc_lo, v2, v0
	v_pk_min_f16 v15, v16, v15
	v_add_co_ci_u32_e64 v1, null, v3, v1, vcc_lo
	v_pk_min_f16 v16, v17, v18
	v_pk_add_f16 v15, v47, v15
	v_pk_add_f16 v15, v15, v16
	v_add_f16_sdwa v15, v15, v15 dst_sel:DWORD dst_unused:UNUSED_PAD src0_sel:DWORD src1_sel:WORD_1
	v_add_f16_e32 v14, v15, v14
	flat_store_short v[0:1], v14
	s_or_b32 exec_lo, exec_lo, s0
	s_and_b32 s1, s4, s8
	s_and_saveexec_b32 s0, s1
	s_cbranch_execz .LBB240_159
.LBB240_179:
	v_cmp_ne_u32_e32 vcc_lo, 1, v60
	v_lshlrev_b64 v[0:1], 1, v[32:33]
	s_cbranch_vccnz .LBB240_181
; %bb.180:
	v_add_co_u32 v14, vcc_lo, v22, v0
	v_add_co_ci_u32_e64 v15, null, v23, v1, vcc_lo
	flat_load_ushort v14, v[14:15]
	s_waitcnt vmcnt(0) lgkmcnt(0)
	v_mul_f16_e32 v14, v42, v14
	s_branch .LBB240_182
.LBB240_181:
	v_mov_b32_e32 v14, 0
.LBB240_182:
	v_pk_max_f16 v15, v4, v4
	v_pk_max_f16 v10, v10, v10
	;; [unrolled: 1-line block ×4, first 2 shown]
	v_add_co_u32 v0, vcc_lo, v2, v0
	v_pk_min_f16 v10, v10, v15
	v_add_co_ci_u32_e64 v1, null, v3, v1, vcc_lo
	v_pk_min_f16 v11, v11, v16
	v_pk_add_f16 v10, v46, v10
	v_pk_add_f16 v10, v10, v11
	v_add_f16_sdwa v10, v10, v10 dst_sel:DWORD dst_unused:UNUSED_PAD src0_sel:DWORD src1_sel:WORD_1
	v_add_f16_e32 v10, v10, v14
	flat_store_short v[0:1], v10
	s_or_b32 exec_lo, exec_lo, s0
	s_and_b32 s1, s5, s8
	s_and_saveexec_b32 s0, s1
	s_cbranch_execz .LBB240_160
.LBB240_183:
	v_cmp_ne_u32_e32 vcc_lo, 1, v60
	v_lshlrev_b64 v[0:1], 1, v[34:35]
	s_cbranch_vccnz .LBB240_185
; %bb.184:
	v_add_co_u32 v10, vcc_lo, v22, v0
	v_add_co_ci_u32_e64 v11, null, v23, v1, vcc_lo
	flat_load_ushort v10, v[10:11]
	s_waitcnt vmcnt(0) lgkmcnt(0)
	v_mul_f16_e32 v10, v42, v10
	s_branch .LBB240_186
.LBB240_185:
	v_mov_b32_e32 v10, 0
.LBB240_186:
	v_pk_max_f16 v11, v4, v4
	v_pk_max_f16 v12, v12, v12
	;; [unrolled: 1-line block ×4, first 2 shown]
	v_add_co_u32 v0, vcc_lo, v2, v0
	v_pk_min_f16 v11, v12, v11
	v_add_co_ci_u32_e64 v1, null, v3, v1, vcc_lo
	v_pk_min_f16 v12, v13, v14
	v_pk_add_f16 v11, v45, v11
	v_pk_add_f16 v11, v11, v12
	v_add_f16_sdwa v11, v11, v11 dst_sel:DWORD dst_unused:UNUSED_PAD src0_sel:DWORD src1_sel:WORD_1
	v_add_f16_e32 v10, v11, v10
	flat_store_short v[0:1], v10
	s_or_b32 exec_lo, exec_lo, s0
	s_and_b32 s1, s6, s8
	s_and_saveexec_b32 s0, s1
	s_cbranch_execz .LBB240_161
.LBB240_187:
	v_cmp_ne_u32_e32 vcc_lo, 1, v60
	v_lshlrev_b64 v[0:1], 1, v[36:37]
	s_cbranch_vccnz .LBB240_189
; %bb.188:
	v_add_co_u32 v10, vcc_lo, v22, v0
	v_add_co_ci_u32_e64 v11, null, v23, v1, vcc_lo
	flat_load_ushort v10, v[10:11]
	s_waitcnt vmcnt(0) lgkmcnt(0)
	v_mul_f16_e32 v10, v42, v10
	s_branch .LBB240_190
.LBB240_189:
	v_mov_b32_e32 v10, 0
.LBB240_190:
	v_pk_max_f16 v11, v4, v4
	v_pk_max_f16 v6, v6, v6
	;; [unrolled: 1-line block ×4, first 2 shown]
	v_add_co_u32 v0, vcc_lo, v2, v0
	v_pk_min_f16 v6, v6, v11
	v_add_co_ci_u32_e64 v1, null, v3, v1, vcc_lo
	v_pk_min_f16 v7, v7, v12
	v_pk_add_f16 v6, v44, v6
	v_pk_add_f16 v6, v6, v7
	v_add_f16_sdwa v6, v6, v6 dst_sel:DWORD dst_unused:UNUSED_PAD src0_sel:DWORD src1_sel:WORD_1
	v_add_f16_e32 v6, v6, v10
	flat_store_short v[0:1], v6
	s_or_b32 exec_lo, exec_lo, s0
	s_and_b32 s0, s7, s8
	s_and_saveexec_b32 s1, s0
	s_cbranch_execz .LBB240_162
.LBB240_191:
	v_cmp_ne_u32_e32 vcc_lo, 1, v60
	v_lshlrev_b64 v[0:1], 1, v[38:39]
	s_cbranch_vccnz .LBB240_193
; %bb.192:
	v_add_co_u32 v6, vcc_lo, v22, v0
	v_add_co_ci_u32_e64 v7, null, v23, v1, vcc_lo
	flat_load_ushort v6, v[6:7]
	s_waitcnt vmcnt(0) lgkmcnt(0)
	v_mul_f16_e32 v6, v42, v6
	s_branch .LBB240_194
.LBB240_193:
	v_mov_b32_e32 v6, 0
.LBB240_194:
	v_pk_max_f16 v4, v4, v4
	v_pk_max_f16 v7, v8, v8
	;; [unrolled: 1-line block ×4, first 2 shown]
	v_add_co_u32 v0, vcc_lo, v2, v0
	v_pk_min_f16 v4, v7, v4
	v_add_co_ci_u32_e64 v1, null, v3, v1, vcc_lo
	v_pk_min_f16 v5, v8, v5
	v_pk_add_f16 v4, v43, v4
	v_pk_add_f16 v4, v4, v5
	v_add_f16_sdwa v4, v4, v4 dst_sel:DWORD dst_unused:UNUSED_PAD src0_sel:DWORD src1_sel:WORD_1
	v_add_f16_e32 v4, v4, v6
	flat_store_short v[0:1], v4
	s_endpgm
	.section	.rodata,"a",@progbits
	.p2align	6, 0x0
	.amdhsa_kernel _ZN12_GLOBAL__N_120geam_min_plus_kernelIDF16_Dv2_DF16_S1_Li8ELi32ELi64ELi128ELi4ELi4ELi64ELi4ELi64ELc84ELc78ELb0ELb1ELb0EPKDF16_KS3_KPDF16_EEviiiT16_PT17_ilS9_ilS7_S9_ilPT18_ili26rocblas_geam_ex_operation_
		.amdhsa_group_segment_fixed_size 3072
		.amdhsa_private_segment_fixed_size 0
		.amdhsa_kernarg_size 136
		.amdhsa_user_sgpr_count 6
		.amdhsa_user_sgpr_private_segment_buffer 1
		.amdhsa_user_sgpr_dispatch_ptr 0
		.amdhsa_user_sgpr_queue_ptr 0
		.amdhsa_user_sgpr_kernarg_segment_ptr 1
		.amdhsa_user_sgpr_dispatch_id 0
		.amdhsa_user_sgpr_flat_scratch_init 0
		.amdhsa_user_sgpr_private_segment_size 0
		.amdhsa_wavefront_size32 1
		.amdhsa_uses_dynamic_stack 0
		.amdhsa_system_sgpr_private_segment_wavefront_offset 0
		.amdhsa_system_sgpr_workgroup_id_x 1
		.amdhsa_system_sgpr_workgroup_id_y 0
		.amdhsa_system_sgpr_workgroup_id_z 1
		.amdhsa_system_sgpr_workgroup_info 0
		.amdhsa_system_vgpr_workitem_id 1
		.amdhsa_next_free_vgpr 121
		.amdhsa_next_free_sgpr 28
		.amdhsa_reserve_vcc 1
		.amdhsa_reserve_flat_scratch 0
		.amdhsa_float_round_mode_32 0
		.amdhsa_float_round_mode_16_64 0
		.amdhsa_float_denorm_mode_32 3
		.amdhsa_float_denorm_mode_16_64 3
		.amdhsa_dx10_clamp 1
		.amdhsa_ieee_mode 1
		.amdhsa_fp16_overflow 0
		.amdhsa_workgroup_processor_mode 1
		.amdhsa_memory_ordered 1
		.amdhsa_forward_progress 1
		.amdhsa_shared_vgpr_count 0
		.amdhsa_exception_fp_ieee_invalid_op 0
		.amdhsa_exception_fp_denorm_src 0
		.amdhsa_exception_fp_ieee_div_zero 0
		.amdhsa_exception_fp_ieee_overflow 0
		.amdhsa_exception_fp_ieee_underflow 0
		.amdhsa_exception_fp_ieee_inexact 0
		.amdhsa_exception_int_div_zero 0
	.end_amdhsa_kernel
	.section	.text._ZN12_GLOBAL__N_120geam_min_plus_kernelIDF16_Dv2_DF16_S1_Li8ELi32ELi64ELi128ELi4ELi4ELi64ELi4ELi64ELc84ELc78ELb0ELb1ELb0EPKDF16_KS3_KPDF16_EEviiiT16_PT17_ilS9_ilS7_S9_ilPT18_ili26rocblas_geam_ex_operation_,"axG",@progbits,_ZN12_GLOBAL__N_120geam_min_plus_kernelIDF16_Dv2_DF16_S1_Li8ELi32ELi64ELi128ELi4ELi4ELi64ELi4ELi64ELc84ELc78ELb0ELb1ELb0EPKDF16_KS3_KPDF16_EEviiiT16_PT17_ilS9_ilS7_S9_ilPT18_ili26rocblas_geam_ex_operation_,comdat
.Lfunc_end240:
	.size	_ZN12_GLOBAL__N_120geam_min_plus_kernelIDF16_Dv2_DF16_S1_Li8ELi32ELi64ELi128ELi4ELi4ELi64ELi4ELi64ELc84ELc78ELb0ELb1ELb0EPKDF16_KS3_KPDF16_EEviiiT16_PT17_ilS9_ilS7_S9_ilPT18_ili26rocblas_geam_ex_operation_, .Lfunc_end240-_ZN12_GLOBAL__N_120geam_min_plus_kernelIDF16_Dv2_DF16_S1_Li8ELi32ELi64ELi128ELi4ELi4ELi64ELi4ELi64ELc84ELc78ELb0ELb1ELb0EPKDF16_KS3_KPDF16_EEviiiT16_PT17_ilS9_ilS7_S9_ilPT18_ili26rocblas_geam_ex_operation_
                                        ; -- End function
	.set _ZN12_GLOBAL__N_120geam_min_plus_kernelIDF16_Dv2_DF16_S1_Li8ELi32ELi64ELi128ELi4ELi4ELi64ELi4ELi64ELc84ELc78ELb0ELb1ELb0EPKDF16_KS3_KPDF16_EEviiiT16_PT17_ilS9_ilS7_S9_ilPT18_ili26rocblas_geam_ex_operation_.num_vgpr, 121
	.set _ZN12_GLOBAL__N_120geam_min_plus_kernelIDF16_Dv2_DF16_S1_Li8ELi32ELi64ELi128ELi4ELi4ELi64ELi4ELi64ELc84ELc78ELb0ELb1ELb0EPKDF16_KS3_KPDF16_EEviiiT16_PT17_ilS9_ilS7_S9_ilPT18_ili26rocblas_geam_ex_operation_.num_agpr, 0
	.set _ZN12_GLOBAL__N_120geam_min_plus_kernelIDF16_Dv2_DF16_S1_Li8ELi32ELi64ELi128ELi4ELi4ELi64ELi4ELi64ELc84ELc78ELb0ELb1ELb0EPKDF16_KS3_KPDF16_EEviiiT16_PT17_ilS9_ilS7_S9_ilPT18_ili26rocblas_geam_ex_operation_.numbered_sgpr, 28
	.set _ZN12_GLOBAL__N_120geam_min_plus_kernelIDF16_Dv2_DF16_S1_Li8ELi32ELi64ELi128ELi4ELi4ELi64ELi4ELi64ELc84ELc78ELb0ELb1ELb0EPKDF16_KS3_KPDF16_EEviiiT16_PT17_ilS9_ilS7_S9_ilPT18_ili26rocblas_geam_ex_operation_.num_named_barrier, 0
	.set _ZN12_GLOBAL__N_120geam_min_plus_kernelIDF16_Dv2_DF16_S1_Li8ELi32ELi64ELi128ELi4ELi4ELi64ELi4ELi64ELc84ELc78ELb0ELb1ELb0EPKDF16_KS3_KPDF16_EEviiiT16_PT17_ilS9_ilS7_S9_ilPT18_ili26rocblas_geam_ex_operation_.private_seg_size, 0
	.set _ZN12_GLOBAL__N_120geam_min_plus_kernelIDF16_Dv2_DF16_S1_Li8ELi32ELi64ELi128ELi4ELi4ELi64ELi4ELi64ELc84ELc78ELb0ELb1ELb0EPKDF16_KS3_KPDF16_EEviiiT16_PT17_ilS9_ilS7_S9_ilPT18_ili26rocblas_geam_ex_operation_.uses_vcc, 1
	.set _ZN12_GLOBAL__N_120geam_min_plus_kernelIDF16_Dv2_DF16_S1_Li8ELi32ELi64ELi128ELi4ELi4ELi64ELi4ELi64ELc84ELc78ELb0ELb1ELb0EPKDF16_KS3_KPDF16_EEviiiT16_PT17_ilS9_ilS7_S9_ilPT18_ili26rocblas_geam_ex_operation_.uses_flat_scratch, 0
	.set _ZN12_GLOBAL__N_120geam_min_plus_kernelIDF16_Dv2_DF16_S1_Li8ELi32ELi64ELi128ELi4ELi4ELi64ELi4ELi64ELc84ELc78ELb0ELb1ELb0EPKDF16_KS3_KPDF16_EEviiiT16_PT17_ilS9_ilS7_S9_ilPT18_ili26rocblas_geam_ex_operation_.has_dyn_sized_stack, 0
	.set _ZN12_GLOBAL__N_120geam_min_plus_kernelIDF16_Dv2_DF16_S1_Li8ELi32ELi64ELi128ELi4ELi4ELi64ELi4ELi64ELc84ELc78ELb0ELb1ELb0EPKDF16_KS3_KPDF16_EEviiiT16_PT17_ilS9_ilS7_S9_ilPT18_ili26rocblas_geam_ex_operation_.has_recursion, 0
	.set _ZN12_GLOBAL__N_120geam_min_plus_kernelIDF16_Dv2_DF16_S1_Li8ELi32ELi64ELi128ELi4ELi4ELi64ELi4ELi64ELc84ELc78ELb0ELb1ELb0EPKDF16_KS3_KPDF16_EEviiiT16_PT17_ilS9_ilS7_S9_ilPT18_ili26rocblas_geam_ex_operation_.has_indirect_call, 0
	.section	.AMDGPU.csdata,"",@progbits
; Kernel info:
; codeLenInByte = 12124
; TotalNumSgprs: 30
; NumVgprs: 121
; ScratchSize: 0
; MemoryBound: 0
; FloatMode: 240
; IeeeMode: 1
; LDSByteSize: 3072 bytes/workgroup (compile time only)
; SGPRBlocks: 0
; VGPRBlocks: 15
; NumSGPRsForWavesPerEU: 30
; NumVGPRsForWavesPerEU: 121
; Occupancy: 8
; WaveLimiterHint : 1
; COMPUTE_PGM_RSRC2:SCRATCH_EN: 0
; COMPUTE_PGM_RSRC2:USER_SGPR: 6
; COMPUTE_PGM_RSRC2:TRAP_HANDLER: 0
; COMPUTE_PGM_RSRC2:TGID_X_EN: 1
; COMPUTE_PGM_RSRC2:TGID_Y_EN: 0
; COMPUTE_PGM_RSRC2:TGID_Z_EN: 1
; COMPUTE_PGM_RSRC2:TIDIG_COMP_CNT: 1
	.section	.text._ZN12_GLOBAL__N_120geam_min_plus_kernelIDF16_Dv2_DF16_S1_Li8ELi32ELi64ELi128ELi4ELi4ELi64ELi4ELi64ELc84ELc78ELb1ELb1ELb0EDF16_KPKDF16_KPDF16_EEviiiT16_PT17_ilS9_ilS7_S9_ilPT18_ili26rocblas_geam_ex_operation_,"axG",@progbits,_ZN12_GLOBAL__N_120geam_min_plus_kernelIDF16_Dv2_DF16_S1_Li8ELi32ELi64ELi128ELi4ELi4ELi64ELi4ELi64ELc84ELc78ELb1ELb1ELb0EDF16_KPKDF16_KPDF16_EEviiiT16_PT17_ilS9_ilS7_S9_ilPT18_ili26rocblas_geam_ex_operation_,comdat
	.globl	_ZN12_GLOBAL__N_120geam_min_plus_kernelIDF16_Dv2_DF16_S1_Li8ELi32ELi64ELi128ELi4ELi4ELi64ELi4ELi64ELc84ELc78ELb1ELb1ELb0EDF16_KPKDF16_KPDF16_EEviiiT16_PT17_ilS9_ilS7_S9_ilPT18_ili26rocblas_geam_ex_operation_ ; -- Begin function _ZN12_GLOBAL__N_120geam_min_plus_kernelIDF16_Dv2_DF16_S1_Li8ELi32ELi64ELi128ELi4ELi4ELi64ELi4ELi64ELc84ELc78ELb1ELb1ELb0EDF16_KPKDF16_KPDF16_EEviiiT16_PT17_ilS9_ilS7_S9_ilPT18_ili26rocblas_geam_ex_operation_
	.p2align	8
	.type	_ZN12_GLOBAL__N_120geam_min_plus_kernelIDF16_Dv2_DF16_S1_Li8ELi32ELi64ELi128ELi4ELi4ELi64ELi4ELi64ELc84ELc78ELb1ELb1ELb0EDF16_KPKDF16_KPDF16_EEviiiT16_PT17_ilS9_ilS7_S9_ilPT18_ili26rocblas_geam_ex_operation_,@function
_ZN12_GLOBAL__N_120geam_min_plus_kernelIDF16_Dv2_DF16_S1_Li8ELi32ELi64ELi128ELi4ELi4ELi64ELi4ELi64ELc84ELc78ELb1ELb1ELb0EDF16_KPKDF16_KPDF16_EEviiiT16_PT17_ilS9_ilS7_S9_ilPT18_ili26rocblas_geam_ex_operation_: ; @_ZN12_GLOBAL__N_120geam_min_plus_kernelIDF16_Dv2_DF16_S1_Li8ELi32ELi64ELi128ELi4ELi4ELi64ELi4ELi64ELc84ELc78ELb1ELb1ELb0EDF16_KPKDF16_KPDF16_EEviiiT16_PT17_ilS9_ilS7_S9_ilPT18_ili26rocblas_geam_ex_operation_
; %bb.0:
	s_clause 0x1
	s_load_dwordx4 s[12:15], s[4:5], 0x0
	s_load_dwordx4 s[0:3], s[4:5], 0x20
	s_mov_b32 s16, s7
	s_mov_b32 s17, 0
	s_waitcnt lgkmcnt(0)
	v_cmp_eq_f16_e64 s7, s15, 0
	s_and_b32 vcc_lo, exec_lo, s7
	s_cbranch_vccnz .LBB241_3
; %bb.1:
	s_load_dwordx2 s[8:9], s[4:5], 0x10
	s_lshl_b64 s[10:11], s[16:17], 3
	s_waitcnt lgkmcnt(0)
	s_add_u32 s8, s8, s10
	s_addc_u32 s9, s9, s11
	s_lshl_b64 s[0:1], s[0:1], 1
	s_load_dwordx2 s[8:9], s[8:9], 0x0
	s_waitcnt lgkmcnt(0)
	s_add_u32 s8, s8, s0
	s_addc_u32 s9, s9, s1
	s_andn2_b32 vcc_lo, exec_lo, s7
	s_cbranch_vccnz .LBB241_4
.LBB241_2:
	s_mov_b32 s21, 0
	s_mov_b32 s20, s16
	;; [unrolled: 1-line block ×3, first 2 shown]
	s_mov_b64 s[10:11], 0
	s_andn2_b32 vcc_lo, exec_lo, s0
	s_mov_b64 s[18:19], 0
	s_cbranch_vccz .LBB241_5
	s_branch .LBB241_6
.LBB241_3:
	s_mov_b64 s[8:9], 0
	s_andn2_b32 vcc_lo, exec_lo, s7
	s_cbranch_vccz .LBB241_2
.LBB241_4:
	s_mov_b64 s[20:21], s[16:17]
	s_mov_b64 s[10:11], 0
	;; [unrolled: 1-line block ×3, first 2 shown]
.LBB241_5:
	s_lshl_b64 s[0:1], s[16:17], 3
	s_load_dwordx2 s[16:17], s[4:5], 0x38
	s_add_u32 s0, s2, s0
	s_addc_u32 s1, s3, s1
	s_load_dwordx2 s[0:1], s[0:1], 0x0
	s_waitcnt lgkmcnt(0)
	s_lshl_b64 s[2:3], s[16:17], 1
	s_add_u32 s18, s0, s2
	s_addc_u32 s19, s1, s3
.LBB241_6:
	s_clause 0x1
	s_load_dword s15, s[4:5], 0x40
	s_load_dwordx4 s[0:3], s[4:5], 0x58
	s_waitcnt lgkmcnt(0)
	v_cmp_eq_f16_e64 s16, s15, 0
	v_cmp_neq_f16_e64 s7, s15, 0
	s_and_b32 vcc_lo, exec_lo, s16
	s_cbranch_vccnz .LBB241_8
; %bb.7:
	s_load_dwordx2 s[10:11], s[4:5], 0x48
	s_lshl_b64 s[16:17], s[20:21], 3
	s_waitcnt lgkmcnt(0)
	s_add_u32 s10, s10, s16
	s_addc_u32 s11, s11, s17
	s_lshl_b64 s[0:1], s[0:1], 1
	s_load_dwordx2 s[10:11], s[10:11], 0x0
	s_waitcnt lgkmcnt(0)
	s_add_u32 s10, s10, s0
	s_addc_u32 s11, s11, s1
.LBB241_8:
	s_lshl_b64 s[0:1], s[20:21], 3
	s_load_dword s23, s[4:5], 0x18
	s_add_u32 s16, s2, s0
	s_addc_u32 s17, s3, s1
	s_add_i32 s0, s12, -1
	v_and_b32_e32 v26, 3, v0
	s_ashr_i32 s1, s0, 31
                                        ; implicit-def: $vgpr8
	s_lshr_b32 s1, s1, 26
	s_add_i32 s0, s0, s1
	v_lshlrev_b32_e32 v27, 1, v26
	s_ashr_i32 s0, s0, 6
	s_add_i32 s2, s0, 1
	s_not_b32 s0, s0
	v_cvt_f32_u32_e32 v2, s2
	v_rcp_iflag_f32_e32 v2, v2
	v_mul_f32_e32 v2, 0x4f7ffffe, v2
	v_cvt_u32_f32_e32 v2, v2
	v_readfirstlane_b32 s1, v2
	v_lshl_add_u32 v2, v1, 3, v0
	s_mul_i32 s0, s0, s1
	v_lshrrev_b32_e32 v2, 2, v2
	s_mul_hi_u32 s0, s1, s0
	s_add_i32 s1, s1, s0
	s_mul_hi_u32 s0, s6, s1
	s_mul_i32 s1, s0, s2
	s_add_i32 s3, s0, 1
	s_sub_i32 s1, s6, s1
	s_sub_i32 s20, s1, s2
	s_cmp_ge_u32 s1, s2
	s_cselect_b32 s0, s3, s0
	s_cselect_b32 s1, s20, s1
	s_add_i32 s3, s0, 1
	s_cmp_ge_u32 s1, s2
	s_cselect_b32 s1, s3, s0
	s_mul_i32 s24, s1, s2
	v_cmp_le_i32_e64 s2, s14, v26
	s_sub_i32 s0, s6, s24
	s_lshl_b32 s20, s0, 6
	v_add_nc_u32_e32 v6, s20, v2
	v_cmp_le_i32_e32 vcc_lo, s12, v6
	s_nor_b32 s0, s2, vcc_lo
	s_and_saveexec_b32 s3, s0
	s_xor_b32 s3, exec_lo, s3
	s_cbranch_execz .LBB241_10
; %bb.9:
	s_waitcnt lgkmcnt(0)
	v_mad_i64_i32 v[3:4], null, v6, s23, 0
	v_lshlrev_b64 v[3:4], 1, v[3:4]
	v_add_co_u32 v3, s0, s8, v3
	v_add_co_ci_u32_e64 v4, null, s9, v4, s0
	v_add_co_u32 v3, s0, v3, v27
	v_add_co_ci_u32_e64 v4, null, 0, v4, s0
	flat_load_ushort v8, v[3:4]
.LBB241_10:
	s_andn2_saveexec_b32 s0, s3
	s_cbranch_execz .LBB241_12
; %bb.11:
	s_waitcnt vmcnt(0) lgkmcnt(0)
	v_mov_b32_e32 v8, 0
.LBB241_12:
	s_or_b32 exec_lo, exec_lo, s0
	s_load_dword s25, s[4:5], 0x30
	s_lshl_b32 s21, s1, 7
	v_lshlrev_b32_e32 v4, 1, v26
	v_add_nc_u32_e32 v3, s21, v2
	v_mov_b32_e32 v9, 0
	v_mov_b32_e32 v10, 0
	v_add_co_u32 v5, s1, s18, v4
	v_cmp_le_i32_e64 s0, s13, v3
	v_add_co_ci_u32_e64 v7, null, s19, 0, s1
	s_nor_b32 s1, s2, s0
	s_and_saveexec_b32 s3, s1
	s_cbranch_execz .LBB241_14
; %bb.13:
	s_waitcnt lgkmcnt(0)
	v_mad_i64_i32 v[10:11], null, v3, s25, 0
	v_lshlrev_b64 v[10:11], 1, v[10:11]
	v_add_co_u32 v10, s1, v5, v10
	v_add_co_ci_u32_e64 v11, null, v7, v11, s1
	flat_load_ushort v10, v[10:11]
.LBB241_14:
	s_or_b32 exec_lo, exec_lo, s3
	v_add_nc_u32_e32 v4, 64, v3
	v_cmp_le_i32_e64 s1, s13, v4
	s_nor_b32 s2, s2, s1
	s_and_saveexec_b32 s3, s2
	s_cbranch_execz .LBB241_16
; %bb.15:
	s_waitcnt lgkmcnt(0)
	v_mad_i64_i32 v[11:12], null, v4, s25, 0
	v_lshlrev_b64 v[11:12], 1, v[11:12]
	v_add_co_u32 v11, s2, v5, v11
	v_add_co_ci_u32_e64 v12, null, v7, v12, s2
	flat_load_ushort v9, v[11:12]
.LBB241_16:
	s_or_b32 exec_lo, exec_lo, s3
	v_or_b32_e32 v7, 4, v26
                                        ; implicit-def: $vgpr5
	v_cmp_le_i32_e64 s2, s14, v7
	s_nor_b32 s3, s2, vcc_lo
	s_and_saveexec_b32 s22, s3
	s_xor_b32 s22, exec_lo, s22
	s_cbranch_execz .LBB241_18
; %bb.17:
	s_waitcnt lgkmcnt(0)
	v_mad_i64_i32 v[5:6], null, v6, s23, 0
	v_lshlrev_b64 v[5:6], 1, v[5:6]
	v_add_co_u32 v5, s3, s8, v5
	v_add_co_ci_u32_e64 v6, null, s9, v6, s3
	v_add_co_u32 v5, s3, v5, v27
	v_add_co_ci_u32_e64 v6, null, 0, v6, s3
	flat_load_ushort v5, v[5:6] offset:8
.LBB241_18:
	s_andn2_saveexec_b32 s3, s22
	s_cbranch_execz .LBB241_20
; %bb.19:
	s_waitcnt vmcnt(0) lgkmcnt(0)
	v_mov_b32_e32 v5, 0
.LBB241_20:
	s_or_b32 exec_lo, exec_lo, s3
	v_lshlrev_b32_e32 v7, 1, v7
	v_mov_b32_e32 v6, 0
	v_add_co_u32 v11, s3, s18, v7
	v_add_co_ci_u32_e64 v12, null, s19, 0, s3
	v_mov_b32_e32 v7, 0
	s_nor_b32 s3, s2, s0
	s_and_saveexec_b32 s22, s3
	s_cbranch_execz .LBB241_22
; %bb.21:
	s_waitcnt lgkmcnt(0)
	v_mad_i64_i32 v[13:14], null, v3, s25, 0
	v_lshlrev_b64 v[13:14], 1, v[13:14]
	v_add_co_u32 v13, s3, v11, v13
	v_add_co_ci_u32_e64 v14, null, v12, v14, s3
	flat_load_ushort v7, v[13:14]
.LBB241_22:
	s_or_b32 exec_lo, exec_lo, s22
	s_nor_b32 s2, s2, s1
	s_and_saveexec_b32 s3, s2
	s_cbranch_execz .LBB241_24
; %bb.23:
	s_waitcnt lgkmcnt(0)
	v_mad_i64_i32 v[13:14], null, v4, s25, 0
	v_lshlrev_b64 v[13:14], 1, v[13:14]
	v_add_co_u32 v11, s2, v11, v13
	v_add_co_ci_u32_e64 v12, null, v12, v14, s2
	flat_load_ushort v6, v[11:12]
.LBB241_24:
	s_or_b32 exec_lo, exec_lo, s3
	v_lshlrev_b32_e32 v11, 3, v2
	v_lshlrev_b32_e32 v29, 3, v0
	;; [unrolled: 1-line block ×3, first 2 shown]
	s_load_dwordx2 s[16:17], s[16:17], 0x0
	s_mov_b32 s22, 0
	v_lshl_or_b32 v30, v26, 1, v11
	v_add_nc_u32_e32 v24, 0x800, v29
	s_cmp_lt_i32 s14, 9
	s_waitcnt vmcnt(0) lgkmcnt(0)
	ds_write_b16 v30, v8 offset:2048
	ds_write_b16 v30, v10
	ds_write_b16 v30, v9 offset:512
	s_waitcnt lgkmcnt(0)
	s_barrier
	buffer_gl0_inv
	ds_read2_b64 v[8:11], v28 offset1:32
	ds_read2_b64 v[12:15], v24 offset0:48 offset1:56
	ds_read2_b64 v[16:19], v28 offset0:64 offset1:96
	ds_read2_b64 v[20:23], v24 offset1:8
	ds_read2_b64 v[31:34], v24 offset0:16 offset1:24
	ds_read2_b64 v[35:38], v24 offset0:32 offset1:40
	ds_write_b16 v30, v5 offset:2560
	ds_write_b16 v30, v7 offset:1024
	;; [unrolled: 1-line block ×3, first 2 shown]
	s_waitcnt lgkmcnt(0)
	s_barrier
	buffer_gl0_inv
	v_pk_max_f16 v8, v8, v8
	v_pk_max_f16 v14, v14, v14
	;; [unrolled: 1-line block ×9, first 2 shown]
	v_pk_min_f16 v25, v14, v8
	v_pk_max_f16 v35, v35, v35
	v_pk_min_f16 v48, v33, v8
	v_pk_min_f16 v51, v33, v10
	;; [unrolled: 1-line block ×4, first 2 shown]
	v_pk_max_f16 v9, v9, v9
	v_pk_max_f16 v33, v37, v37
	;; [unrolled: 1-line block ×4, first 2 shown]
	v_pk_min_f16 v31, v14, v10
	v_pk_min_f16 v39, v20, v8
	;; [unrolled: 1-line block ×14, first 2 shown]
	v_pk_max_f16 v11, v11, v11
	v_pk_min_f16 v55, v35, v10
	v_pk_min_f16 v59, v35, v16
	v_pk_max_f16 v17, v17, v17
	v_pk_min_f16 v35, v35, v18
	v_pk_max_f16 v21, v21, v21
	v_pk_min_f16 v37, v33, v8
	v_pk_min_f16 v60, v33, v10
	v_pk_min_f16 v61, v33, v16
	v_pk_min_f16 v62, v33, v18
	v_pk_min_f16 v8, v12, v8
	v_pk_min_f16 v10, v12, v10
	v_pk_min_f16 v33, v14, v16
	v_pk_min_f16 v16, v12, v16
	v_pk_min_f16 v12, v12, v18
	v_pk_min_f16 v14, v14, v18
	v_pk_add_f16 v18, v25, 0
	v_pk_min_f16 v25, v15, v9
	v_pk_max_f16 v19, v19, v19
	v_pk_max_f16 v23, v23, v23
	v_pk_add_f16 v33, v33, 0
	v_pk_min_f16 v50, v15, v17
	v_pk_add_f16 v39, v39, 0
	v_pk_min_f16 v56, v21, v9
	;; [unrolled: 2-line block ×3, first 2 shown]
	v_pk_add_f16 v68, v18, v25
	v_pk_add_f16 v18, v41, 0
	v_pk_min_f16 v25, v21, v17
	v_pk_add_f16 v50, v33, v50
	v_pk_add_f16 v33, v39, v56
	;; [unrolled: 1-line block ×3, first 2 shown]
	v_pk_min_f16 v39, v23, v9
	v_pk_add_f16 v40, v43, 0
	v_pk_min_f16 v41, v23, v11
	v_pk_min_f16 v43, v23, v17
	v_pk_add_f16 v57, v18, v25
	v_pk_add_f16 v18, v22, 0
	v_pk_min_f16 v23, v23, v19
	v_pk_add_f16 v31, v31, 0
	v_pk_min_f16 v49, v15, v11
	;; [unrolled: 2-line block ×3, first 2 shown]
	v_pk_add_f16 v25, v48, 0
	v_pk_add_f16 v48, v18, v23
	v_pk_max_f16 v18, v32, v32
	v_pk_add_f16 v58, v31, v49
	v_pk_add_f16 v31, v42, 0
	;; [unrolled: 1-line block ×8, first 2 shown]
	v_pk_max_f16 v23, v34, v34
	v_pk_min_f16 v32, v18, v9
	v_pk_min_f16 v34, v18, v11
	v_pk_min_f16 v45, v18, v17
	v_pk_min_f16 v18, v18, v19
	v_pk_add_f16 v31, v31, v39
	v_pk_add_f16 v65, v40, v41
	;; [unrolled: 1-line block ×11, first 2 shown]
	v_pk_min_f16 v18, v23, v9
	v_pk_min_f16 v20, v23, v11
	;; [unrolled: 1-line block ×4, first 2 shown]
	v_pk_max_f16 v23, v36, v36
	v_pk_add_f16 v42, v54, 0
	v_pk_add_f16 v44, v59, 0
	;; [unrolled: 1-line block ×7, first 2 shown]
	v_pk_min_f16 v18, v23, v9
	v_pk_min_f16 v20, v23, v11
	;; [unrolled: 1-line block ×4, first 2 shown]
	v_pk_max_f16 v23, v38, v38
	v_pk_max_f16 v13, v13, v13
	v_pk_add_f16 v37, v37, 0
	v_pk_add_f16 v51, v60, 0
	;; [unrolled: 1-line block ×13, first 2 shown]
	v_pk_min_f16 v18, v23, v9
	v_pk_min_f16 v20, v23, v11
	;; [unrolled: 1-line block ×9, first 2 shown]
	v_pk_add_f16 v38, v37, v18
	v_pk_add_f16 v61, v51, v20
	;; [unrolled: 1-line block ×9, first 2 shown]
	s_cbranch_scc1 .LBB241_39
; %bb.25:
	v_lshl_add_u32 v2, s6, 6, v2
	s_lshl_b32 s2, s24, 6
	v_mad_i64_i32 v[7:8], null, s25, v4, 0
	v_add_nc_u32_e32 v35, 0x800, v30
	v_subrev_nc_u32_e32 v2, s2, v2
	v_or_b32_e32 v37, 0x800, v29
	v_add_nc_u32_e32 v39, 0xa00, v30
	v_add_nc_u32_e32 v41, 0x400, v30
	v_lshl_add_u32 v59, v0, 3, 0xa00
	v_mad_i64_i32 v[5:6], null, s23, v2, 0
	v_mad_i64_i32 v[2:3], null, s25, v3, 0
	v_lshl_add_u32 v67, v1, 3, 0x400
	s_add_i32 s6, s14, -8
	v_lshlrev_b64 v[4:5], 1, v[5:6]
	v_lshlrev_b64 v[6:7], 1, v[7:8]
	v_lshlrev_b64 v[2:3], 1, v[2:3]
	v_add_co_u32 v69, s2, s8, v4
	v_add_co_ci_u32_e64 v70, null, s9, v5, s2
	v_add_co_u32 v71, s2, s18, v2
	v_add_co_ci_u32_e64 v72, null, s19, v3, s2
	;; [unrolled: 2-line block ×3, first 2 shown]
	s_branch .LBB241_27
.LBB241_26:                             ;   in Loop: Header=BB241_27 Depth=1
	s_or_b32 exec_lo, exec_lo, s3
	v_pk_max_f16 v22, v22, v22
	v_pk_max_f16 v4, v4, v4
	;; [unrolled: 1-line block ×24, first 2 shown]
	v_pk_min_f16 v84, v10, v22
	v_pk_min_f16 v85, v10, v24
	;; [unrolled: 1-line block ×64, first 2 shown]
	v_pk_add_f16 v3, v68, v96
	v_pk_add_f16 v5, v58, v97
	;; [unrolled: 1-line block ×18, first 2 shown]
	ds_read2_b64 v[2:5], v37 offset0:48 offset1:56
	ds_read2_b64 v[6:9], v28 offset1:32
	v_pk_add_f16 v64, v10, v11
	ds_read2_b64 v[10:13], v28 offset0:64 offset1:96
	v_pk_add_f16 v47, v63, v88
	v_pk_add_f16 v58, v62, v91
	;; [unrolled: 1-line block ×4, first 2 shown]
	ds_read2_b64 v[14:17], v37 offset1:8
	v_pk_add_f16 v33, v33, v78
	v_pk_add_f16 v50, v66, v79
	;; [unrolled: 1-line block ×8, first 2 shown]
	ds_read2_b64 v[18:21], v37 offset0:16 offset1:24
	v_pk_add_f16 v50, v50, v99
	v_pk_add_f16 v57, v57, v100
	s_waitcnt lgkmcnt(4)
	v_pk_max_f16 v4, v4, v4
	s_waitcnt lgkmcnt(3)
	v_pk_max_f16 v6, v6, v6
	v_pk_max_f16 v8, v8, v8
	s_waitcnt lgkmcnt(2)
	v_pk_max_f16 v10, v10, v10
	v_pk_max_f16 v12, v12, v12
	v_pk_add_f16 v31, v31, v81
	v_pk_min_f16 v22, v4, v6
	v_pk_min_f16 v23, v4, v8
	;; [unrolled: 1-line block ×3, first 2 shown]
	s_waitcnt lgkmcnt(1)
	v_pk_max_f16 v14, v14, v14
	v_pk_max_f16 v16, v16, v16
	v_pk_add_f16 v43, v43, v22
	v_pk_add_f16 v51, v51, v23
	;; [unrolled: 1-line block ×3, first 2 shown]
	v_pk_min_f16 v22, v14, v6
	v_pk_min_f16 v23, v14, v8
	;; [unrolled: 1-line block ×4, first 2 shown]
	v_pk_add_f16 v32, v32, v84
	v_pk_add_f16 v33, v33, v22
	;; [unrolled: 1-line block ×4, first 2 shown]
	ds_read2_b64 v[22:25], v37 offset0:32 offset1:40
	v_pk_add_f16 v49, v49, v102
	v_pk_add_f16 v14, v62, v14
	v_pk_min_f16 v62, v16, v8
	s_waitcnt lgkmcnt(1)
	v_pk_max_f16 v18, v18, v18
	v_pk_add_f16 v56, v56, v83
	v_pk_add_f16 v55, v55, v86
	;; [unrolled: 1-line block ×4, first 2 shown]
	v_pk_min_f16 v50, v16, v6
	v_pk_min_f16 v79, v16, v10
	;; [unrolled: 1-line block ×3, first 2 shown]
	v_pk_add_f16 v62, v49, v62
	v_pk_min_f16 v49, v18, v6
	v_pk_max_f16 v20, v20, v20
	v_pk_add_f16 v36, v36, v90
	v_pk_add_f16 v56, v56, v103
	;; [unrolled: 1-line block ×7, first 2 shown]
	v_pk_min_f16 v50, v18, v8
	v_pk_min_f16 v63, v18, v10
	v_pk_add_f16 v32, v32, v49
	v_pk_min_f16 v49, v20, v8
	s_waitcnt lgkmcnt(0)
	v_pk_max_f16 v22, v22, v22
	v_pk_add_f16 v34, v34, v87
	v_pk_add_f16 v46, v46, v110
	;; [unrolled: 1-line block ×6, first 2 shown]
	v_pk_min_f16 v48, v20, v6
	v_pk_min_f16 v50, v20, v10
	;; [unrolled: 1-line block ×3, first 2 shown]
	v_pk_add_f16 v63, v47, v49
	v_pk_min_f16 v47, v22, v6
	v_pk_add_f16 v34, v34, v107
	v_pk_add_f16 v58, v58, v112
	;; [unrolled: 1-line block ×4, first 2 shown]
	v_pk_min_f16 v46, v22, v8
	v_pk_max_f16 v24, v24, v24
	v_pk_add_f16 v36, v36, v47
	v_pk_min_f16 v47, v22, v10
	v_pk_min_f16 v22, v22, v12
	v_pk_max_f16 v2, v2, v2
	v_pk_max_f16 v5, v5, v5
	;; [unrolled: 1-line block ×3, first 2 shown]
	v_pk_add_f16 v54, v54, v89
	v_pk_add_f16 v40, v40, v119
	;; [unrolled: 1-line block ×3, first 2 shown]
	v_pk_min_f16 v18, v18, v12
	v_pk_add_f16 v34, v34, v48
	v_pk_add_f16 v80, v58, v46
	v_pk_min_f16 v46, v24, v6
	v_pk_min_f16 v48, v24, v8
	v_pk_add_f16 v22, v45, v22
	v_pk_min_f16 v45, v24, v10
	v_pk_min_f16 v24, v24, v12
	;; [unrolled: 1-line block ×6, first 2 shown]
	v_pk_max_f16 v9, v9, v9
	v_pk_min_f16 v4, v4, v12
	v_pk_max_f16 v11, v11, v11
	v_pk_min_f16 v12, v5, v7
	v_pk_add_f16 v54, v54, v109
	v_pk_add_f16 v10, v68, v10
	;; [unrolled: 1-line block ×3, first 2 shown]
	v_pk_min_f16 v40, v5, v9
	v_pk_add_f16 v4, v42, v4
	v_pk_min_f16 v42, v5, v11
	v_pk_max_f16 v15, v15, v15
	v_pk_add_f16 v68, v43, v12
	v_pk_max_f16 v12, v13, v13
	v_pk_add_f16 v61, v61, v94
	v_pk_add_f16 v54, v54, v50
	;; [unrolled: 1-line block ×4, first 2 shown]
	v_pk_min_f16 v13, v15, v7
	v_pk_min_f16 v40, v15, v9
	;; [unrolled: 1-line block ×4, first 2 shown]
	v_pk_max_f16 v17, v17, v17
	v_pk_add_f16 v53, v53, v92
	v_pk_add_f16 v61, v61, v116
	;; [unrolled: 1-line block ×4, first 2 shown]
	v_pk_min_f16 v13, v17, v7
	v_pk_min_f16 v14, v17, v9
	;; [unrolled: 1-line block ×4, first 2 shown]
	v_pk_max_f16 v19, v19, v19
	v_pk_add_f16 v38, v38, v93
	v_pk_add_f16 v53, v53, v113
	;; [unrolled: 1-line block ×9, first 2 shown]
	v_pk_min_f16 v13, v19, v7
	v_pk_min_f16 v14, v19, v9
	;; [unrolled: 1-line block ×4, first 2 shown]
	v_pk_max_f16 v17, v21, v21
	v_pk_add_f16 v52, v52, v95
	v_pk_add_f16 v38, v38, v115
	;; [unrolled: 1-line block ×7, first 2 shown]
	v_pk_min_f16 v13, v17, v7
	v_pk_min_f16 v14, v17, v9
	;; [unrolled: 1-line block ×4, first 2 shown]
	v_pk_max_f16 v17, v23, v23
	v_pk_add_f16 v52, v52, v117
	v_pk_add_f16 v44, v44, v118
	;; [unrolled: 1-line block ×7, first 2 shown]
	v_pk_min_f16 v13, v17, v7
	v_pk_min_f16 v14, v17, v9
	;; [unrolled: 1-line block ×4, first 2 shown]
	v_pk_max_f16 v17, v25, v25
	v_pk_max_f16 v3, v3, v3
	v_add_co_u32 v69, s2, v69, 16
	v_pk_add_f16 v52, v52, v45
	v_pk_add_f16 v24, v44, v24
	;; [unrolled: 1-line block ×7, first 2 shown]
	v_pk_min_f16 v13, v17, v7
	v_pk_min_f16 v14, v17, v9
	;; [unrolled: 1-line block ×9, first 2 shown]
	v_add_co_ci_u32_e64 v70, null, 0, v70, s2
	v_add_co_u32 v71, s2, v71, 16
	v_add_co_ci_u32_e64 v72, null, 0, v72, s2
	v_add_co_u32 v73, s2, v73, 16
	v_pk_add_f16 v66, v78, v40
	v_pk_add_f16 v57, v57, v42
	;; [unrolled: 1-line block ×11, first 2 shown]
	v_add_co_ci_u32_e64 v74, null, 0, v74, s2
	s_add_i32 s22, s22, 8
	s_waitcnt vmcnt(0)
	ds_write_b16 v39, v76
	ds_write_b16 v41, v75
	ds_write_b16 v41, v77 offset:512
	s_cmp_ge_i32 s22, s6
	s_waitcnt lgkmcnt(0)
	s_barrier
	buffer_gl0_inv
	s_cbranch_scc1 .LBB241_39
.LBB241_27:                             ; =>This Inner Loop Header: Depth=1
	v_add_nc_u32_e32 v75, s22, v26
	v_mov_b32_e32 v76, 0
	v_add_nc_u32_e32 v2, 8, v75
	v_cmp_le_i32_e64 s2, s14, v2
	s_nor_b32 s3, s2, vcc_lo
	s_and_saveexec_b32 s8, s3
	s_cbranch_execz .LBB241_29
; %bb.28:                               ;   in Loop: Header=BB241_27 Depth=1
	v_add_co_u32 v2, s3, v69, v27
	v_add_co_ci_u32_e64 v3, null, 0, v70, s3
	flat_load_ushort v76, v[2:3] offset:16
.LBB241_29:                             ;   in Loop: Header=BB241_27 Depth=1
	s_or_b32 exec_lo, exec_lo, s8
	v_mov_b32_e32 v77, 0
	v_mov_b32_e32 v78, 0
	s_nor_b32 s3, s0, s2
	s_and_saveexec_b32 s8, s3
	s_cbranch_execz .LBB241_31
; %bb.30:                               ;   in Loop: Header=BB241_27 Depth=1
	v_add_co_u32 v2, s3, v71, v27
	v_add_co_ci_u32_e64 v3, null, 0, v72, s3
	flat_load_ushort v78, v[2:3] offset:16
.LBB241_31:                             ;   in Loop: Header=BB241_27 Depth=1
	s_or_b32 exec_lo, exec_lo, s8
	s_nor_b32 s2, s1, s2
	s_and_saveexec_b32 s3, s2
	s_cbranch_execz .LBB241_33
; %bb.32:                               ;   in Loop: Header=BB241_27 Depth=1
	v_add_co_u32 v2, s2, v73, v27
	v_add_co_ci_u32_e64 v3, null, 0, v74, s2
	flat_load_ushort v77, v[2:3] offset:16
.LBB241_33:                             ;   in Loop: Header=BB241_27 Depth=1
	s_or_b32 exec_lo, exec_lo, s3
	ds_read2_b64 v[2:5], v59 offset0:48 offset1:56
	ds_read2_b64 v[18:21], v67 offset0:64 offset1:96
	ds_read2_b64 v[22:25], v67 offset1:32
	ds_read2_b64 v[14:17], v59 offset1:8
	ds_read2_b64 v[10:13], v59 offset0:16 offset1:24
	ds_read2_b64 v[6:9], v59 offset0:32 offset1:40
	v_add_nc_u32_e32 v75, 12, v75
	s_waitcnt vmcnt(0) lgkmcnt(6)
	ds_write_b16 v35, v76
	ds_write_b16 v30, v78
	ds_write_b16 v30, v77 offset:512
	v_mov_b32_e32 v76, 0
	s_waitcnt lgkmcnt(0)
	s_barrier
	v_cmp_le_i32_e64 s2, s14, v75
	v_mov_b32_e32 v75, 0
	buffer_gl0_inv
	s_nor_b32 s3, s2, vcc_lo
	s_and_saveexec_b32 s8, s3
	s_xor_b32 s8, exec_lo, s8
	s_cbranch_execz .LBB241_35
; %bb.34:                               ;   in Loop: Header=BB241_27 Depth=1
	v_add_co_u32 v76, s3, v69, v27
	v_add_co_ci_u32_e64 v77, null, 0, v70, s3
	flat_load_ushort v76, v[76:77] offset:24
.LBB241_35:                             ;   in Loop: Header=BB241_27 Depth=1
	s_or_b32 exec_lo, exec_lo, s8
	s_nor_b32 s3, s0, s2
	s_and_saveexec_b32 s8, s3
	s_cbranch_execz .LBB241_37
; %bb.36:                               ;   in Loop: Header=BB241_27 Depth=1
	v_add_co_u32 v77, s3, v71, v27
	v_add_co_ci_u32_e64 v78, null, 0, v72, s3
	flat_load_ushort v75, v[77:78] offset:24
.LBB241_37:                             ;   in Loop: Header=BB241_27 Depth=1
	s_or_b32 exec_lo, exec_lo, s8
	v_mov_b32_e32 v77, 0
	s_nor_b32 s2, s1, s2
	s_and_saveexec_b32 s3, s2
	s_cbranch_execz .LBB241_26
; %bb.38:                               ;   in Loop: Header=BB241_27 Depth=1
	v_add_co_u32 v77, s2, v73, v27
	v_add_co_ci_u32_e64 v78, null, 0, v74, s2
	flat_load_ushort v77, v[77:78] offset:24
	s_branch .LBB241_26
.LBB241_39:
	s_clause 0x2
	s_load_dword s14, s[4:5], 0x50
	s_load_dword s9, s[4:5], 0x68
	s_load_dwordx2 s[2:3], s[4:5], 0x70
	v_add_nc_u32_e32 v67, s21, v1
	v_add_nc_u32_e32 v10, 0x800, v29
	ds_read2_b64 v[2:5], v28 offset0:192 offset1:224
	ds_read2_b64 v[22:25], v28 offset0:128 offset1:160
	v_add_nc_u32_e32 v0, s20, v0
	ds_read2_b64 v[6:9], v10 offset0:112 offset1:120
	ds_read2_b64 v[18:21], v10 offset0:64 offset1:72
	;; [unrolled: 1-line block ×4, first 2 shown]
	v_cmp_gt_i32_e64 s8, s13, v67
	v_cmp_gt_i32_e64 s0, s12, v0
	v_ashrrev_i32_e32 v1, 31, v0
	v_cndmask_b32_e64 v59, 0, 1, s7
	s_waitcnt lgkmcnt(0)
	v_mad_i64_i32 v[26:27], null, v67, s14, 0
	v_mad_i64_i32 v[28:29], null, v67, s9, 0
	s_lshl_b64 s[2:3], s[2:3], 1
	s_add_u32 s16, s16, s2
	s_addc_u32 s17, s17, s3
	v_lshlrev_b64 v[26:27], 1, v[26:27]
	s_and_b32 s1, s0, s8
	v_lshlrev_b64 v[28:29], 1, v[28:29]
	v_add_co_u32 v71, vcc_lo, s10, v26
	v_add_co_ci_u32_e64 v72, null, s11, v27, vcc_lo
	v_add_co_u32 v69, vcc_lo, s16, v28
	v_add_co_ci_u32_e64 v70, null, s17, v29, vcc_lo
	s_and_saveexec_b32 s2, s1
	s_xor_b32 s1, exec_lo, s2
	s_cbranch_execz .LBB241_44
; %bb.40:
	v_lshlrev_b64 v[26:27], 1, v[0:1]
	s_andn2_b32 vcc_lo, exec_lo, s7
	s_cbranch_vccnz .LBB241_42
; %bb.41:
	v_add_co_u32 v28, vcc_lo, v71, v26
	v_add_co_ci_u32_e64 v29, null, v72, v27, vcc_lo
	flat_load_ushort v28, v[28:29]
	s_waitcnt vmcnt(0) lgkmcnt(0)
	v_mul_f16_e32 v28, s15, v28
	s_branch .LBB241_43
.LBB241_42:
	v_mov_b32_e32 v28, 0
.LBB241_43:
	v_pk_max_f16 v29, v22, v22
	v_pk_max_f16 v30, v18, v18
	;; [unrolled: 1-line block ×4, first 2 shown]
	v_add_co_u32 v26, vcc_lo, v69, v26
	v_pk_min_f16 v29, v30, v29
	v_add_co_ci_u32_e64 v27, null, v70, v27, vcc_lo
	v_pk_min_f16 v30, v37, v35
	v_pk_add_f16 v29, v33, v29
	v_pk_add_f16 v29, v29, v30
	v_add_f16_sdwa v29, v29, v29 dst_sel:DWORD dst_unused:UNUSED_PAD src0_sel:DWORD src1_sel:WORD_1
	v_add_f16_e32 v28, v29, v28
	flat_store_short v[26:27], v28
.LBB241_44:
	s_or_b32 exec_lo, exec_lo, s1
	v_add_nc_u32_e32 v26, 8, v0
	v_cmp_gt_i32_e64 s1, s12, v26
	v_ashrrev_i32_e32 v27, 31, v26
	s_and_b32 s3, s1, s8
	s_and_saveexec_b32 s2, s3
	s_cbranch_execz .LBB241_49
; %bb.45:
	v_cmp_ne_u32_e32 vcc_lo, 1, v59
	v_lshlrev_b64 v[28:29], 1, v[26:27]
	s_cbranch_vccnz .LBB241_47
; %bb.46:
	v_add_co_u32 v73, vcc_lo, v71, v28
	v_add_co_ci_u32_e64 v74, null, v72, v29, vcc_lo
	flat_load_ushort v30, v[73:74]
	s_waitcnt vmcnt(0) lgkmcnt(0)
	v_mul_f16_e32 v30, s15, v30
	s_branch .LBB241_48
.LBB241_47:
	v_mov_b32_e32 v30, 0
.LBB241_48:
	v_pk_max_f16 v33, v22, v22
	v_pk_max_f16 v35, v20, v20
	v_pk_max_f16 v37, v23, v23
	v_pk_max_f16 v39, v21, v21
	v_add_co_u32 v28, vcc_lo, v69, v28
	v_pk_min_f16 v33, v35, v33
	v_add_co_ci_u32_e64 v29, null, v70, v29, vcc_lo
	v_pk_min_f16 v35, v39, v37
	v_pk_add_f16 v31, v31, v33
	v_pk_add_f16 v31, v31, v35
	v_add_f16_sdwa v31, v31, v31 dst_sel:DWORD dst_unused:UNUSED_PAD src0_sel:DWORD src1_sel:WORD_1
	v_add_f16_e32 v30, v31, v30
	flat_store_short v[28:29], v30
.LBB241_49:
	s_or_b32 exec_lo, exec_lo, s2
	v_add_nc_u32_e32 v28, 16, v0
	v_cmp_gt_i32_e64 s2, s12, v28
	v_ashrrev_i32_e32 v29, 31, v28
	s_and_b32 s4, s2, s8
	s_and_saveexec_b32 s3, s4
	s_cbranch_execz .LBB241_54
; %bb.50:
	v_cmp_ne_u32_e32 vcc_lo, 1, v59
	v_lshlrev_b64 v[30:31], 1, v[28:29]
	s_cbranch_vccnz .LBB241_52
; %bb.51:
	v_add_co_u32 v73, vcc_lo, v71, v30
	v_add_co_ci_u32_e64 v74, null, v72, v31, vcc_lo
	flat_load_ushort v33, v[73:74]
	s_waitcnt vmcnt(0) lgkmcnt(0)
	v_mul_f16_e32 v33, s15, v33
	s_branch .LBB241_53
.LBB241_52:
	v_mov_b32_e32 v33, 0
.LBB241_53:
	v_pk_max_f16 v35, v22, v22
	v_pk_max_f16 v37, v14, v14
	v_pk_max_f16 v39, v23, v23
	v_pk_max_f16 v41, v15, v15
	v_add_co_u32 v30, vcc_lo, v69, v30
	v_pk_min_f16 v35, v37, v35
	v_add_co_ci_u32_e64 v31, null, v70, v31, vcc_lo
	v_pk_min_f16 v37, v41, v39
	v_pk_add_f16 v32, v32, v35
	v_pk_add_f16 v32, v32, v37
	v_add_f16_sdwa v32, v32, v32 dst_sel:DWORD dst_unused:UNUSED_PAD src0_sel:DWORD src1_sel:WORD_1
	v_add_f16_e32 v32, v32, v33
	flat_store_short v[30:31], v32
.LBB241_54:
	;; [unrolled: 35-line block ×6, first 2 shown]
	s_or_b32 exec_lo, exec_lo, s7
	v_add_nc_u32_e32 v38, 56, v0
	v_cmp_gt_i32_e64 s7, s12, v38
	v_ashrrev_i32_e32 v39, 31, v38
	s_and_b32 s12, s7, s8
	s_and_saveexec_b32 s8, s12
	s_cbranch_execz .LBB241_79
; %bb.75:
	v_cmp_ne_u32_e32 vcc_lo, 1, v59
	v_lshlrev_b64 v[40:41], 1, v[38:39]
	s_cbranch_vccnz .LBB241_77
; %bb.76:
	v_add_co_u32 v71, vcc_lo, v71, v40
	v_add_co_ci_u32_e64 v72, null, v72, v41, vcc_lo
	flat_load_ushort v71, v[71:72]
	s_waitcnt vmcnt(0) lgkmcnt(0)
	v_mul_f16_e32 v71, s15, v71
	s_branch .LBB241_78
.LBB241_77:
	v_mov_b32_e32 v71, 0
.LBB241_78:
	v_pk_max_f16 v22, v22, v22
	v_pk_max_f16 v72, v8, v8
	;; [unrolled: 1-line block ×4, first 2 shown]
	v_pk_min_f16 v22, v72, v22
	v_pk_min_f16 v23, v73, v23
	v_pk_add_f16 v22, v68, v22
	v_pk_add_f16 v22, v22, v23
	v_add_f16_sdwa v22, v22, v22 dst_sel:DWORD dst_unused:UNUSED_PAD src0_sel:DWORD src1_sel:WORD_1
	v_add_f16_e32 v68, v22, v71
	v_add_co_u32 v22, vcc_lo, v69, v40
	v_add_co_ci_u32_e64 v23, null, v70, v41, vcc_lo
	flat_store_short v[22:23], v68
.LBB241_79:
	s_or_b32 exec_lo, exec_lo, s8
	v_add_nc_u32_e32 v68, 32, v67
	v_mad_i64_i32 v[22:23], null, v68, s14, 0
	v_mad_i64_i32 v[40:41], null, v68, s9, 0
	v_cmp_gt_i32_e64 s8, s13, v68
	v_lshlrev_b64 v[22:23], 1, v[22:23]
	s_and_b32 s18, s0, s8
	v_lshlrev_b64 v[40:41], 1, v[40:41]
	v_add_co_u32 v68, vcc_lo, s10, v22
	v_add_co_ci_u32_e64 v69, null, s11, v23, vcc_lo
	v_add_co_u32 v40, vcc_lo, s16, v40
	v_add_co_ci_u32_e64 v41, null, s17, v41, vcc_lo
	s_and_saveexec_b32 s12, s18
	s_cbranch_execnz .LBB241_87
; %bb.80:
	s_or_b32 exec_lo, exec_lo, s12
	s_and_b32 s18, s1, s8
	s_and_saveexec_b32 s12, s18
	s_cbranch_execnz .LBB241_91
.LBB241_81:
	s_or_b32 exec_lo, exec_lo, s12
	s_and_b32 s18, s2, s8
	s_and_saveexec_b32 s12, s18
	s_cbranch_execnz .LBB241_95
.LBB241_82:
	s_or_b32 exec_lo, exec_lo, s12
	s_and_b32 s18, s3, s8
	s_and_saveexec_b32 s12, s18
	s_cbranch_execnz .LBB241_99
.LBB241_83:
	s_or_b32 exec_lo, exec_lo, s12
	s_and_b32 s18, s4, s8
	s_and_saveexec_b32 s12, s18
	s_cbranch_execnz .LBB241_103
.LBB241_84:
	s_or_b32 exec_lo, exec_lo, s12
	s_and_b32 s18, s5, s8
	s_and_saveexec_b32 s12, s18
	s_cbranch_execnz .LBB241_107
.LBB241_85:
	s_or_b32 exec_lo, exec_lo, s12
	s_and_b32 s18, s6, s8
	s_and_saveexec_b32 s12, s18
	s_cbranch_execnz .LBB241_111
.LBB241_86:
	s_or_b32 exec_lo, exec_lo, s12
	s_and_b32 s12, s7, s8
	s_and_saveexec_b32 s8, s12
	s_cbranch_execnz .LBB241_115
	s_branch .LBB241_119
.LBB241_87:
	v_cmp_ne_u32_e32 vcc_lo, 1, v59
	v_lshlrev_b64 v[22:23], 1, v[0:1]
	s_cbranch_vccnz .LBB241_89
; %bb.88:
	v_add_co_u32 v70, vcc_lo, v68, v22
	v_add_co_ci_u32_e64 v71, null, v69, v23, vcc_lo
	flat_load_ushort v70, v[70:71]
	s_waitcnt vmcnt(0) lgkmcnt(0)
	v_mul_f16_e32 v70, s15, v70
	s_branch .LBB241_90
.LBB241_89:
	v_mov_b32_e32 v70, 0
.LBB241_90:
	v_pk_max_f16 v71, v24, v24
	v_pk_max_f16 v72, v18, v18
	v_pk_max_f16 v73, v25, v25
	v_pk_max_f16 v74, v19, v19
	v_add_co_u32 v22, vcc_lo, v40, v22
	v_pk_min_f16 v71, v72, v71
	v_add_co_ci_u32_e64 v23, null, v41, v23, vcc_lo
	v_pk_min_f16 v72, v74, v73
	v_pk_add_f16 v66, v66, v71
	v_pk_add_f16 v66, v66, v72
	v_add_f16_sdwa v66, v66, v66 dst_sel:DWORD dst_unused:UNUSED_PAD src0_sel:DWORD src1_sel:WORD_1
	v_add_f16_e32 v66, v66, v70
	flat_store_short v[22:23], v66
	s_or_b32 exec_lo, exec_lo, s12
	s_and_b32 s18, s1, s8
	s_and_saveexec_b32 s12, s18
	s_cbranch_execz .LBB241_81
.LBB241_91:
	v_cmp_ne_u32_e32 vcc_lo, 1, v59
	v_lshlrev_b64 v[22:23], 1, v[26:27]
	s_cbranch_vccnz .LBB241_93
; %bb.92:
	v_add_co_u32 v70, vcc_lo, v68, v22
	v_add_co_ci_u32_e64 v71, null, v69, v23, vcc_lo
	flat_load_ushort v66, v[70:71]
	s_waitcnt vmcnt(0) lgkmcnt(0)
	v_mul_f16_e32 v66, s15, v66
	s_branch .LBB241_94
.LBB241_93:
	v_mov_b32_e32 v66, 0
.LBB241_94:
	v_pk_max_f16 v70, v24, v24
	v_pk_max_f16 v71, v20, v20
	;; [unrolled: 1-line block ×4, first 2 shown]
	v_add_co_u32 v22, vcc_lo, v40, v22
	v_pk_min_f16 v70, v71, v70
	v_add_co_ci_u32_e64 v23, null, v41, v23, vcc_lo
	v_pk_min_f16 v71, v73, v72
	v_pk_add_f16 v65, v65, v70
	v_pk_add_f16 v65, v65, v71
	v_add_f16_sdwa v65, v65, v65 dst_sel:DWORD dst_unused:UNUSED_PAD src0_sel:DWORD src1_sel:WORD_1
	v_add_f16_e32 v65, v65, v66
	flat_store_short v[22:23], v65
	s_or_b32 exec_lo, exec_lo, s12
	s_and_b32 s18, s2, s8
	s_and_saveexec_b32 s12, s18
	s_cbranch_execz .LBB241_82
.LBB241_95:
	v_cmp_ne_u32_e32 vcc_lo, 1, v59
	v_lshlrev_b64 v[22:23], 1, v[28:29]
	s_cbranch_vccnz .LBB241_97
; %bb.96:
	v_add_co_u32 v65, vcc_lo, v68, v22
	v_add_co_ci_u32_e64 v66, null, v69, v23, vcc_lo
	flat_load_ushort v65, v[65:66]
	s_waitcnt vmcnt(0) lgkmcnt(0)
	v_mul_f16_e32 v65, s15, v65
	s_branch .LBB241_98
.LBB241_97:
	v_mov_b32_e32 v65, 0
.LBB241_98:
	v_pk_max_f16 v66, v24, v24
	v_pk_max_f16 v70, v14, v14
	v_pk_max_f16 v71, v25, v25
	v_pk_max_f16 v72, v15, v15
	v_add_co_u32 v22, vcc_lo, v40, v22
	v_pk_min_f16 v66, v70, v66
	v_add_co_ci_u32_e64 v23, null, v41, v23, vcc_lo
	v_pk_min_f16 v70, v72, v71
	v_pk_add_f16 v64, v64, v66
	v_pk_add_f16 v64, v64, v70
	v_add_f16_sdwa v64, v64, v64 dst_sel:DWORD dst_unused:UNUSED_PAD src0_sel:DWORD src1_sel:WORD_1
	v_add_f16_e32 v64, v64, v65
	flat_store_short v[22:23], v64
	s_or_b32 exec_lo, exec_lo, s12
	s_and_b32 s18, s3, s8
	s_and_saveexec_b32 s12, s18
	s_cbranch_execz .LBB241_83
.LBB241_99:
	v_cmp_ne_u32_e32 vcc_lo, 1, v59
	v_lshlrev_b64 v[22:23], 1, v[30:31]
	s_cbranch_vccnz .LBB241_101
; %bb.100:
	v_add_co_u32 v64, vcc_lo, v68, v22
	v_add_co_ci_u32_e64 v65, null, v69, v23, vcc_lo
	flat_load_ushort v64, v[64:65]
	s_waitcnt vmcnt(0) lgkmcnt(0)
	v_mul_f16_e32 v64, s15, v64
	s_branch .LBB241_102
.LBB241_101:
	v_mov_b32_e32 v64, 0
.LBB241_102:
	v_pk_max_f16 v65, v24, v24
	v_pk_max_f16 v66, v16, v16
	;; [unrolled: 1-line block ×4, first 2 shown]
	v_add_co_u32 v22, vcc_lo, v40, v22
	v_pk_min_f16 v65, v66, v65
	v_add_co_ci_u32_e64 v23, null, v41, v23, vcc_lo
	v_pk_min_f16 v66, v71, v70
	v_pk_add_f16 v63, v63, v65
	v_pk_add_f16 v63, v63, v66
	v_add_f16_sdwa v63, v63, v63 dst_sel:DWORD dst_unused:UNUSED_PAD src0_sel:DWORD src1_sel:WORD_1
	v_add_f16_e32 v63, v63, v64
	flat_store_short v[22:23], v63
	s_or_b32 exec_lo, exec_lo, s12
	s_and_b32 s18, s4, s8
	s_and_saveexec_b32 s12, s18
	s_cbranch_execz .LBB241_84
.LBB241_103:
	v_cmp_ne_u32_e32 vcc_lo, 1, v59
	v_lshlrev_b64 v[22:23], 1, v[32:33]
	s_cbranch_vccnz .LBB241_105
; %bb.104:
	v_add_co_u32 v63, vcc_lo, v68, v22
	v_add_co_ci_u32_e64 v64, null, v69, v23, vcc_lo
	flat_load_ushort v63, v[63:64]
	s_waitcnt vmcnt(0) lgkmcnt(0)
	v_mul_f16_e32 v63, s15, v63
	s_branch .LBB241_106
.LBB241_105:
	v_mov_b32_e32 v63, 0
.LBB241_106:
	v_pk_max_f16 v64, v24, v24
	v_pk_max_f16 v65, v10, v10
	;; [unrolled: 1-line block ×4, first 2 shown]
	v_add_co_u32 v22, vcc_lo, v40, v22
	v_pk_min_f16 v64, v65, v64
	v_add_co_ci_u32_e64 v23, null, v41, v23, vcc_lo
	v_pk_min_f16 v65, v70, v66
	v_pk_add_f16 v62, v62, v64
	v_pk_add_f16 v62, v62, v65
	v_add_f16_sdwa v62, v62, v62 dst_sel:DWORD dst_unused:UNUSED_PAD src0_sel:DWORD src1_sel:WORD_1
	v_add_f16_e32 v62, v62, v63
	flat_store_short v[22:23], v62
	s_or_b32 exec_lo, exec_lo, s12
	s_and_b32 s18, s5, s8
	s_and_saveexec_b32 s12, s18
	s_cbranch_execz .LBB241_85
.LBB241_107:
	v_cmp_ne_u32_e32 vcc_lo, 1, v59
	v_lshlrev_b64 v[22:23], 1, v[34:35]
	s_cbranch_vccnz .LBB241_109
; %bb.108:
	v_add_co_u32 v62, vcc_lo, v68, v22
	v_add_co_ci_u32_e64 v63, null, v69, v23, vcc_lo
	flat_load_ushort v62, v[62:63]
	s_waitcnt vmcnt(0) lgkmcnt(0)
	v_mul_f16_e32 v62, s15, v62
	s_branch .LBB241_110
.LBB241_109:
	v_mov_b32_e32 v62, 0
.LBB241_110:
	v_pk_max_f16 v63, v24, v24
	v_pk_max_f16 v64, v12, v12
	;; [unrolled: 1-line block ×4, first 2 shown]
	v_add_co_u32 v22, vcc_lo, v40, v22
	v_pk_min_f16 v63, v64, v63
	v_add_co_ci_u32_e64 v23, null, v41, v23, vcc_lo
	v_pk_min_f16 v64, v66, v65
	v_pk_add_f16 v61, v61, v63
	v_pk_add_f16 v61, v61, v64
	v_add_f16_sdwa v61, v61, v61 dst_sel:DWORD dst_unused:UNUSED_PAD src0_sel:DWORD src1_sel:WORD_1
	v_add_f16_e32 v61, v61, v62
	flat_store_short v[22:23], v61
	s_or_b32 exec_lo, exec_lo, s12
	s_and_b32 s18, s6, s8
	s_and_saveexec_b32 s12, s18
	s_cbranch_execz .LBB241_86
.LBB241_111:
	v_cmp_ne_u32_e32 vcc_lo, 1, v59
	v_lshlrev_b64 v[22:23], 1, v[36:37]
	s_cbranch_vccnz .LBB241_113
; %bb.112:
	v_add_co_u32 v61, vcc_lo, v68, v22
	v_add_co_ci_u32_e64 v62, null, v69, v23, vcc_lo
	flat_load_ushort v61, v[61:62]
	s_waitcnt vmcnt(0) lgkmcnt(0)
	v_mul_f16_e32 v61, s15, v61
	s_branch .LBB241_114
.LBB241_113:
	v_mov_b32_e32 v61, 0
.LBB241_114:
	v_pk_max_f16 v62, v24, v24
	v_pk_max_f16 v63, v6, v6
	;; [unrolled: 1-line block ×4, first 2 shown]
	v_add_co_u32 v22, vcc_lo, v40, v22
	v_pk_min_f16 v62, v63, v62
	v_add_co_ci_u32_e64 v23, null, v41, v23, vcc_lo
	v_pk_min_f16 v63, v65, v64
	v_pk_add_f16 v60, v60, v62
	v_pk_add_f16 v60, v60, v63
	v_add_f16_sdwa v60, v60, v60 dst_sel:DWORD dst_unused:UNUSED_PAD src0_sel:DWORD src1_sel:WORD_1
	v_add_f16_e32 v60, v60, v61
	flat_store_short v[22:23], v60
	s_or_b32 exec_lo, exec_lo, s12
	s_and_b32 s12, s7, s8
	s_and_saveexec_b32 s8, s12
	s_cbranch_execz .LBB241_119
.LBB241_115:
	v_cmp_ne_u32_e32 vcc_lo, 1, v59
	v_lshlrev_b64 v[22:23], 1, v[38:39]
	s_cbranch_vccnz .LBB241_117
; %bb.116:
	v_add_co_u32 v60, vcc_lo, v68, v22
	v_add_co_ci_u32_e64 v61, null, v69, v23, vcc_lo
	flat_load_ushort v60, v[60:61]
	s_waitcnt vmcnt(0) lgkmcnt(0)
	v_mul_f16_e32 v60, s15, v60
	s_branch .LBB241_118
.LBB241_117:
	v_mov_b32_e32 v60, 0
.LBB241_118:
	v_pk_max_f16 v24, v24, v24
	v_pk_max_f16 v61, v8, v8
	;; [unrolled: 1-line block ×4, first 2 shown]
	v_add_co_u32 v22, vcc_lo, v40, v22
	v_pk_min_f16 v24, v61, v24
	v_add_co_ci_u32_e64 v23, null, v41, v23, vcc_lo
	v_pk_min_f16 v25, v62, v25
	v_pk_add_f16 v24, v58, v24
	v_pk_add_f16 v24, v24, v25
	v_add_f16_sdwa v24, v24, v24 dst_sel:DWORD dst_unused:UNUSED_PAD src0_sel:DWORD src1_sel:WORD_1
	v_add_f16_e32 v24, v24, v60
	flat_store_short v[22:23], v24
.LBB241_119:
	s_or_b32 exec_lo, exec_lo, s8
	v_add_nc_u32_e32 v40, 64, v67
	v_mad_i64_i32 v[22:23], null, v40, s14, 0
	v_mad_i64_i32 v[24:25], null, v40, s9, 0
	v_cmp_gt_i32_e64 s8, s13, v40
	v_lshlrev_b64 v[22:23], 1, v[22:23]
	s_and_b32 s18, s0, s8
	v_lshlrev_b64 v[24:25], 1, v[24:25]
	v_add_co_u32 v40, vcc_lo, s10, v22
	v_add_co_ci_u32_e64 v41, null, s11, v23, vcc_lo
	v_add_co_u32 v24, vcc_lo, s16, v24
	v_add_co_ci_u32_e64 v25, null, s17, v25, vcc_lo
	s_and_saveexec_b32 s12, s18
	s_cbranch_execnz .LBB241_127
; %bb.120:
	s_or_b32 exec_lo, exec_lo, s12
	s_and_b32 s18, s1, s8
	s_and_saveexec_b32 s12, s18
	s_cbranch_execnz .LBB241_131
.LBB241_121:
	s_or_b32 exec_lo, exec_lo, s12
	s_and_b32 s18, s2, s8
	s_and_saveexec_b32 s12, s18
	s_cbranch_execnz .LBB241_135
.LBB241_122:
	s_or_b32 exec_lo, exec_lo, s12
	s_and_b32 s18, s3, s8
	s_and_saveexec_b32 s12, s18
	s_cbranch_execnz .LBB241_139
.LBB241_123:
	s_or_b32 exec_lo, exec_lo, s12
	s_and_b32 s18, s4, s8
	s_and_saveexec_b32 s12, s18
	s_cbranch_execnz .LBB241_143
.LBB241_124:
	s_or_b32 exec_lo, exec_lo, s12
	s_and_b32 s18, s5, s8
	s_and_saveexec_b32 s12, s18
	s_cbranch_execnz .LBB241_147
.LBB241_125:
	s_or_b32 exec_lo, exec_lo, s12
	s_and_b32 s18, s6, s8
	s_and_saveexec_b32 s12, s18
	s_cbranch_execnz .LBB241_151
.LBB241_126:
	s_or_b32 exec_lo, exec_lo, s12
	s_and_b32 s12, s7, s8
	s_and_saveexec_b32 s8, s12
	s_cbranch_execnz .LBB241_155
	s_branch .LBB241_159
.LBB241_127:
	v_cmp_ne_u32_e32 vcc_lo, 1, v59
	v_lshlrev_b64 v[22:23], 1, v[0:1]
	s_cbranch_vccnz .LBB241_129
; %bb.128:
	v_add_co_u32 v60, vcc_lo, v40, v22
	v_add_co_ci_u32_e64 v61, null, v41, v23, vcc_lo
	flat_load_ushort v58, v[60:61]
	s_waitcnt vmcnt(0) lgkmcnt(0)
	v_mul_f16_e32 v58, s15, v58
	s_branch .LBB241_130
.LBB241_129:
	v_mov_b32_e32 v58, 0
.LBB241_130:
	v_pk_max_f16 v60, v2, v2
	v_pk_max_f16 v61, v18, v18
	;; [unrolled: 1-line block ×4, first 2 shown]
	v_add_co_u32 v22, vcc_lo, v24, v22
	v_pk_min_f16 v60, v61, v60
	v_add_co_ci_u32_e64 v23, null, v25, v23, vcc_lo
	v_pk_min_f16 v61, v63, v62
	v_pk_add_f16 v57, v57, v60
	v_pk_add_f16 v57, v57, v61
	v_add_f16_sdwa v57, v57, v57 dst_sel:DWORD dst_unused:UNUSED_PAD src0_sel:DWORD src1_sel:WORD_1
	v_add_f16_e32 v57, v57, v58
	flat_store_short v[22:23], v57
	s_or_b32 exec_lo, exec_lo, s12
	s_and_b32 s18, s1, s8
	s_and_saveexec_b32 s12, s18
	s_cbranch_execz .LBB241_121
.LBB241_131:
	v_cmp_ne_u32_e32 vcc_lo, 1, v59
	v_lshlrev_b64 v[22:23], 1, v[26:27]
	s_cbranch_vccnz .LBB241_133
; %bb.132:
	v_add_co_u32 v57, vcc_lo, v40, v22
	v_add_co_ci_u32_e64 v58, null, v41, v23, vcc_lo
	flat_load_ushort v57, v[57:58]
	s_waitcnt vmcnt(0) lgkmcnt(0)
	v_mul_f16_e32 v57, s15, v57
	s_branch .LBB241_134
.LBB241_133:
	v_mov_b32_e32 v57, 0
.LBB241_134:
	v_pk_max_f16 v58, v2, v2
	v_pk_max_f16 v60, v20, v20
	;; [unrolled: 1-line block ×4, first 2 shown]
	v_add_co_u32 v22, vcc_lo, v24, v22
	v_pk_min_f16 v58, v60, v58
	v_add_co_ci_u32_e64 v23, null, v25, v23, vcc_lo
	v_pk_min_f16 v60, v62, v61
	v_pk_add_f16 v56, v56, v58
	v_pk_add_f16 v56, v56, v60
	v_add_f16_sdwa v56, v56, v56 dst_sel:DWORD dst_unused:UNUSED_PAD src0_sel:DWORD src1_sel:WORD_1
	v_add_f16_e32 v56, v56, v57
	flat_store_short v[22:23], v56
	s_or_b32 exec_lo, exec_lo, s12
	s_and_b32 s18, s2, s8
	s_and_saveexec_b32 s12, s18
	s_cbranch_execz .LBB241_122
.LBB241_135:
	v_cmp_ne_u32_e32 vcc_lo, 1, v59
	v_lshlrev_b64 v[22:23], 1, v[28:29]
	s_cbranch_vccnz .LBB241_137
; %bb.136:
	v_add_co_u32 v56, vcc_lo, v40, v22
	v_add_co_ci_u32_e64 v57, null, v41, v23, vcc_lo
	flat_load_ushort v56, v[56:57]
	s_waitcnt vmcnt(0) lgkmcnt(0)
	v_mul_f16_e32 v56, s15, v56
	s_branch .LBB241_138
.LBB241_137:
	v_mov_b32_e32 v56, 0
.LBB241_138:
	v_pk_max_f16 v57, v2, v2
	v_pk_max_f16 v58, v14, v14
	;; [unrolled: 1-line block ×4, first 2 shown]
	v_add_co_u32 v22, vcc_lo, v24, v22
	v_pk_min_f16 v57, v58, v57
	v_add_co_ci_u32_e64 v23, null, v25, v23, vcc_lo
	v_pk_min_f16 v58, v61, v60
	v_pk_add_f16 v55, v55, v57
	v_pk_add_f16 v55, v55, v58
	v_add_f16_sdwa v55, v55, v55 dst_sel:DWORD dst_unused:UNUSED_PAD src0_sel:DWORD src1_sel:WORD_1
	v_add_f16_e32 v55, v55, v56
	flat_store_short v[22:23], v55
	s_or_b32 exec_lo, exec_lo, s12
	s_and_b32 s18, s3, s8
	s_and_saveexec_b32 s12, s18
	s_cbranch_execz .LBB241_123
.LBB241_139:
	v_cmp_ne_u32_e32 vcc_lo, 1, v59
	v_lshlrev_b64 v[22:23], 1, v[30:31]
	s_cbranch_vccnz .LBB241_141
; %bb.140:
	v_add_co_u32 v55, vcc_lo, v40, v22
	v_add_co_ci_u32_e64 v56, null, v41, v23, vcc_lo
	flat_load_ushort v55, v[55:56]
	s_waitcnt vmcnt(0) lgkmcnt(0)
	v_mul_f16_e32 v55, s15, v55
	s_branch .LBB241_142
.LBB241_141:
	v_mov_b32_e32 v55, 0
.LBB241_142:
	v_pk_max_f16 v56, v2, v2
	v_pk_max_f16 v57, v16, v16
	;; [unrolled: 1-line block ×4, first 2 shown]
	v_add_co_u32 v22, vcc_lo, v24, v22
	v_pk_min_f16 v56, v57, v56
	v_add_co_ci_u32_e64 v23, null, v25, v23, vcc_lo
	v_pk_min_f16 v57, v60, v58
	v_pk_add_f16 v54, v54, v56
	v_pk_add_f16 v54, v54, v57
	v_add_f16_sdwa v54, v54, v54 dst_sel:DWORD dst_unused:UNUSED_PAD src0_sel:DWORD src1_sel:WORD_1
	v_add_f16_e32 v54, v54, v55
	flat_store_short v[22:23], v54
	s_or_b32 exec_lo, exec_lo, s12
	s_and_b32 s18, s4, s8
	s_and_saveexec_b32 s12, s18
	s_cbranch_execz .LBB241_124
.LBB241_143:
	v_cmp_ne_u32_e32 vcc_lo, 1, v59
	v_lshlrev_b64 v[22:23], 1, v[32:33]
	s_cbranch_vccnz .LBB241_145
; %bb.144:
	v_add_co_u32 v54, vcc_lo, v40, v22
	v_add_co_ci_u32_e64 v55, null, v41, v23, vcc_lo
	flat_load_ushort v54, v[54:55]
	s_waitcnt vmcnt(0) lgkmcnt(0)
	v_mul_f16_e32 v54, s15, v54
	s_branch .LBB241_146
.LBB241_145:
	v_mov_b32_e32 v54, 0
.LBB241_146:
	v_pk_max_f16 v55, v2, v2
	v_pk_max_f16 v56, v10, v10
	;; [unrolled: 1-line block ×4, first 2 shown]
	v_add_co_u32 v22, vcc_lo, v24, v22
	v_pk_min_f16 v55, v56, v55
	v_add_co_ci_u32_e64 v23, null, v25, v23, vcc_lo
	v_pk_min_f16 v56, v58, v57
	v_pk_add_f16 v53, v53, v55
	v_pk_add_f16 v53, v53, v56
	v_add_f16_sdwa v53, v53, v53 dst_sel:DWORD dst_unused:UNUSED_PAD src0_sel:DWORD src1_sel:WORD_1
	v_add_f16_e32 v53, v53, v54
	flat_store_short v[22:23], v53
	s_or_b32 exec_lo, exec_lo, s12
	s_and_b32 s18, s5, s8
	s_and_saveexec_b32 s12, s18
	s_cbranch_execz .LBB241_125
.LBB241_147:
	v_cmp_ne_u32_e32 vcc_lo, 1, v59
	v_lshlrev_b64 v[22:23], 1, v[34:35]
	s_cbranch_vccnz .LBB241_149
; %bb.148:
	v_add_co_u32 v53, vcc_lo, v40, v22
	v_add_co_ci_u32_e64 v54, null, v41, v23, vcc_lo
	flat_load_ushort v53, v[53:54]
	s_waitcnt vmcnt(0) lgkmcnt(0)
	v_mul_f16_e32 v53, s15, v53
	s_branch .LBB241_150
.LBB241_149:
	v_mov_b32_e32 v53, 0
.LBB241_150:
	v_pk_max_f16 v54, v2, v2
	v_pk_max_f16 v55, v12, v12
	;; [unrolled: 1-line block ×4, first 2 shown]
	v_add_co_u32 v22, vcc_lo, v24, v22
	v_pk_min_f16 v54, v55, v54
	v_add_co_ci_u32_e64 v23, null, v25, v23, vcc_lo
	v_pk_min_f16 v55, v57, v56
	v_pk_add_f16 v52, v52, v54
	v_pk_add_f16 v52, v52, v55
	v_add_f16_sdwa v52, v52, v52 dst_sel:DWORD dst_unused:UNUSED_PAD src0_sel:DWORD src1_sel:WORD_1
	v_add_f16_e32 v52, v52, v53
	flat_store_short v[22:23], v52
	s_or_b32 exec_lo, exec_lo, s12
	s_and_b32 s18, s6, s8
	s_and_saveexec_b32 s12, s18
	s_cbranch_execz .LBB241_126
.LBB241_151:
	v_cmp_ne_u32_e32 vcc_lo, 1, v59
	v_lshlrev_b64 v[22:23], 1, v[36:37]
	s_cbranch_vccnz .LBB241_153
; %bb.152:
	v_add_co_u32 v52, vcc_lo, v40, v22
	v_add_co_ci_u32_e64 v53, null, v41, v23, vcc_lo
	flat_load_ushort v52, v[52:53]
	s_waitcnt vmcnt(0) lgkmcnt(0)
	v_mul_f16_e32 v52, s15, v52
	s_branch .LBB241_154
.LBB241_153:
	v_mov_b32_e32 v52, 0
.LBB241_154:
	v_pk_max_f16 v53, v2, v2
	v_pk_max_f16 v54, v6, v6
	;; [unrolled: 1-line block ×4, first 2 shown]
	v_add_co_u32 v22, vcc_lo, v24, v22
	v_pk_min_f16 v53, v54, v53
	v_add_co_ci_u32_e64 v23, null, v25, v23, vcc_lo
	v_pk_min_f16 v54, v56, v55
	v_pk_add_f16 v51, v51, v53
	v_pk_add_f16 v51, v51, v54
	v_add_f16_sdwa v51, v51, v51 dst_sel:DWORD dst_unused:UNUSED_PAD src0_sel:DWORD src1_sel:WORD_1
	v_add_f16_e32 v51, v51, v52
	flat_store_short v[22:23], v51
	s_or_b32 exec_lo, exec_lo, s12
	s_and_b32 s12, s7, s8
	s_and_saveexec_b32 s8, s12
	s_cbranch_execz .LBB241_159
.LBB241_155:
	v_cmp_ne_u32_e32 vcc_lo, 1, v59
	v_lshlrev_b64 v[22:23], 1, v[38:39]
	s_cbranch_vccnz .LBB241_157
; %bb.156:
	v_add_co_u32 v40, vcc_lo, v40, v22
	v_add_co_ci_u32_e64 v41, null, v41, v23, vcc_lo
	flat_load_ushort v40, v[40:41]
	s_waitcnt vmcnt(0) lgkmcnt(0)
	v_mul_f16_e32 v40, s15, v40
	s_branch .LBB241_158
.LBB241_157:
	v_mov_b32_e32 v40, 0
.LBB241_158:
	v_pk_max_f16 v2, v2, v2
	v_pk_max_f16 v41, v8, v8
	;; [unrolled: 1-line block ×4, first 2 shown]
	v_pk_min_f16 v2, v41, v2
	v_pk_min_f16 v3, v51, v3
	v_pk_add_f16 v2, v50, v2
	v_pk_add_f16 v2, v2, v3
	v_add_f16_sdwa v2, v2, v2 dst_sel:DWORD dst_unused:UNUSED_PAD src0_sel:DWORD src1_sel:WORD_1
	v_add_f16_e32 v40, v2, v40
	v_add_co_u32 v2, vcc_lo, v24, v22
	v_add_co_ci_u32_e64 v3, null, v25, v23, vcc_lo
	flat_store_short v[2:3], v40
.LBB241_159:
	s_or_b32 exec_lo, exec_lo, s8
	v_add_nc_u32_e32 v24, 0x60, v67
	v_mad_i64_i32 v[2:3], null, v24, s14, 0
	v_mad_i64_i32 v[22:23], null, v24, s9, 0
	v_cmp_gt_i32_e64 s8, s13, v24
	v_lshlrev_b64 v[2:3], 1, v[2:3]
	s_and_b32 s9, s0, s8
	v_lshlrev_b64 v[24:25], 1, v[22:23]
	v_add_co_u32 v22, vcc_lo, s10, v2
	v_add_co_ci_u32_e64 v23, null, s11, v3, vcc_lo
	v_add_co_u32 v2, vcc_lo, s16, v24
	v_add_co_ci_u32_e64 v3, null, s17, v25, vcc_lo
	s_and_saveexec_b32 s0, s9
	s_cbranch_execnz .LBB241_168
; %bb.160:
	s_or_b32 exec_lo, exec_lo, s0
	s_and_b32 s1, s1, s8
	s_and_saveexec_b32 s0, s1
	s_cbranch_execnz .LBB241_172
.LBB241_161:
	s_or_b32 exec_lo, exec_lo, s0
	s_and_b32 s1, s2, s8
	s_and_saveexec_b32 s0, s1
	s_cbranch_execnz .LBB241_176
.LBB241_162:
	s_or_b32 exec_lo, exec_lo, s0
	s_and_b32 s1, s3, s8
	s_and_saveexec_b32 s0, s1
	s_cbranch_execnz .LBB241_180
.LBB241_163:
	s_or_b32 exec_lo, exec_lo, s0
	s_and_b32 s1, s4, s8
	s_and_saveexec_b32 s0, s1
	s_cbranch_execnz .LBB241_184
.LBB241_164:
	s_or_b32 exec_lo, exec_lo, s0
	s_and_b32 s1, s5, s8
	s_and_saveexec_b32 s0, s1
	s_cbranch_execnz .LBB241_188
.LBB241_165:
	s_or_b32 exec_lo, exec_lo, s0
	s_and_b32 s1, s6, s8
	s_and_saveexec_b32 s0, s1
	s_cbranch_execnz .LBB241_192
.LBB241_166:
	s_or_b32 exec_lo, exec_lo, s0
	s_and_b32 s0, s7, s8
	s_and_saveexec_b32 s1, s0
	s_cbranch_execnz .LBB241_196
.LBB241_167:
	s_endpgm
.LBB241_168:
	v_cmp_ne_u32_e32 vcc_lo, 1, v59
	v_lshlrev_b64 v[0:1], 1, v[0:1]
	s_cbranch_vccnz .LBB241_170
; %bb.169:
	v_add_co_u32 v24, vcc_lo, v22, v0
	v_add_co_ci_u32_e64 v25, null, v23, v1, vcc_lo
	flat_load_ushort v24, v[24:25]
	s_waitcnt vmcnt(0) lgkmcnt(0)
	v_mul_f16_e32 v24, s15, v24
	s_branch .LBB241_171
.LBB241_170:
	v_mov_b32_e32 v24, 0
.LBB241_171:
	v_pk_max_f16 v25, v4, v4
	v_pk_max_f16 v18, v18, v18
	;; [unrolled: 1-line block ×4, first 2 shown]
	v_add_co_u32 v0, vcc_lo, v2, v0
	v_pk_min_f16 v18, v18, v25
	v_add_co_ci_u32_e64 v1, null, v3, v1, vcc_lo
	v_pk_min_f16 v19, v19, v40
	v_pk_add_f16 v18, v49, v18
	v_pk_add_f16 v18, v18, v19
	v_add_f16_sdwa v18, v18, v18 dst_sel:DWORD dst_unused:UNUSED_PAD src0_sel:DWORD src1_sel:WORD_1
	v_add_f16_e32 v18, v18, v24
	flat_store_short v[0:1], v18
	s_or_b32 exec_lo, exec_lo, s0
	s_and_b32 s1, s1, s8
	s_and_saveexec_b32 s0, s1
	s_cbranch_execz .LBB241_161
.LBB241_172:
	v_cmp_ne_u32_e32 vcc_lo, 1, v59
	v_lshlrev_b64 v[0:1], 1, v[26:27]
	s_cbranch_vccnz .LBB241_174
; %bb.173:
	v_add_co_u32 v18, vcc_lo, v22, v0
	v_add_co_ci_u32_e64 v19, null, v23, v1, vcc_lo
	flat_load_ushort v18, v[18:19]
	s_waitcnt vmcnt(0) lgkmcnt(0)
	v_mul_f16_e32 v18, s15, v18
	s_branch .LBB241_175
.LBB241_174:
	v_mov_b32_e32 v18, 0
.LBB241_175:
	v_pk_max_f16 v19, v4, v4
	v_pk_max_f16 v20, v20, v20
	;; [unrolled: 1-line block ×4, first 2 shown]
	v_add_co_u32 v0, vcc_lo, v2, v0
	v_pk_min_f16 v19, v20, v19
	v_add_co_ci_u32_e64 v1, null, v3, v1, vcc_lo
	v_pk_min_f16 v20, v21, v24
	v_pk_add_f16 v19, v48, v19
	v_pk_add_f16 v19, v19, v20
	v_add_f16_sdwa v19, v19, v19 dst_sel:DWORD dst_unused:UNUSED_PAD src0_sel:DWORD src1_sel:WORD_1
	v_add_f16_e32 v18, v19, v18
	flat_store_short v[0:1], v18
	s_or_b32 exec_lo, exec_lo, s0
	s_and_b32 s1, s2, s8
	s_and_saveexec_b32 s0, s1
	s_cbranch_execz .LBB241_162
.LBB241_176:
	v_cmp_ne_u32_e32 vcc_lo, 1, v59
	v_lshlrev_b64 v[0:1], 1, v[28:29]
	s_cbranch_vccnz .LBB241_178
; %bb.177:
	v_add_co_u32 v18, vcc_lo, v22, v0
	v_add_co_ci_u32_e64 v19, null, v23, v1, vcc_lo
	flat_load_ushort v18, v[18:19]
	s_waitcnt vmcnt(0) lgkmcnt(0)
	v_mul_f16_e32 v18, s15, v18
	s_branch .LBB241_179
.LBB241_178:
	v_mov_b32_e32 v18, 0
.LBB241_179:
	v_pk_max_f16 v19, v4, v4
	v_pk_max_f16 v14, v14, v14
	;; [unrolled: 1-line block ×4, first 2 shown]
	v_add_co_u32 v0, vcc_lo, v2, v0
	v_pk_min_f16 v14, v14, v19
	v_add_co_ci_u32_e64 v1, null, v3, v1, vcc_lo
	v_pk_min_f16 v15, v15, v20
	v_pk_add_f16 v14, v47, v14
	v_pk_add_f16 v14, v14, v15
	v_add_f16_sdwa v14, v14, v14 dst_sel:DWORD dst_unused:UNUSED_PAD src0_sel:DWORD src1_sel:WORD_1
	v_add_f16_e32 v14, v14, v18
	flat_store_short v[0:1], v14
	s_or_b32 exec_lo, exec_lo, s0
	s_and_b32 s1, s3, s8
	s_and_saveexec_b32 s0, s1
	s_cbranch_execz .LBB241_163
.LBB241_180:
	v_cmp_ne_u32_e32 vcc_lo, 1, v59
	v_lshlrev_b64 v[0:1], 1, v[30:31]
	s_cbranch_vccnz .LBB241_182
; %bb.181:
	v_add_co_u32 v14, vcc_lo, v22, v0
	v_add_co_ci_u32_e64 v15, null, v23, v1, vcc_lo
	flat_load_ushort v14, v[14:15]
	s_waitcnt vmcnt(0) lgkmcnt(0)
	v_mul_f16_e32 v14, s15, v14
	s_branch .LBB241_183
.LBB241_182:
	v_mov_b32_e32 v14, 0
.LBB241_183:
	v_pk_max_f16 v15, v4, v4
	v_pk_max_f16 v16, v16, v16
	;; [unrolled: 1-line block ×4, first 2 shown]
	v_add_co_u32 v0, vcc_lo, v2, v0
	v_pk_min_f16 v15, v16, v15
	v_add_co_ci_u32_e64 v1, null, v3, v1, vcc_lo
	v_pk_min_f16 v16, v17, v18
	v_pk_add_f16 v15, v46, v15
	v_pk_add_f16 v15, v15, v16
	v_add_f16_sdwa v15, v15, v15 dst_sel:DWORD dst_unused:UNUSED_PAD src0_sel:DWORD src1_sel:WORD_1
	v_add_f16_e32 v14, v15, v14
	flat_store_short v[0:1], v14
	s_or_b32 exec_lo, exec_lo, s0
	s_and_b32 s1, s4, s8
	s_and_saveexec_b32 s0, s1
	s_cbranch_execz .LBB241_164
.LBB241_184:
	v_cmp_ne_u32_e32 vcc_lo, 1, v59
	v_lshlrev_b64 v[0:1], 1, v[32:33]
	s_cbranch_vccnz .LBB241_186
; %bb.185:
	v_add_co_u32 v14, vcc_lo, v22, v0
	v_add_co_ci_u32_e64 v15, null, v23, v1, vcc_lo
	flat_load_ushort v14, v[14:15]
	s_waitcnt vmcnt(0) lgkmcnt(0)
	v_mul_f16_e32 v14, s15, v14
	s_branch .LBB241_187
.LBB241_186:
	v_mov_b32_e32 v14, 0
.LBB241_187:
	v_pk_max_f16 v15, v4, v4
	v_pk_max_f16 v10, v10, v10
	;; [unrolled: 1-line block ×4, first 2 shown]
	v_add_co_u32 v0, vcc_lo, v2, v0
	v_pk_min_f16 v10, v10, v15
	v_add_co_ci_u32_e64 v1, null, v3, v1, vcc_lo
	v_pk_min_f16 v11, v11, v16
	v_pk_add_f16 v10, v45, v10
	v_pk_add_f16 v10, v10, v11
	v_add_f16_sdwa v10, v10, v10 dst_sel:DWORD dst_unused:UNUSED_PAD src0_sel:DWORD src1_sel:WORD_1
	v_add_f16_e32 v10, v10, v14
	flat_store_short v[0:1], v10
	s_or_b32 exec_lo, exec_lo, s0
	s_and_b32 s1, s5, s8
	s_and_saveexec_b32 s0, s1
	s_cbranch_execz .LBB241_165
.LBB241_188:
	v_cmp_ne_u32_e32 vcc_lo, 1, v59
	v_lshlrev_b64 v[0:1], 1, v[34:35]
	s_cbranch_vccnz .LBB241_190
; %bb.189:
	v_add_co_u32 v10, vcc_lo, v22, v0
	v_add_co_ci_u32_e64 v11, null, v23, v1, vcc_lo
	flat_load_ushort v10, v[10:11]
	s_waitcnt vmcnt(0) lgkmcnt(0)
	v_mul_f16_e32 v10, s15, v10
	s_branch .LBB241_191
.LBB241_190:
	v_mov_b32_e32 v10, 0
.LBB241_191:
	v_pk_max_f16 v11, v4, v4
	v_pk_max_f16 v12, v12, v12
	;; [unrolled: 1-line block ×4, first 2 shown]
	v_add_co_u32 v0, vcc_lo, v2, v0
	v_pk_min_f16 v11, v12, v11
	v_add_co_ci_u32_e64 v1, null, v3, v1, vcc_lo
	v_pk_min_f16 v12, v13, v14
	v_pk_add_f16 v11, v44, v11
	v_pk_add_f16 v11, v11, v12
	v_add_f16_sdwa v11, v11, v11 dst_sel:DWORD dst_unused:UNUSED_PAD src0_sel:DWORD src1_sel:WORD_1
	v_add_f16_e32 v10, v11, v10
	flat_store_short v[0:1], v10
	s_or_b32 exec_lo, exec_lo, s0
	s_and_b32 s1, s6, s8
	s_and_saveexec_b32 s0, s1
	s_cbranch_execz .LBB241_166
.LBB241_192:
	v_cmp_ne_u32_e32 vcc_lo, 1, v59
	v_lshlrev_b64 v[0:1], 1, v[36:37]
	s_cbranch_vccnz .LBB241_194
; %bb.193:
	v_add_co_u32 v10, vcc_lo, v22, v0
	v_add_co_ci_u32_e64 v11, null, v23, v1, vcc_lo
	flat_load_ushort v10, v[10:11]
	s_waitcnt vmcnt(0) lgkmcnt(0)
	v_mul_f16_e32 v10, s15, v10
	s_branch .LBB241_195
.LBB241_194:
	v_mov_b32_e32 v10, 0
.LBB241_195:
	v_pk_max_f16 v11, v4, v4
	v_pk_max_f16 v6, v6, v6
	;; [unrolled: 1-line block ×4, first 2 shown]
	v_add_co_u32 v0, vcc_lo, v2, v0
	v_pk_min_f16 v6, v6, v11
	v_add_co_ci_u32_e64 v1, null, v3, v1, vcc_lo
	v_pk_min_f16 v7, v7, v12
	v_pk_add_f16 v6, v43, v6
	v_pk_add_f16 v6, v6, v7
	v_add_f16_sdwa v6, v6, v6 dst_sel:DWORD dst_unused:UNUSED_PAD src0_sel:DWORD src1_sel:WORD_1
	v_add_f16_e32 v6, v6, v10
	flat_store_short v[0:1], v6
	s_or_b32 exec_lo, exec_lo, s0
	s_and_b32 s0, s7, s8
	s_and_saveexec_b32 s1, s0
	s_cbranch_execz .LBB241_167
.LBB241_196:
	v_cmp_ne_u32_e32 vcc_lo, 1, v59
	v_lshlrev_b64 v[0:1], 1, v[38:39]
	s_cbranch_vccnz .LBB241_198
; %bb.197:
	v_add_co_u32 v6, vcc_lo, v22, v0
	v_add_co_ci_u32_e64 v7, null, v23, v1, vcc_lo
	flat_load_ushort v6, v[6:7]
	s_waitcnt vmcnt(0) lgkmcnt(0)
	v_mul_f16_e32 v6, s15, v6
	s_branch .LBB241_199
.LBB241_198:
	v_mov_b32_e32 v6, 0
.LBB241_199:
	v_pk_max_f16 v4, v4, v4
	v_pk_max_f16 v7, v8, v8
	;; [unrolled: 1-line block ×4, first 2 shown]
	v_add_co_u32 v0, vcc_lo, v2, v0
	v_pk_min_f16 v4, v7, v4
	v_add_co_ci_u32_e64 v1, null, v3, v1, vcc_lo
	v_pk_min_f16 v5, v8, v5
	v_pk_add_f16 v4, v42, v4
	v_pk_add_f16 v4, v4, v5
	v_add_f16_sdwa v4, v4, v4 dst_sel:DWORD dst_unused:UNUSED_PAD src0_sel:DWORD src1_sel:WORD_1
	v_add_f16_e32 v4, v4, v6
	flat_store_short v[0:1], v4
	s_endpgm
	.section	.rodata,"a",@progbits
	.p2align	6, 0x0
	.amdhsa_kernel _ZN12_GLOBAL__N_120geam_min_plus_kernelIDF16_Dv2_DF16_S1_Li8ELi32ELi64ELi128ELi4ELi4ELi64ELi4ELi64ELc84ELc78ELb1ELb1ELb0EDF16_KPKDF16_KPDF16_EEviiiT16_PT17_ilS9_ilS7_S9_ilPT18_ili26rocblas_geam_ex_operation_
		.amdhsa_group_segment_fixed_size 3072
		.amdhsa_private_segment_fixed_size 0
		.amdhsa_kernarg_size 128
		.amdhsa_user_sgpr_count 6
		.amdhsa_user_sgpr_private_segment_buffer 1
		.amdhsa_user_sgpr_dispatch_ptr 0
		.amdhsa_user_sgpr_queue_ptr 0
		.amdhsa_user_sgpr_kernarg_segment_ptr 1
		.amdhsa_user_sgpr_dispatch_id 0
		.amdhsa_user_sgpr_flat_scratch_init 0
		.amdhsa_user_sgpr_private_segment_size 0
		.amdhsa_wavefront_size32 1
		.amdhsa_uses_dynamic_stack 0
		.amdhsa_system_sgpr_private_segment_wavefront_offset 0
		.amdhsa_system_sgpr_workgroup_id_x 1
		.amdhsa_system_sgpr_workgroup_id_y 0
		.amdhsa_system_sgpr_workgroup_id_z 1
		.amdhsa_system_sgpr_workgroup_info 0
		.amdhsa_system_vgpr_workitem_id 1
		.amdhsa_next_free_vgpr 121
		.amdhsa_next_free_sgpr 26
		.amdhsa_reserve_vcc 1
		.amdhsa_reserve_flat_scratch 0
		.amdhsa_float_round_mode_32 0
		.amdhsa_float_round_mode_16_64 0
		.amdhsa_float_denorm_mode_32 3
		.amdhsa_float_denorm_mode_16_64 3
		.amdhsa_dx10_clamp 1
		.amdhsa_ieee_mode 1
		.amdhsa_fp16_overflow 0
		.amdhsa_workgroup_processor_mode 1
		.amdhsa_memory_ordered 1
		.amdhsa_forward_progress 1
		.amdhsa_shared_vgpr_count 0
		.amdhsa_exception_fp_ieee_invalid_op 0
		.amdhsa_exception_fp_denorm_src 0
		.amdhsa_exception_fp_ieee_div_zero 0
		.amdhsa_exception_fp_ieee_overflow 0
		.amdhsa_exception_fp_ieee_underflow 0
		.amdhsa_exception_fp_ieee_inexact 0
		.amdhsa_exception_int_div_zero 0
	.end_amdhsa_kernel
	.section	.text._ZN12_GLOBAL__N_120geam_min_plus_kernelIDF16_Dv2_DF16_S1_Li8ELi32ELi64ELi128ELi4ELi4ELi64ELi4ELi64ELc84ELc78ELb1ELb1ELb0EDF16_KPKDF16_KPDF16_EEviiiT16_PT17_ilS9_ilS7_S9_ilPT18_ili26rocblas_geam_ex_operation_,"axG",@progbits,_ZN12_GLOBAL__N_120geam_min_plus_kernelIDF16_Dv2_DF16_S1_Li8ELi32ELi64ELi128ELi4ELi4ELi64ELi4ELi64ELc84ELc78ELb1ELb1ELb0EDF16_KPKDF16_KPDF16_EEviiiT16_PT17_ilS9_ilS7_S9_ilPT18_ili26rocblas_geam_ex_operation_,comdat
.Lfunc_end241:
	.size	_ZN12_GLOBAL__N_120geam_min_plus_kernelIDF16_Dv2_DF16_S1_Li8ELi32ELi64ELi128ELi4ELi4ELi64ELi4ELi64ELc84ELc78ELb1ELb1ELb0EDF16_KPKDF16_KPDF16_EEviiiT16_PT17_ilS9_ilS7_S9_ilPT18_ili26rocblas_geam_ex_operation_, .Lfunc_end241-_ZN12_GLOBAL__N_120geam_min_plus_kernelIDF16_Dv2_DF16_S1_Li8ELi32ELi64ELi128ELi4ELi4ELi64ELi4ELi64ELc84ELc78ELb1ELb1ELb0EDF16_KPKDF16_KPDF16_EEviiiT16_PT17_ilS9_ilS7_S9_ilPT18_ili26rocblas_geam_ex_operation_
                                        ; -- End function
	.set _ZN12_GLOBAL__N_120geam_min_plus_kernelIDF16_Dv2_DF16_S1_Li8ELi32ELi64ELi128ELi4ELi4ELi64ELi4ELi64ELc84ELc78ELb1ELb1ELb0EDF16_KPKDF16_KPDF16_EEviiiT16_PT17_ilS9_ilS7_S9_ilPT18_ili26rocblas_geam_ex_operation_.num_vgpr, 121
	.set _ZN12_GLOBAL__N_120geam_min_plus_kernelIDF16_Dv2_DF16_S1_Li8ELi32ELi64ELi128ELi4ELi4ELi64ELi4ELi64ELc84ELc78ELb1ELb1ELb0EDF16_KPKDF16_KPDF16_EEviiiT16_PT17_ilS9_ilS7_S9_ilPT18_ili26rocblas_geam_ex_operation_.num_agpr, 0
	.set _ZN12_GLOBAL__N_120geam_min_plus_kernelIDF16_Dv2_DF16_S1_Li8ELi32ELi64ELi128ELi4ELi4ELi64ELi4ELi64ELc84ELc78ELb1ELb1ELb0EDF16_KPKDF16_KPDF16_EEviiiT16_PT17_ilS9_ilS7_S9_ilPT18_ili26rocblas_geam_ex_operation_.numbered_sgpr, 26
	.set _ZN12_GLOBAL__N_120geam_min_plus_kernelIDF16_Dv2_DF16_S1_Li8ELi32ELi64ELi128ELi4ELi4ELi64ELi4ELi64ELc84ELc78ELb1ELb1ELb0EDF16_KPKDF16_KPDF16_EEviiiT16_PT17_ilS9_ilS7_S9_ilPT18_ili26rocblas_geam_ex_operation_.num_named_barrier, 0
	.set _ZN12_GLOBAL__N_120geam_min_plus_kernelIDF16_Dv2_DF16_S1_Li8ELi32ELi64ELi128ELi4ELi4ELi64ELi4ELi64ELc84ELc78ELb1ELb1ELb0EDF16_KPKDF16_KPDF16_EEviiiT16_PT17_ilS9_ilS7_S9_ilPT18_ili26rocblas_geam_ex_operation_.private_seg_size, 0
	.set _ZN12_GLOBAL__N_120geam_min_plus_kernelIDF16_Dv2_DF16_S1_Li8ELi32ELi64ELi128ELi4ELi4ELi64ELi4ELi64ELc84ELc78ELb1ELb1ELb0EDF16_KPKDF16_KPDF16_EEviiiT16_PT17_ilS9_ilS7_S9_ilPT18_ili26rocblas_geam_ex_operation_.uses_vcc, 1
	.set _ZN12_GLOBAL__N_120geam_min_plus_kernelIDF16_Dv2_DF16_S1_Li8ELi32ELi64ELi128ELi4ELi4ELi64ELi4ELi64ELc84ELc78ELb1ELb1ELb0EDF16_KPKDF16_KPDF16_EEviiiT16_PT17_ilS9_ilS7_S9_ilPT18_ili26rocblas_geam_ex_operation_.uses_flat_scratch, 0
	.set _ZN12_GLOBAL__N_120geam_min_plus_kernelIDF16_Dv2_DF16_S1_Li8ELi32ELi64ELi128ELi4ELi4ELi64ELi4ELi64ELc84ELc78ELb1ELb1ELb0EDF16_KPKDF16_KPDF16_EEviiiT16_PT17_ilS9_ilS7_S9_ilPT18_ili26rocblas_geam_ex_operation_.has_dyn_sized_stack, 0
	.set _ZN12_GLOBAL__N_120geam_min_plus_kernelIDF16_Dv2_DF16_S1_Li8ELi32ELi64ELi128ELi4ELi4ELi64ELi4ELi64ELc84ELc78ELb1ELb1ELb0EDF16_KPKDF16_KPDF16_EEviiiT16_PT17_ilS9_ilS7_S9_ilPT18_ili26rocblas_geam_ex_operation_.has_recursion, 0
	.set _ZN12_GLOBAL__N_120geam_min_plus_kernelIDF16_Dv2_DF16_S1_Li8ELi32ELi64ELi128ELi4ELi4ELi64ELi4ELi64ELc84ELc78ELb1ELb1ELb0EDF16_KPKDF16_KPDF16_EEviiiT16_PT17_ilS9_ilS7_S9_ilPT18_ili26rocblas_geam_ex_operation_.has_indirect_call, 0
	.section	.AMDGPU.csdata,"",@progbits
; Kernel info:
; codeLenInByte = 11984
; TotalNumSgprs: 28
; NumVgprs: 121
; ScratchSize: 0
; MemoryBound: 0
; FloatMode: 240
; IeeeMode: 1
; LDSByteSize: 3072 bytes/workgroup (compile time only)
; SGPRBlocks: 0
; VGPRBlocks: 15
; NumSGPRsForWavesPerEU: 28
; NumVGPRsForWavesPerEU: 121
; Occupancy: 8
; WaveLimiterHint : 1
; COMPUTE_PGM_RSRC2:SCRATCH_EN: 0
; COMPUTE_PGM_RSRC2:USER_SGPR: 6
; COMPUTE_PGM_RSRC2:TRAP_HANDLER: 0
; COMPUTE_PGM_RSRC2:TGID_X_EN: 1
; COMPUTE_PGM_RSRC2:TGID_Y_EN: 0
; COMPUTE_PGM_RSRC2:TGID_Z_EN: 1
; COMPUTE_PGM_RSRC2:TIDIG_COMP_CNT: 1
	.section	.text._ZN12_GLOBAL__N_120geam_min_plus_kernelIDF16_Dv2_DF16_S1_Li8ELi32ELi64ELi128ELi4ELi4ELi64ELi4ELi64ELc84ELc78ELb0ELb1ELb0EDF16_KPKDF16_KPDF16_EEviiiT16_PT17_ilS9_ilS7_S9_ilPT18_ili26rocblas_geam_ex_operation_,"axG",@progbits,_ZN12_GLOBAL__N_120geam_min_plus_kernelIDF16_Dv2_DF16_S1_Li8ELi32ELi64ELi128ELi4ELi4ELi64ELi4ELi64ELc84ELc78ELb0ELb1ELb0EDF16_KPKDF16_KPDF16_EEviiiT16_PT17_ilS9_ilS7_S9_ilPT18_ili26rocblas_geam_ex_operation_,comdat
	.globl	_ZN12_GLOBAL__N_120geam_min_plus_kernelIDF16_Dv2_DF16_S1_Li8ELi32ELi64ELi128ELi4ELi4ELi64ELi4ELi64ELc84ELc78ELb0ELb1ELb0EDF16_KPKDF16_KPDF16_EEviiiT16_PT17_ilS9_ilS7_S9_ilPT18_ili26rocblas_geam_ex_operation_ ; -- Begin function _ZN12_GLOBAL__N_120geam_min_plus_kernelIDF16_Dv2_DF16_S1_Li8ELi32ELi64ELi128ELi4ELi4ELi64ELi4ELi64ELc84ELc78ELb0ELb1ELb0EDF16_KPKDF16_KPDF16_EEviiiT16_PT17_ilS9_ilS7_S9_ilPT18_ili26rocblas_geam_ex_operation_
	.p2align	8
	.type	_ZN12_GLOBAL__N_120geam_min_plus_kernelIDF16_Dv2_DF16_S1_Li8ELi32ELi64ELi128ELi4ELi4ELi64ELi4ELi64ELc84ELc78ELb0ELb1ELb0EDF16_KPKDF16_KPDF16_EEviiiT16_PT17_ilS9_ilS7_S9_ilPT18_ili26rocblas_geam_ex_operation_,@function
_ZN12_GLOBAL__N_120geam_min_plus_kernelIDF16_Dv2_DF16_S1_Li8ELi32ELi64ELi128ELi4ELi4ELi64ELi4ELi64ELc84ELc78ELb0ELb1ELb0EDF16_KPKDF16_KPDF16_EEviiiT16_PT17_ilS9_ilS7_S9_ilPT18_ili26rocblas_geam_ex_operation_: ; @_ZN12_GLOBAL__N_120geam_min_plus_kernelIDF16_Dv2_DF16_S1_Li8ELi32ELi64ELi128ELi4ELi4ELi64ELi4ELi64ELc84ELc78ELb0ELb1ELb0EDF16_KPKDF16_KPDF16_EEviiiT16_PT17_ilS9_ilS7_S9_ilPT18_ili26rocblas_geam_ex_operation_
; %bb.0:
	s_clause 0x1
	s_load_dwordx4 s[12:15], s[4:5], 0x0
	s_load_dwordx4 s[0:3], s[4:5], 0x20
	s_mov_b32 s18, s7
	s_mov_b32 s19, 0
	s_waitcnt lgkmcnt(0)
	v_cmp_eq_f16_e64 s7, s15, 0
	v_cmp_neq_f16_e64 s23, s15, 0
	s_and_b32 vcc_lo, exec_lo, s7
	s_cbranch_vccnz .LBB242_3
; %bb.1:
	s_load_dwordx2 s[8:9], s[4:5], 0x10
	s_lshl_b64 s[10:11], s[18:19], 3
	s_waitcnt lgkmcnt(0)
	s_add_u32 s8, s8, s10
	s_addc_u32 s9, s9, s11
	s_lshl_b64 s[0:1], s[0:1], 1
	s_load_dwordx2 s[8:9], s[8:9], 0x0
	s_waitcnt lgkmcnt(0)
	s_add_u32 s16, s8, s0
	s_addc_u32 s17, s9, s1
	s_andn2_b32 vcc_lo, exec_lo, s7
	s_cbranch_vccnz .LBB242_4
.LBB242_2:
	s_mov_b32 s21, 0
	s_mov_b32 s20, s18
	;; [unrolled: 1-line block ×3, first 2 shown]
	s_mov_b64 s[10:11], 0
	s_andn2_b32 vcc_lo, exec_lo, s0
	s_mov_b64 s[8:9], 0
	s_cbranch_vccz .LBB242_5
	s_branch .LBB242_6
.LBB242_3:
	s_mov_b64 s[16:17], 0
	s_andn2_b32 vcc_lo, exec_lo, s7
	s_cbranch_vccz .LBB242_2
.LBB242_4:
	s_mov_b64 s[20:21], s[18:19]
	s_mov_b64 s[10:11], 0
	s_mov_b64 s[8:9], 0
.LBB242_5:
	s_lshl_b64 s[0:1], s[18:19], 3
	s_load_dwordx2 s[8:9], s[4:5], 0x38
	s_add_u32 s0, s2, s0
	s_addc_u32 s1, s3, s1
	s_load_dwordx2 s[0:1], s[0:1], 0x0
	s_waitcnt lgkmcnt(0)
	s_lshl_b64 s[2:3], s[8:9], 1
	s_add_u32 s8, s0, s2
	s_addc_u32 s9, s1, s3
.LBB242_6:
	s_clause 0x1
	s_load_dword s22, s[4:5], 0x40
	s_load_dwordx4 s[0:3], s[4:5], 0x58
	s_waitcnt lgkmcnt(0)
	v_cmp_eq_f16_e64 s18, s22, 0
	v_cmp_neq_f16_e64 s7, s22, 0
	s_and_b32 vcc_lo, exec_lo, s18
	s_cbranch_vccnz .LBB242_8
; %bb.7:
	s_load_dwordx2 s[10:11], s[4:5], 0x48
	s_lshl_b64 s[18:19], s[20:21], 3
	s_waitcnt lgkmcnt(0)
	s_add_u32 s10, s10, s18
	s_addc_u32 s11, s11, s19
	s_lshl_b64 s[0:1], s[0:1], 1
	s_load_dwordx2 s[10:11], s[10:11], 0x0
	s_waitcnt lgkmcnt(0)
	s_add_u32 s10, s10, s0
	s_addc_u32 s11, s11, s1
.LBB242_8:
	s_lshl_b64 s[0:1], s[20:21], 3
	s_load_dword s27, s[4:5], 0x18
	s_add_u32 s18, s2, s0
	s_addc_u32 s19, s3, s1
	s_add_i32 s0, s12, -1
	v_and_b32_e32 v32, 3, v0
	s_ashr_i32 s1, s0, 31
	v_mov_b32_e32 v9, 0
	s_lshr_b32 s1, s1, 26
	v_mov_b32_e32 v10, 0
	s_add_i32 s0, s0, s1
	s_ashr_i32 s0, s0, 6
	s_add_i32 s2, s0, 1
	s_not_b32 s0, s0
	v_cvt_f32_u32_e32 v2, s2
	v_rcp_iflag_f32_e32 v2, v2
	v_mul_f32_e32 v2, 0x4f7ffffe, v2
	v_cvt_u32_f32_e32 v2, v2
	v_readfirstlane_b32 s1, v2
	v_lshl_add_u32 v2, v1, 3, v0
	s_mul_i32 s0, s0, s1
	v_lshrrev_b32_e32 v3, 2, v2
	s_mul_hi_u32 s0, s1, s0
	v_lshlrev_b32_e32 v2, 1, v32
	s_add_i32 s1, s1, s0
	s_mul_hi_u32 s0, s6, s1
	s_mul_i32 s1, s0, s2
	s_add_i32 s3, s0, 1
	s_sub_i32 s1, s6, s1
	s_sub_i32 s20, s1, s2
	s_cmp_ge_u32 s1, s2
	s_cselect_b32 s0, s3, s0
	s_cselect_b32 s1, s20, s1
	s_add_i32 s3, s0, 1
	s_cmp_ge_u32 s1, s2
	s_cselect_b32 s1, s3, s0
	s_mul_i32 s28, s1, s2
	s_sub_i32 s0, s6, s28
	s_lshl_b32 s20, s0, 6
	v_cmp_gt_i32_e64 s0, s14, v32
	v_add_nc_u32_e32 v7, s20, v3
	v_cmp_gt_i32_e32 vcc_lo, s12, v7
	s_and_b32 s0, s0, vcc_lo
	s_and_b32 s0, s23, s0
	s_and_saveexec_b32 s2, s0
	s_cbranch_execz .LBB242_10
; %bb.9:
	s_waitcnt lgkmcnt(0)
	v_mad_i64_i32 v[4:5], null, v7, s27, 0
	v_lshlrev_b64 v[4:5], 1, v[4:5]
	v_add_co_u32 v4, s0, s16, v4
	v_add_co_ci_u32_e64 v5, null, s17, v5, s0
	v_add_co_u32 v4, s0, v4, v2
	v_add_co_ci_u32_e64 v5, null, 0, v5, s0
	flat_load_ushort v4, v[4:5]
	s_waitcnt vmcnt(0) lgkmcnt(0)
	v_mul_f16_e32 v10, s15, v4
.LBB242_10:
	s_or_b32 exec_lo, exec_lo, s2
	s_add_i32 s24, s14, -1
	s_load_dword s29, s[4:5], 0x30
	v_min_i32_e32 v5, s24, v32
	s_lshl_b32 s21, s1, 7
	v_cmp_le_i32_e64 s0, s14, v32
	v_add_nc_u32_e32 v4, s21, v3
	s_xor_b32 s3, s23, -1
	v_ashrrev_i32_e32 v6, 31, v5
	v_cmp_le_i32_e64 s1, s13, v4
	v_lshlrev_b64 v[5:6], 1, v[5:6]
	s_or_b32 s25, s1, s3
	s_nor_b32 s1, s0, s25
	v_add_co_u32 v8, s2, s8, v5
	v_add_co_ci_u32_e64 v12, null, s9, v6, s2
	s_and_saveexec_b32 s2, s1
	s_cbranch_execz .LBB242_12
; %bb.11:
	s_waitcnt lgkmcnt(0)
	v_mad_i64_i32 v[5:6], null, v4, s29, 0
	v_lshlrev_b64 v[5:6], 1, v[5:6]
	v_add_co_u32 v5, s1, v8, v5
	v_add_co_ci_u32_e64 v6, null, v12, v6, s1
	flat_load_ushort v5, v[5:6]
	s_waitcnt vmcnt(0) lgkmcnt(0)
	v_mul_f16_e32 v9, s15, v5
.LBB242_12:
	s_or_b32 exec_lo, exec_lo, s2
	v_add_nc_u32_e32 v5, 64, v4
	v_mov_b32_e32 v6, 0
	v_mov_b32_e32 v11, 0
	v_cmp_le_i32_e64 s1, s13, v5
	s_or_b32 s26, s1, s3
	s_nor_b32 s0, s0, s26
	s_and_saveexec_b32 s1, s0
	s_cbranch_execz .LBB242_14
; %bb.13:
	s_waitcnt lgkmcnt(0)
	v_mad_i64_i32 v[13:14], null, v5, s29, 0
	v_lshlrev_b64 v[13:14], 1, v[13:14]
	v_add_co_u32 v11, s0, v8, v13
	v_add_co_ci_u32_e64 v12, null, v12, v14, s0
	flat_load_ushort v8, v[11:12]
	s_waitcnt vmcnt(0) lgkmcnt(0)
	v_mul_f16_e32 v11, s15, v8
.LBB242_14:
	s_or_b32 exec_lo, exec_lo, s1
	v_or_b32_e32 v8, 4, v32
	v_cmp_gt_i32_e64 s0, s14, v8
	s_and_b32 s0, s0, vcc_lo
	s_and_b32 s0, s23, s0
	s_and_saveexec_b32 s1, s0
	s_cbranch_execz .LBB242_16
; %bb.15:
	s_waitcnt lgkmcnt(0)
	v_mad_i64_i32 v[6:7], null, v7, s27, 0
	v_lshlrev_b64 v[6:7], 1, v[6:7]
	v_add_co_u32 v6, s0, s16, v6
	v_add_co_ci_u32_e64 v7, null, s17, v7, s0
	v_add_co_u32 v6, s0, v6, v2
	v_add_co_ci_u32_e64 v7, null, 0, v7, s0
	flat_load_ushort v6, v[6:7] offset:8
	s_waitcnt vmcnt(0) lgkmcnt(0)
	v_mul_f16_e32 v6, s15, v6
.LBB242_16:
	s_or_b32 exec_lo, exec_lo, s1
	v_min_i32_e32 v12, s24, v8
	v_cmp_le_i32_e64 s0, s14, v8
	v_mov_b32_e32 v7, 0
	v_mov_b32_e32 v8, 0
	v_ashrrev_i32_e32 v13, 31, v12
	v_lshlrev_b64 v[12:13], 1, v[12:13]
	v_add_co_u32 v12, s1, s8, v12
	v_add_co_ci_u32_e64 v13, null, s9, v13, s1
	s_nor_b32 s1, s0, s25
	s_and_saveexec_b32 s2, s1
	s_cbranch_execz .LBB242_18
; %bb.17:
	s_waitcnt lgkmcnt(0)
	v_mad_i64_i32 v[14:15], null, v4, s29, 0
	v_lshlrev_b64 v[14:15], 1, v[14:15]
	v_add_co_u32 v14, s1, v12, v14
	v_add_co_ci_u32_e64 v15, null, v13, v15, s1
	flat_load_ushort v8, v[14:15]
	s_waitcnt vmcnt(0) lgkmcnt(0)
	v_mul_f16_e32 v8, s15, v8
.LBB242_18:
	s_or_b32 exec_lo, exec_lo, s2
	s_nor_b32 s0, s0, s26
	s_and_saveexec_b32 s1, s0
	s_cbranch_execz .LBB242_20
; %bb.19:
	s_waitcnt lgkmcnt(0)
	v_mad_i64_i32 v[14:15], null, v5, s29, 0
	v_lshlrev_b64 v[14:15], 1, v[14:15]
	v_add_co_u32 v12, s0, v12, v14
	v_add_co_ci_u32_e64 v13, null, v13, v15, s0
	flat_load_ushort v7, v[12:13]
	s_waitcnt vmcnt(0) lgkmcnt(0)
	v_mul_f16_e32 v7, s15, v7
.LBB242_20:
	s_or_b32 exec_lo, exec_lo, s1
	v_lshlrev_b32_e32 v12, 3, v3
	v_lshlrev_b32_e32 v34, 3, v0
	;; [unrolled: 1-line block ×3, first 2 shown]
	s_load_dwordx2 s[2:3], s[18:19], 0x0
	s_mov_b32 s18, 0
	v_lshl_or_b32 v35, v32, 1, v12
	v_add_nc_u32_e32 v29, 0x800, v34
	s_cmp_lt_i32 s14, 9
	ds_write_b16 v35, v10 offset:2048
	ds_write_b16 v35, v9
	ds_write_b16 v35, v11 offset:512
	s_waitcnt lgkmcnt(0)
	s_barrier
	buffer_gl0_inv
	ds_read2_b64 v[9:12], v33 offset1:32
	ds_read2_b64 v[13:16], v29 offset0:48 offset1:56
	ds_read2_b64 v[17:20], v33 offset0:64 offset1:96
	ds_read2_b64 v[21:24], v29 offset1:8
	ds_read2_b64 v[25:28], v29 offset0:16 offset1:24
	ds_read2_b64 v[37:40], v29 offset0:32 offset1:40
	ds_write_b16 v35, v6 offset:2560
	ds_write_b16 v35, v8 offset:1024
	;; [unrolled: 1-line block ×3, first 2 shown]
	s_waitcnt lgkmcnt(0)
	s_barrier
	buffer_gl0_inv
	v_pk_max_f16 v9, v9, v9
	v_pk_max_f16 v15, v15, v15
	;; [unrolled: 1-line block ×8, first 2 shown]
	v_pk_min_f16 v29, v15, v9
	v_pk_max_f16 v27, v27, v27
	v_pk_max_f16 v37, v37, v37
	;; [unrolled: 1-line block ×6, first 2 shown]
	v_pk_min_f16 v30, v15, v11
	v_pk_min_f16 v31, v21, v9
	;; [unrolled: 1-line block ×18, first 2 shown]
	v_pk_max_f16 v12, v12, v12
	v_pk_min_f16 v54, v37, v11
	v_pk_min_f16 v55, v37, v17
	v_pk_max_f16 v18, v18, v18
	v_pk_min_f16 v37, v37, v19
	v_pk_max_f16 v22, v22, v22
	v_pk_min_f16 v59, v39, v9
	v_pk_min_f16 v60, v39, v11
	;; [unrolled: 1-line block ×10, first 2 shown]
	v_pk_add_f16 v19, v29, 0
	v_pk_min_f16 v29, v16, v10
	v_pk_max_f16 v20, v20, v20
	v_pk_max_f16 v24, v24, v24
	v_pk_add_f16 v30, v30, 0
	v_pk_min_f16 v50, v16, v12
	v_pk_add_f16 v31, v31, 0
	v_pk_min_f16 v57, v22, v10
	;; [unrolled: 2-line block ×3, first 2 shown]
	v_pk_add_f16 v68, v19, v29
	v_pk_add_f16 v19, v41, 0
	v_pk_min_f16 v29, v22, v18
	v_pk_add_f16 v58, v30, v50
	v_pk_add_f16 v69, v31, v57
	;; [unrolled: 1-line block ×4, first 2 shown]
	v_pk_min_f16 v31, v24, v10
	v_pk_add_f16 v36, v43, 0
	v_pk_min_f16 v42, v24, v12
	v_pk_add_f16 v43, v44, 0
	;; [unrolled: 2-line block ×3, first 2 shown]
	v_pk_add_f16 v19, v23, 0
	v_pk_min_f16 v24, v24, v20
	v_pk_add_f16 v49, v49, 0
	v_pk_min_f16 v56, v16, v18
	;; [unrolled: 2-line block ×3, first 2 shown]
	v_pk_add_f16 v29, v48, 0
	v_pk_add_f16 v48, v19, v24
	v_pk_max_f16 v19, v26, v26
	v_pk_add_f16 v50, v49, v56
	v_pk_add_f16 v49, v21, v22
	;; [unrolled: 1-line block ×8, first 2 shown]
	v_pk_max_f16 v24, v28, v28
	v_pk_min_f16 v26, v19, v10
	v_pk_min_f16 v28, v19, v12
	;; [unrolled: 1-line block ×4, first 2 shown]
	v_pk_add_f16 v41, v30, v31
	v_pk_add_f16 v30, v51, 0
	;; [unrolled: 1-line block ×11, first 2 shown]
	v_pk_min_f16 v19, v24, v10
	v_pk_min_f16 v21, v24, v12
	;; [unrolled: 1-line block ×4, first 2 shown]
	v_pk_max_f16 v24, v38, v38
	v_pk_add_f16 v65, v36, v42
	v_pk_add_f16 v36, v53, 0
	;; [unrolled: 1-line block ×7, first 2 shown]
	v_pk_min_f16 v19, v24, v10
	v_pk_min_f16 v21, v24, v12
	;; [unrolled: 1-line block ×4, first 2 shown]
	v_pk_max_f16 v24, v40, v40
	v_pk_max_f16 v14, v14, v14
	v_pk_add_f16 v51, v59, 0
	v_pk_add_f16 v59, v61, 0
	;; [unrolled: 1-line block ×11, first 2 shown]
	v_pk_min_f16 v19, v24, v10
	v_pk_min_f16 v21, v24, v12
	;; [unrolled: 1-line block ×9, first 2 shown]
	v_pk_add_f16 v38, v51, v19
	v_pk_add_f16 v61, v52, v21
	;; [unrolled: 1-line block ×9, first 2 shown]
	s_cbranch_scc1 .LBB242_35
; %bb.21:
	v_lshl_add_u32 v3, s6, 6, v3
	s_lshl_b32 s0, s28, 6
	v_mad_i64_i32 v[8:9], null, v5, s29, 0
	v_add_nc_u32_e32 v59, 0x800, v35
	v_subrev_nc_u32_e32 v3, s0, v3
	v_or_b32_e32 v67, 0x800, v34
	v_add_nc_u32_e32 v70, 0xa00, v35
	v_add_nc_u32_e32 v71, 0x400, v35
	v_lshl_add_u32 v72, v0, 3, 0xa00
	v_mad_i64_i32 v[6:7], null, s27, v3, 0
	v_mad_i64_i32 v[3:4], null, v4, s29, 0
	v_lshlrev_b64 v[28:29], 1, v[8:9]
	v_lshl_add_u32 v73, v1, 3, 0x400
	s_add_i32 s6, s14, -8
	v_lshlrev_b64 v[6:7], 1, v[6:7]
	v_lshlrev_b64 v[26:27], 1, v[3:4]
	v_add_co_u32 v2, s0, v6, v2
	v_add_co_ci_u32_e64 v5, null, 0, v7, s0
	v_add_co_u32 v2, s0, s16, v2
	v_add_co_ci_u32_e64 v3, null, s17, v5, s0
	;; [unrolled: 2-line block ×3, first 2 shown]
	s_branch .LBB242_23
.LBB242_22:                             ;   in Loop: Header=BB242_23 Depth=1
	s_or_b32 exec_lo, exec_lo, s1
	v_pk_max_f16 v4, v4, v4
	v_pk_max_f16 v22, v22, v22
	;; [unrolled: 1-line block ×7, first 2 shown]
	v_pk_min_f16 v77, v4, v22
	v_pk_min_f16 v78, v4, v24
	;; [unrolled: 1-line block ×3, first 2 shown]
	v_pk_max_f16 v16, v16, v16
	v_pk_min_f16 v86, v10, v22
	v_pk_max_f16 v12, v12, v12
	v_pk_min_f16 v87, v10, v24
	v_pk_min_f16 v88, v10, v18
	;; [unrolled: 1-line block ×3, first 2 shown]
	v_pk_max_f16 v6, v6, v6
	v_pk_max_f16 v23, v23, v23
	;; [unrolled: 1-line block ×15, first 2 shown]
	v_pk_min_f16 v80, v14, v22
	v_pk_min_f16 v81, v14, v24
	;; [unrolled: 1-line block ×57, first 2 shown]
	v_pk_add_f16 v3, v68, v77
	v_pk_add_f16 v5, v58, v78
	;; [unrolled: 1-line block ×17, first 2 shown]
	ds_read2_b64 v[2:5], v67 offset0:48 offset1:56
	ds_read2_b64 v[6:9], v33 offset1:32
	v_pk_add_f16 v65, v10, v11
	ds_read2_b64 v[10:13], v33 offset0:64 offset1:96
	v_pk_add_f16 v48, v64, v87
	v_pk_add_f16 v47, v63, v90
	;; [unrolled: 1-line block ×4, first 2 shown]
	ds_read2_b64 v[14:17], v67 offset1:8
	v_pk_add_f16 v58, v69, v80
	v_pk_add_f16 v66, v66, v81
	;; [unrolled: 1-line block ×10, first 2 shown]
	ds_read2_b64 v[18:21], v67 offset0:16 offset1:24
	s_waitcnt lgkmcnt(4)
	v_pk_max_f16 v4, v4, v4
	s_waitcnt lgkmcnt(3)
	v_pk_max_f16 v6, v6, v6
	v_pk_max_f16 v8, v8, v8
	s_waitcnt lgkmcnt(2)
	v_pk_max_f16 v10, v10, v10
	v_pk_add_f16 v57, v57, v99
	v_pk_max_f16 v12, v12, v12
	v_pk_min_f16 v22, v4, v6
	v_pk_min_f16 v23, v4, v8
	;; [unrolled: 1-line block ×3, first 2 shown]
	s_waitcnt lgkmcnt(1)
	v_pk_max_f16 v14, v14, v14
	v_pk_max_f16 v16, v16, v16
	v_pk_add_f16 v43, v43, v22
	v_pk_add_f16 v51, v51, v23
	;; [unrolled: 1-line block ×3, first 2 shown]
	v_pk_min_f16 v22, v14, v6
	v_pk_min_f16 v23, v14, v8
	;; [unrolled: 1-line block ×4, first 2 shown]
	v_pk_add_f16 v41, v41, v83
	v_pk_add_f16 v77, v58, v22
	;; [unrolled: 1-line block ×4, first 2 shown]
	ds_read2_b64 v[22:25], v67 offset0:32 offset1:40
	v_pk_add_f16 v39, v39, v86
	v_pk_add_f16 v49, v49, v101
	;; [unrolled: 1-line block ×3, first 2 shown]
	v_pk_min_f16 v63, v16, v8
	s_waitcnt lgkmcnt(1)
	v_pk_max_f16 v18, v18, v18
	v_pk_add_f16 v56, v56, v85
	v_pk_add_f16 v41, v41, v100
	;; [unrolled: 1-line block ×3, first 2 shown]
	v_pk_min_f16 v58, v16, v6
	v_pk_add_f16 v63, v49, v63
	v_pk_min_f16 v49, v18, v6
	v_pk_max_f16 v20, v20, v20
	v_pk_add_f16 v36, v36, v92
	v_pk_add_f16 v56, v56, v102
	;; [unrolled: 1-line block ×4, first 2 shown]
	v_pk_min_f16 v78, v16, v10
	v_pk_add_f16 v41, v41, v58
	v_pk_min_f16 v58, v18, v8
	v_pk_add_f16 v39, v39, v49
	v_pk_min_f16 v49, v20, v8
	s_waitcnt lgkmcnt(0)
	v_pk_max_f16 v22, v22, v22
	v_pk_add_f16 v37, v37, v89
	v_pk_add_f16 v62, v62, v93
	;; [unrolled: 1-line block ×6, first 2 shown]
	v_pk_min_f16 v48, v20, v6
	v_pk_min_f16 v58, v20, v10
	;; [unrolled: 1-line block ×3, first 2 shown]
	v_pk_add_f16 v79, v47, v49
	v_pk_min_f16 v47, v22, v6
	v_pk_add_f16 v37, v37, v106
	v_pk_add_f16 v62, v62, v111
	;; [unrolled: 1-line block ×3, first 2 shown]
	v_pk_min_f16 v16, v16, v12
	v_pk_add_f16 v20, v46, v20
	v_pk_min_f16 v46, v22, v8
	v_pk_max_f16 v24, v24, v24
	v_pk_add_f16 v36, v36, v47
	v_pk_min_f16 v47, v22, v10
	v_pk_min_f16 v22, v22, v12
	v_pk_max_f16 v2, v2, v2
	v_pk_max_f16 v5, v5, v5
	;; [unrolled: 1-line block ×3, first 2 shown]
	v_pk_add_f16 v54, v54, v91
	v_pk_add_f16 v40, v40, v118
	;; [unrolled: 1-line block ×3, first 2 shown]
	v_pk_min_f16 v64, v18, v10
	v_pk_min_f16 v18, v18, v12
	v_pk_add_f16 v37, v37, v48
	v_pk_add_f16 v62, v62, v46
	v_pk_min_f16 v46, v24, v6
	v_pk_min_f16 v48, v24, v8
	v_pk_add_f16 v22, v45, v22
	v_pk_min_f16 v45, v24, v10
	v_pk_min_f16 v24, v24, v12
	;; [unrolled: 1-line block ×6, first 2 shown]
	v_pk_max_f16 v9, v9, v9
	v_pk_min_f16 v4, v4, v12
	v_pk_max_f16 v11, v11, v11
	v_pk_min_f16 v12, v5, v7
	v_pk_add_f16 v54, v54, v108
	v_pk_add_f16 v8, v68, v8
	;; [unrolled: 1-line block ×3, first 2 shown]
	v_pk_min_f16 v40, v5, v9
	v_pk_add_f16 v4, v42, v4
	v_pk_min_f16 v42, v5, v11
	v_pk_max_f16 v15, v15, v15
	v_pk_add_f16 v68, v43, v12
	v_pk_max_f16 v12, v13, v13
	v_pk_add_f16 v55, v55, v88
	v_pk_add_f16 v61, v61, v96
	;; [unrolled: 1-line block ×5, first 2 shown]
	v_pk_min_f16 v13, v15, v7
	v_pk_min_f16 v40, v15, v9
	;; [unrolled: 1-line block ×4, first 2 shown]
	v_pk_max_f16 v17, v17, v17
	v_pk_add_f16 v53, v53, v94
	v_pk_add_f16 v55, v55, v105
	;; [unrolled: 1-line block ×6, first 2 shown]
	v_pk_min_f16 v13, v17, v7
	v_pk_min_f16 v14, v17, v9
	;; [unrolled: 1-line block ×4, first 2 shown]
	v_pk_max_f16 v19, v19, v19
	v_pk_add_f16 v38, v38, v95
	v_pk_add_f16 v53, v53, v112
	;; [unrolled: 1-line block ×9, first 2 shown]
	v_pk_min_f16 v13, v19, v7
	v_pk_min_f16 v14, v19, v9
	;; [unrolled: 1-line block ×4, first 2 shown]
	v_pk_max_f16 v17, v21, v21
	v_pk_add_f16 v52, v52, v97
	v_pk_add_f16 v38, v38, v114
	;; [unrolled: 1-line block ×7, first 2 shown]
	v_pk_min_f16 v13, v17, v7
	v_pk_min_f16 v14, v17, v9
	;; [unrolled: 1-line block ×4, first 2 shown]
	v_pk_max_f16 v17, v23, v23
	v_pk_add_f16 v52, v52, v116
	v_pk_add_f16 v44, v44, v117
	;; [unrolled: 1-line block ×7, first 2 shown]
	v_pk_min_f16 v13, v17, v7
	v_pk_min_f16 v14, v17, v9
	;; [unrolled: 1-line block ×4, first 2 shown]
	v_pk_max_f16 v17, v25, v25
	v_pk_max_f16 v3, v3, v3
	v_pk_add_f16 v52, v52, v45
	v_pk_add_f16 v24, v44, v24
	;; [unrolled: 1-line block ×7, first 2 shown]
	v_pk_min_f16 v13, v17, v7
	v_pk_min_f16 v14, v17, v9
	;; [unrolled: 1-line block ×9, first 2 shown]
	v_add_co_u32 v30, s0, v30, 16
	v_pk_add_f16 v66, v60, v40
	v_pk_add_f16 v57, v57, v42
	;; [unrolled: 1-line block ×11, first 2 shown]
	v_add_co_ci_u32_e64 v31, null, 0, v31, s0
	s_add_i32 s18, s18, 8
	ds_write_b16 v70, v74
	ds_write_b16 v71, v75
	ds_write_b16 v71, v76 offset:512
	s_cmp_ge_i32 s18, s6
	s_waitcnt lgkmcnt(0)
	s_barrier
	buffer_gl0_inv
	s_cbranch_scc1 .LBB242_35
.LBB242_23:                             ; =>This Inner Loop Header: Depth=1
	v_add_nc_u32_e32 v74, s18, v32
	v_mov_b32_e32 v75, 0
	v_add_nc_u32_e32 v2, 8, v74
	v_cmp_gt_i32_e64 s0, s14, v2
	s_and_b32 s0, s0, vcc_lo
	s_and_b32 s0, s23, s0
	s_and_saveexec_b32 s1, s0
	s_cbranch_execz .LBB242_25
; %bb.24:                               ;   in Loop: Header=BB242_23 Depth=1
	v_add_co_u32 v3, s0, -8, v30
	v_add_co_ci_u32_e64 v4, null, -1, v31, s0
	flat_load_ushort v3, v[3:4]
	s_waitcnt vmcnt(0) lgkmcnt(0)
	v_mul_f16_e32 v75, s15, v3
.LBB242_25:                             ;   in Loop: Header=BB242_23 Depth=1
	s_or_b32 exec_lo, exec_lo, s1
	v_min_i32_e32 v3, s24, v2
	v_cmp_le_i32_e64 s0, s14, v2
	v_mov_b32_e32 v76, 0
	v_mov_b32_e32 v77, 0
	v_ashrrev_i32_e32 v4, 31, v3
	v_lshlrev_b64 v[3:4], 1, v[3:4]
	v_add_co_u32 v2, s1, s8, v3
	v_add_co_ci_u32_e64 v3, null, s9, v4, s1
	s_nor_b32 s1, s25, s0
	s_and_saveexec_b32 s16, s1
	s_cbranch_execz .LBB242_27
; %bb.26:                               ;   in Loop: Header=BB242_23 Depth=1
	v_add_co_u32 v4, s1, v2, v26
	v_add_co_ci_u32_e64 v5, null, v3, v27, s1
	flat_load_ushort v4, v[4:5]
	s_waitcnt vmcnt(0) lgkmcnt(0)
	v_mul_f16_e32 v77, s15, v4
.LBB242_27:                             ;   in Loop: Header=BB242_23 Depth=1
	s_or_b32 exec_lo, exec_lo, s16
	s_nor_b32 s0, s26, s0
	s_and_saveexec_b32 s1, s0
	s_cbranch_execz .LBB242_29
; %bb.28:                               ;   in Loop: Header=BB242_23 Depth=1
	v_add_co_u32 v2, s0, v2, v28
	v_add_co_ci_u32_e64 v3, null, v3, v29, s0
	flat_load_ushort v2, v[2:3]
	s_waitcnt vmcnt(0) lgkmcnt(0)
	v_mul_f16_e32 v76, s15, v2
.LBB242_29:                             ;   in Loop: Header=BB242_23 Depth=1
	s_or_b32 exec_lo, exec_lo, s1
	ds_read2_b64 v[2:5], v72 offset0:48 offset1:56
	ds_read2_b64 v[18:21], v73 offset0:64 offset1:96
	ds_read2_b64 v[22:25], v73 offset1:32
	ds_read2_b64 v[14:17], v72 offset1:8
	ds_read2_b64 v[10:13], v72 offset0:16 offset1:24
	ds_read2_b64 v[6:9], v72 offset0:32 offset1:40
	v_add_nc_u32_e32 v78, 12, v74
	ds_write_b16 v59, v75
	ds_write_b16 v35, v77
	v_mov_b32_e32 v75, 0
	v_mov_b32_e32 v74, 0
	ds_write_b16 v35, v76 offset:512
	v_cmp_gt_i32_e64 s0, s14, v78
	s_waitcnt lgkmcnt(0)
	s_barrier
	buffer_gl0_inv
	s_and_b32 s0, s0, vcc_lo
	s_and_b32 s0, s23, s0
	s_and_saveexec_b32 s1, s0
	s_xor_b32 s0, exec_lo, s1
	s_cbranch_execz .LBB242_31
; %bb.30:                               ;   in Loop: Header=BB242_23 Depth=1
	flat_load_ushort v74, v[30:31]
	s_waitcnt vmcnt(0) lgkmcnt(0)
	v_mul_f16_e32 v74, s15, v74
.LBB242_31:                             ;   in Loop: Header=BB242_23 Depth=1
	s_or_b32 exec_lo, exec_lo, s0
	v_min_i32_e32 v76, s24, v78
	v_cmp_le_i32_e64 s0, s14, v78
	v_ashrrev_i32_e32 v77, 31, v76
	v_lshlrev_b64 v[79:80], 1, v[76:77]
	v_add_co_u32 v77, s1, s8, v79
	v_add_co_ci_u32_e64 v78, null, s9, v80, s1
	s_nor_b32 s1, s25, s0
	s_and_saveexec_b32 s16, s1
	s_cbranch_execz .LBB242_33
; %bb.32:                               ;   in Loop: Header=BB242_23 Depth=1
	v_add_co_u32 v75, s1, v77, v26
	v_add_co_ci_u32_e64 v76, null, v78, v27, s1
	flat_load_ushort v75, v[75:76]
	s_waitcnt vmcnt(0) lgkmcnt(0)
	v_mul_f16_e32 v75, s15, v75
.LBB242_33:                             ;   in Loop: Header=BB242_23 Depth=1
	s_or_b32 exec_lo, exec_lo, s16
	v_mov_b32_e32 v76, 0
	s_nor_b32 s0, s26, s0
	s_and_saveexec_b32 s1, s0
	s_cbranch_execz .LBB242_22
; %bb.34:                               ;   in Loop: Header=BB242_23 Depth=1
	v_add_co_u32 v76, s0, v77, v28
	v_add_co_ci_u32_e64 v77, null, v78, v29, s0
	flat_load_ushort v76, v[76:77]
	s_waitcnt vmcnt(0) lgkmcnt(0)
	v_mul_f16_e32 v76, s15, v76
	s_branch .LBB242_22
.LBB242_35:
	s_clause 0x2
	s_load_dword s14, s[4:5], 0x50
	s_load_dword s9, s[4:5], 0x68
	s_load_dwordx2 s[4:5], s[4:5], 0x70
	v_add_nc_u32_e32 v67, s21, v1
	v_add_nc_u32_e32 v10, 0x800, v34
	ds_read2_b64 v[2:5], v33 offset0:192 offset1:224
	ds_read2_b64 v[22:25], v33 offset0:128 offset1:160
	v_add_nc_u32_e32 v0, s20, v0
	ds_read2_b64 v[6:9], v10 offset0:112 offset1:120
	ds_read2_b64 v[18:21], v10 offset0:64 offset1:72
	;; [unrolled: 1-line block ×4, first 2 shown]
	v_cmp_gt_i32_e64 s8, s13, v67
	v_cmp_gt_i32_e64 s0, s12, v0
	v_ashrrev_i32_e32 v1, 31, v0
	v_cndmask_b32_e64 v59, 0, 1, s7
	s_waitcnt lgkmcnt(0)
	v_mad_i64_i32 v[26:27], null, v67, s14, 0
	v_mad_i64_i32 v[28:29], null, v67, s9, 0
	s_lshl_b64 s[4:5], s[4:5], 1
	s_add_u32 s15, s2, s4
	s_addc_u32 s16, s3, s5
	v_lshlrev_b64 v[26:27], 1, v[26:27]
	s_and_b32 s1, s0, s8
	v_lshlrev_b64 v[28:29], 1, v[28:29]
	v_add_co_u32 v72, vcc_lo, s10, v26
	v_add_co_ci_u32_e64 v73, null, s11, v27, vcc_lo
	v_add_co_u32 v70, vcc_lo, s15, v28
	v_add_co_ci_u32_e64 v71, null, s16, v29, vcc_lo
	s_and_saveexec_b32 s2, s1
	s_xor_b32 s1, exec_lo, s2
	s_cbranch_execz .LBB242_40
; %bb.36:
	v_lshlrev_b64 v[26:27], 1, v[0:1]
	s_andn2_b32 vcc_lo, exec_lo, s7
	s_cbranch_vccnz .LBB242_38
; %bb.37:
	v_add_co_u32 v28, vcc_lo, v72, v26
	v_add_co_ci_u32_e64 v29, null, v73, v27, vcc_lo
	flat_load_ushort v28, v[28:29]
	s_waitcnt vmcnt(0) lgkmcnt(0)
	v_mul_f16_e32 v28, s22, v28
	s_branch .LBB242_39
.LBB242_38:
	v_mov_b32_e32 v28, 0
.LBB242_39:
	v_pk_max_f16 v29, v22, v22
	v_pk_max_f16 v30, v18, v18
	;; [unrolled: 1-line block ×4, first 2 shown]
	v_add_co_u32 v26, vcc_lo, v70, v26
	v_pk_min_f16 v29, v30, v29
	v_add_co_ci_u32_e64 v27, null, v71, v27, vcc_lo
	v_pk_min_f16 v30, v32, v31
	v_pk_add_f16 v29, v69, v29
	v_pk_add_f16 v29, v29, v30
	v_add_f16_sdwa v29, v29, v29 dst_sel:DWORD dst_unused:UNUSED_PAD src0_sel:DWORD src1_sel:WORD_1
	v_add_f16_e32 v28, v29, v28
	flat_store_short v[26:27], v28
.LBB242_40:
	s_or_b32 exec_lo, exec_lo, s1
	v_add_nc_u32_e32 v26, 8, v0
	v_cmp_gt_i32_e64 s1, s12, v26
	v_ashrrev_i32_e32 v27, 31, v26
	s_and_b32 s3, s1, s8
	s_and_saveexec_b32 s2, s3
	s_cbranch_execz .LBB242_45
; %bb.41:
	v_cmp_ne_u32_e32 vcc_lo, 1, v59
	v_lshlrev_b64 v[28:29], 1, v[26:27]
	s_cbranch_vccnz .LBB242_43
; %bb.42:
	v_add_co_u32 v30, vcc_lo, v72, v28
	v_add_co_ci_u32_e64 v31, null, v73, v29, vcc_lo
	flat_load_ushort v30, v[30:31]
	s_waitcnt vmcnt(0) lgkmcnt(0)
	v_mul_f16_e32 v30, s22, v30
	s_branch .LBB242_44
.LBB242_43:
	v_mov_b32_e32 v30, 0
.LBB242_44:
	v_pk_max_f16 v31, v22, v22
	v_pk_max_f16 v32, v20, v20
	v_pk_max_f16 v33, v23, v23
	v_pk_max_f16 v34, v21, v21
	v_add_co_u32 v28, vcc_lo, v70, v28
	v_pk_min_f16 v31, v32, v31
	v_add_co_ci_u32_e64 v29, null, v71, v29, vcc_lo
	v_pk_min_f16 v32, v34, v33
	v_pk_add_f16 v31, v41, v31
	v_pk_add_f16 v31, v31, v32
	v_add_f16_sdwa v31, v31, v31 dst_sel:DWORD dst_unused:UNUSED_PAD src0_sel:DWORD src1_sel:WORD_1
	v_add_f16_e32 v30, v31, v30
	flat_store_short v[28:29], v30
.LBB242_45:
	s_or_b32 exec_lo, exec_lo, s2
	v_add_nc_u32_e32 v28, 16, v0
	v_cmp_gt_i32_e64 s2, s12, v28
	v_ashrrev_i32_e32 v29, 31, v28
	s_and_b32 s4, s2, s8
	s_and_saveexec_b32 s3, s4
	s_cbranch_execz .LBB242_50
; %bb.46:
	v_cmp_ne_u32_e32 vcc_lo, 1, v59
	v_lshlrev_b64 v[30:31], 1, v[28:29]
	s_cbranch_vccnz .LBB242_48
; %bb.47:
	v_add_co_u32 v32, vcc_lo, v72, v30
	v_add_co_ci_u32_e64 v33, null, v73, v31, vcc_lo
	flat_load_ushort v32, v[32:33]
	s_waitcnt vmcnt(0) lgkmcnt(0)
	v_mul_f16_e32 v32, s22, v32
	s_branch .LBB242_49
.LBB242_48:
	v_mov_b32_e32 v32, 0
.LBB242_49:
	v_pk_max_f16 v33, v22, v22
	v_pk_max_f16 v34, v14, v14
	v_pk_max_f16 v35, v23, v23
	v_pk_max_f16 v41, v15, v15
	v_add_co_u32 v30, vcc_lo, v70, v30
	v_pk_min_f16 v33, v34, v33
	v_add_co_ci_u32_e64 v31, null, v71, v31, vcc_lo
	v_pk_min_f16 v34, v41, v35
	v_pk_add_f16 v33, v39, v33
	v_pk_add_f16 v33, v33, v34
	v_add_f16_sdwa v33, v33, v33 dst_sel:DWORD dst_unused:UNUSED_PAD src0_sel:DWORD src1_sel:WORD_1
	v_add_f16_e32 v32, v33, v32
	flat_store_short v[30:31], v32
.LBB242_50:
	s_or_b32 exec_lo, exec_lo, s3
	v_add_nc_u32_e32 v30, 24, v0
	v_cmp_gt_i32_e64 s3, s12, v30
	v_ashrrev_i32_e32 v31, 31, v30
	s_and_b32 s5, s3, s8
	s_and_saveexec_b32 s4, s5
	s_cbranch_execz .LBB242_55
; %bb.51:
	v_cmp_ne_u32_e32 vcc_lo, 1, v59
	v_lshlrev_b64 v[32:33], 1, v[30:31]
	s_cbranch_vccnz .LBB242_53
; %bb.52:
	v_add_co_u32 v34, vcc_lo, v72, v32
	v_add_co_ci_u32_e64 v35, null, v73, v33, vcc_lo
	flat_load_ushort v34, v[34:35]
	s_waitcnt vmcnt(0) lgkmcnt(0)
	v_mul_f16_e32 v34, s22, v34
	s_branch .LBB242_54
.LBB242_53:
	v_mov_b32_e32 v34, 0
.LBB242_54:
	v_pk_max_f16 v35, v22, v22
	v_pk_max_f16 v39, v16, v16
	v_pk_max_f16 v41, v23, v23
	v_pk_max_f16 v69, v17, v17
	v_add_co_u32 v32, vcc_lo, v70, v32
	v_pk_min_f16 v35, v39, v35
	v_add_co_ci_u32_e64 v33, null, v71, v33, vcc_lo
	v_pk_min_f16 v39, v69, v41
	v_pk_add_f16 v35, v37, v35
	v_pk_add_f16 v35, v35, v39
	v_add_f16_sdwa v35, v35, v35 dst_sel:DWORD dst_unused:UNUSED_PAD src0_sel:DWORD src1_sel:WORD_1
	v_add_f16_e32 v34, v35, v34
	flat_store_short v[32:33], v34
.LBB242_55:
	s_or_b32 exec_lo, exec_lo, s4
	v_add_nc_u32_e32 v32, 32, v0
	v_cmp_gt_i32_e64 s4, s12, v32
	v_ashrrev_i32_e32 v33, 31, v32
	s_and_b32 s6, s4, s8
	s_and_saveexec_b32 s5, s6
	s_cbranch_execz .LBB242_60
; %bb.56:
	v_cmp_ne_u32_e32 vcc_lo, 1, v59
	v_lshlrev_b64 v[34:35], 1, v[32:33]
	s_cbranch_vccnz .LBB242_58
; %bb.57:
	v_add_co_u32 v74, vcc_lo, v72, v34
	v_add_co_ci_u32_e64 v75, null, v73, v35, vcc_lo
	flat_load_ushort v37, v[74:75]
	s_waitcnt vmcnt(0) lgkmcnt(0)
	v_mul_f16_e32 v37, s22, v37
	s_branch .LBB242_59
.LBB242_58:
	v_mov_b32_e32 v37, 0
.LBB242_59:
	v_pk_max_f16 v39, v22, v22
	v_pk_max_f16 v41, v10, v10
	v_pk_max_f16 v69, v23, v23
	v_pk_max_f16 v74, v11, v11
	v_add_co_u32 v34, vcc_lo, v70, v34
	v_pk_min_f16 v39, v41, v39
	v_add_co_ci_u32_e64 v35, null, v71, v35, vcc_lo
	v_pk_min_f16 v41, v74, v69
	v_pk_add_f16 v36, v36, v39
	v_pk_add_f16 v36, v36, v41
	v_add_f16_sdwa v36, v36, v36 dst_sel:DWORD dst_unused:UNUSED_PAD src0_sel:DWORD src1_sel:WORD_1
	v_add_f16_e32 v36, v36, v37
	flat_store_short v[34:35], v36
.LBB242_60:
	s_or_b32 exec_lo, exec_lo, s5
	v_add_nc_u32_e32 v34, 40, v0
	v_cmp_gt_i32_e64 s5, s12, v34
	v_ashrrev_i32_e32 v35, 31, v34
	s_and_b32 s7, s5, s8
	s_and_saveexec_b32 s6, s7
	s_cbranch_execz .LBB242_65
; %bb.61:
	v_cmp_ne_u32_e32 vcc_lo, 1, v59
	v_lshlrev_b64 v[36:37], 1, v[34:35]
	s_cbranch_vccnz .LBB242_63
; %bb.62:
	v_add_co_u32 v74, vcc_lo, v72, v36
	v_add_co_ci_u32_e64 v75, null, v73, v37, vcc_lo
	flat_load_ushort v39, v[74:75]
	s_waitcnt vmcnt(0) lgkmcnt(0)
	v_mul_f16_e32 v39, s22, v39
	s_branch .LBB242_64
.LBB242_63:
	v_mov_b32_e32 v39, 0
.LBB242_64:
	v_pk_max_f16 v41, v22, v22
	v_pk_max_f16 v69, v12, v12
	v_pk_max_f16 v74, v23, v23
	v_pk_max_f16 v75, v13, v13
	v_add_co_u32 v36, vcc_lo, v70, v36
	v_pk_min_f16 v41, v69, v41
	v_add_co_ci_u32_e64 v37, null, v71, v37, vcc_lo
	v_pk_min_f16 v69, v75, v74
	v_pk_add_f16 v38, v38, v41
	v_pk_add_f16 v38, v38, v69
	v_add_f16_sdwa v38, v38, v38 dst_sel:DWORD dst_unused:UNUSED_PAD src0_sel:DWORD src1_sel:WORD_1
	v_add_f16_e32 v38, v38, v39
	flat_store_short v[36:37], v38
.LBB242_65:
	s_or_b32 exec_lo, exec_lo, s6
	v_add_nc_u32_e32 v36, 48, v0
	v_cmp_gt_i32_e64 s6, s12, v36
	v_ashrrev_i32_e32 v37, 31, v36
	s_and_b32 s17, s6, s8
	s_and_saveexec_b32 s7, s17
	s_cbranch_execz .LBB242_70
; %bb.66:
	v_cmp_ne_u32_e32 vcc_lo, 1, v59
	v_lshlrev_b64 v[38:39], 1, v[36:37]
	s_cbranch_vccnz .LBB242_68
; %bb.67:
	v_add_co_u32 v74, vcc_lo, v72, v38
	v_add_co_ci_u32_e64 v75, null, v73, v39, vcc_lo
	flat_load_ushort v41, v[74:75]
	s_waitcnt vmcnt(0) lgkmcnt(0)
	v_mul_f16_e32 v41, s22, v41
	s_branch .LBB242_69
.LBB242_68:
	v_mov_b32_e32 v41, 0
.LBB242_69:
	v_pk_max_f16 v69, v22, v22
	v_pk_max_f16 v74, v6, v6
	v_pk_max_f16 v75, v23, v23
	v_pk_max_f16 v76, v7, v7
	v_add_co_u32 v38, vcc_lo, v70, v38
	v_pk_min_f16 v69, v74, v69
	v_add_co_ci_u32_e64 v39, null, v71, v39, vcc_lo
	v_pk_min_f16 v74, v76, v75
	v_pk_add_f16 v40, v40, v69
	v_pk_add_f16 v40, v40, v74
	v_add_f16_sdwa v40, v40, v40 dst_sel:DWORD dst_unused:UNUSED_PAD src0_sel:DWORD src1_sel:WORD_1
	v_add_f16_e32 v40, v40, v41
	flat_store_short v[38:39], v40
.LBB242_70:
	s_or_b32 exec_lo, exec_lo, s7
	v_add_nc_u32_e32 v38, 56, v0
	v_cmp_gt_i32_e64 s7, s12, v38
	v_ashrrev_i32_e32 v39, 31, v38
	s_and_b32 s12, s7, s8
	s_and_saveexec_b32 s8, s12
	s_cbranch_execz .LBB242_75
; %bb.71:
	v_cmp_ne_u32_e32 vcc_lo, 1, v59
	v_lshlrev_b64 v[40:41], 1, v[38:39]
	s_cbranch_vccnz .LBB242_73
; %bb.72:
	v_add_co_u32 v72, vcc_lo, v72, v40
	v_add_co_ci_u32_e64 v73, null, v73, v41, vcc_lo
	flat_load_ushort v69, v[72:73]
	s_waitcnt vmcnt(0) lgkmcnt(0)
	v_mul_f16_e32 v69, s22, v69
	s_branch .LBB242_74
.LBB242_73:
	v_mov_b32_e32 v69, 0
.LBB242_74:
	v_pk_max_f16 v22, v22, v22
	v_pk_max_f16 v72, v8, v8
	;; [unrolled: 1-line block ×4, first 2 shown]
	v_pk_min_f16 v22, v72, v22
	v_pk_min_f16 v23, v73, v23
	v_pk_add_f16 v22, v68, v22
	v_pk_add_f16 v22, v22, v23
	v_add_f16_sdwa v22, v22, v22 dst_sel:DWORD dst_unused:UNUSED_PAD src0_sel:DWORD src1_sel:WORD_1
	v_add_f16_e32 v68, v22, v69
	v_add_co_u32 v22, vcc_lo, v70, v40
	v_add_co_ci_u32_e64 v23, null, v71, v41, vcc_lo
	flat_store_short v[22:23], v68
.LBB242_75:
	s_or_b32 exec_lo, exec_lo, s8
	v_add_nc_u32_e32 v68, 32, v67
	v_mad_i64_i32 v[22:23], null, v68, s14, 0
	v_mad_i64_i32 v[40:41], null, v68, s9, 0
	v_cmp_gt_i32_e64 s8, s13, v68
	v_lshlrev_b64 v[22:23], 1, v[22:23]
	s_and_b32 s17, s0, s8
	v_lshlrev_b64 v[40:41], 1, v[40:41]
	v_add_co_u32 v68, vcc_lo, s10, v22
	v_add_co_ci_u32_e64 v69, null, s11, v23, vcc_lo
	v_add_co_u32 v40, vcc_lo, s15, v40
	v_add_co_ci_u32_e64 v41, null, s16, v41, vcc_lo
	s_and_saveexec_b32 s12, s17
	s_cbranch_execnz .LBB242_83
; %bb.76:
	s_or_b32 exec_lo, exec_lo, s12
	s_and_b32 s17, s1, s8
	s_and_saveexec_b32 s12, s17
	s_cbranch_execnz .LBB242_87
.LBB242_77:
	s_or_b32 exec_lo, exec_lo, s12
	s_and_b32 s17, s2, s8
	s_and_saveexec_b32 s12, s17
	s_cbranch_execnz .LBB242_91
.LBB242_78:
	s_or_b32 exec_lo, exec_lo, s12
	s_and_b32 s17, s3, s8
	s_and_saveexec_b32 s12, s17
	s_cbranch_execnz .LBB242_95
.LBB242_79:
	s_or_b32 exec_lo, exec_lo, s12
	s_and_b32 s17, s4, s8
	s_and_saveexec_b32 s12, s17
	s_cbranch_execnz .LBB242_99
.LBB242_80:
	s_or_b32 exec_lo, exec_lo, s12
	s_and_b32 s17, s5, s8
	s_and_saveexec_b32 s12, s17
	s_cbranch_execnz .LBB242_103
.LBB242_81:
	s_or_b32 exec_lo, exec_lo, s12
	s_and_b32 s17, s6, s8
	s_and_saveexec_b32 s12, s17
	s_cbranch_execnz .LBB242_107
.LBB242_82:
	s_or_b32 exec_lo, exec_lo, s12
	s_and_b32 s12, s7, s8
	s_and_saveexec_b32 s8, s12
	s_cbranch_execnz .LBB242_111
	s_branch .LBB242_115
.LBB242_83:
	v_cmp_ne_u32_e32 vcc_lo, 1, v59
	v_lshlrev_b64 v[22:23], 1, v[0:1]
	s_cbranch_vccnz .LBB242_85
; %bb.84:
	v_add_co_u32 v70, vcc_lo, v68, v22
	v_add_co_ci_u32_e64 v71, null, v69, v23, vcc_lo
	flat_load_ushort v70, v[70:71]
	s_waitcnt vmcnt(0) lgkmcnt(0)
	v_mul_f16_e32 v70, s22, v70
	s_branch .LBB242_86
.LBB242_85:
	v_mov_b32_e32 v70, 0
.LBB242_86:
	v_pk_max_f16 v71, v24, v24
	v_pk_max_f16 v72, v18, v18
	;; [unrolled: 1-line block ×4, first 2 shown]
	v_add_co_u32 v22, vcc_lo, v40, v22
	v_pk_min_f16 v71, v72, v71
	v_add_co_ci_u32_e64 v23, null, v41, v23, vcc_lo
	v_pk_min_f16 v72, v74, v73
	v_pk_add_f16 v66, v66, v71
	v_pk_add_f16 v66, v66, v72
	v_add_f16_sdwa v66, v66, v66 dst_sel:DWORD dst_unused:UNUSED_PAD src0_sel:DWORD src1_sel:WORD_1
	v_add_f16_e32 v66, v66, v70
	flat_store_short v[22:23], v66
	s_or_b32 exec_lo, exec_lo, s12
	s_and_b32 s17, s1, s8
	s_and_saveexec_b32 s12, s17
	s_cbranch_execz .LBB242_77
.LBB242_87:
	v_cmp_ne_u32_e32 vcc_lo, 1, v59
	v_lshlrev_b64 v[22:23], 1, v[26:27]
	s_cbranch_vccnz .LBB242_89
; %bb.88:
	v_add_co_u32 v70, vcc_lo, v68, v22
	v_add_co_ci_u32_e64 v71, null, v69, v23, vcc_lo
	flat_load_ushort v66, v[70:71]
	s_waitcnt vmcnt(0) lgkmcnt(0)
	v_mul_f16_e32 v66, s22, v66
	s_branch .LBB242_90
.LBB242_89:
	v_mov_b32_e32 v66, 0
.LBB242_90:
	v_pk_max_f16 v70, v24, v24
	v_pk_max_f16 v71, v20, v20
	;; [unrolled: 1-line block ×4, first 2 shown]
	v_add_co_u32 v22, vcc_lo, v40, v22
	v_pk_min_f16 v70, v71, v70
	v_add_co_ci_u32_e64 v23, null, v41, v23, vcc_lo
	v_pk_min_f16 v71, v73, v72
	v_pk_add_f16 v65, v65, v70
	v_pk_add_f16 v65, v65, v71
	v_add_f16_sdwa v65, v65, v65 dst_sel:DWORD dst_unused:UNUSED_PAD src0_sel:DWORD src1_sel:WORD_1
	v_add_f16_e32 v65, v65, v66
	flat_store_short v[22:23], v65
	s_or_b32 exec_lo, exec_lo, s12
	s_and_b32 s17, s2, s8
	s_and_saveexec_b32 s12, s17
	s_cbranch_execz .LBB242_78
.LBB242_91:
	v_cmp_ne_u32_e32 vcc_lo, 1, v59
	v_lshlrev_b64 v[22:23], 1, v[28:29]
	s_cbranch_vccnz .LBB242_93
; %bb.92:
	v_add_co_u32 v65, vcc_lo, v68, v22
	v_add_co_ci_u32_e64 v66, null, v69, v23, vcc_lo
	flat_load_ushort v65, v[65:66]
	s_waitcnt vmcnt(0) lgkmcnt(0)
	v_mul_f16_e32 v65, s22, v65
	s_branch .LBB242_94
.LBB242_93:
	v_mov_b32_e32 v65, 0
.LBB242_94:
	v_pk_max_f16 v66, v24, v24
	v_pk_max_f16 v70, v14, v14
	;; [unrolled: 1-line block ×4, first 2 shown]
	v_add_co_u32 v22, vcc_lo, v40, v22
	v_pk_min_f16 v66, v70, v66
	v_add_co_ci_u32_e64 v23, null, v41, v23, vcc_lo
	v_pk_min_f16 v70, v72, v71
	v_pk_add_f16 v64, v64, v66
	v_pk_add_f16 v64, v64, v70
	v_add_f16_sdwa v64, v64, v64 dst_sel:DWORD dst_unused:UNUSED_PAD src0_sel:DWORD src1_sel:WORD_1
	v_add_f16_e32 v64, v64, v65
	flat_store_short v[22:23], v64
	s_or_b32 exec_lo, exec_lo, s12
	s_and_b32 s17, s3, s8
	s_and_saveexec_b32 s12, s17
	s_cbranch_execz .LBB242_79
.LBB242_95:
	v_cmp_ne_u32_e32 vcc_lo, 1, v59
	v_lshlrev_b64 v[22:23], 1, v[30:31]
	s_cbranch_vccnz .LBB242_97
; %bb.96:
	v_add_co_u32 v64, vcc_lo, v68, v22
	v_add_co_ci_u32_e64 v65, null, v69, v23, vcc_lo
	flat_load_ushort v64, v[64:65]
	s_waitcnt vmcnt(0) lgkmcnt(0)
	v_mul_f16_e32 v64, s22, v64
	s_branch .LBB242_98
.LBB242_97:
	v_mov_b32_e32 v64, 0
.LBB242_98:
	v_pk_max_f16 v65, v24, v24
	v_pk_max_f16 v66, v16, v16
	;; [unrolled: 1-line block ×4, first 2 shown]
	v_add_co_u32 v22, vcc_lo, v40, v22
	v_pk_min_f16 v65, v66, v65
	v_add_co_ci_u32_e64 v23, null, v41, v23, vcc_lo
	v_pk_min_f16 v66, v71, v70
	v_pk_add_f16 v63, v63, v65
	v_pk_add_f16 v63, v63, v66
	v_add_f16_sdwa v63, v63, v63 dst_sel:DWORD dst_unused:UNUSED_PAD src0_sel:DWORD src1_sel:WORD_1
	v_add_f16_e32 v63, v63, v64
	flat_store_short v[22:23], v63
	s_or_b32 exec_lo, exec_lo, s12
	s_and_b32 s17, s4, s8
	s_and_saveexec_b32 s12, s17
	s_cbranch_execz .LBB242_80
.LBB242_99:
	v_cmp_ne_u32_e32 vcc_lo, 1, v59
	v_lshlrev_b64 v[22:23], 1, v[32:33]
	s_cbranch_vccnz .LBB242_101
; %bb.100:
	v_add_co_u32 v63, vcc_lo, v68, v22
	v_add_co_ci_u32_e64 v64, null, v69, v23, vcc_lo
	flat_load_ushort v63, v[63:64]
	s_waitcnt vmcnt(0) lgkmcnt(0)
	v_mul_f16_e32 v63, s22, v63
	s_branch .LBB242_102
.LBB242_101:
	v_mov_b32_e32 v63, 0
.LBB242_102:
	v_pk_max_f16 v64, v24, v24
	v_pk_max_f16 v65, v10, v10
	;; [unrolled: 1-line block ×4, first 2 shown]
	v_add_co_u32 v22, vcc_lo, v40, v22
	v_pk_min_f16 v64, v65, v64
	v_add_co_ci_u32_e64 v23, null, v41, v23, vcc_lo
	v_pk_min_f16 v65, v70, v66
	v_pk_add_f16 v62, v62, v64
	v_pk_add_f16 v62, v62, v65
	v_add_f16_sdwa v62, v62, v62 dst_sel:DWORD dst_unused:UNUSED_PAD src0_sel:DWORD src1_sel:WORD_1
	v_add_f16_e32 v62, v62, v63
	flat_store_short v[22:23], v62
	s_or_b32 exec_lo, exec_lo, s12
	s_and_b32 s17, s5, s8
	s_and_saveexec_b32 s12, s17
	s_cbranch_execz .LBB242_81
.LBB242_103:
	v_cmp_ne_u32_e32 vcc_lo, 1, v59
	v_lshlrev_b64 v[22:23], 1, v[34:35]
	s_cbranch_vccnz .LBB242_105
; %bb.104:
	v_add_co_u32 v62, vcc_lo, v68, v22
	v_add_co_ci_u32_e64 v63, null, v69, v23, vcc_lo
	flat_load_ushort v62, v[62:63]
	s_waitcnt vmcnt(0) lgkmcnt(0)
	v_mul_f16_e32 v62, s22, v62
	s_branch .LBB242_106
.LBB242_105:
	v_mov_b32_e32 v62, 0
.LBB242_106:
	v_pk_max_f16 v63, v24, v24
	v_pk_max_f16 v64, v12, v12
	;; [unrolled: 1-line block ×4, first 2 shown]
	v_add_co_u32 v22, vcc_lo, v40, v22
	v_pk_min_f16 v63, v64, v63
	v_add_co_ci_u32_e64 v23, null, v41, v23, vcc_lo
	v_pk_min_f16 v64, v66, v65
	v_pk_add_f16 v61, v61, v63
	v_pk_add_f16 v61, v61, v64
	v_add_f16_sdwa v61, v61, v61 dst_sel:DWORD dst_unused:UNUSED_PAD src0_sel:DWORD src1_sel:WORD_1
	v_add_f16_e32 v61, v61, v62
	flat_store_short v[22:23], v61
	s_or_b32 exec_lo, exec_lo, s12
	s_and_b32 s17, s6, s8
	s_and_saveexec_b32 s12, s17
	s_cbranch_execz .LBB242_82
.LBB242_107:
	v_cmp_ne_u32_e32 vcc_lo, 1, v59
	v_lshlrev_b64 v[22:23], 1, v[36:37]
	s_cbranch_vccnz .LBB242_109
; %bb.108:
	v_add_co_u32 v61, vcc_lo, v68, v22
	v_add_co_ci_u32_e64 v62, null, v69, v23, vcc_lo
	flat_load_ushort v61, v[61:62]
	s_waitcnt vmcnt(0) lgkmcnt(0)
	v_mul_f16_e32 v61, s22, v61
	s_branch .LBB242_110
.LBB242_109:
	v_mov_b32_e32 v61, 0
.LBB242_110:
	v_pk_max_f16 v62, v24, v24
	v_pk_max_f16 v63, v6, v6
	;; [unrolled: 1-line block ×4, first 2 shown]
	v_add_co_u32 v22, vcc_lo, v40, v22
	v_pk_min_f16 v62, v63, v62
	v_add_co_ci_u32_e64 v23, null, v41, v23, vcc_lo
	v_pk_min_f16 v63, v65, v64
	v_pk_add_f16 v60, v60, v62
	v_pk_add_f16 v60, v60, v63
	v_add_f16_sdwa v60, v60, v60 dst_sel:DWORD dst_unused:UNUSED_PAD src0_sel:DWORD src1_sel:WORD_1
	v_add_f16_e32 v60, v60, v61
	flat_store_short v[22:23], v60
	s_or_b32 exec_lo, exec_lo, s12
	s_and_b32 s12, s7, s8
	s_and_saveexec_b32 s8, s12
	s_cbranch_execz .LBB242_115
.LBB242_111:
	v_cmp_ne_u32_e32 vcc_lo, 1, v59
	v_lshlrev_b64 v[22:23], 1, v[38:39]
	s_cbranch_vccnz .LBB242_113
; %bb.112:
	v_add_co_u32 v60, vcc_lo, v68, v22
	v_add_co_ci_u32_e64 v61, null, v69, v23, vcc_lo
	flat_load_ushort v60, v[60:61]
	s_waitcnt vmcnt(0) lgkmcnt(0)
	v_mul_f16_e32 v60, s22, v60
	s_branch .LBB242_114
.LBB242_113:
	v_mov_b32_e32 v60, 0
.LBB242_114:
	v_pk_max_f16 v24, v24, v24
	v_pk_max_f16 v61, v8, v8
	;; [unrolled: 1-line block ×4, first 2 shown]
	v_add_co_u32 v22, vcc_lo, v40, v22
	v_pk_min_f16 v24, v61, v24
	v_add_co_ci_u32_e64 v23, null, v41, v23, vcc_lo
	v_pk_min_f16 v25, v62, v25
	v_pk_add_f16 v24, v58, v24
	v_pk_add_f16 v24, v24, v25
	v_add_f16_sdwa v24, v24, v24 dst_sel:DWORD dst_unused:UNUSED_PAD src0_sel:DWORD src1_sel:WORD_1
	v_add_f16_e32 v24, v24, v60
	flat_store_short v[22:23], v24
.LBB242_115:
	s_or_b32 exec_lo, exec_lo, s8
	v_add_nc_u32_e32 v40, 64, v67
	v_mad_i64_i32 v[22:23], null, v40, s14, 0
	v_mad_i64_i32 v[24:25], null, v40, s9, 0
	v_cmp_gt_i32_e64 s8, s13, v40
	v_lshlrev_b64 v[22:23], 1, v[22:23]
	s_and_b32 s17, s0, s8
	v_lshlrev_b64 v[24:25], 1, v[24:25]
	v_add_co_u32 v40, vcc_lo, s10, v22
	v_add_co_ci_u32_e64 v41, null, s11, v23, vcc_lo
	v_add_co_u32 v24, vcc_lo, s15, v24
	v_add_co_ci_u32_e64 v25, null, s16, v25, vcc_lo
	s_and_saveexec_b32 s12, s17
	s_cbranch_execnz .LBB242_123
; %bb.116:
	s_or_b32 exec_lo, exec_lo, s12
	s_and_b32 s17, s1, s8
	s_and_saveexec_b32 s12, s17
	s_cbranch_execnz .LBB242_127
.LBB242_117:
	s_or_b32 exec_lo, exec_lo, s12
	s_and_b32 s17, s2, s8
	s_and_saveexec_b32 s12, s17
	s_cbranch_execnz .LBB242_131
.LBB242_118:
	s_or_b32 exec_lo, exec_lo, s12
	s_and_b32 s17, s3, s8
	s_and_saveexec_b32 s12, s17
	s_cbranch_execnz .LBB242_135
.LBB242_119:
	s_or_b32 exec_lo, exec_lo, s12
	s_and_b32 s17, s4, s8
	s_and_saveexec_b32 s12, s17
	s_cbranch_execnz .LBB242_139
.LBB242_120:
	s_or_b32 exec_lo, exec_lo, s12
	s_and_b32 s17, s5, s8
	s_and_saveexec_b32 s12, s17
	s_cbranch_execnz .LBB242_143
.LBB242_121:
	s_or_b32 exec_lo, exec_lo, s12
	s_and_b32 s17, s6, s8
	s_and_saveexec_b32 s12, s17
	s_cbranch_execnz .LBB242_147
.LBB242_122:
	s_or_b32 exec_lo, exec_lo, s12
	s_and_b32 s12, s7, s8
	s_and_saveexec_b32 s8, s12
	s_cbranch_execnz .LBB242_151
	s_branch .LBB242_155
.LBB242_123:
	v_cmp_ne_u32_e32 vcc_lo, 1, v59
	v_lshlrev_b64 v[22:23], 1, v[0:1]
	s_cbranch_vccnz .LBB242_125
; %bb.124:
	v_add_co_u32 v60, vcc_lo, v40, v22
	v_add_co_ci_u32_e64 v61, null, v41, v23, vcc_lo
	flat_load_ushort v58, v[60:61]
	s_waitcnt vmcnt(0) lgkmcnt(0)
	v_mul_f16_e32 v58, s22, v58
	s_branch .LBB242_126
.LBB242_125:
	v_mov_b32_e32 v58, 0
.LBB242_126:
	v_pk_max_f16 v60, v2, v2
	v_pk_max_f16 v61, v18, v18
	v_pk_max_f16 v62, v3, v3
	v_pk_max_f16 v63, v19, v19
	v_add_co_u32 v22, vcc_lo, v24, v22
	v_pk_min_f16 v60, v61, v60
	v_add_co_ci_u32_e64 v23, null, v25, v23, vcc_lo
	v_pk_min_f16 v61, v63, v62
	v_pk_add_f16 v57, v57, v60
	v_pk_add_f16 v57, v57, v61
	v_add_f16_sdwa v57, v57, v57 dst_sel:DWORD dst_unused:UNUSED_PAD src0_sel:DWORD src1_sel:WORD_1
	v_add_f16_e32 v57, v57, v58
	flat_store_short v[22:23], v57
	s_or_b32 exec_lo, exec_lo, s12
	s_and_b32 s17, s1, s8
	s_and_saveexec_b32 s12, s17
	s_cbranch_execz .LBB242_117
.LBB242_127:
	v_cmp_ne_u32_e32 vcc_lo, 1, v59
	v_lshlrev_b64 v[22:23], 1, v[26:27]
	s_cbranch_vccnz .LBB242_129
; %bb.128:
	v_add_co_u32 v57, vcc_lo, v40, v22
	v_add_co_ci_u32_e64 v58, null, v41, v23, vcc_lo
	flat_load_ushort v57, v[57:58]
	s_waitcnt vmcnt(0) lgkmcnt(0)
	v_mul_f16_e32 v57, s22, v57
	s_branch .LBB242_130
.LBB242_129:
	v_mov_b32_e32 v57, 0
.LBB242_130:
	v_pk_max_f16 v58, v2, v2
	v_pk_max_f16 v60, v20, v20
	;; [unrolled: 1-line block ×4, first 2 shown]
	v_add_co_u32 v22, vcc_lo, v24, v22
	v_pk_min_f16 v58, v60, v58
	v_add_co_ci_u32_e64 v23, null, v25, v23, vcc_lo
	v_pk_min_f16 v60, v62, v61
	v_pk_add_f16 v56, v56, v58
	v_pk_add_f16 v56, v56, v60
	v_add_f16_sdwa v56, v56, v56 dst_sel:DWORD dst_unused:UNUSED_PAD src0_sel:DWORD src1_sel:WORD_1
	v_add_f16_e32 v56, v56, v57
	flat_store_short v[22:23], v56
	s_or_b32 exec_lo, exec_lo, s12
	s_and_b32 s17, s2, s8
	s_and_saveexec_b32 s12, s17
	s_cbranch_execz .LBB242_118
.LBB242_131:
	v_cmp_ne_u32_e32 vcc_lo, 1, v59
	v_lshlrev_b64 v[22:23], 1, v[28:29]
	s_cbranch_vccnz .LBB242_133
; %bb.132:
	v_add_co_u32 v56, vcc_lo, v40, v22
	v_add_co_ci_u32_e64 v57, null, v41, v23, vcc_lo
	flat_load_ushort v56, v[56:57]
	s_waitcnt vmcnt(0) lgkmcnt(0)
	v_mul_f16_e32 v56, s22, v56
	s_branch .LBB242_134
.LBB242_133:
	v_mov_b32_e32 v56, 0
.LBB242_134:
	v_pk_max_f16 v57, v2, v2
	v_pk_max_f16 v58, v14, v14
	;; [unrolled: 1-line block ×4, first 2 shown]
	v_add_co_u32 v22, vcc_lo, v24, v22
	v_pk_min_f16 v57, v58, v57
	v_add_co_ci_u32_e64 v23, null, v25, v23, vcc_lo
	v_pk_min_f16 v58, v61, v60
	v_pk_add_f16 v55, v55, v57
	v_pk_add_f16 v55, v55, v58
	v_add_f16_sdwa v55, v55, v55 dst_sel:DWORD dst_unused:UNUSED_PAD src0_sel:DWORD src1_sel:WORD_1
	v_add_f16_e32 v55, v55, v56
	flat_store_short v[22:23], v55
	s_or_b32 exec_lo, exec_lo, s12
	s_and_b32 s17, s3, s8
	s_and_saveexec_b32 s12, s17
	s_cbranch_execz .LBB242_119
.LBB242_135:
	v_cmp_ne_u32_e32 vcc_lo, 1, v59
	v_lshlrev_b64 v[22:23], 1, v[30:31]
	s_cbranch_vccnz .LBB242_137
; %bb.136:
	v_add_co_u32 v55, vcc_lo, v40, v22
	v_add_co_ci_u32_e64 v56, null, v41, v23, vcc_lo
	flat_load_ushort v55, v[55:56]
	s_waitcnt vmcnt(0) lgkmcnt(0)
	v_mul_f16_e32 v55, s22, v55
	s_branch .LBB242_138
.LBB242_137:
	v_mov_b32_e32 v55, 0
.LBB242_138:
	v_pk_max_f16 v56, v2, v2
	v_pk_max_f16 v57, v16, v16
	;; [unrolled: 1-line block ×4, first 2 shown]
	v_add_co_u32 v22, vcc_lo, v24, v22
	v_pk_min_f16 v56, v57, v56
	v_add_co_ci_u32_e64 v23, null, v25, v23, vcc_lo
	v_pk_min_f16 v57, v60, v58
	v_pk_add_f16 v54, v54, v56
	v_pk_add_f16 v54, v54, v57
	v_add_f16_sdwa v54, v54, v54 dst_sel:DWORD dst_unused:UNUSED_PAD src0_sel:DWORD src1_sel:WORD_1
	v_add_f16_e32 v54, v54, v55
	flat_store_short v[22:23], v54
	s_or_b32 exec_lo, exec_lo, s12
	s_and_b32 s17, s4, s8
	s_and_saveexec_b32 s12, s17
	s_cbranch_execz .LBB242_120
.LBB242_139:
	v_cmp_ne_u32_e32 vcc_lo, 1, v59
	v_lshlrev_b64 v[22:23], 1, v[32:33]
	s_cbranch_vccnz .LBB242_141
; %bb.140:
	v_add_co_u32 v54, vcc_lo, v40, v22
	v_add_co_ci_u32_e64 v55, null, v41, v23, vcc_lo
	flat_load_ushort v54, v[54:55]
	s_waitcnt vmcnt(0) lgkmcnt(0)
	v_mul_f16_e32 v54, s22, v54
	s_branch .LBB242_142
.LBB242_141:
	v_mov_b32_e32 v54, 0
.LBB242_142:
	v_pk_max_f16 v55, v2, v2
	v_pk_max_f16 v56, v10, v10
	;; [unrolled: 1-line block ×4, first 2 shown]
	v_add_co_u32 v22, vcc_lo, v24, v22
	v_pk_min_f16 v55, v56, v55
	v_add_co_ci_u32_e64 v23, null, v25, v23, vcc_lo
	v_pk_min_f16 v56, v58, v57
	v_pk_add_f16 v53, v53, v55
	v_pk_add_f16 v53, v53, v56
	v_add_f16_sdwa v53, v53, v53 dst_sel:DWORD dst_unused:UNUSED_PAD src0_sel:DWORD src1_sel:WORD_1
	v_add_f16_e32 v53, v53, v54
	flat_store_short v[22:23], v53
	s_or_b32 exec_lo, exec_lo, s12
	s_and_b32 s17, s5, s8
	s_and_saveexec_b32 s12, s17
	s_cbranch_execz .LBB242_121
.LBB242_143:
	v_cmp_ne_u32_e32 vcc_lo, 1, v59
	v_lshlrev_b64 v[22:23], 1, v[34:35]
	s_cbranch_vccnz .LBB242_145
; %bb.144:
	v_add_co_u32 v53, vcc_lo, v40, v22
	v_add_co_ci_u32_e64 v54, null, v41, v23, vcc_lo
	flat_load_ushort v53, v[53:54]
	s_waitcnt vmcnt(0) lgkmcnt(0)
	v_mul_f16_e32 v53, s22, v53
	s_branch .LBB242_146
.LBB242_145:
	v_mov_b32_e32 v53, 0
.LBB242_146:
	v_pk_max_f16 v54, v2, v2
	v_pk_max_f16 v55, v12, v12
	;; [unrolled: 1-line block ×4, first 2 shown]
	v_add_co_u32 v22, vcc_lo, v24, v22
	v_pk_min_f16 v54, v55, v54
	v_add_co_ci_u32_e64 v23, null, v25, v23, vcc_lo
	v_pk_min_f16 v55, v57, v56
	v_pk_add_f16 v52, v52, v54
	v_pk_add_f16 v52, v52, v55
	v_add_f16_sdwa v52, v52, v52 dst_sel:DWORD dst_unused:UNUSED_PAD src0_sel:DWORD src1_sel:WORD_1
	v_add_f16_e32 v52, v52, v53
	flat_store_short v[22:23], v52
	s_or_b32 exec_lo, exec_lo, s12
	s_and_b32 s17, s6, s8
	s_and_saveexec_b32 s12, s17
	s_cbranch_execz .LBB242_122
.LBB242_147:
	v_cmp_ne_u32_e32 vcc_lo, 1, v59
	v_lshlrev_b64 v[22:23], 1, v[36:37]
	s_cbranch_vccnz .LBB242_149
; %bb.148:
	v_add_co_u32 v52, vcc_lo, v40, v22
	v_add_co_ci_u32_e64 v53, null, v41, v23, vcc_lo
	flat_load_ushort v52, v[52:53]
	s_waitcnt vmcnt(0) lgkmcnt(0)
	v_mul_f16_e32 v52, s22, v52
	s_branch .LBB242_150
.LBB242_149:
	v_mov_b32_e32 v52, 0
.LBB242_150:
	v_pk_max_f16 v53, v2, v2
	v_pk_max_f16 v54, v6, v6
	;; [unrolled: 1-line block ×4, first 2 shown]
	v_add_co_u32 v22, vcc_lo, v24, v22
	v_pk_min_f16 v53, v54, v53
	v_add_co_ci_u32_e64 v23, null, v25, v23, vcc_lo
	v_pk_min_f16 v54, v56, v55
	v_pk_add_f16 v51, v51, v53
	v_pk_add_f16 v51, v51, v54
	v_add_f16_sdwa v51, v51, v51 dst_sel:DWORD dst_unused:UNUSED_PAD src0_sel:DWORD src1_sel:WORD_1
	v_add_f16_e32 v51, v51, v52
	flat_store_short v[22:23], v51
	s_or_b32 exec_lo, exec_lo, s12
	s_and_b32 s12, s7, s8
	s_and_saveexec_b32 s8, s12
	s_cbranch_execz .LBB242_155
.LBB242_151:
	v_cmp_ne_u32_e32 vcc_lo, 1, v59
	v_lshlrev_b64 v[22:23], 1, v[38:39]
	s_cbranch_vccnz .LBB242_153
; %bb.152:
	v_add_co_u32 v40, vcc_lo, v40, v22
	v_add_co_ci_u32_e64 v41, null, v41, v23, vcc_lo
	flat_load_ushort v40, v[40:41]
	s_waitcnt vmcnt(0) lgkmcnt(0)
	v_mul_f16_e32 v40, s22, v40
	s_branch .LBB242_154
.LBB242_153:
	v_mov_b32_e32 v40, 0
.LBB242_154:
	v_pk_max_f16 v2, v2, v2
	v_pk_max_f16 v41, v8, v8
	;; [unrolled: 1-line block ×4, first 2 shown]
	v_pk_min_f16 v2, v41, v2
	v_pk_min_f16 v3, v51, v3
	v_pk_add_f16 v2, v50, v2
	v_pk_add_f16 v2, v2, v3
	v_add_f16_sdwa v2, v2, v2 dst_sel:DWORD dst_unused:UNUSED_PAD src0_sel:DWORD src1_sel:WORD_1
	v_add_f16_e32 v40, v2, v40
	v_add_co_u32 v2, vcc_lo, v24, v22
	v_add_co_ci_u32_e64 v3, null, v25, v23, vcc_lo
	flat_store_short v[2:3], v40
.LBB242_155:
	s_or_b32 exec_lo, exec_lo, s8
	v_add_nc_u32_e32 v24, 0x60, v67
	v_mad_i64_i32 v[2:3], null, v24, s14, 0
	v_mad_i64_i32 v[22:23], null, v24, s9, 0
	v_cmp_gt_i32_e64 s8, s13, v24
	v_lshlrev_b64 v[2:3], 1, v[2:3]
	s_and_b32 s9, s0, s8
	v_lshlrev_b64 v[24:25], 1, v[22:23]
	v_add_co_u32 v22, vcc_lo, s10, v2
	v_add_co_ci_u32_e64 v23, null, s11, v3, vcc_lo
	v_add_co_u32 v2, vcc_lo, s15, v24
	v_add_co_ci_u32_e64 v3, null, s16, v25, vcc_lo
	s_and_saveexec_b32 s0, s9
	s_cbranch_execnz .LBB242_164
; %bb.156:
	s_or_b32 exec_lo, exec_lo, s0
	s_and_b32 s1, s1, s8
	s_and_saveexec_b32 s0, s1
	s_cbranch_execnz .LBB242_168
.LBB242_157:
	s_or_b32 exec_lo, exec_lo, s0
	s_and_b32 s1, s2, s8
	s_and_saveexec_b32 s0, s1
	s_cbranch_execnz .LBB242_172
.LBB242_158:
	s_or_b32 exec_lo, exec_lo, s0
	s_and_b32 s1, s3, s8
	s_and_saveexec_b32 s0, s1
	s_cbranch_execnz .LBB242_176
.LBB242_159:
	s_or_b32 exec_lo, exec_lo, s0
	s_and_b32 s1, s4, s8
	s_and_saveexec_b32 s0, s1
	s_cbranch_execnz .LBB242_180
.LBB242_160:
	s_or_b32 exec_lo, exec_lo, s0
	s_and_b32 s1, s5, s8
	s_and_saveexec_b32 s0, s1
	s_cbranch_execnz .LBB242_184
.LBB242_161:
	s_or_b32 exec_lo, exec_lo, s0
	s_and_b32 s1, s6, s8
	s_and_saveexec_b32 s0, s1
	s_cbranch_execnz .LBB242_188
.LBB242_162:
	s_or_b32 exec_lo, exec_lo, s0
	s_and_b32 s0, s7, s8
	s_and_saveexec_b32 s1, s0
	s_cbranch_execnz .LBB242_192
.LBB242_163:
	s_endpgm
.LBB242_164:
	v_cmp_ne_u32_e32 vcc_lo, 1, v59
	v_lshlrev_b64 v[0:1], 1, v[0:1]
	s_cbranch_vccnz .LBB242_166
; %bb.165:
	v_add_co_u32 v24, vcc_lo, v22, v0
	v_add_co_ci_u32_e64 v25, null, v23, v1, vcc_lo
	flat_load_ushort v24, v[24:25]
	s_waitcnt vmcnt(0) lgkmcnt(0)
	v_mul_f16_e32 v24, s22, v24
	s_branch .LBB242_167
.LBB242_166:
	v_mov_b32_e32 v24, 0
.LBB242_167:
	v_pk_max_f16 v25, v4, v4
	v_pk_max_f16 v18, v18, v18
	;; [unrolled: 1-line block ×4, first 2 shown]
	v_add_co_u32 v0, vcc_lo, v2, v0
	v_pk_min_f16 v18, v18, v25
	v_add_co_ci_u32_e64 v1, null, v3, v1, vcc_lo
	v_pk_min_f16 v19, v19, v40
	v_pk_add_f16 v18, v49, v18
	v_pk_add_f16 v18, v18, v19
	v_add_f16_sdwa v18, v18, v18 dst_sel:DWORD dst_unused:UNUSED_PAD src0_sel:DWORD src1_sel:WORD_1
	v_add_f16_e32 v18, v18, v24
	flat_store_short v[0:1], v18
	s_or_b32 exec_lo, exec_lo, s0
	s_and_b32 s1, s1, s8
	s_and_saveexec_b32 s0, s1
	s_cbranch_execz .LBB242_157
.LBB242_168:
	v_cmp_ne_u32_e32 vcc_lo, 1, v59
	v_lshlrev_b64 v[0:1], 1, v[26:27]
	s_cbranch_vccnz .LBB242_170
; %bb.169:
	v_add_co_u32 v18, vcc_lo, v22, v0
	v_add_co_ci_u32_e64 v19, null, v23, v1, vcc_lo
	flat_load_ushort v18, v[18:19]
	s_waitcnt vmcnt(0) lgkmcnt(0)
	v_mul_f16_e32 v18, s22, v18
	s_branch .LBB242_171
.LBB242_170:
	v_mov_b32_e32 v18, 0
.LBB242_171:
	v_pk_max_f16 v19, v4, v4
	v_pk_max_f16 v20, v20, v20
	;; [unrolled: 1-line block ×4, first 2 shown]
	v_add_co_u32 v0, vcc_lo, v2, v0
	v_pk_min_f16 v19, v20, v19
	v_add_co_ci_u32_e64 v1, null, v3, v1, vcc_lo
	v_pk_min_f16 v20, v21, v24
	v_pk_add_f16 v19, v48, v19
	v_pk_add_f16 v19, v19, v20
	v_add_f16_sdwa v19, v19, v19 dst_sel:DWORD dst_unused:UNUSED_PAD src0_sel:DWORD src1_sel:WORD_1
	v_add_f16_e32 v18, v19, v18
	flat_store_short v[0:1], v18
	s_or_b32 exec_lo, exec_lo, s0
	s_and_b32 s1, s2, s8
	s_and_saveexec_b32 s0, s1
	s_cbranch_execz .LBB242_158
.LBB242_172:
	v_cmp_ne_u32_e32 vcc_lo, 1, v59
	v_lshlrev_b64 v[0:1], 1, v[28:29]
	s_cbranch_vccnz .LBB242_174
; %bb.173:
	v_add_co_u32 v18, vcc_lo, v22, v0
	v_add_co_ci_u32_e64 v19, null, v23, v1, vcc_lo
	flat_load_ushort v18, v[18:19]
	s_waitcnt vmcnt(0) lgkmcnt(0)
	v_mul_f16_e32 v18, s22, v18
	s_branch .LBB242_175
.LBB242_174:
	v_mov_b32_e32 v18, 0
.LBB242_175:
	v_pk_max_f16 v19, v4, v4
	v_pk_max_f16 v14, v14, v14
	;; [unrolled: 1-line block ×4, first 2 shown]
	v_add_co_u32 v0, vcc_lo, v2, v0
	v_pk_min_f16 v14, v14, v19
	v_add_co_ci_u32_e64 v1, null, v3, v1, vcc_lo
	v_pk_min_f16 v15, v15, v20
	v_pk_add_f16 v14, v47, v14
	v_pk_add_f16 v14, v14, v15
	v_add_f16_sdwa v14, v14, v14 dst_sel:DWORD dst_unused:UNUSED_PAD src0_sel:DWORD src1_sel:WORD_1
	v_add_f16_e32 v14, v14, v18
	flat_store_short v[0:1], v14
	s_or_b32 exec_lo, exec_lo, s0
	s_and_b32 s1, s3, s8
	s_and_saveexec_b32 s0, s1
	s_cbranch_execz .LBB242_159
.LBB242_176:
	v_cmp_ne_u32_e32 vcc_lo, 1, v59
	v_lshlrev_b64 v[0:1], 1, v[30:31]
	s_cbranch_vccnz .LBB242_178
; %bb.177:
	v_add_co_u32 v14, vcc_lo, v22, v0
	v_add_co_ci_u32_e64 v15, null, v23, v1, vcc_lo
	flat_load_ushort v14, v[14:15]
	s_waitcnt vmcnt(0) lgkmcnt(0)
	v_mul_f16_e32 v14, s22, v14
	s_branch .LBB242_179
.LBB242_178:
	v_mov_b32_e32 v14, 0
.LBB242_179:
	v_pk_max_f16 v15, v4, v4
	v_pk_max_f16 v16, v16, v16
	;; [unrolled: 1-line block ×4, first 2 shown]
	v_add_co_u32 v0, vcc_lo, v2, v0
	v_pk_min_f16 v15, v16, v15
	v_add_co_ci_u32_e64 v1, null, v3, v1, vcc_lo
	v_pk_min_f16 v16, v17, v18
	v_pk_add_f16 v15, v46, v15
	v_pk_add_f16 v15, v15, v16
	v_add_f16_sdwa v15, v15, v15 dst_sel:DWORD dst_unused:UNUSED_PAD src0_sel:DWORD src1_sel:WORD_1
	v_add_f16_e32 v14, v15, v14
	flat_store_short v[0:1], v14
	s_or_b32 exec_lo, exec_lo, s0
	s_and_b32 s1, s4, s8
	s_and_saveexec_b32 s0, s1
	s_cbranch_execz .LBB242_160
.LBB242_180:
	v_cmp_ne_u32_e32 vcc_lo, 1, v59
	v_lshlrev_b64 v[0:1], 1, v[32:33]
	s_cbranch_vccnz .LBB242_182
; %bb.181:
	v_add_co_u32 v14, vcc_lo, v22, v0
	v_add_co_ci_u32_e64 v15, null, v23, v1, vcc_lo
	flat_load_ushort v14, v[14:15]
	s_waitcnt vmcnt(0) lgkmcnt(0)
	v_mul_f16_e32 v14, s22, v14
	s_branch .LBB242_183
.LBB242_182:
	v_mov_b32_e32 v14, 0
.LBB242_183:
	v_pk_max_f16 v15, v4, v4
	v_pk_max_f16 v10, v10, v10
	;; [unrolled: 1-line block ×4, first 2 shown]
	v_add_co_u32 v0, vcc_lo, v2, v0
	v_pk_min_f16 v10, v10, v15
	v_add_co_ci_u32_e64 v1, null, v3, v1, vcc_lo
	v_pk_min_f16 v11, v11, v16
	v_pk_add_f16 v10, v45, v10
	v_pk_add_f16 v10, v10, v11
	v_add_f16_sdwa v10, v10, v10 dst_sel:DWORD dst_unused:UNUSED_PAD src0_sel:DWORD src1_sel:WORD_1
	v_add_f16_e32 v10, v10, v14
	flat_store_short v[0:1], v10
	s_or_b32 exec_lo, exec_lo, s0
	s_and_b32 s1, s5, s8
	s_and_saveexec_b32 s0, s1
	s_cbranch_execz .LBB242_161
.LBB242_184:
	v_cmp_ne_u32_e32 vcc_lo, 1, v59
	v_lshlrev_b64 v[0:1], 1, v[34:35]
	s_cbranch_vccnz .LBB242_186
; %bb.185:
	v_add_co_u32 v10, vcc_lo, v22, v0
	v_add_co_ci_u32_e64 v11, null, v23, v1, vcc_lo
	flat_load_ushort v10, v[10:11]
	s_waitcnt vmcnt(0) lgkmcnt(0)
	v_mul_f16_e32 v10, s22, v10
	s_branch .LBB242_187
.LBB242_186:
	v_mov_b32_e32 v10, 0
.LBB242_187:
	v_pk_max_f16 v11, v4, v4
	v_pk_max_f16 v12, v12, v12
	;; [unrolled: 1-line block ×4, first 2 shown]
	v_add_co_u32 v0, vcc_lo, v2, v0
	v_pk_min_f16 v11, v12, v11
	v_add_co_ci_u32_e64 v1, null, v3, v1, vcc_lo
	v_pk_min_f16 v12, v13, v14
	v_pk_add_f16 v11, v44, v11
	v_pk_add_f16 v11, v11, v12
	v_add_f16_sdwa v11, v11, v11 dst_sel:DWORD dst_unused:UNUSED_PAD src0_sel:DWORD src1_sel:WORD_1
	v_add_f16_e32 v10, v11, v10
	flat_store_short v[0:1], v10
	s_or_b32 exec_lo, exec_lo, s0
	s_and_b32 s1, s6, s8
	s_and_saveexec_b32 s0, s1
	s_cbranch_execz .LBB242_162
.LBB242_188:
	v_cmp_ne_u32_e32 vcc_lo, 1, v59
	v_lshlrev_b64 v[0:1], 1, v[36:37]
	s_cbranch_vccnz .LBB242_190
; %bb.189:
	v_add_co_u32 v10, vcc_lo, v22, v0
	v_add_co_ci_u32_e64 v11, null, v23, v1, vcc_lo
	flat_load_ushort v10, v[10:11]
	s_waitcnt vmcnt(0) lgkmcnt(0)
	v_mul_f16_e32 v10, s22, v10
	s_branch .LBB242_191
.LBB242_190:
	v_mov_b32_e32 v10, 0
.LBB242_191:
	v_pk_max_f16 v11, v4, v4
	v_pk_max_f16 v6, v6, v6
	v_pk_max_f16 v12, v5, v5
	v_pk_max_f16 v7, v7, v7
	v_add_co_u32 v0, vcc_lo, v2, v0
	v_pk_min_f16 v6, v6, v11
	v_add_co_ci_u32_e64 v1, null, v3, v1, vcc_lo
	v_pk_min_f16 v7, v7, v12
	v_pk_add_f16 v6, v43, v6
	v_pk_add_f16 v6, v6, v7
	v_add_f16_sdwa v6, v6, v6 dst_sel:DWORD dst_unused:UNUSED_PAD src0_sel:DWORD src1_sel:WORD_1
	v_add_f16_e32 v6, v6, v10
	flat_store_short v[0:1], v6
	s_or_b32 exec_lo, exec_lo, s0
	s_and_b32 s0, s7, s8
	s_and_saveexec_b32 s1, s0
	s_cbranch_execz .LBB242_163
.LBB242_192:
	v_cmp_ne_u32_e32 vcc_lo, 1, v59
	v_lshlrev_b64 v[0:1], 1, v[38:39]
	s_cbranch_vccnz .LBB242_194
; %bb.193:
	v_add_co_u32 v6, vcc_lo, v22, v0
	v_add_co_ci_u32_e64 v7, null, v23, v1, vcc_lo
	flat_load_ushort v6, v[6:7]
	s_waitcnt vmcnt(0) lgkmcnt(0)
	v_mul_f16_e32 v6, s22, v6
	s_branch .LBB242_195
.LBB242_194:
	v_mov_b32_e32 v6, 0
.LBB242_195:
	v_pk_max_f16 v4, v4, v4
	v_pk_max_f16 v7, v8, v8
	;; [unrolled: 1-line block ×4, first 2 shown]
	v_add_co_u32 v0, vcc_lo, v2, v0
	v_pk_min_f16 v4, v7, v4
	v_add_co_ci_u32_e64 v1, null, v3, v1, vcc_lo
	v_pk_min_f16 v5, v8, v5
	v_pk_add_f16 v4, v42, v4
	v_pk_add_f16 v4, v4, v5
	v_add_f16_sdwa v4, v4, v4 dst_sel:DWORD dst_unused:UNUSED_PAD src0_sel:DWORD src1_sel:WORD_1
	v_add_f16_e32 v4, v4, v6
	flat_store_short v[0:1], v4
	s_endpgm
	.section	.rodata,"a",@progbits
	.p2align	6, 0x0
	.amdhsa_kernel _ZN12_GLOBAL__N_120geam_min_plus_kernelIDF16_Dv2_DF16_S1_Li8ELi32ELi64ELi128ELi4ELi4ELi64ELi4ELi64ELc84ELc78ELb0ELb1ELb0EDF16_KPKDF16_KPDF16_EEviiiT16_PT17_ilS9_ilS7_S9_ilPT18_ili26rocblas_geam_ex_operation_
		.amdhsa_group_segment_fixed_size 3072
		.amdhsa_private_segment_fixed_size 0
		.amdhsa_kernarg_size 128
		.amdhsa_user_sgpr_count 6
		.amdhsa_user_sgpr_private_segment_buffer 1
		.amdhsa_user_sgpr_dispatch_ptr 0
		.amdhsa_user_sgpr_queue_ptr 0
		.amdhsa_user_sgpr_kernarg_segment_ptr 1
		.amdhsa_user_sgpr_dispatch_id 0
		.amdhsa_user_sgpr_flat_scratch_init 0
		.amdhsa_user_sgpr_private_segment_size 0
		.amdhsa_wavefront_size32 1
		.amdhsa_uses_dynamic_stack 0
		.amdhsa_system_sgpr_private_segment_wavefront_offset 0
		.amdhsa_system_sgpr_workgroup_id_x 1
		.amdhsa_system_sgpr_workgroup_id_y 0
		.amdhsa_system_sgpr_workgroup_id_z 1
		.amdhsa_system_sgpr_workgroup_info 0
		.amdhsa_system_vgpr_workitem_id 1
		.amdhsa_next_free_vgpr 119
		.amdhsa_next_free_sgpr 30
		.amdhsa_reserve_vcc 1
		.amdhsa_reserve_flat_scratch 0
		.amdhsa_float_round_mode_32 0
		.amdhsa_float_round_mode_16_64 0
		.amdhsa_float_denorm_mode_32 3
		.amdhsa_float_denorm_mode_16_64 3
		.amdhsa_dx10_clamp 1
		.amdhsa_ieee_mode 1
		.amdhsa_fp16_overflow 0
		.amdhsa_workgroup_processor_mode 1
		.amdhsa_memory_ordered 1
		.amdhsa_forward_progress 1
		.amdhsa_shared_vgpr_count 0
		.amdhsa_exception_fp_ieee_invalid_op 0
		.amdhsa_exception_fp_denorm_src 0
		.amdhsa_exception_fp_ieee_div_zero 0
		.amdhsa_exception_fp_ieee_overflow 0
		.amdhsa_exception_fp_ieee_underflow 0
		.amdhsa_exception_fp_ieee_inexact 0
		.amdhsa_exception_int_div_zero 0
	.end_amdhsa_kernel
	.section	.text._ZN12_GLOBAL__N_120geam_min_plus_kernelIDF16_Dv2_DF16_S1_Li8ELi32ELi64ELi128ELi4ELi4ELi64ELi4ELi64ELc84ELc78ELb0ELb1ELb0EDF16_KPKDF16_KPDF16_EEviiiT16_PT17_ilS9_ilS7_S9_ilPT18_ili26rocblas_geam_ex_operation_,"axG",@progbits,_ZN12_GLOBAL__N_120geam_min_plus_kernelIDF16_Dv2_DF16_S1_Li8ELi32ELi64ELi128ELi4ELi4ELi64ELi4ELi64ELc84ELc78ELb0ELb1ELb0EDF16_KPKDF16_KPDF16_EEviiiT16_PT17_ilS9_ilS7_S9_ilPT18_ili26rocblas_geam_ex_operation_,comdat
.Lfunc_end242:
	.size	_ZN12_GLOBAL__N_120geam_min_plus_kernelIDF16_Dv2_DF16_S1_Li8ELi32ELi64ELi128ELi4ELi4ELi64ELi4ELi64ELc84ELc78ELb0ELb1ELb0EDF16_KPKDF16_KPDF16_EEviiiT16_PT17_ilS9_ilS7_S9_ilPT18_ili26rocblas_geam_ex_operation_, .Lfunc_end242-_ZN12_GLOBAL__N_120geam_min_plus_kernelIDF16_Dv2_DF16_S1_Li8ELi32ELi64ELi128ELi4ELi4ELi64ELi4ELi64ELc84ELc78ELb0ELb1ELb0EDF16_KPKDF16_KPDF16_EEviiiT16_PT17_ilS9_ilS7_S9_ilPT18_ili26rocblas_geam_ex_operation_
                                        ; -- End function
	.set _ZN12_GLOBAL__N_120geam_min_plus_kernelIDF16_Dv2_DF16_S1_Li8ELi32ELi64ELi128ELi4ELi4ELi64ELi4ELi64ELc84ELc78ELb0ELb1ELb0EDF16_KPKDF16_KPDF16_EEviiiT16_PT17_ilS9_ilS7_S9_ilPT18_ili26rocblas_geam_ex_operation_.num_vgpr, 119
	.set _ZN12_GLOBAL__N_120geam_min_plus_kernelIDF16_Dv2_DF16_S1_Li8ELi32ELi64ELi128ELi4ELi4ELi64ELi4ELi64ELc84ELc78ELb0ELb1ELb0EDF16_KPKDF16_KPDF16_EEviiiT16_PT17_ilS9_ilS7_S9_ilPT18_ili26rocblas_geam_ex_operation_.num_agpr, 0
	.set _ZN12_GLOBAL__N_120geam_min_plus_kernelIDF16_Dv2_DF16_S1_Li8ELi32ELi64ELi128ELi4ELi4ELi64ELi4ELi64ELc84ELc78ELb0ELb1ELb0EDF16_KPKDF16_KPDF16_EEviiiT16_PT17_ilS9_ilS7_S9_ilPT18_ili26rocblas_geam_ex_operation_.numbered_sgpr, 30
	.set _ZN12_GLOBAL__N_120geam_min_plus_kernelIDF16_Dv2_DF16_S1_Li8ELi32ELi64ELi128ELi4ELi4ELi64ELi4ELi64ELc84ELc78ELb0ELb1ELb0EDF16_KPKDF16_KPDF16_EEviiiT16_PT17_ilS9_ilS7_S9_ilPT18_ili26rocblas_geam_ex_operation_.num_named_barrier, 0
	.set _ZN12_GLOBAL__N_120geam_min_plus_kernelIDF16_Dv2_DF16_S1_Li8ELi32ELi64ELi128ELi4ELi4ELi64ELi4ELi64ELc84ELc78ELb0ELb1ELb0EDF16_KPKDF16_KPDF16_EEviiiT16_PT17_ilS9_ilS7_S9_ilPT18_ili26rocblas_geam_ex_operation_.private_seg_size, 0
	.set _ZN12_GLOBAL__N_120geam_min_plus_kernelIDF16_Dv2_DF16_S1_Li8ELi32ELi64ELi128ELi4ELi4ELi64ELi4ELi64ELc84ELc78ELb0ELb1ELb0EDF16_KPKDF16_KPDF16_EEviiiT16_PT17_ilS9_ilS7_S9_ilPT18_ili26rocblas_geam_ex_operation_.uses_vcc, 1
	.set _ZN12_GLOBAL__N_120geam_min_plus_kernelIDF16_Dv2_DF16_S1_Li8ELi32ELi64ELi128ELi4ELi4ELi64ELi4ELi64ELc84ELc78ELb0ELb1ELb0EDF16_KPKDF16_KPDF16_EEviiiT16_PT17_ilS9_ilS7_S9_ilPT18_ili26rocblas_geam_ex_operation_.uses_flat_scratch, 0
	.set _ZN12_GLOBAL__N_120geam_min_plus_kernelIDF16_Dv2_DF16_S1_Li8ELi32ELi64ELi128ELi4ELi4ELi64ELi4ELi64ELc84ELc78ELb0ELb1ELb0EDF16_KPKDF16_KPDF16_EEviiiT16_PT17_ilS9_ilS7_S9_ilPT18_ili26rocblas_geam_ex_operation_.has_dyn_sized_stack, 0
	.set _ZN12_GLOBAL__N_120geam_min_plus_kernelIDF16_Dv2_DF16_S1_Li8ELi32ELi64ELi128ELi4ELi4ELi64ELi4ELi64ELc84ELc78ELb0ELb1ELb0EDF16_KPKDF16_KPDF16_EEviiiT16_PT17_ilS9_ilS7_S9_ilPT18_ili26rocblas_geam_ex_operation_.has_recursion, 0
	.set _ZN12_GLOBAL__N_120geam_min_plus_kernelIDF16_Dv2_DF16_S1_Li8ELi32ELi64ELi128ELi4ELi4ELi64ELi4ELi64ELc84ELc78ELb0ELb1ELb0EDF16_KPKDF16_KPDF16_EEviiiT16_PT17_ilS9_ilS7_S9_ilPT18_ili26rocblas_geam_ex_operation_.has_indirect_call, 0
	.section	.AMDGPU.csdata,"",@progbits
; Kernel info:
; codeLenInByte = 12148
; TotalNumSgprs: 32
; NumVgprs: 119
; ScratchSize: 0
; MemoryBound: 0
; FloatMode: 240
; IeeeMode: 1
; LDSByteSize: 3072 bytes/workgroup (compile time only)
; SGPRBlocks: 0
; VGPRBlocks: 14
; NumSGPRsForWavesPerEU: 32
; NumVGPRsForWavesPerEU: 119
; Occupancy: 8
; WaveLimiterHint : 1
; COMPUTE_PGM_RSRC2:SCRATCH_EN: 0
; COMPUTE_PGM_RSRC2:USER_SGPR: 6
; COMPUTE_PGM_RSRC2:TRAP_HANDLER: 0
; COMPUTE_PGM_RSRC2:TGID_X_EN: 1
; COMPUTE_PGM_RSRC2:TGID_Y_EN: 0
; COMPUTE_PGM_RSRC2:TGID_Z_EN: 1
; COMPUTE_PGM_RSRC2:TIDIG_COMP_CNT: 1
	.section	.text._ZN12_GLOBAL__N_120geam_min_plus_kernelIDF16_Dv2_DF16_S1_Li8ELi32ELi64ELi128ELi4ELi64ELi4ELi64ELi4ELc78ELc84ELb0ELb0ELb0EPKDF16_KS3_KPDF16_EEviiiT16_PT17_ilS9_ilS7_S9_ilPT18_ili26rocblas_geam_ex_operation_,"axG",@progbits,_ZN12_GLOBAL__N_120geam_min_plus_kernelIDF16_Dv2_DF16_S1_Li8ELi32ELi64ELi128ELi4ELi64ELi4ELi64ELi4ELc78ELc84ELb0ELb0ELb0EPKDF16_KS3_KPDF16_EEviiiT16_PT17_ilS9_ilS7_S9_ilPT18_ili26rocblas_geam_ex_operation_,comdat
	.globl	_ZN12_GLOBAL__N_120geam_min_plus_kernelIDF16_Dv2_DF16_S1_Li8ELi32ELi64ELi128ELi4ELi64ELi4ELi64ELi4ELc78ELc84ELb0ELb0ELb0EPKDF16_KS3_KPDF16_EEviiiT16_PT17_ilS9_ilS7_S9_ilPT18_ili26rocblas_geam_ex_operation_ ; -- Begin function _ZN12_GLOBAL__N_120geam_min_plus_kernelIDF16_Dv2_DF16_S1_Li8ELi32ELi64ELi128ELi4ELi64ELi4ELi64ELi4ELc78ELc84ELb0ELb0ELb0EPKDF16_KS3_KPDF16_EEviiiT16_PT17_ilS9_ilS7_S9_ilPT18_ili26rocblas_geam_ex_operation_
	.p2align	8
	.type	_ZN12_GLOBAL__N_120geam_min_plus_kernelIDF16_Dv2_DF16_S1_Li8ELi32ELi64ELi128ELi4ELi64ELi4ELi64ELi4ELc78ELc84ELb0ELb0ELb0EPKDF16_KS3_KPDF16_EEviiiT16_PT17_ilS9_ilS7_S9_ilPT18_ili26rocblas_geam_ex_operation_,@function
_ZN12_GLOBAL__N_120geam_min_plus_kernelIDF16_Dv2_DF16_S1_Li8ELi32ELi64ELi128ELi4ELi64ELi4ELi64ELi4ELc78ELc84ELb0ELb0ELb0EPKDF16_KS3_KPDF16_EEviiiT16_PT17_ilS9_ilS7_S9_ilPT18_ili26rocblas_geam_ex_operation_: ; @_ZN12_GLOBAL__N_120geam_min_plus_kernelIDF16_Dv2_DF16_S1_Li8ELi32ELi64ELi128ELi4ELi64ELi4ELi64ELi4ELc78ELc84ELb0ELb0ELb0EPKDF16_KS3_KPDF16_EEviiiT16_PT17_ilS9_ilS7_S9_ilPT18_ili26rocblas_geam_ex_operation_
; %bb.0:
	s_clause 0x1
	s_load_dwordx4 s[16:19], s[4:5], 0x10
	s_load_dwordx4 s[8:11], s[4:5], 0x28
	s_mov_b32 s20, s7
	s_mov_b32 s21, 0
	v_mov_b32_e32 v2, 0
	s_lshl_b64 s[0:1], s[20:21], 1
	s_waitcnt lgkmcnt(0)
	s_add_u32 s2, s16, s0
	s_addc_u32 s3, s17, s1
	s_mov_b64 s[16:17], 0
	global_load_ushort v35, v2, s[2:3]
	s_clause 0x1
	s_load_dwordx4 s[12:15], s[4:5], 0x40
	s_load_dwordx2 s[22:23], s[4:5], 0x50
	s_waitcnt lgkmcnt(0)
	s_add_u32 s24, s14, s0
	s_addc_u32 s25, s15, s1
	s_mov_b64 s[14:15], 0
	s_waitcnt vmcnt(0)
	v_cmp_eq_f16_e32 vcc_lo, 0, v35
	v_cmp_neq_f16_e64 s2, 0, v35
	s_and_b32 s0, exec_lo, vcc_lo
	s_mov_b32 vcc_lo, s0
	s_cbranch_vccnz .LBB243_2
; %bb.1:
	s_lshl_b64 s[14:15], s[20:21], 3
	s_add_u32 s14, s18, s14
	s_addc_u32 s15, s19, s15
	s_lshl_b64 s[8:9], s[8:9], 1
	s_load_dwordx2 s[14:15], s[14:15], 0x0
	s_waitcnt lgkmcnt(0)
	s_add_u32 s14, s14, s8
	s_addc_u32 s15, s15, s9
.LBB243_2:
	global_load_ushort v34, v2, s[24:25]
	v_cndmask_b32_e64 v2, 0, 1, s2
	s_andn2_b32 vcc_lo, exec_lo, s2
	v_cmp_ne_u32_e64 s1, 1, v2
	s_cbranch_vccnz .LBB243_4
; %bb.3:
	s_lshl_b64 s[2:3], s[20:21], 3
	s_add_u32 s2, s10, s2
	s_addc_u32 s3, s11, s3
	s_lshl_b64 s[8:9], s[12:13], 1
	s_load_dwordx2 s[2:3], s[2:3], 0x0
	s_waitcnt lgkmcnt(0)
	s_add_u32 s16, s2, s8
	s_addc_u32 s17, s3, s9
.LBB243_4:
	s_load_dwordx4 s[8:11], s[4:5], 0x60
	s_waitcnt vmcnt(0)
	v_cmp_eq_f16_e32 vcc_lo, 0, v34
	s_cbranch_vccnz .LBB243_6
; %bb.5:
	s_lshl_b64 s[2:3], s[20:21], 3
	s_add_u32 s2, s22, s2
	s_addc_u32 s3, s23, s3
	s_waitcnt lgkmcnt(0)
	s_lshl_b64 s[8:9], s[8:9], 1
	s_load_dwordx2 s[2:3], s[2:3], 0x0
	s_waitcnt lgkmcnt(0)
	s_add_u32 s8, s2, s8
	s_addc_u32 s9, s3, s9
	s_branch .LBB243_7
.LBB243_6:
	s_waitcnt lgkmcnt(0)
	s_mov_b64 s[8:9], 0
.LBB243_7:
	s_clause 0x2
	s_load_dword s12, s[4:5], 0x20
	s_load_dword s18, s[4:5], 0x38
	;; [unrolled: 1-line block ×3, first 2 shown]
	s_lshl_b64 s[2:3], s[20:21], 3
	v_lshl_add_u32 v3, v1, 3, v0
	v_mov_b32_e32 v10, 0
	v_and_b32_e32 v6, 63, v3
	v_lshrrev_b32_e32 v7, 6, v3
	s_waitcnt lgkmcnt(0)
	s_ashr_i32 s13, s12, 31
	s_ashr_i32 s19, s18, 31
	s_add_u32 s2, s10, s2
	s_addc_u32 s3, s11, s3
	s_add_i32 s7, s7, -1
	s_ashr_i32 s10, s7, 31
	s_lshr_b32 s10, s10, 26
	s_add_i32 s7, s7, s10
	s_ashr_i32 s7, s7, 6
	s_add_i32 s10, s7, 1
	s_not_b32 s7, s7
	v_cvt_f32_u32_e32 v2, s10
	v_rcp_iflag_f32_e32 v2, v2
	v_mul_f32_e32 v2, 0x4f7ffffe, v2
	v_cvt_u32_f32_e32 v2, v2
	v_readfirstlane_b32 s11, v2
	s_mul_i32 s7, s7, s11
	s_mul_hi_u32 s7, s11, s7
	s_add_i32 s11, s11, s7
	s_mul_hi_u32 s7, s6, s11
	s_mul_i32 s11, s7, s10
	s_add_i32 s20, s7, 1
	s_sub_i32 s11, s6, s11
	s_sub_i32 s21, s11, s10
	s_cmp_ge_u32 s11, s10
	s_cselect_b32 s7, s20, s7
	s_cselect_b32 s11, s21, s11
	s_add_i32 s20, s7, 1
	s_cmp_ge_u32 s11, s10
	s_cselect_b32 s11, s20, s7
	s_and_b32 vcc_lo, exec_lo, s1
	s_mul_i32 s7, s11, s10
	s_lshl_b32 s20, s11, 7
	s_sub_i32 s10, s6, s7
	v_or_b32_e32 v2, s20, v6
	s_lshl_b32 s21, s10, 6
	v_or_b32_e32 v4, s21, v6
	v_ashrrev_i32_e32 v3, 31, v2
	v_ashrrev_i32_e32 v5, 31, v4
	s_cbranch_vccnz .LBB243_10
; %bb.8:
	v_mad_i64_i32 v[8:9], null, s18, v7, 0
	v_mad_i64_i32 v[11:12], null, s12, v7, 0
	v_lshlrev_b64 v[15:16], 1, v[2:3]
	v_lshlrev_b64 v[13:14], 1, v[4:5]
	;; [unrolled: 1-line block ×4, first 2 shown]
	v_add_co_u32 v8, vcc_lo, s16, v8
	v_add_co_ci_u32_e64 v9, null, s17, v9, vcc_lo
	v_add_co_u32 v11, vcc_lo, s14, v11
	v_add_co_ci_u32_e64 v12, null, s15, v12, vcc_lo
	;; [unrolled: 2-line block ×4, first 2 shown]
	flat_load_ushort v13, v[8:9]
	flat_load_ushort v11, v[11:12]
	flat_load_ushort v9, v[8:9] offset:128
	s_waitcnt vmcnt(2) lgkmcnt(2)
	v_mul_f16_e32 v8, v35, v13
	s_waitcnt vmcnt(1) lgkmcnt(1)
	v_mul_f16_e32 v11, v35, v11
	;; [unrolled: 2-line block ×3, first 2 shown]
	v_pack_b32_f16 v8, v8, 0
	s_and_b32 vcc_lo, exec_lo, s1
	s_cbranch_vccnz .LBB243_11
.LBB243_9:
	v_add_nc_u32_e32 v10, 4, v7
	v_lshlrev_b64 v[2:3], 1, v[2:3]
	v_lshlrev_b64 v[4:5], 1, v[4:5]
	v_mad_i64_i32 v[12:13], null, s18, v10, 0
	v_mad_i64_i32 v[14:15], null, s12, v10, 0
	v_lshlrev_b64 v[12:13], 1, v[12:13]
	v_lshlrev_b64 v[14:15], 1, v[14:15]
	v_add_co_u32 v10, vcc_lo, s16, v12
	v_add_co_ci_u32_e64 v12, null, s17, v13, vcc_lo
	v_add_co_u32 v13, vcc_lo, s14, v14
	v_add_co_ci_u32_e64 v14, null, s15, v15, vcc_lo
	;; [unrolled: 2-line block ×4, first 2 shown]
	flat_load_ushort v10, v[2:3]
	flat_load_ushort v4, v[4:5]
	flat_load_ushort v2, v[2:3] offset:128
	s_waitcnt vmcnt(2) lgkmcnt(2)
	v_mul_f16_e32 v3, v35, v10
	s_waitcnt vmcnt(1) lgkmcnt(1)
	v_mul_f16_e32 v10, v35, v4
	;; [unrolled: 2-line block ×3, first 2 shown]
	v_pack_b32_f16 v3, v3, 0
	s_branch .LBB243_12
.LBB243_10:
	v_mov_b32_e32 v8, 0
	v_mov_b32_e32 v11, 0
	;; [unrolled: 1-line block ×3, first 2 shown]
	s_and_b32 vcc_lo, exec_lo, s1
	s_cbranch_vccz .LBB243_9
.LBB243_11:
	v_mov_b32_e32 v3, 0
	v_mov_b32_e32 v4, 0
.LBB243_12:
	v_lshlrev_b32_e32 v2, 3, v6
	v_lshlrev_b32_e32 v37, 3, v0
	;; [unrolled: 1-line block ×3, first 2 shown]
	s_load_dwordx2 s[2:3], s[2:3], 0x0
	s_load_dword s1, s[4:5], 0x8
	v_lshl_add_u32 v38, v7, 1, v2
	v_add_nc_u32_e32 v2, 0x800, v37
	ds_write_b16 v38, v11 offset:2048
	ds_write_b16 v38, v8
	ds_write_b16 v38, v9 offset:512
	s_waitcnt lgkmcnt(0)
	s_barrier
	buffer_gl0_inv
	ds_read2_b64 v[11:14], v36 offset1:32
	ds_read2_b64 v[15:18], v2 offset0:48 offset1:56
	ds_read2_b64 v[19:22], v36 offset0:64 offset1:96
	ds_read2_b64 v[23:26], v2 offset1:8
	ds_read2_b64 v[27:30], v2 offset0:16 offset1:24
	ds_read2_b64 v[54:57], v2 offset0:32 offset1:40
	ds_write_b16 v38, v10 offset:2560
	ds_write_b16 v38, v3 offset:1024
	;; [unrolled: 1-line block ×3, first 2 shown]
	s_waitcnt lgkmcnt(0)
	s_barrier
	buffer_gl0_inv
	s_cmp_lt_i32 s1, 9
	v_pk_max_f16 v2, v11, v11
	v_pk_max_f16 v5, v17, v17
	;; [unrolled: 1-line block ×8, first 2 shown]
	v_pk_min_f16 v25, v5, v2
	v_pk_max_f16 v29, v29, v29
	v_pk_max_f16 v39, v54, v54
	;; [unrolled: 1-line block ×6, first 2 shown]
	v_pk_min_f16 v27, v5, v11
	v_pk_min_f16 v31, v17, v2
	;; [unrolled: 1-line block ×15, first 2 shown]
	v_pk_max_f16 v14, v14, v14
	v_pk_min_f16 v54, v29, v13
	v_pk_min_f16 v29, v29, v19
	;; [unrolled: 1-line block ×3, first 2 shown]
	v_pk_max_f16 v20, v20, v20
	v_pk_max_f16 v22, v22, v22
	v_pk_min_f16 v59, v39, v11
	v_pk_min_f16 v60, v39, v13
	v_pk_max_f16 v24, v24, v24
	v_pk_min_f16 v56, v39, v19
	v_pk_min_f16 v61, v40, v2
	;; [unrolled: 1-line block ×11, first 2 shown]
	v_pk_add_f16 v19, v25, 0
	v_pk_min_f16 v25, v18, v12
	v_pk_max_f16 v26, v26, v26
	v_pk_add_f16 v41, v39, 0
	v_pk_min_f16 v42, v18, v20
	v_pk_add_f16 v31, v31, 0
	v_pk_min_f16 v43, v24, v12
	v_pk_add_f16 v32, v32, 0
	v_pk_min_f16 v47, v24, v14
	v_pk_add_f16 v39, v19, v25
	v_pk_min_f16 v25, v24, v20
	v_pk_add_f16 v17, v17, 0
	v_pk_min_f16 v24, v24, v22
	v_pk_max_f16 v28, v28, v28
	v_pk_add_f16 v27, v27, 0
	v_pk_min_f16 v40, v18, v14
	v_pk_add_f16 v41, v41, v42
	v_pk_add_f16 v42, v31, v43
	;; [unrolled: 1-line block ×7, first 2 shown]
	v_pk_min_f16 v24, v26, v22
	v_pk_add_f16 v40, v27, v40
	v_pk_add_f16 v27, v44, 0
	;; [unrolled: 1-line block ×5, first 2 shown]
	v_pk_min_f16 v17, v28, v12
	v_pk_add_f16 v21, v50, 0
	v_pk_max_f16 v30, v30, v30
	v_pk_add_f16 v25, v51, 0
	v_pk_min_f16 v31, v26, v12
	v_pk_add_f16 v50, v19, v17
	v_pk_min_f16 v17, v28, v14
	v_pk_min_f16 v33, v26, v14
	;; [unrolled: 1-line block ×3, first 2 shown]
	v_pk_add_f16 v23, v23, 0
	v_pk_add_f16 v26, v52, 0
	;; [unrolled: 1-line block ×3, first 2 shown]
	v_pk_min_f16 v17, v28, v20
	v_pk_min_f16 v28, v28, v22
	v_pk_add_f16 v48, v46, 0
	v_pk_add_f16 v46, v27, v31
	;; [unrolled: 1-line block ×4, first 2 shown]
	v_pk_min_f16 v17, v30, v12
	v_pk_add_f16 v24, v54, 0
	v_pk_add_f16 v53, v23, v28
	v_pk_min_f16 v23, v30, v14
	v_pk_add_f16 v47, v32, v33
	v_pk_add_f16 v54, v26, v17
	;; [unrolled: 3-line block ×3, first 2 shown]
	v_pk_add_f16 v33, v56, 0
	v_pk_add_f16 v56, v27, v23
	v_pk_max_f16 v23, v55, v55
	v_pk_add_f16 v60, v24, v17
	v_pk_min_f16 v17, v30, v22
	v_pk_max_f16 v25, v57, v57
	v_pk_add_f16 v48, v48, v65
	v_pk_add_f16 v31, v58, 0
	;; [unrolled: 1-line block ×3, first 2 shown]
	v_pk_min_f16 v24, v23, v12
	v_pk_min_f16 v26, v23, v14
	;; [unrolled: 1-line block ×4, first 2 shown]
	v_pk_add_f16 v65, v29, v17
	v_pk_min_f16 v17, v25, v12
	v_pk_max_f16 v16, v16, v16
	v_pk_add_f16 v32, v59, 0
	v_pk_add_f16 v59, v62, 0
	;; [unrolled: 1-line block ×12, first 2 shown]
	v_pk_min_f16 v19, v25, v14
	v_pk_min_f16 v23, v25, v20
	;; [unrolled: 1-line block ×3, first 2 shown]
	v_pk_add_f16 v71, v58, v17
	v_pk_min_f16 v12, v16, v12
	v_pk_min_f16 v14, v16, v14
	;; [unrolled: 1-line block ×5, first 2 shown]
	v_pk_add_f16 v63, v32, v26
	v_pk_add_f16 v72, v59, v19
	;; [unrolled: 1-line block ×9, first 2 shown]
	s_cbranch_scc1 .LBB243_23
; %bb.13:
	v_lshl_or_b32 v5, s6, 6, v6
	v_add_nc_u32_e32 v10, 8, v7
	v_perm_b32 v86, v4, v3, 0x5040100
	v_add_nc_u32_e32 v3, s20, v6
	s_lshl_b32 s6, s7, 6
	v_perm_b32 v2, v9, v8, 0x5040100
	v_subrev_nc_u32_e32 v5, s6, v5
	v_mad_i64_i32 v[8:9], null, v10, s18, 0
	v_ashrrev_i32_e32 v4, 31, v3
	v_add_nc_u32_e32 v11, 12, v7
	v_ashrrev_i32_e32 v6, 31, v5
	v_or_b32_e32 v55, 0x800, v38
	v_or_b32_e32 v57, 0x800, v37
	v_lshlrev_b64 v[3:4], 1, v[3:4]
	v_lshlrev_b64 v[26:27], 1, v[8:9]
	v_mad_i64_i32 v[7:8], null, v11, s12, 0
	v_mad_i64_i32 v[9:10], null, v10, s12, 0
	;; [unrolled: 1-line block ×3, first 2 shown]
	v_lshlrev_b64 v[5:6], 1, v[5:6]
	v_add_co_u32 v77, vcc_lo, s16, v3
	v_add_co_ci_u32_e64 v78, null, s17, v4, vcc_lo
	v_lshlrev_b64 v[28:29], 1, v[7:8]
	v_add_co_u32 v79, vcc_lo, s14, v5
	v_lshlrev_b64 v[30:31], 1, v[9:10]
	v_lshlrev_b64 v[32:33], 1, v[11:12]
	v_add_nc_u32_e32 v58, 0xa00, v38
	v_or_b32_e32 v59, 0x400, v38
	v_lshl_add_u32 v64, v0, 3, 0xa00
	v_lshl_add_u32 v73, v1, 3, 0x400
	v_add_co_ci_u32_e64 v80, null, s15, v6, vcc_lo
	s_add_i32 s1, s1, -8
	s_lshl_b64 s[6:7], s[18:19], 4
	s_lshl_b64 s[10:11], s[12:13], 4
	s_mov_b32 s12, 0
	s_branch .LBB243_15
.LBB243_14:                             ;   in Loop: Header=BB243_15 Depth=1
	v_pk_max_f16 v4, v4, v4
	v_pk_max_f16 v22, v22, v22
	v_pk_max_f16 v24, v24, v24
	v_pk_max_f16 v18, v18, v18
	v_pk_max_f16 v20, v20, v20
	v_pk_max_f16 v10, v10, v10
	v_pk_max_f16 v14, v14, v14
	v_pk_min_f16 v86, v4, v22
	v_pk_min_f16 v87, v4, v24
	v_pk_max_f16 v16, v16, v16
	v_pk_max_f16 v12, v12, v12
	v_pk_min_f16 v95, v10, v22
	v_pk_min_f16 v96, v10, v24
	;; [unrolled: 1-line block ×4, first 2 shown]
	v_pk_max_f16 v23, v23, v23
	v_pk_max_f16 v25, v25, v25
	;; [unrolled: 1-line block ×15, first 2 shown]
	v_pk_min_f16 v88, v4, v18
	v_pk_min_f16 v89, v14, v22
	;; [unrolled: 1-line block ×58, first 2 shown]
	v_pk_add_f16 v3, v39, v86
	v_pk_add_f16 v5, v40, v87
	;; [unrolled: 1-line block ×24, first 2 shown]
	ds_read2_b64 v[3:6], v57 offset0:48 offset1:56
	ds_read2_b64 v[7:10], v36 offset1:32
	v_pk_add_f16 v41, v43, v90
	v_pk_add_f16 v43, v46, v92
	;; [unrolled: 1-line block ×12, first 2 shown]
	ds_read2_b64 v[11:14], v36 offset0:64 offset1:96
	ds_read2_b64 v[15:18], v57 offset1:8
	v_pk_add_f16 v22, v74, v22
	v_pk_add_f16 v24, v75, v24
	;; [unrolled: 1-line block ×4, first 2 shown]
	s_waitcnt lgkmcnt(3)
	v_pk_max_f16 v5, v5, v5
	s_waitcnt lgkmcnt(2)
	v_pk_max_f16 v7, v7, v7
	v_pk_max_f16 v9, v9, v9
	v_pk_add_f16 v75, v61, v123
	v_pk_add_f16 v23, v22, v23
	;; [unrolled: 1-line block ×5, first 2 shown]
	v_pk_min_f16 v60, v5, v7
	v_pk_min_f16 v61, v5, v9
	ds_read2_b64 v[19:22], v57 offset0:16 offset1:24
	v_pk_add_f16 v41, v41, v107
	v_pk_add_f16 v42, v42, v108
	;; [unrolled: 1-line block ×3, first 2 shown]
	s_waitcnt lgkmcnt(2)
	v_pk_max_f16 v11, v11, v11
	s_waitcnt lgkmcnt(1)
	v_pk_max_f16 v15, v15, v15
	v_pk_add_f16 v68, v68, v60
	v_pk_add_f16 v69, v69, v61
	v_pk_add_f16 v86, v63, v125
	v_pk_min_f16 v62, v5, v11
	v_pk_min_f16 v60, v15, v9
	v_pk_min_f16 v61, v15, v11
	v_pk_add_f16 v66, v2, v127
	v_perm_b32 v2, v85, v84, 0x5040100
	v_pk_add_f16 v84, v39, v62
	v_pk_add_f16 v87, v41, v60
	v_pk_add_f16 v88, v42, v61
	ds_read2_b64 v[60:63], v57 offset0:32 offset1:40
	v_pk_max_f16 v13, v13, v13
	v_pk_min_f16 v39, v15, v7
	v_pk_max_f16 v17, v17, v17
	v_pk_add_f16 v43, v43, v109
	v_pk_add_f16 v44, v44, v110
	;; [unrolled: 1-line block ×3, first 2 shown]
	v_pk_min_f16 v15, v15, v13
	v_pk_add_f16 v85, v40, v39
	v_pk_min_f16 v39, v17, v7
	v_pk_min_f16 v40, v17, v9
	;; [unrolled: 1-line block ×3, first 2 shown]
	s_waitcnt lgkmcnt(1)
	v_pk_max_f16 v19, v19, v19
	v_pk_add_f16 v46, v46, v112
	v_pk_add_f16 v47, v47, v113
	;; [unrolled: 1-line block ×4, first 2 shown]
	v_pk_min_f16 v17, v17, v13
	v_pk_add_f16 v70, v43, v39
	v_pk_add_f16 v89, v44, v40
	;; [unrolled: 1-line block ×3, first 2 shown]
	v_pk_min_f16 v39, v19, v7
	v_pk_min_f16 v40, v19, v9
	v_pk_min_f16 v41, v19, v11
	v_pk_max_f16 v21, v21, v21
	v_pk_add_f16 v49, v49, v115
	v_pk_add_f16 v50, v50, v116
	;; [unrolled: 1-line block ×4, first 2 shown]
	v_pk_min_f16 v19, v19, v13
	v_pk_add_f16 v71, v46, v39
	v_pk_add_f16 v91, v47, v40
	;; [unrolled: 1-line block ×3, first 2 shown]
	v_pk_min_f16 v39, v21, v7
	v_pk_min_f16 v40, v21, v9
	s_waitcnt lgkmcnt(0)
	v_pk_max_f16 v41, v60, v60
	v_pk_min_f16 v42, v21, v11
	v_pk_add_f16 v53, v53, v119
	v_pk_add_f16 v54, v54, v120
	;; [unrolled: 1-line block ×5, first 2 shown]
	v_pk_min_f16 v39, v41, v7
	v_pk_add_f16 v93, v51, v42
	v_pk_min_f16 v40, v41, v9
	v_pk_max_f16 v42, v62, v62
	v_pk_add_f16 v56, v56, v121
	v_pk_add_f16 v62, v53, v39
	v_pk_min_f16 v39, v41, v11
	v_pk_add_f16 v94, v54, v40
	v_pk_min_f16 v40, v42, v7
	v_pk_max_f16 v3, v3, v3
	v_pk_max_f16 v6, v6, v6
	;; [unrolled: 1-line block ×3, first 2 shown]
	v_pk_min_f16 v21, v21, v13
	v_pk_min_f16 v41, v41, v13
	;; [unrolled: 1-line block ×3, first 2 shown]
	v_pk_add_f16 v95, v56, v39
	v_pk_add_f16 v75, v75, v40
	v_pk_min_f16 v39, v42, v11
	v_pk_min_f16 v40, v42, v13
	v_pk_min_f16 v7, v3, v7
	v_pk_min_f16 v9, v3, v9
	v_pk_min_f16 v11, v3, v11
	v_pk_min_f16 v3, v3, v13
	v_pk_max_f16 v10, v10, v10
	v_pk_min_f16 v5, v5, v13
	v_pk_max_f16 v12, v12, v12
	v_pk_min_f16 v13, v6, v8
	v_pk_add_f16 v65, v65, v126
	v_pk_add_f16 v86, v86, v39
	;; [unrolled: 1-line block ×4, first 2 shown]
	v_pk_min_f16 v23, v6, v10
	v_pk_min_f16 v24, v6, v12
	v_pk_max_f16 v16, v16, v16
	v_pk_add_f16 v39, v68, v13
	v_pk_max_f16 v13, v14, v14
	v_pk_add_f16 v74, v74, v41
	v_pk_add_f16 v96, v65, v40
	;; [unrolled: 1-line block ×4, first 2 shown]
	v_pk_min_f16 v14, v16, v8
	v_pk_min_f16 v23, v16, v10
	;; [unrolled: 1-line block ×4, first 2 shown]
	v_pk_max_f16 v18, v18, v18
	v_pk_add_f16 v42, v85, v14
	v_pk_max_f16 v20, v20, v20
	v_pk_add_f16 v52, v52, v118
	v_pk_add_f16 v45, v15, v16
	v_pk_min_f16 v14, v18, v8
	v_pk_min_f16 v15, v18, v10
	;; [unrolled: 1-line block ×4, first 2 shown]
	v_pk_add_f16 v21, v52, v21
	v_pk_add_f16 v46, v70, v14
	;; [unrolled: 1-line block ×5, first 2 shown]
	v_pk_min_f16 v14, v20, v8
	v_pk_min_f16 v15, v20, v10
	;; [unrolled: 1-line block ×4, first 2 shown]
	v_pk_max_f16 v18, v22, v22
	v_pk_add_f16 v50, v71, v14
	v_pk_add_f16 v51, v91, v15
	;; [unrolled: 1-line block ×4, first 2 shown]
	v_pk_min_f16 v14, v18, v8
	v_pk_min_f16 v15, v18, v10
	;; [unrolled: 1-line block ×4, first 2 shown]
	v_pk_max_f16 v18, v61, v61
	v_pk_add_f16 v54, v60, v14
	v_pk_add_f16 v56, v72, v15
	;; [unrolled: 1-line block ×4, first 2 shown]
	v_pk_min_f16 v14, v18, v8
	v_pk_min_f16 v15, v18, v10
	;; [unrolled: 1-line block ×4, first 2 shown]
	v_pk_max_f16 v18, v63, v63
	v_pk_max_f16 v4, v4, v4
	v_pk_add_f16 v76, v76, v43
	v_pk_add_f16 v11, v25, v11
	;; [unrolled: 1-line block ×8, first 2 shown]
	v_pk_min_f16 v14, v18, v8
	v_pk_min_f16 v15, v18, v10
	;; [unrolled: 1-line block ×9, first 2 shown]
	v_add_co_u32 v77, vcc_lo, v77, s6
	v_add_co_ci_u32_e64 v78, null, s7, v78, vcc_lo
	v_add_co_u32 v79, vcc_lo, v79, s10
	v_pk_add_f16 v43, v87, v23
	v_pk_add_f16 v44, v88, v24
	;; [unrolled: 1-line block ×11, first 2 shown]
	v_perm_b32 v86, v83, v81, 0x5040100
	v_add_co_ci_u32_e64 v80, null, s11, v80, vcc_lo
	s_add_i32 s12, s12, 8
	ds_write_b16 v58, v82
	ds_write_b16 v59, v81
	ds_write_b16 v59, v83 offset:512
	s_cmp_ge_i32 s12, s1
	s_waitcnt lgkmcnt(0)
	s_barrier
	buffer_gl0_inv
	s_cbranch_scc1 .LBB243_23
.LBB243_15:                             ; =>This Inner Loop Header: Depth=1
	s_mov_b32 s13, -1
	s_mov_b32 vcc_lo, s0
                                        ; implicit-def: $vgpr84
	s_cbranch_vccz .LBB243_17
; %bb.16:                               ;   in Loop: Header=BB243_15 Depth=1
	v_and_b32_e32 v84, 0xffff0000, v2
	s_mov_b32 s13, 0
.LBB243_17:                             ;   in Loop: Header=BB243_15 Depth=1
	v_mov_b32_e32 v81, 0
	v_mov_b32_e32 v85, 0
	s_andn2_b32 vcc_lo, exec_lo, s13
	s_cbranch_vccnz .LBB243_19
; %bb.18:                               ;   in Loop: Header=BB243_15 Depth=1
	v_add_co_u32 v3, vcc_lo, v77, v26
	v_add_co_ci_u32_e64 v4, null, v78, v27, vcc_lo
	v_add_co_u32 v5, vcc_lo, v79, v30
	v_add_co_ci_u32_e64 v6, null, v80, v31, vcc_lo
	flat_load_ushort v7, v[3:4]
	flat_load_ushort v5, v[5:6]
	flat_load_ushort v3, v[3:4] offset:128
	s_waitcnt vmcnt(2) lgkmcnt(2)
	v_mul_f16_e32 v4, v35, v7
	s_waitcnt vmcnt(1) lgkmcnt(1)
	v_mul_f16_e32 v81, v35, v5
	;; [unrolled: 2-line block ×3, first 2 shown]
	v_bfi_b32 v84, 0xffff, v4, v2
.LBB243_19:                             ;   in Loop: Header=BB243_15 Depth=1
	ds_read2_b64 v[2:5], v64 offset0:48 offset1:56
	ds_read2_b64 v[18:21], v73 offset0:64 offset1:96
	ds_read2_b64 v[22:25], v73 offset1:32
	ds_read2_b64 v[14:17], v64 offset1:8
	ds_read2_b64 v[10:13], v64 offset0:16 offset1:24
	ds_read2_b64 v[6:9], v64 offset0:32 offset1:40
	s_mov_b32 s13, -1
	s_mov_b32 vcc_lo, s0
	ds_write_b16 v55, v81
	ds_write_b16 v38, v84
	ds_write_b16 v38, v85 offset:512
	s_waitcnt lgkmcnt(0)
	s_barrier
	buffer_gl0_inv
                                        ; implicit-def: $vgpr81
	s_cbranch_vccz .LBB243_21
; %bb.20:                               ;   in Loop: Header=BB243_15 Depth=1
	v_and_b32_e32 v81, 0xffff0000, v86
	s_mov_b32 s13, 0
.LBB243_21:                             ;   in Loop: Header=BB243_15 Depth=1
	v_mov_b32_e32 v82, 0
	v_mov_b32_e32 v83, 0
	s_andn2_b32 vcc_lo, exec_lo, s13
	s_cbranch_vccnz .LBB243_14
; %bb.22:                               ;   in Loop: Header=BB243_15 Depth=1
	v_add_co_u32 v81, vcc_lo, v77, v32
	v_add_co_ci_u32_e64 v82, null, v78, v33, vcc_lo
	v_add_co_u32 v87, vcc_lo, v79, v28
	v_add_co_ci_u32_e64 v88, null, v80, v29, vcc_lo
	flat_load_ushort v83, v[81:82]
	flat_load_ushort v87, v[87:88]
	flat_load_ushort v88, v[81:82] offset:128
	s_waitcnt vmcnt(2) lgkmcnt(2)
	v_mul_f16_e32 v81, v35, v83
	s_waitcnt vmcnt(1) lgkmcnt(1)
	v_mul_f16_e32 v82, v35, v87
	;; [unrolled: 2-line block ×3, first 2 shown]
	v_bfi_b32 v81, 0xffff, v81, v86
	s_branch .LBB243_14
.LBB243_23:
	v_add_nc_u32_e32 v18, 0x800, v37
	s_load_dwordx2 s[10:11], s[4:5], 0x78
	v_cmp_neq_f16_e64 s0, 0, v34
	v_add_nc_u32_e32 v1, s20, v1
	ds_read2_b64 v[2:5], v36 offset0:128 offset1:160
	ds_read2_b64 v[6:9], v18 offset0:112 offset1:120
	;; [unrolled: 1-line block ×4, first 2 shown]
	s_clause 0x1
	s_load_dword s6, s[4:5], 0x58
	s_load_dword s7, s[4:5], 0x70
	ds_read2_b64 v[26:29], v18 offset0:80 offset1:88
	ds_read2_b64 v[35:38], v18 offset0:96 offset1:104
	s_waitcnt lgkmcnt(0)
	s_lshl_b64 s[4:5], s[10:11], 1
	v_pk_max_f16 v2, v2, v2
	v_pk_max_f16 v4, v4, v4
	;; [unrolled: 1-line block ×7, first 2 shown]
	v_pk_min_f16 v24, v16, v2
	v_pk_min_f16 v25, v16, v4
	v_pk_max_f16 v14, v14, v14
	v_pk_min_f16 v18, v8, v2
	v_pk_min_f16 v20, v8, v10
	v_pk_add_f16 v31, v46, v24
	v_pk_add_f16 v32, v47, v25
	v_pk_min_f16 v24, v26, v2
	v_pk_min_f16 v25, v26, v4
	;; [unrolled: 1-line block ×4, first 2 shown]
	v_pk_max_f16 v28, v28, v28
	v_pk_min_f16 v19, v8, v4
	v_pk_min_f16 v21, v14, v2
	v_pk_add_f16 v18, v39, v18
	v_pk_add_f16 v20, v41, v20
	;; [unrolled: 1-line block ×4, first 2 shown]
	v_pk_min_f16 v24, v28, v2
	v_pk_max_f16 v26, v35, v35
	v_pk_min_f16 v22, v14, v4
	v_pk_min_f16 v23, v14, v10
	;; [unrolled: 1-line block ×3, first 2 shown]
	v_pk_add_f16 v19, v40, v19
	v_pk_add_f16 v21, v42, v21
	v_pk_add_f16 v40, v51, v25
	v_pk_min_f16 v25, v28, v4
	v_pk_min_f16 v35, v28, v10
	v_pk_min_f16 v28, v28, v12
	v_pk_add_f16 v42, v54, v24
	v_pk_min_f16 v24, v26, v2
	v_pk_min_f16 v30, v16, v10
	v_pk_add_f16 v22, v43, v22
	v_pk_add_f16 v14, v45, v14
	;; [unrolled: 1-line block ×4, first 2 shown]
	v_pk_min_f16 v25, v26, v4
	v_pk_max_f16 v28, v37, v37
	v_pk_add_f16 v46, v66, v24
	v_pk_min_f16 v24, v26, v10
	v_pk_max_f16 v6, v6, v6
	v_pk_add_f16 v23, v44, v23
	v_pk_add_f16 v30, v48, v30
	;; [unrolled: 1-line block ×4, first 2 shown]
	v_pk_min_f16 v25, v28, v2
	v_pk_min_f16 v35, v28, v4
	v_pk_add_f16 v48, v61, v24
	v_pk_min_f16 v24, v28, v10
	v_pk_min_f16 v2, v6, v2
	;; [unrolled: 1-line block ×5, first 2 shown]
	v_pk_max_f16 v3, v3, v3
	v_pk_max_f16 v9, v9, v9
	v_pk_min_f16 v16, v16, v12
	v_pk_min_f16 v26, v26, v12
	v_pk_add_f16 v50, v71, v25
	v_pk_min_f16 v25, v28, v12
	v_pk_max_f16 v5, v5, v5
	v_pk_min_f16 v8, v8, v12
	v_pk_max_f16 v11, v11, v11
	v_pk_add_f16 v12, v70, v6
	v_pk_min_f16 v6, v9, v3
	v_pk_add_f16 v33, v52, v33
	v_pk_add_f16 v52, v67, v24
	;; [unrolled: 1-line block ×3, first 2 shown]
	v_pk_min_f16 v24, v9, v5
	v_pk_min_f16 v25, v9, v11
	v_pk_max_f16 v15, v15, v15
	v_pk_add_f16 v18, v18, v6
	v_pk_max_f16 v6, v13, v13
	v_pk_add_f16 v19, v19, v24
	v_pk_add_f16 v20, v20, v25
	v_pk_min_f16 v13, v15, v3
	v_pk_min_f16 v24, v15, v5
	;; [unrolled: 1-line block ×4, first 2 shown]
	v_pk_max_f16 v17, v17, v17
	v_pk_add_f16 v16, v49, v16
	v_pk_add_f16 v51, v72, v35
	;; [unrolled: 1-line block ×5, first 2 shown]
	v_pk_min_f16 v13, v17, v3
	v_pk_min_f16 v14, v17, v5
	;; [unrolled: 1-line block ×4, first 2 shown]
	v_pk_max_f16 v35, v27, v27
	v_pk_add_f16 v49, v62, v26
	v_pk_add_f16 v23, v23, v25
	;; [unrolled: 1-line block ×6, first 2 shown]
	v_pk_min_f16 v13, v35, v3
	v_pk_min_f16 v14, v35, v5
	;; [unrolled: 1-line block ×4, first 2 shown]
	v_pk_max_f16 v17, v29, v29
	v_pk_add_f16 v29, v39, v13
	v_pk_add_f16 v30, v40, v14
	;; [unrolled: 1-line block ×4, first 2 shown]
	v_pk_min_f16 v13, v17, v3
	v_pk_min_f16 v14, v17, v5
	;; [unrolled: 1-line block ×4, first 2 shown]
	v_pk_max_f16 v17, v36, v36
	v_pk_add_f16 v33, v42, v13
	v_pk_add_f16 v35, v43, v14
	v_pk_max_f16 v7, v7, v7
	v_pk_add_f16 v37, v45, v16
	v_pk_min_f16 v13, v17, v3
	v_pk_min_f16 v14, v17, v5
	v_pk_max_f16 v16, v38, v38
	v_pk_add_f16 v2, v74, v2
	v_pk_add_f16 v4, v75, v4
	;; [unrolled: 1-line block ×4, first 2 shown]
	v_pk_min_f16 v13, v16, v3
	v_pk_min_f16 v14, v16, v5
	;; [unrolled: 1-line block ×4, first 2 shown]
	v_pk_add_f16 v10, v76, v10
	v_pk_add_f16 v8, v69, v8
	;; [unrolled: 1-line block ×3, first 2 shown]
	v_pk_min_f16 v15, v17, v11
	v_pk_min_f16 v17, v17, v6
	v_pk_add_f16 v46, v2, v3
	v_pk_min_f16 v3, v7, v11
	v_add_nc_u32_e32 v2, s21, v0
	v_pk_add_f16 v0, v4, v5
	v_pk_min_f16 v5, v7, v6
	v_pk_min_f16 v7, v9, v6
	v_pk_add_f16 v40, v48, v15
	v_pk_add_f16 v41, v49, v17
	v_pk_min_f16 v15, v16, v11
	v_pk_add_f16 v42, v50, v13
	v_pk_min_f16 v13, v16, v6
	v_pk_add_f16 v43, v51, v14
	v_pk_add_f16 v47, v10, v3
	v_add_nc_u32_e32 v4, 8, v2
	v_add_nc_u32_e32 v6, 16, v2
	v_pk_add_f16 v48, v12, v5
	v_pk_add_f16 v49, v8, v7
	v_add_nc_u32_e32 v8, 24, v2
	v_add_nc_u32_e32 v10, 32, v2
	;; [unrolled: 1-line block ×5, first 2 shown]
	v_pk_add_f16 v44, v52, v15
	v_pk_add_f16 v45, v53, v13
	v_ashrrev_i32_e32 v3, 31, v2
	v_ashrrev_i32_e32 v5, 31, v4
	;; [unrolled: 1-line block ×8, first 2 shown]
	v_lshlrev_b64 v[2:3], 1, v[2:3]
	v_lshlrev_b64 v[4:5], 1, v[4:5]
	;; [unrolled: 1-line block ×8, first 2 shown]
	s_add_u32 s10, s2, s4
	s_addc_u32 s3, s3, s5
	s_mov_b64 s[4:5], 15
	s_branch .LBB243_25
.LBB243_24:                             ;   in Loop: Header=BB243_25 Depth=1
	s_add_i32 s1, s4, -1
	v_add_nc_u32_e32 v1, 32, v1
	s_cmp_eq_u32 s1, 1
	s_cselect_b32 vcc_lo, -1, 0
	s_cmp_eq_u32 s1, 2
	v_cndmask_b32_e32 v82, v21, v50, vcc_lo
	s_cselect_b32 vcc_lo, -1, 0
	s_cmp_eq_u32 s1, 3
	v_cndmask_b32_e32 v82, v82, v25, vcc_lo
	;; [unrolled: 3-line block ×62, first 2 shown]
	s_cselect_b32 vcc_lo, -1, 0
	s_cmp_eq_u32 s4, 1
	s_cselect_b32 s1, -1, 0
	s_cmp_eq_u32 s4, 2
	v_cndmask_b32_e64 v50, v21, v50, s1
	s_cselect_b32 s1, -1, 0
	s_cmp_eq_u32 s4, 3
	v_cndmask_b32_e64 v50, v50, v25, s1
	;; [unrolled: 3-line block ×3, first 2 shown]
	s_cselect_b32 s1, -1, 0
	s_cmp_eq_u32 s4, 5
	v_cndmask_b32_e32 v51, v82, v81, vcc_lo
	v_cndmask_b32_e64 v50, v50, v29, s1
	s_cselect_b32 s1, -1, 0
	s_cmp_eq_u32 s4, 6
	v_cndmask_b32_e64 v50, v50, v52, s1
	s_cselect_b32 s1, -1, 0
	s_cmp_eq_u32 s4, 7
	;; [unrolled: 3-line block ×58, first 2 shown]
	s_cselect_b32 vcc_lo, -1, 0
	v_cndmask_b32_e64 v50, v50, v49, s1
	s_add_u32 s4, s4, 16
	s_addc_u32 s5, s5, 0
	s_cmpk_lg_i32 s4, 0x4f
	v_cndmask_b32_e32 v50, v50, v81, vcc_lo
	v_add_f16_e32 v52, v51, v50
	v_add_co_u32 v50, vcc_lo, v84, v16
	v_add_co_ci_u32_e64 v51, null, v85, v17, vcc_lo
	v_add_f16_e32 v52, v52, v86
	flat_store_short v[50:51], v52
	s_cbranch_scc0 .LBB243_41
.LBB243_25:                             ; =>This Inner Loop Header: Depth=1
	v_mad_i64_i32 v[50:51], null, v1, s6, 0
	v_cndmask_b32_e64 v52, 0, 1, s0
	v_mov_b32_e32 v86, 0
	v_mov_b32_e32 v87, 0
	v_cmp_ne_u32_e64 s1, 1, v52
	v_lshlrev_b64 v[50:51], 1, v[50:51]
	v_add_co_u32 v82, vcc_lo, s8, v50
	v_add_co_ci_u32_e64 v83, null, s9, v51, vcc_lo
	s_andn2_b32 vcc_lo, exec_lo, s0
	s_cbranch_vccnz .LBB243_27
; %bb.26:                               ;   in Loop: Header=BB243_25 Depth=1
	v_add_co_u32 v50, vcc_lo, v82, v2
	v_add_co_ci_u32_e64 v51, null, v83, v3, vcc_lo
	flat_load_ushort v50, v[50:51]
	s_waitcnt vmcnt(0) lgkmcnt(0)
	v_mul_f16_e32 v87, v34, v50
.LBB243_27:                             ;   in Loop: Header=BB243_25 Depth=1
	s_add_i32 s2, s4, -15
	v_lshrrev_b32_e32 v50, 16, v21
	s_cmp_eq_u32 s2, 1
	v_lshrrev_b32_e32 v51, 16, v25
	s_cselect_b32 vcc_lo, -1, 0
	s_cmp_eq_u32 s2, 2
	v_cndmask_b32_e32 v52, v21, v50, vcc_lo
	s_cselect_b32 vcc_lo, -1, 0
	s_cmp_eq_u32 s2, 3
	v_cndmask_b32_e32 v52, v52, v25, vcc_lo
	;; [unrolled: 3-line block ×3, first 2 shown]
	s_cselect_b32 vcc_lo, -1, 0
	v_lshrrev_b32_e32 v52, 16, v29
	s_cmp_eq_u32 s2, 5
	v_cndmask_b32_e32 v53, v53, v29, vcc_lo
	s_cselect_b32 vcc_lo, -1, 0
	s_cmp_eq_u32 s2, 6
	v_cndmask_b32_e32 v54, v53, v52, vcc_lo
	s_cselect_b32 vcc_lo, -1, 0
	v_lshrrev_b32_e32 v53, 16, v33
	s_cmp_eq_u32 s2, 7
	v_cndmask_b32_e32 v54, v54, v33, vcc_lo
	s_cselect_b32 vcc_lo, -1, 0
	s_cmp_eq_u32 s2, 8
	v_cndmask_b32_e32 v55, v54, v53, vcc_lo
	;; [unrolled: 7-line block ×29, first 2 shown]
	s_cselect_b32 vcc_lo, -1, 0
	s_cmp_eq_u32 s2, 63
	v_lshrrev_b32_e32 v81, 16, v49
	v_cndmask_b32_e32 v88, v84, v49, vcc_lo
	s_cselect_b32 vcc_lo, -1, 0
	s_add_i32 s11, s4, -14
	s_cmp_eq_u32 s11, 1
	v_cndmask_b32_e32 v88, v88, v81, vcc_lo
	s_cselect_b32 s2, -1, 0
	s_cmp_eq_u32 s11, 2
	v_cndmask_b32_e64 v84, v21, v50, s2
	s_cselect_b32 s2, -1, 0
	s_cmp_eq_u32 s11, 3
	v_cndmask_b32_e64 v84, v84, v25, s2
	;; [unrolled: 3-line block ×61, first 2 shown]
	v_mad_i64_i32 v[84:85], null, v1, s7, 0
	s_cselect_b32 s2, -1, 0
	s_cmp_eq_u32 s11, 63
	v_cndmask_b32_e64 v89, v89, v49, s2
	s_cselect_b32 vcc_lo, -1, 0
	v_lshlrev_b64 v[84:85], 1, v[84:85]
	v_cndmask_b32_e32 v89, v89, v81, vcc_lo
	v_add_co_u32 v84, vcc_lo, s10, v84
	v_add_f16_e32 v88, v88, v89
	v_add_co_ci_u32_e64 v85, null, s3, v85, vcc_lo
	v_add_f16_e32 v89, v88, v87
	v_add_co_u32 v87, vcc_lo, v84, v2
	v_add_co_ci_u32_e64 v88, null, v85, v3, vcc_lo
	s_and_b32 vcc_lo, exec_lo, s1
	flat_store_short v[87:88], v89
	s_cbranch_vccnz .LBB243_29
; %bb.28:                               ;   in Loop: Header=BB243_25 Depth=1
	v_add_co_u32 v86, vcc_lo, v82, v4
	v_add_co_ci_u32_e64 v87, null, v83, v5, vcc_lo
	flat_load_ushort v86, v[86:87]
	s_waitcnt vmcnt(0) lgkmcnt(0)
	v_mul_f16_e32 v86, v34, v86
.LBB243_29:                             ;   in Loop: Header=BB243_25 Depth=1
	s_add_i32 s2, s4, -13
	s_cmp_eq_u32 s2, 1
	s_cselect_b32 vcc_lo, -1, 0
	s_cmp_eq_u32 s2, 2
	v_cndmask_b32_e32 v87, v21, v50, vcc_lo
	s_cselect_b32 vcc_lo, -1, 0
	s_cmp_eq_u32 s2, 3
	v_cndmask_b32_e32 v87, v87, v25, vcc_lo
	s_cselect_b32 vcc_lo, -1, 0
	s_cmp_eq_u32 s2, 4
	v_cndmask_b32_e32 v87, v87, v51, vcc_lo
	s_cselect_b32 vcc_lo, -1, 0
	s_cmp_eq_u32 s2, 5
	v_cndmask_b32_e32 v87, v87, v29, vcc_lo
	s_cselect_b32 vcc_lo, -1, 0
	s_cmp_eq_u32 s2, 6
	v_cndmask_b32_e32 v87, v87, v52, vcc_lo
	s_cselect_b32 vcc_lo, -1, 0
	s_cmp_eq_u32 s2, 7
	v_cndmask_b32_e32 v87, v87, v33, vcc_lo
	s_cselect_b32 vcc_lo, -1, 0
	s_cmp_eq_u32 s2, 8
	v_cndmask_b32_e32 v87, v87, v53, vcc_lo
	s_cselect_b32 vcc_lo, -1, 0
	s_cmp_eq_u32 s2, 9
	v_cndmask_b32_e32 v87, v87, v38, vcc_lo
	s_cselect_b32 vcc_lo, -1, 0
	s_cmp_eq_u32 s2, 10
	v_cndmask_b32_e32 v87, v87, v54, vcc_lo
	s_cselect_b32 vcc_lo, -1, 0
	s_cmp_eq_u32 s2, 11
	v_cndmask_b32_e32 v87, v87, v42, vcc_lo
	s_cselect_b32 vcc_lo, -1, 0
	s_cmp_eq_u32 s2, 12
	v_cndmask_b32_e32 v87, v87, v55, vcc_lo
	s_cselect_b32 vcc_lo, -1, 0
	s_cmp_eq_u32 s2, 13
	v_cndmask_b32_e32 v87, v87, v46, vcc_lo
	s_cselect_b32 vcc_lo, -1, 0
	s_cmp_eq_u32 s2, 14
	v_cndmask_b32_e32 v87, v87, v56, vcc_lo
	s_cselect_b32 vcc_lo, -1, 0
	s_cmp_eq_u32 s2, 15
	v_cndmask_b32_e32 v87, v87, v18, vcc_lo
	s_cselect_b32 vcc_lo, -1, 0
	s_cmp_eq_u32 s2, 16
	v_cndmask_b32_e32 v87, v87, v57, vcc_lo
	s_cselect_b32 vcc_lo, -1, 0
	s_cmp_eq_u32 s2, 17
	v_cndmask_b32_e32 v87, v87, v22, vcc_lo
	s_cselect_b32 vcc_lo, -1, 0
	s_cmp_eq_u32 s2, 18
	v_cndmask_b32_e32 v87, v87, v58, vcc_lo
	s_cselect_b32 vcc_lo, -1, 0
	s_cmp_eq_u32 s2, 19
	v_cndmask_b32_e32 v87, v87, v26, vcc_lo
	s_cselect_b32 vcc_lo, -1, 0
	s_cmp_eq_u32 s2, 20
	v_cndmask_b32_e32 v87, v87, v59, vcc_lo
	s_cselect_b32 vcc_lo, -1, 0
	s_cmp_eq_u32 s2, 21
	v_cndmask_b32_e32 v87, v87, v30, vcc_lo
	s_cselect_b32 vcc_lo, -1, 0
	s_cmp_eq_u32 s2, 22
	v_cndmask_b32_e32 v87, v87, v60, vcc_lo
	s_cselect_b32 vcc_lo, -1, 0
	s_cmp_eq_u32 s2, 23
	v_cndmask_b32_e32 v87, v87, v35, vcc_lo
	s_cselect_b32 vcc_lo, -1, 0
	s_cmp_eq_u32 s2, 24
	v_cndmask_b32_e32 v87, v87, v61, vcc_lo
	s_cselect_b32 vcc_lo, -1, 0
	s_cmp_eq_u32 s2, 25
	v_cndmask_b32_e32 v87, v87, v39, vcc_lo
	s_cselect_b32 vcc_lo, -1, 0
	s_cmp_eq_u32 s2, 26
	v_cndmask_b32_e32 v87, v87, v62, vcc_lo
	s_cselect_b32 vcc_lo, -1, 0
	s_cmp_eq_u32 s2, 27
	v_cndmask_b32_e32 v87, v87, v43, vcc_lo
	s_cselect_b32 vcc_lo, -1, 0
	s_cmp_eq_u32 s2, 28
	v_cndmask_b32_e32 v87, v87, v63, vcc_lo
	s_cselect_b32 vcc_lo, -1, 0
	s_cmp_eq_u32 s2, 29
	v_cndmask_b32_e32 v87, v87, v0, vcc_lo
	s_cselect_b32 vcc_lo, -1, 0
	s_cmp_eq_u32 s2, 30
	v_cndmask_b32_e32 v87, v87, v64, vcc_lo
	s_cselect_b32 vcc_lo, -1, 0
	s_cmp_eq_u32 s2, 31
	v_cndmask_b32_e32 v87, v87, v19, vcc_lo
	s_cselect_b32 vcc_lo, -1, 0
	s_cmp_eq_u32 s2, 32
	v_cndmask_b32_e32 v87, v87, v65, vcc_lo
	s_cselect_b32 vcc_lo, -1, 0
	s_cmp_eq_u32 s2, 33
	v_cndmask_b32_e32 v87, v87, v23, vcc_lo
	s_cselect_b32 vcc_lo, -1, 0
	s_cmp_eq_u32 s2, 34
	v_cndmask_b32_e32 v87, v87, v66, vcc_lo
	s_cselect_b32 vcc_lo, -1, 0
	s_cmp_eq_u32 s2, 35
	v_cndmask_b32_e32 v87, v87, v27, vcc_lo
	s_cselect_b32 vcc_lo, -1, 0
	s_cmp_eq_u32 s2, 36
	v_cndmask_b32_e32 v87, v87, v67, vcc_lo
	s_cselect_b32 vcc_lo, -1, 0
	s_cmp_eq_u32 s2, 37
	v_cndmask_b32_e32 v87, v87, v31, vcc_lo
	s_cselect_b32 vcc_lo, -1, 0
	s_cmp_eq_u32 s2, 38
	v_cndmask_b32_e32 v87, v87, v68, vcc_lo
	s_cselect_b32 vcc_lo, -1, 0
	s_cmp_eq_u32 s2, 39
	v_cndmask_b32_e32 v87, v87, v36, vcc_lo
	s_cselect_b32 vcc_lo, -1, 0
	s_cmp_eq_u32 s2, 40
	v_cndmask_b32_e32 v87, v87, v69, vcc_lo
	s_cselect_b32 vcc_lo, -1, 0
	s_cmp_eq_u32 s2, 41
	v_cndmask_b32_e32 v87, v87, v40, vcc_lo
	s_cselect_b32 vcc_lo, -1, 0
	s_cmp_eq_u32 s2, 42
	v_cndmask_b32_e32 v87, v87, v70, vcc_lo
	s_cselect_b32 vcc_lo, -1, 0
	s_cmp_eq_u32 s2, 43
	v_cndmask_b32_e32 v87, v87, v44, vcc_lo
	s_cselect_b32 vcc_lo, -1, 0
	s_cmp_eq_u32 s2, 44
	v_cndmask_b32_e32 v87, v87, v71, vcc_lo
	s_cselect_b32 vcc_lo, -1, 0
	s_cmp_eq_u32 s2, 45
	v_cndmask_b32_e32 v87, v87, v47, vcc_lo
	s_cselect_b32 vcc_lo, -1, 0
	s_cmp_eq_u32 s2, 46
	v_cndmask_b32_e32 v87, v87, v72, vcc_lo
	s_cselect_b32 vcc_lo, -1, 0
	s_cmp_eq_u32 s2, 47
	v_cndmask_b32_e32 v87, v87, v20, vcc_lo
	s_cselect_b32 vcc_lo, -1, 0
	s_cmp_eq_u32 s2, 48
	v_cndmask_b32_e32 v87, v87, v73, vcc_lo
	s_cselect_b32 vcc_lo, -1, 0
	s_cmp_eq_u32 s2, 49
	v_cndmask_b32_e32 v87, v87, v24, vcc_lo
	s_cselect_b32 vcc_lo, -1, 0
	s_cmp_eq_u32 s2, 50
	v_cndmask_b32_e32 v87, v87, v74, vcc_lo
	s_cselect_b32 vcc_lo, -1, 0
	s_cmp_eq_u32 s2, 51
	v_cndmask_b32_e32 v87, v87, v28, vcc_lo
	s_cselect_b32 vcc_lo, -1, 0
	s_cmp_eq_u32 s2, 52
	v_cndmask_b32_e32 v87, v87, v75, vcc_lo
	s_cselect_b32 vcc_lo, -1, 0
	s_cmp_eq_u32 s2, 53
	v_cndmask_b32_e32 v87, v87, v32, vcc_lo
	s_cselect_b32 vcc_lo, -1, 0
	s_cmp_eq_u32 s2, 54
	v_cndmask_b32_e32 v87, v87, v76, vcc_lo
	s_cselect_b32 vcc_lo, -1, 0
	s_cmp_eq_u32 s2, 55
	v_cndmask_b32_e32 v87, v87, v37, vcc_lo
	s_cselect_b32 vcc_lo, -1, 0
	s_cmp_eq_u32 s2, 56
	v_cndmask_b32_e32 v87, v87, v77, vcc_lo
	s_cselect_b32 vcc_lo, -1, 0
	s_cmp_eq_u32 s2, 57
	v_cndmask_b32_e32 v87, v87, v41, vcc_lo
	s_cselect_b32 vcc_lo, -1, 0
	s_cmp_eq_u32 s2, 58
	v_cndmask_b32_e32 v87, v87, v78, vcc_lo
	s_cselect_b32 vcc_lo, -1, 0
	s_cmp_eq_u32 s2, 59
	v_cndmask_b32_e32 v87, v87, v45, vcc_lo
	s_cselect_b32 vcc_lo, -1, 0
	s_cmp_eq_u32 s2, 60
	v_cndmask_b32_e32 v87, v87, v79, vcc_lo
	s_cselect_b32 vcc_lo, -1, 0
	s_cmp_eq_u32 s2, 61
	v_cndmask_b32_e32 v87, v87, v48, vcc_lo
	s_cselect_b32 vcc_lo, -1, 0
	s_cmp_eq_u32 s2, 62
	v_cndmask_b32_e32 v87, v87, v80, vcc_lo
	s_cselect_b32 vcc_lo, -1, 0
	s_cmp_eq_u32 s2, 63
	v_cndmask_b32_e32 v87, v87, v49, vcc_lo
	s_cselect_b32 vcc_lo, -1, 0
	s_add_i32 s11, s4, -12
	s_cmp_eq_u32 s11, 1
	v_cndmask_b32_e32 v87, v87, v81, vcc_lo
	s_cselect_b32 s2, -1, 0
	s_cmp_eq_u32 s11, 2
	v_cndmask_b32_e64 v88, v21, v50, s2
	s_cselect_b32 s2, -1, 0
	s_cmp_eq_u32 s11, 3
	v_cndmask_b32_e64 v88, v88, v25, s2
	s_cselect_b32 s2, -1, 0
	s_cmp_eq_u32 s11, 4
	v_cndmask_b32_e64 v88, v88, v51, s2
	s_cselect_b32 s2, -1, 0
	s_cmp_eq_u32 s11, 5
	v_cndmask_b32_e64 v88, v88, v29, s2
	s_cselect_b32 s2, -1, 0
	s_cmp_eq_u32 s11, 6
	v_cndmask_b32_e64 v88, v88, v52, s2
	s_cselect_b32 s2, -1, 0
	s_cmp_eq_u32 s11, 7
	v_cndmask_b32_e64 v88, v88, v33, s2
	s_cselect_b32 s2, -1, 0
	s_cmp_eq_u32 s11, 8
	v_cndmask_b32_e64 v88, v88, v53, s2
	s_cselect_b32 s2, -1, 0
	s_cmp_eq_u32 s11, 9
	v_cndmask_b32_e64 v88, v88, v38, s2
	s_cselect_b32 s2, -1, 0
	s_cmp_eq_u32 s11, 10
	v_cndmask_b32_e64 v88, v88, v54, s2
	s_cselect_b32 s2, -1, 0
	s_cmp_eq_u32 s11, 11
	v_cndmask_b32_e64 v88, v88, v42, s2
	s_cselect_b32 s2, -1, 0
	s_cmp_eq_u32 s11, 12
	v_cndmask_b32_e64 v88, v88, v55, s2
	s_cselect_b32 s2, -1, 0
	s_cmp_eq_u32 s11, 13
	v_cndmask_b32_e64 v88, v88, v46, s2
	s_cselect_b32 s2, -1, 0
	s_cmp_eq_u32 s11, 14
	v_cndmask_b32_e64 v88, v88, v56, s2
	s_cselect_b32 s2, -1, 0
	s_cmp_eq_u32 s11, 15
	v_cndmask_b32_e64 v88, v88, v18, s2
	s_cselect_b32 s2, -1, 0
	s_cmp_eq_u32 s11, 16
	v_cndmask_b32_e64 v88, v88, v57, s2
	s_cselect_b32 s2, -1, 0
	s_cmp_eq_u32 s11, 17
	v_cndmask_b32_e64 v88, v88, v22, s2
	s_cselect_b32 s2, -1, 0
	s_cmp_eq_u32 s11, 18
	v_cndmask_b32_e64 v88, v88, v58, s2
	s_cselect_b32 s2, -1, 0
	s_cmp_eq_u32 s11, 19
	v_cndmask_b32_e64 v88, v88, v26, s2
	s_cselect_b32 s2, -1, 0
	s_cmp_eq_u32 s11, 20
	v_cndmask_b32_e64 v88, v88, v59, s2
	s_cselect_b32 s2, -1, 0
	s_cmp_eq_u32 s11, 21
	v_cndmask_b32_e64 v88, v88, v30, s2
	s_cselect_b32 s2, -1, 0
	s_cmp_eq_u32 s11, 22
	v_cndmask_b32_e64 v88, v88, v60, s2
	s_cselect_b32 s2, -1, 0
	s_cmp_eq_u32 s11, 23
	v_cndmask_b32_e64 v88, v88, v35, s2
	s_cselect_b32 s2, -1, 0
	s_cmp_eq_u32 s11, 24
	v_cndmask_b32_e64 v88, v88, v61, s2
	s_cselect_b32 s2, -1, 0
	s_cmp_eq_u32 s11, 25
	v_cndmask_b32_e64 v88, v88, v39, s2
	s_cselect_b32 s2, -1, 0
	s_cmp_eq_u32 s11, 26
	v_cndmask_b32_e64 v88, v88, v62, s2
	s_cselect_b32 s2, -1, 0
	s_cmp_eq_u32 s11, 27
	v_cndmask_b32_e64 v88, v88, v43, s2
	s_cselect_b32 s2, -1, 0
	s_cmp_eq_u32 s11, 28
	v_cndmask_b32_e64 v88, v88, v63, s2
	s_cselect_b32 s2, -1, 0
	s_cmp_eq_u32 s11, 29
	v_cndmask_b32_e64 v88, v88, v0, s2
	s_cselect_b32 s2, -1, 0
	s_cmp_eq_u32 s11, 30
	v_cndmask_b32_e64 v88, v88, v64, s2
	s_cselect_b32 s2, -1, 0
	s_cmp_eq_u32 s11, 31
	v_cndmask_b32_e64 v88, v88, v19, s2
	s_cselect_b32 s2, -1, 0
	s_cmp_eq_u32 s11, 32
	v_cndmask_b32_e64 v88, v88, v65, s2
	s_cselect_b32 s2, -1, 0
	s_cmp_eq_u32 s11, 33
	v_cndmask_b32_e64 v88, v88, v23, s2
	s_cselect_b32 s2, -1, 0
	s_cmp_eq_u32 s11, 34
	v_cndmask_b32_e64 v88, v88, v66, s2
	s_cselect_b32 s2, -1, 0
	s_cmp_eq_u32 s11, 35
	v_cndmask_b32_e64 v88, v88, v27, s2
	s_cselect_b32 s2, -1, 0
	s_cmp_eq_u32 s11, 36
	v_cndmask_b32_e64 v88, v88, v67, s2
	s_cselect_b32 s2, -1, 0
	s_cmp_eq_u32 s11, 37
	v_cndmask_b32_e64 v88, v88, v31, s2
	s_cselect_b32 s2, -1, 0
	s_cmp_eq_u32 s11, 38
	v_cndmask_b32_e64 v88, v88, v68, s2
	s_cselect_b32 s2, -1, 0
	s_cmp_eq_u32 s11, 39
	v_cndmask_b32_e64 v88, v88, v36, s2
	s_cselect_b32 s2, -1, 0
	s_cmp_eq_u32 s11, 40
	v_cndmask_b32_e64 v88, v88, v69, s2
	s_cselect_b32 s2, -1, 0
	s_cmp_eq_u32 s11, 41
	v_cndmask_b32_e64 v88, v88, v40, s2
	s_cselect_b32 s2, -1, 0
	s_cmp_eq_u32 s11, 42
	v_cndmask_b32_e64 v88, v88, v70, s2
	s_cselect_b32 s2, -1, 0
	s_cmp_eq_u32 s11, 43
	v_cndmask_b32_e64 v88, v88, v44, s2
	s_cselect_b32 s2, -1, 0
	s_cmp_eq_u32 s11, 44
	v_cndmask_b32_e64 v88, v88, v71, s2
	s_cselect_b32 s2, -1, 0
	s_cmp_eq_u32 s11, 45
	v_cndmask_b32_e64 v88, v88, v47, s2
	s_cselect_b32 s2, -1, 0
	s_cmp_eq_u32 s11, 46
	v_cndmask_b32_e64 v88, v88, v72, s2
	s_cselect_b32 s2, -1, 0
	s_cmp_eq_u32 s11, 47
	v_cndmask_b32_e64 v88, v88, v20, s2
	s_cselect_b32 s2, -1, 0
	s_cmp_eq_u32 s11, 48
	v_cndmask_b32_e64 v88, v88, v73, s2
	s_cselect_b32 s2, -1, 0
	s_cmp_eq_u32 s11, 49
	v_cndmask_b32_e64 v88, v88, v24, s2
	s_cselect_b32 s2, -1, 0
	s_cmp_eq_u32 s11, 50
	v_cndmask_b32_e64 v88, v88, v74, s2
	s_cselect_b32 s2, -1, 0
	s_cmp_eq_u32 s11, 51
	v_cndmask_b32_e64 v88, v88, v28, s2
	s_cselect_b32 s2, -1, 0
	s_cmp_eq_u32 s11, 52
	v_cndmask_b32_e64 v88, v88, v75, s2
	s_cselect_b32 s2, -1, 0
	s_cmp_eq_u32 s11, 53
	v_cndmask_b32_e64 v88, v88, v32, s2
	s_cselect_b32 s2, -1, 0
	s_cmp_eq_u32 s11, 54
	v_cndmask_b32_e64 v88, v88, v76, s2
	s_cselect_b32 s2, -1, 0
	s_cmp_eq_u32 s11, 55
	v_cndmask_b32_e64 v88, v88, v37, s2
	s_cselect_b32 s2, -1, 0
	s_cmp_eq_u32 s11, 56
	v_cndmask_b32_e64 v88, v88, v77, s2
	s_cselect_b32 s2, -1, 0
	s_cmp_eq_u32 s11, 57
	v_cndmask_b32_e64 v88, v88, v41, s2
	s_cselect_b32 s2, -1, 0
	s_cmp_eq_u32 s11, 58
	v_cndmask_b32_e64 v88, v88, v78, s2
	s_cselect_b32 s2, -1, 0
	s_cmp_eq_u32 s11, 59
	v_cndmask_b32_e64 v88, v88, v45, s2
	s_cselect_b32 s2, -1, 0
	s_cmp_eq_u32 s11, 60
	v_cndmask_b32_e64 v88, v88, v79, s2
	s_cselect_b32 s2, -1, 0
	s_cmp_eq_u32 s11, 61
	v_cndmask_b32_e64 v88, v88, v48, s2
	s_cselect_b32 s2, -1, 0
	s_cmp_eq_u32 s11, 62
	v_cndmask_b32_e64 v88, v88, v80, s2
	s_cselect_b32 s2, -1, 0
	s_cmp_eq_u32 s11, 63
	s_cselect_b32 vcc_lo, -1, 0
	v_cndmask_b32_e64 v88, v88, v49, s2
	v_cndmask_b32_e32 v88, v88, v81, vcc_lo
	v_add_f16_e32 v87, v87, v88
	v_add_co_u32 v88, vcc_lo, v84, v4
	v_add_co_ci_u32_e64 v89, null, v85, v5, vcc_lo
	v_add_f16_e32 v90, v87, v86
	v_mov_b32_e32 v86, 0
	v_mov_b32_e32 v87, 0
	s_and_b32 vcc_lo, exec_lo, s1
	flat_store_short v[88:89], v90
	s_cbranch_vccnz .LBB243_31
; %bb.30:                               ;   in Loop: Header=BB243_25 Depth=1
	v_add_co_u32 v87, vcc_lo, v82, v6
	v_add_co_ci_u32_e64 v88, null, v83, v7, vcc_lo
	flat_load_ushort v87, v[87:88]
	s_waitcnt vmcnt(0) lgkmcnt(0)
	v_mul_f16_e32 v87, v34, v87
.LBB243_31:                             ;   in Loop: Header=BB243_25 Depth=1
	s_add_i32 s2, s4, -11
	s_cmp_eq_u32 s2, 1
	s_cselect_b32 vcc_lo, -1, 0
	s_cmp_eq_u32 s2, 2
	v_cndmask_b32_e32 v88, v21, v50, vcc_lo
	s_cselect_b32 vcc_lo, -1, 0
	s_cmp_eq_u32 s2, 3
	v_cndmask_b32_e32 v88, v88, v25, vcc_lo
	;; [unrolled: 3-line block ×62, first 2 shown]
	s_cselect_b32 vcc_lo, -1, 0
	s_add_i32 s11, s4, -10
	s_cmp_eq_u32 s11, 1
	v_cndmask_b32_e32 v88, v88, v81, vcc_lo
	s_cselect_b32 s2, -1, 0
	s_cmp_eq_u32 s11, 2
	v_cndmask_b32_e64 v89, v21, v50, s2
	s_cselect_b32 s2, -1, 0
	s_cmp_eq_u32 s11, 3
	v_cndmask_b32_e64 v89, v89, v25, s2
	;; [unrolled: 3-line block ×61, first 2 shown]
	s_cselect_b32 s2, -1, 0
	s_cmp_eq_u32 s11, 63
	s_cselect_b32 vcc_lo, -1, 0
	v_cndmask_b32_e64 v89, v89, v49, s2
	v_cndmask_b32_e32 v89, v89, v81, vcc_lo
	v_add_f16_e32 v88, v88, v89
	v_add_f16_e32 v89, v88, v87
	v_add_co_u32 v87, vcc_lo, v84, v6
	v_add_co_ci_u32_e64 v88, null, v85, v7, vcc_lo
	s_and_b32 vcc_lo, exec_lo, s1
	flat_store_short v[87:88], v89
	s_cbranch_vccnz .LBB243_33
; %bb.32:                               ;   in Loop: Header=BB243_25 Depth=1
	v_add_co_u32 v86, vcc_lo, v82, v8
	v_add_co_ci_u32_e64 v87, null, v83, v9, vcc_lo
	flat_load_ushort v86, v[86:87]
	s_waitcnt vmcnt(0) lgkmcnt(0)
	v_mul_f16_e32 v86, v34, v86
.LBB243_33:                             ;   in Loop: Header=BB243_25 Depth=1
	s_add_i32 s2, s4, -9
	s_cmp_eq_u32 s2, 1
	s_cselect_b32 vcc_lo, -1, 0
	s_cmp_eq_u32 s2, 2
	v_cndmask_b32_e32 v87, v21, v50, vcc_lo
	s_cselect_b32 vcc_lo, -1, 0
	s_cmp_eq_u32 s2, 3
	v_cndmask_b32_e32 v87, v87, v25, vcc_lo
	;; [unrolled: 3-line block ×62, first 2 shown]
	s_cselect_b32 vcc_lo, -1, 0
	s_add_i32 s11, s4, -8
	s_cmp_eq_u32 s11, 1
	v_cndmask_b32_e32 v87, v87, v81, vcc_lo
	s_cselect_b32 s2, -1, 0
	s_cmp_eq_u32 s11, 2
	v_cndmask_b32_e64 v88, v21, v50, s2
	s_cselect_b32 s2, -1, 0
	s_cmp_eq_u32 s11, 3
	v_cndmask_b32_e64 v88, v88, v25, s2
	;; [unrolled: 3-line block ×61, first 2 shown]
	s_cselect_b32 s2, -1, 0
	s_cmp_eq_u32 s11, 63
	s_cselect_b32 vcc_lo, -1, 0
	v_cndmask_b32_e64 v88, v88, v49, s2
	v_cndmask_b32_e32 v88, v88, v81, vcc_lo
	v_add_f16_e32 v87, v87, v88
	v_add_co_u32 v88, vcc_lo, v84, v8
	v_add_co_ci_u32_e64 v89, null, v85, v9, vcc_lo
	v_add_f16_e32 v90, v87, v86
	v_mov_b32_e32 v86, 0
	v_mov_b32_e32 v87, 0
	s_and_b32 vcc_lo, exec_lo, s1
	flat_store_short v[88:89], v90
	s_cbranch_vccnz .LBB243_35
; %bb.34:                               ;   in Loop: Header=BB243_25 Depth=1
	v_add_co_u32 v87, vcc_lo, v82, v10
	v_add_co_ci_u32_e64 v88, null, v83, v11, vcc_lo
	flat_load_ushort v87, v[87:88]
	s_waitcnt vmcnt(0) lgkmcnt(0)
	v_mul_f16_e32 v87, v34, v87
.LBB243_35:                             ;   in Loop: Header=BB243_25 Depth=1
	s_add_i32 s2, s4, -7
	s_cmp_eq_u32 s2, 1
	s_cselect_b32 vcc_lo, -1, 0
	s_cmp_eq_u32 s2, 2
	v_cndmask_b32_e32 v88, v21, v50, vcc_lo
	s_cselect_b32 vcc_lo, -1, 0
	s_cmp_eq_u32 s2, 3
	v_cndmask_b32_e32 v88, v88, v25, vcc_lo
	;; [unrolled: 3-line block ×62, first 2 shown]
	s_cselect_b32 vcc_lo, -1, 0
	s_add_i32 s11, s4, -6
	s_cmp_eq_u32 s11, 1
	v_cndmask_b32_e32 v88, v88, v81, vcc_lo
	s_cselect_b32 s2, -1, 0
	s_cmp_eq_u32 s11, 2
	v_cndmask_b32_e64 v89, v21, v50, s2
	s_cselect_b32 s2, -1, 0
	s_cmp_eq_u32 s11, 3
	v_cndmask_b32_e64 v89, v89, v25, s2
	;; [unrolled: 3-line block ×61, first 2 shown]
	s_cselect_b32 s2, -1, 0
	s_cmp_eq_u32 s11, 63
	s_cselect_b32 vcc_lo, -1, 0
	v_cndmask_b32_e64 v89, v89, v49, s2
	v_cndmask_b32_e32 v89, v89, v81, vcc_lo
	v_add_f16_e32 v88, v88, v89
	v_add_f16_e32 v89, v88, v87
	v_add_co_u32 v87, vcc_lo, v84, v10
	v_add_co_ci_u32_e64 v88, null, v85, v11, vcc_lo
	s_and_b32 vcc_lo, exec_lo, s1
	flat_store_short v[87:88], v89
	s_cbranch_vccnz .LBB243_37
; %bb.36:                               ;   in Loop: Header=BB243_25 Depth=1
	v_add_co_u32 v86, vcc_lo, v82, v12
	v_add_co_ci_u32_e64 v87, null, v83, v13, vcc_lo
	flat_load_ushort v86, v[86:87]
	s_waitcnt vmcnt(0) lgkmcnt(0)
	v_mul_f16_e32 v86, v34, v86
.LBB243_37:                             ;   in Loop: Header=BB243_25 Depth=1
	s_add_i32 s2, s4, -5
	s_cmp_eq_u32 s2, 1
	s_cselect_b32 vcc_lo, -1, 0
	s_cmp_eq_u32 s2, 2
	v_cndmask_b32_e32 v87, v21, v50, vcc_lo
	s_cselect_b32 vcc_lo, -1, 0
	s_cmp_eq_u32 s2, 3
	v_cndmask_b32_e32 v87, v87, v25, vcc_lo
	;; [unrolled: 3-line block ×62, first 2 shown]
	s_cselect_b32 vcc_lo, -1, 0
	s_add_i32 s11, s4, -4
	s_cmp_eq_u32 s11, 1
	v_cndmask_b32_e32 v87, v87, v81, vcc_lo
	s_cselect_b32 s2, -1, 0
	s_cmp_eq_u32 s11, 2
	v_cndmask_b32_e64 v88, v21, v50, s2
	s_cselect_b32 s2, -1, 0
	s_cmp_eq_u32 s11, 3
	v_cndmask_b32_e64 v88, v88, v25, s2
	;; [unrolled: 3-line block ×61, first 2 shown]
	s_cselect_b32 s2, -1, 0
	s_cmp_eq_u32 s11, 63
	s_cselect_b32 vcc_lo, -1, 0
	v_cndmask_b32_e64 v88, v88, v49, s2
	v_cndmask_b32_e32 v88, v88, v81, vcc_lo
	v_add_f16_e32 v87, v87, v88
	v_add_co_u32 v88, vcc_lo, v84, v12
	v_add_co_ci_u32_e64 v89, null, v85, v13, vcc_lo
	v_add_f16_e32 v90, v87, v86
	v_mov_b32_e32 v86, 0
	v_mov_b32_e32 v87, 0
	s_and_b32 vcc_lo, exec_lo, s1
	flat_store_short v[88:89], v90
	s_cbranch_vccnz .LBB243_39
; %bb.38:                               ;   in Loop: Header=BB243_25 Depth=1
	v_add_co_u32 v87, vcc_lo, v82, v14
	v_add_co_ci_u32_e64 v88, null, v83, v15, vcc_lo
	flat_load_ushort v87, v[87:88]
	s_waitcnt vmcnt(0) lgkmcnt(0)
	v_mul_f16_e32 v87, v34, v87
.LBB243_39:                             ;   in Loop: Header=BB243_25 Depth=1
	s_add_i32 s2, s4, -3
	s_cmp_eq_u32 s2, 1
	s_cselect_b32 vcc_lo, -1, 0
	s_cmp_eq_u32 s2, 2
	v_cndmask_b32_e32 v88, v21, v50, vcc_lo
	s_cselect_b32 vcc_lo, -1, 0
	s_cmp_eq_u32 s2, 3
	v_cndmask_b32_e32 v88, v88, v25, vcc_lo
	;; [unrolled: 3-line block ×62, first 2 shown]
	s_cselect_b32 vcc_lo, -1, 0
	s_add_i32 s11, s4, -2
	s_cmp_eq_u32 s11, 1
	v_cndmask_b32_e32 v88, v88, v81, vcc_lo
	s_cselect_b32 s2, -1, 0
	s_cmp_eq_u32 s11, 2
	v_cndmask_b32_e64 v89, v21, v50, s2
	s_cselect_b32 s2, -1, 0
	s_cmp_eq_u32 s11, 3
	v_cndmask_b32_e64 v89, v89, v25, s2
	;; [unrolled: 3-line block ×61, first 2 shown]
	s_cselect_b32 s2, -1, 0
	s_cmp_eq_u32 s11, 63
	s_cselect_b32 vcc_lo, -1, 0
	v_cndmask_b32_e64 v89, v89, v49, s2
	v_cndmask_b32_e32 v89, v89, v81, vcc_lo
	v_add_f16_e32 v88, v88, v89
	v_add_f16_e32 v89, v88, v87
	v_add_co_u32 v87, vcc_lo, v84, v14
	v_add_co_ci_u32_e64 v88, null, v85, v15, vcc_lo
	s_and_b32 vcc_lo, exec_lo, s1
	flat_store_short v[87:88], v89
	s_cbranch_vccnz .LBB243_24
; %bb.40:                               ;   in Loop: Header=BB243_25 Depth=1
	v_add_co_u32 v82, vcc_lo, v82, v16
	v_add_co_ci_u32_e64 v83, null, v83, v17, vcc_lo
	flat_load_ushort v82, v[82:83]
	s_waitcnt vmcnt(0) lgkmcnt(0)
	v_mul_f16_e32 v86, v34, v82
	s_branch .LBB243_24
.LBB243_41:
	s_endpgm
	.section	.rodata,"a",@progbits
	.p2align	6, 0x0
	.amdhsa_kernel _ZN12_GLOBAL__N_120geam_min_plus_kernelIDF16_Dv2_DF16_S1_Li8ELi32ELi64ELi128ELi4ELi64ELi4ELi64ELi4ELc78ELc84ELb0ELb0ELb0EPKDF16_KS3_KPDF16_EEviiiT16_PT17_ilS9_ilS7_S9_ilPT18_ili26rocblas_geam_ex_operation_
		.amdhsa_group_segment_fixed_size 3072
		.amdhsa_private_segment_fixed_size 0
		.amdhsa_kernarg_size 136
		.amdhsa_user_sgpr_count 6
		.amdhsa_user_sgpr_private_segment_buffer 1
		.amdhsa_user_sgpr_dispatch_ptr 0
		.amdhsa_user_sgpr_queue_ptr 0
		.amdhsa_user_sgpr_kernarg_segment_ptr 1
		.amdhsa_user_sgpr_dispatch_id 0
		.amdhsa_user_sgpr_flat_scratch_init 0
		.amdhsa_user_sgpr_private_segment_size 0
		.amdhsa_wavefront_size32 1
		.amdhsa_uses_dynamic_stack 0
		.amdhsa_system_sgpr_private_segment_wavefront_offset 0
		.amdhsa_system_sgpr_workgroup_id_x 1
		.amdhsa_system_sgpr_workgroup_id_y 0
		.amdhsa_system_sgpr_workgroup_id_z 1
		.amdhsa_system_sgpr_workgroup_info 0
		.amdhsa_system_vgpr_workitem_id 1
		.amdhsa_next_free_vgpr 128
		.amdhsa_next_free_sgpr 26
		.amdhsa_reserve_vcc 1
		.amdhsa_reserve_flat_scratch 0
		.amdhsa_float_round_mode_32 0
		.amdhsa_float_round_mode_16_64 0
		.amdhsa_float_denorm_mode_32 3
		.amdhsa_float_denorm_mode_16_64 3
		.amdhsa_dx10_clamp 1
		.amdhsa_ieee_mode 1
		.amdhsa_fp16_overflow 0
		.amdhsa_workgroup_processor_mode 1
		.amdhsa_memory_ordered 1
		.amdhsa_forward_progress 1
		.amdhsa_shared_vgpr_count 0
		.amdhsa_exception_fp_ieee_invalid_op 0
		.amdhsa_exception_fp_denorm_src 0
		.amdhsa_exception_fp_ieee_div_zero 0
		.amdhsa_exception_fp_ieee_overflow 0
		.amdhsa_exception_fp_ieee_underflow 0
		.amdhsa_exception_fp_ieee_inexact 0
		.amdhsa_exception_int_div_zero 0
	.end_amdhsa_kernel
	.section	.text._ZN12_GLOBAL__N_120geam_min_plus_kernelIDF16_Dv2_DF16_S1_Li8ELi32ELi64ELi128ELi4ELi64ELi4ELi64ELi4ELc78ELc84ELb0ELb0ELb0EPKDF16_KS3_KPDF16_EEviiiT16_PT17_ilS9_ilS7_S9_ilPT18_ili26rocblas_geam_ex_operation_,"axG",@progbits,_ZN12_GLOBAL__N_120geam_min_plus_kernelIDF16_Dv2_DF16_S1_Li8ELi32ELi64ELi128ELi4ELi64ELi4ELi64ELi4ELc78ELc84ELb0ELb0ELb0EPKDF16_KS3_KPDF16_EEviiiT16_PT17_ilS9_ilS7_S9_ilPT18_ili26rocblas_geam_ex_operation_,comdat
.Lfunc_end243:
	.size	_ZN12_GLOBAL__N_120geam_min_plus_kernelIDF16_Dv2_DF16_S1_Li8ELi32ELi64ELi128ELi4ELi64ELi4ELi64ELi4ELc78ELc84ELb0ELb0ELb0EPKDF16_KS3_KPDF16_EEviiiT16_PT17_ilS9_ilS7_S9_ilPT18_ili26rocblas_geam_ex_operation_, .Lfunc_end243-_ZN12_GLOBAL__N_120geam_min_plus_kernelIDF16_Dv2_DF16_S1_Li8ELi32ELi64ELi128ELi4ELi64ELi4ELi64ELi4ELc78ELc84ELb0ELb0ELb0EPKDF16_KS3_KPDF16_EEviiiT16_PT17_ilS9_ilS7_S9_ilPT18_ili26rocblas_geam_ex_operation_
                                        ; -- End function
	.set _ZN12_GLOBAL__N_120geam_min_plus_kernelIDF16_Dv2_DF16_S1_Li8ELi32ELi64ELi128ELi4ELi64ELi4ELi64ELi4ELc78ELc84ELb0ELb0ELb0EPKDF16_KS3_KPDF16_EEviiiT16_PT17_ilS9_ilS7_S9_ilPT18_ili26rocblas_geam_ex_operation_.num_vgpr, 128
	.set _ZN12_GLOBAL__N_120geam_min_plus_kernelIDF16_Dv2_DF16_S1_Li8ELi32ELi64ELi128ELi4ELi64ELi4ELi64ELi4ELc78ELc84ELb0ELb0ELb0EPKDF16_KS3_KPDF16_EEviiiT16_PT17_ilS9_ilS7_S9_ilPT18_ili26rocblas_geam_ex_operation_.num_agpr, 0
	.set _ZN12_GLOBAL__N_120geam_min_plus_kernelIDF16_Dv2_DF16_S1_Li8ELi32ELi64ELi128ELi4ELi64ELi4ELi64ELi4ELc78ELc84ELb0ELb0ELb0EPKDF16_KS3_KPDF16_EEviiiT16_PT17_ilS9_ilS7_S9_ilPT18_ili26rocblas_geam_ex_operation_.numbered_sgpr, 26
	.set _ZN12_GLOBAL__N_120geam_min_plus_kernelIDF16_Dv2_DF16_S1_Li8ELi32ELi64ELi128ELi4ELi64ELi4ELi64ELi4ELc78ELc84ELb0ELb0ELb0EPKDF16_KS3_KPDF16_EEviiiT16_PT17_ilS9_ilS7_S9_ilPT18_ili26rocblas_geam_ex_operation_.num_named_barrier, 0
	.set _ZN12_GLOBAL__N_120geam_min_plus_kernelIDF16_Dv2_DF16_S1_Li8ELi32ELi64ELi128ELi4ELi64ELi4ELi64ELi4ELc78ELc84ELb0ELb0ELb0EPKDF16_KS3_KPDF16_EEviiiT16_PT17_ilS9_ilS7_S9_ilPT18_ili26rocblas_geam_ex_operation_.private_seg_size, 0
	.set _ZN12_GLOBAL__N_120geam_min_plus_kernelIDF16_Dv2_DF16_S1_Li8ELi32ELi64ELi128ELi4ELi64ELi4ELi64ELi4ELc78ELc84ELb0ELb0ELb0EPKDF16_KS3_KPDF16_EEviiiT16_PT17_ilS9_ilS7_S9_ilPT18_ili26rocblas_geam_ex_operation_.uses_vcc, 1
	.set _ZN12_GLOBAL__N_120geam_min_plus_kernelIDF16_Dv2_DF16_S1_Li8ELi32ELi64ELi128ELi4ELi64ELi4ELi64ELi4ELc78ELc84ELb0ELb0ELb0EPKDF16_KS3_KPDF16_EEviiiT16_PT17_ilS9_ilS7_S9_ilPT18_ili26rocblas_geam_ex_operation_.uses_flat_scratch, 0
	.set _ZN12_GLOBAL__N_120geam_min_plus_kernelIDF16_Dv2_DF16_S1_Li8ELi32ELi64ELi128ELi4ELi64ELi4ELi64ELi4ELc78ELc84ELb0ELb0ELb0EPKDF16_KS3_KPDF16_EEviiiT16_PT17_ilS9_ilS7_S9_ilPT18_ili26rocblas_geam_ex_operation_.has_dyn_sized_stack, 0
	.set _ZN12_GLOBAL__N_120geam_min_plus_kernelIDF16_Dv2_DF16_S1_Li8ELi32ELi64ELi128ELi4ELi64ELi4ELi64ELi4ELc78ELc84ELb0ELb0ELb0EPKDF16_KS3_KPDF16_EEviiiT16_PT17_ilS9_ilS7_S9_ilPT18_ili26rocblas_geam_ex_operation_.has_recursion, 0
	.set _ZN12_GLOBAL__N_120geam_min_plus_kernelIDF16_Dv2_DF16_S1_Li8ELi32ELi64ELi128ELi4ELi64ELi4ELi64ELi4ELc78ELc84ELb0ELb0ELb0EPKDF16_KS3_KPDF16_EEviiiT16_PT17_ilS9_ilS7_S9_ilPT18_ili26rocblas_geam_ex_operation_.has_indirect_call, 0
	.section	.AMDGPU.csdata,"",@progbits
; Kernel info:
; codeLenInByte = 21960
; TotalNumSgprs: 28
; NumVgprs: 128
; ScratchSize: 0
; MemoryBound: 0
; FloatMode: 240
; IeeeMode: 1
; LDSByteSize: 3072 bytes/workgroup (compile time only)
; SGPRBlocks: 0
; VGPRBlocks: 15
; NumSGPRsForWavesPerEU: 28
; NumVGPRsForWavesPerEU: 128
; Occupancy: 8
; WaveLimiterHint : 1
; COMPUTE_PGM_RSRC2:SCRATCH_EN: 0
; COMPUTE_PGM_RSRC2:USER_SGPR: 6
; COMPUTE_PGM_RSRC2:TRAP_HANDLER: 0
; COMPUTE_PGM_RSRC2:TGID_X_EN: 1
; COMPUTE_PGM_RSRC2:TGID_Y_EN: 0
; COMPUTE_PGM_RSRC2:TGID_Z_EN: 1
; COMPUTE_PGM_RSRC2:TIDIG_COMP_CNT: 1
	.section	.text._ZN12_GLOBAL__N_120geam_min_plus_kernelIDF16_Dv2_DF16_S1_Li8ELi32ELi64ELi128ELi4ELi64ELi4ELi64ELi4ELc78ELc84ELb1ELb0ELb0EDF16_KPKDF16_KPDF16_EEviiiT16_PT17_ilS9_ilS7_S9_ilPT18_ili26rocblas_geam_ex_operation_,"axG",@progbits,_ZN12_GLOBAL__N_120geam_min_plus_kernelIDF16_Dv2_DF16_S1_Li8ELi32ELi64ELi128ELi4ELi64ELi4ELi64ELi4ELc78ELc84ELb1ELb0ELb0EDF16_KPKDF16_KPDF16_EEviiiT16_PT17_ilS9_ilS7_S9_ilPT18_ili26rocblas_geam_ex_operation_,comdat
	.globl	_ZN12_GLOBAL__N_120geam_min_plus_kernelIDF16_Dv2_DF16_S1_Li8ELi32ELi64ELi128ELi4ELi64ELi4ELi64ELi4ELc78ELc84ELb1ELb0ELb0EDF16_KPKDF16_KPDF16_EEviiiT16_PT17_ilS9_ilS7_S9_ilPT18_ili26rocblas_geam_ex_operation_ ; -- Begin function _ZN12_GLOBAL__N_120geam_min_plus_kernelIDF16_Dv2_DF16_S1_Li8ELi32ELi64ELi128ELi4ELi64ELi4ELi64ELi4ELc78ELc84ELb1ELb0ELb0EDF16_KPKDF16_KPDF16_EEviiiT16_PT17_ilS9_ilS7_S9_ilPT18_ili26rocblas_geam_ex_operation_
	.p2align	8
	.type	_ZN12_GLOBAL__N_120geam_min_plus_kernelIDF16_Dv2_DF16_S1_Li8ELi32ELi64ELi128ELi4ELi64ELi4ELi64ELi4ELc78ELc84ELb1ELb0ELb0EDF16_KPKDF16_KPDF16_EEviiiT16_PT17_ilS9_ilS7_S9_ilPT18_ili26rocblas_geam_ex_operation_,@function
_ZN12_GLOBAL__N_120geam_min_plus_kernelIDF16_Dv2_DF16_S1_Li8ELi32ELi64ELi128ELi4ELi64ELi4ELi64ELi4ELc78ELc84ELb1ELb0ELb0EDF16_KPKDF16_KPDF16_EEviiiT16_PT17_ilS9_ilS7_S9_ilPT18_ili26rocblas_geam_ex_operation_: ; @_ZN12_GLOBAL__N_120geam_min_plus_kernelIDF16_Dv2_DF16_S1_Li8ELi32ELi64ELi128ELi4ELi64ELi4ELi64ELi4ELc78ELc84ELb1ELb0ELb0EDF16_KPKDF16_KPDF16_EEviiiT16_PT17_ilS9_ilS7_S9_ilPT18_ili26rocblas_geam_ex_operation_
; %bb.0:
	s_clause 0x1
	s_load_dwordx2 s[10:11], s[4:5], 0x8
	s_load_dwordx4 s[0:3], s[4:5], 0x20
	s_mov_b32 s16, s7
	s_mov_b32 s17, 0
	s_waitcnt lgkmcnt(0)
	v_cmp_eq_f16_e64 s7, s11, 0
	s_and_b32 vcc_lo, exec_lo, s7
	s_cbranch_vccnz .LBB244_3
; %bb.1:
	s_load_dwordx2 s[8:9], s[4:5], 0x10
	s_lshl_b64 s[12:13], s[16:17], 3
	s_waitcnt lgkmcnt(0)
	s_add_u32 s8, s8, s12
	s_addc_u32 s9, s9, s13
	s_lshl_b64 s[0:1], s[0:1], 1
	s_load_dwordx2 s[8:9], s[8:9], 0x0
	s_waitcnt lgkmcnt(0)
	s_add_u32 s12, s8, s0
	s_addc_u32 s13, s9, s1
	s_andn2_b32 vcc_lo, exec_lo, s7
	s_cbranch_vccnz .LBB244_4
.LBB244_2:
	s_mov_b32 s19, 0
	s_mov_b32 s18, s16
	s_mov_b32 s0, s19
	s_mov_b64 s[8:9], 0
	s_andn2_b32 vcc_lo, exec_lo, s0
	s_mov_b64 s[14:15], 0
	s_cbranch_vccz .LBB244_5
	s_branch .LBB244_6
.LBB244_3:
	s_mov_b64 s[12:13], 0
	s_andn2_b32 vcc_lo, exec_lo, s7
	s_cbranch_vccz .LBB244_2
.LBB244_4:
	s_mov_b64 s[18:19], s[16:17]
	s_mov_b64 s[8:9], 0
	;; [unrolled: 1-line block ×3, first 2 shown]
.LBB244_5:
	s_lshl_b64 s[0:1], s[16:17], 3
	s_load_dwordx2 s[14:15], s[4:5], 0x38
	s_add_u32 s0, s2, s0
	s_addc_u32 s1, s3, s1
	s_load_dwordx2 s[0:1], s[0:1], 0x0
	s_waitcnt lgkmcnt(0)
	s_lshl_b64 s[2:3], s[14:15], 1
	s_add_u32 s14, s0, s2
	s_addc_u32 s15, s1, s3
.LBB244_6:
	s_clause 0x1
	s_load_dword s11, s[4:5], 0x40
	s_load_dwordx4 s[0:3], s[4:5], 0x58
	s_waitcnt lgkmcnt(0)
	v_cmp_eq_f16_e64 s7, s11, 0
	s_and_b32 vcc_lo, exec_lo, s7
	s_cbranch_vccnz .LBB244_8
; %bb.7:
	s_load_dwordx2 s[8:9], s[4:5], 0x48
	s_lshl_b64 s[16:17], s[18:19], 3
	s_waitcnt lgkmcnt(0)
	s_add_u32 s8, s8, s16
	s_addc_u32 s9, s9, s17
	s_lshl_b64 s[0:1], s[0:1], 1
	s_load_dwordx2 s[8:9], s[8:9], 0x0
	s_waitcnt lgkmcnt(0)
	s_add_u32 s8, s8, s0
	s_addc_u32 s9, s9, s1
.LBB244_8:
	s_load_dword s7, s[4:5], 0x0
	s_lshl_b64 s[0:1], s[18:19], 3
	s_clause 0x1
	s_load_dword s16, s[4:5], 0x18
	s_load_dword s18, s[4:5], 0x30
	s_add_u32 s0, s2, s0
	s_addc_u32 s1, s3, s1
	v_lshlrev_b32_e32 v26, 3, v1
	v_lshlrev_b32_e32 v27, 3, v0
	v_add_nc_u32_e32 v33, 0x800, v27
	s_waitcnt lgkmcnt(0)
	s_add_i32 s2, s7, -1
	s_ashr_i32 s3, s2, 31
	s_lshr_b32 s3, s3, 26
	s_add_i32 s2, s2, s3
	s_ashr_i32 s2, s2, 6
	s_add_i32 s3, s2, 1
	s_not_b32 s2, s2
	v_cvt_f32_u32_e32 v2, s3
	v_rcp_iflag_f32_e32 v2, v2
	v_mul_f32_e32 v2, 0x4f7ffffe, v2
	v_cvt_u32_f32_e32 v2, v2
	v_readfirstlane_b32 s7, v2
	v_add_nc_u32_e32 v2, v26, v0
	s_mul_i32 s2, s2, s7
	v_lshrrev_b32_e32 v6, 6, v2
	s_mul_hi_u32 s2, s7, s2
	v_and_b32_e32 v15, 63, v2
	s_add_i32 s7, s7, s2
	v_mad_i64_i32 v[2:3], null, s16, v6, 0
	s_mul_hi_u32 s2, s6, s7
	v_mad_i64_i32 v[4:5], null, s18, v6, 0
	s_mul_i32 s7, s2, s3
	s_add_i32 s17, s2, 1
	s_sub_i32 s7, s6, s7
	v_lshlrev_b64 v[2:3], 1, v[2:3]
	s_sub_i32 s19, s7, s3
	s_cmp_ge_u32 s7, s3
	v_lshlrev_b64 v[4:5], 1, v[4:5]
	s_cselect_b32 s2, s17, s2
	s_cselect_b32 s7, s19, s7
	s_add_i32 s17, s2, 1
	s_cmp_ge_u32 s7, s3
	v_add_co_u32 v16, vcc_lo, s12, v2
	s_cselect_b32 s2, s17, s2
	v_add_co_ci_u32_e64 v17, null, s13, v3, vcc_lo
	s_mul_i32 s3, s2, s3
	s_lshl_b32 s20, s2, 7
	s_sub_i32 s2, s6, s3
	v_or_b32_e32 v11, s20, v15
	s_lshl_b32 s21, s2, 6
	v_add_nc_u32_e32 v9, 4, v6
	v_or_b32_e32 v13, s21, v15
	s_cmp_lt_i32 s10, 9
	v_ashrrev_i32_e32 v12, 31, v11
	v_mad_i64_i32 v[7:8], null, s16, v9, 0
	v_ashrrev_i32_e32 v14, 31, v13
	v_lshlrev_b64 v[2:3], 1, v[11:12]
	v_add_co_u32 v11, vcc_lo, s14, v4
	v_add_co_ci_u32_e64 v12, null, s15, v5, vcc_lo
	v_lshlrev_b64 v[4:5], 1, v[13:14]
	v_add_co_u32 v11, vcc_lo, v11, v2
	v_add_co_ci_u32_e64 v12, null, v12, v3, vcc_lo
	v_mad_i64_i32 v[9:10], null, s18, v9, 0
	v_add_co_u32 v13, vcc_lo, v16, v4
	v_add_co_ci_u32_e64 v14, null, v17, v5, vcc_lo
	s_clause 0x1
	flat_load_ushort v16, v[11:12]
	flat_load_ushort v11, v[11:12] offset:128
	flat_load_ushort v12, v[13:14]
	v_lshlrev_b64 v[7:8], 1, v[7:8]
	v_lshlrev_b64 v[9:10], 1, v[9:10]
	v_add_co_u32 v7, vcc_lo, s12, v7
	v_add_co_ci_u32_e64 v8, null, s13, v8, vcc_lo
	v_add_co_u32 v9, vcc_lo, s14, v9
	v_add_co_ci_u32_e64 v10, null, s15, v10, vcc_lo
	;; [unrolled: 2-line block ×4, first 2 shown]
	flat_load_ushort v23, v[7:8]
	s_clause 0x1
	flat_load_ushort v24, v[9:10]
	flat_load_ushort v25, v[9:10] offset:128
	v_lshlrev_b32_e32 v7, 3, v15
	s_load_dwordx2 s[0:1], s[0:1], 0x0
	v_lshl_add_u32 v28, v6, 1, v7
	s_waitcnt vmcnt(5) lgkmcnt(0)
	ds_write_b16 v28, v16
	s_waitcnt vmcnt(4)
	ds_write_b16 v28, v11 offset:512
	s_waitcnt vmcnt(3)
	ds_write_b16 v28, v12 offset:2048
	s_waitcnt vmcnt(0) lgkmcnt(0)
	s_barrier
	buffer_gl0_inv
	ds_read2_b64 v[7:10], v26 offset1:32
	ds_read2_b64 v[11:14], v33 offset0:48 offset1:56
	ds_read2_b64 v[15:18], v26 offset0:64 offset1:96
	ds_read2_b64 v[19:22], v33 offset1:8
	ds_read2_b64 v[29:32], v33 offset0:16 offset1:24
	ds_read2_b64 v[33:36], v33 offset0:32 offset1:40
	ds_write_b16 v28, v23 offset:2560
	ds_write_b16 v28, v24 offset:1024
	s_waitcnt lgkmcnt(7)
	v_pk_max_f16 v7, v7, v7
	s_waitcnt lgkmcnt(6)
	v_pk_max_f16 v13, v13, v13
	v_pk_max_f16 v9, v9, v9
	s_waitcnt lgkmcnt(5)
	v_pk_max_f16 v15, v15, v15
	s_waitcnt lgkmcnt(4)
	v_pk_max_f16 v19, v19, v19
	v_pk_max_f16 v17, v17, v17
	;; [unrolled: 1-line block ×3, first 2 shown]
	s_waitcnt lgkmcnt(3)
	v_pk_max_f16 v23, v29, v29
	v_pk_max_f16 v24, v31, v31
	s_waitcnt lgkmcnt(2)
	v_pk_max_f16 v29, v33, v33
	v_pk_max_f16 v31, v35, v35
	;; [unrolled: 1-line block ×15, first 2 shown]
	v_pk_min_f16 v35, v13, v7
	v_pk_min_f16 v36, v13, v9
	;; [unrolled: 1-line block ×64, first 2 shown]
	v_pk_add_f16 v18, v35, 0
	v_pk_add_f16 v35, v36, 0
	;; [unrolled: 1-line block ×64, first 2 shown]
	ds_write_b16 v28, v25 offset:1536
	s_waitcnt lgkmcnt(0)
	s_barrier
	buffer_gl0_inv
	s_cbranch_scc1 .LBB244_11
; %bb.9:
	v_add_nc_u32_e32 v12, 12, v6
	v_add_nc_u32_e32 v10, 8, v6
	v_add_co_u32 v65, vcc_lo, s12, v4
	v_add_co_ci_u32_e64 v66, null, s13, v5, vcc_lo
	v_mad_i64_i32 v[6:7], null, v12, s16, 0
	v_mad_i64_i32 v[8:9], null, v10, s18, 0
	;; [unrolled: 1-line block ×4, first 2 shown]
	v_add_co_u32 v69, vcc_lo, s14, v2
	v_lshlrev_b64 v[18:19], 1, v[6:7]
	v_lshlrev_b64 v[20:21], 1, v[8:9]
	;; [unrolled: 1-line block ×3, first 2 shown]
	v_or_b32_e32 v61, 0x800, v28
	v_lshlrev_b64 v[24:25], 1, v[12:13]
	v_or_b32_e32 v62, 0x800, v27
	v_add_nc_u32_e32 v63, 0xa00, v28
	v_or_b32_e32 v64, 0x400, v28
	v_lshl_add_u32 v67, v0, 3, 0xa00
	v_add_nc_u32_e32 v68, 0x400, v26
	v_add_co_ci_u32_e64 v70, null, s15, v3, vcc_lo
	s_ashr_i32 s17, s16, 31
	s_ashr_i32 s19, s18, 31
	s_add_i32 s10, s10, -8
	s_lshl_b64 s[2:3], s[16:17], 4
	s_lshl_b64 s[6:7], s[18:19], 4
	s_mov_b32 s12, 0
.LBB244_10:                             ; =>This Inner Loop Header: Depth=1
	v_add_co_u32 v2, vcc_lo, v65, v22
	v_add_co_ci_u32_e64 v3, null, v66, v23, vcc_lo
	v_add_co_u32 v4, vcc_lo, v69, v20
	v_add_co_ci_u32_e64 v5, null, v70, v21, vcc_lo
	flat_load_ushort v83, v[2:3]
	s_clause 0x1
	flat_load_ushort v84, v[4:5]
	flat_load_ushort v85, v[4:5] offset:128
	v_add_co_u32 v79, vcc_lo, v65, v18
	v_add_co_ci_u32_e64 v80, null, v66, v19, vcc_lo
	v_add_co_u32 v81, vcc_lo, v69, v24
	v_add_co_ci_u32_e64 v82, null, v70, v25, vcc_lo
	ds_read2_b64 v[2:5], v68 offset1:32
	ds_read2_b64 v[71:74], v67 offset1:8
	ds_read2_b64 v[75:78], v67 offset0:16 offset1:24
	ds_read2_b64 v[14:17], v67 offset0:32 offset1:40
	;; [unrolled: 1-line block ×4, first 2 shown]
	v_add_co_u32 v65, vcc_lo, v65, s2
	v_add_co_ci_u32_e64 v66, null, s3, v66, vcc_lo
	v_add_co_u32 v69, vcc_lo, v69, s6
	v_add_co_ci_u32_e64 v70, null, s7, v70, vcc_lo
	s_add_i32 s12, s12, 8
	s_waitcnt vmcnt(2) lgkmcnt(8)
	ds_write_b16 v61, v83
	s_waitcnt vmcnt(1) lgkmcnt(8)
	ds_write_b16 v28, v84
	s_waitcnt vmcnt(0) lgkmcnt(8)
	ds_write_b16 v28, v85 offset:512
	s_waitcnt lgkmcnt(0)
	s_barrier
	buffer_gl0_inv
	flat_load_ushort v79, v[79:80]
	s_clause 0x1
	flat_load_ushort v80, v[81:82]
	flat_load_ushort v81, v[81:82] offset:128
	v_pk_max_f16 v2, v2, v2
	v_pk_max_f16 v71, v71, v71
	;; [unrolled: 1-line block ×24, first 2 shown]
	v_pk_min_f16 v82, v71, v2
	v_pk_min_f16 v83, v73, v2
	;; [unrolled: 1-line block ×64, first 2 shown]
	v_pk_add_f16 v13, v58, v82
	v_pk_add_f16 v58, v60, v83
	;; [unrolled: 1-line block ×40, first 2 shown]
	ds_read2_b64 v[2:5], v26 offset1:32
	ds_read2_b64 v[6:9], v26 offset0:64 offset1:96
	ds_read2_b64 v[10:13], v62 offset1:8
	ds_read2_b64 v[14:17], v62 offset0:16 offset1:24
	ds_read2_b64 v[29:32], v62 offset0:32 offset1:40
	;; [unrolled: 1-line block ×3, first 2 shown]
	v_pk_add_f16 v57, v57, v85
	v_pk_add_f16 v52, v52, v86
	;; [unrolled: 1-line block ×14, first 2 shown]
	s_waitcnt lgkmcnt(5)
	v_pk_max_f16 v2, v2, v2
	v_pk_max_f16 v4, v4, v4
	s_waitcnt lgkmcnt(4)
	v_pk_max_f16 v6, v6, v6
	v_pk_max_f16 v8, v8, v8
	;; [unrolled: 3-line block ×6, first 2 shown]
	v_pk_add_f16 v53, v53, v109
	v_pk_add_f16 v54, v54, v110
	;; [unrolled: 1-line block ×10, first 2 shown]
	v_pk_max_f16 v3, v3, v3
	v_pk_max_f16 v5, v5, v5
	;; [unrolled: 1-line block ×12, first 2 shown]
	v_pk_min_f16 v82, v10, v2
	v_pk_min_f16 v83, v10, v4
	;; [unrolled: 1-line block ×64, first 2 shown]
	v_pk_add_f16 v34, v58, v100
	v_pk_add_f16 v36, v60, v101
	;; [unrolled: 1-line block ×64, first 2 shown]
	s_cmp_ge_i32 s12, s10
	s_waitcnt vmcnt(2)
	ds_write_b16 v63, v79
	s_waitcnt vmcnt(1)
	ds_write_b16 v64, v80
	s_waitcnt vmcnt(0)
	ds_write_b16 v64, v81 offset:512
	s_waitcnt lgkmcnt(0)
	s_barrier
	buffer_gl0_inv
	s_cbranch_scc0 .LBB244_10
.LBB244_11:
	v_add_nc_u32_e32 v18, 0x800, v27
	s_load_dwordx2 s[2:3], s[4:5], 0x70
	v_cmp_neq_f16_e64 s6, s11, 0
	v_add_nc_u32_e32 v1, s20, v1
	ds_read2_b64 v[2:5], v26 offset0:128 offset1:160
	ds_read2_b64 v[6:9], v18 offset0:112 offset1:120
	;; [unrolled: 1-line block ×4, first 2 shown]
	s_clause 0x1
	s_load_dword s7, s[4:5], 0x50
	s_load_dword s4, s[4:5], 0x68
	ds_read2_b64 v[61:64], v18 offset0:80 offset1:88
	ds_read2_b64 v[65:68], v18 offset0:96 offset1:104
	s_waitcnt lgkmcnt(0)
	s_lshl_b64 s[2:3], s[2:3], 1
	v_pk_max_f16 v2, v2, v2
	v_pk_max_f16 v4, v4, v4
	;; [unrolled: 1-line block ×9, first 2 shown]
	v_pk_min_f16 v21, v14, v2
	v_pk_min_f16 v22, v14, v4
	;; [unrolled: 1-line block ×10, first 2 shown]
	v_pk_add_f16 v14, v41, v14
	v_pk_add_f16 v28, v60, v24
	;; [unrolled: 1-line block ×4, first 2 shown]
	v_pk_min_f16 v24, v27, v2
	v_pk_min_f16 v26, v27, v10
	v_pk_max_f16 v45, v63, v63
	v_pk_add_f16 v19, v47, v19
	v_pk_add_f16 v20, v39, v20
	;; [unrolled: 1-line block ×3, first 2 shown]
	v_pk_min_f16 v25, v27, v4
	v_pk_min_f16 v27, v27, v12
	v_pk_add_f16 v47, v59, v24
	v_pk_add_f16 v49, v49, v26
	v_pk_min_f16 v24, v45, v2
	v_pk_max_f16 v26, v65, v65
	v_pk_add_f16 v23, v48, v23
	v_pk_add_f16 v48, v55, v25
	;; [unrolled: 1-line block ×3, first 2 shown]
	v_pk_min_f16 v25, v45, v4
	v_pk_min_f16 v27, v45, v10
	;; [unrolled: 1-line block ×3, first 2 shown]
	v_pk_add_f16 v50, v57, v24
	v_pk_min_f16 v24, v26, v2
	v_pk_min_f16 v18, v8, v2
	v_pk_add_f16 v51, v51, v25
	v_pk_add_f16 v44, v44, v27
	;; [unrolled: 1-line block ×3, first 2 shown]
	v_pk_min_f16 v25, v26, v4
	v_pk_max_f16 v27, v67, v67
	v_pk_add_f16 v45, v52, v24
	v_pk_min_f16 v24, v26, v10
	v_pk_add_f16 v18, v53, v18
	v_pk_add_f16 v43, v43, v25
	v_pk_min_f16 v25, v27, v2
	v_pk_min_f16 v52, v27, v4
	v_pk_add_f16 v53, v36, v24
	v_pk_min_f16 v24, v27, v10
	v_pk_min_f16 v2, v6, v2
	;; [unrolled: 1-line block ×5, first 2 shown]
	v_pk_max_f16 v3, v3, v3
	v_pk_max_f16 v9, v9, v9
	v_pk_min_f16 v26, v26, v12
	v_pk_add_f16 v46, v46, v25
	v_pk_min_f16 v25, v27, v12
	v_pk_max_f16 v5, v5, v5
	v_pk_min_f16 v8, v8, v12
	v_pk_max_f16 v11, v11, v11
	v_pk_add_f16 v12, v30, v6
	v_pk_min_f16 v6, v9, v3
	v_pk_add_f16 v55, v32, v24
	v_pk_add_f16 v56, v31, v25
	v_pk_min_f16 v24, v9, v5
	v_pk_min_f16 v25, v9, v11
	v_pk_max_f16 v15, v15, v15
	v_pk_add_f16 v18, v18, v6
	v_pk_max_f16 v6, v13, v13
	v_pk_add_f16 v21, v58, v21
	v_pk_add_f16 v22, v54, v22
	;; [unrolled: 1-line block ×4, first 2 shown]
	v_pk_min_f16 v13, v15, v3
	v_pk_min_f16 v24, v15, v5
	;; [unrolled: 1-line block ×4, first 2 shown]
	v_pk_max_f16 v17, v17, v17
	v_pk_add_f16 v8, v29, v8
	v_pk_add_f16 v21, v21, v13
	;; [unrolled: 1-line block ×4, first 2 shown]
	v_pk_min_f16 v13, v17, v3
	v_pk_min_f16 v14, v17, v5
	v_pk_min_f16 v15, v17, v11
	v_pk_min_f16 v17, v17, v6
	v_pk_max_f16 v29, v62, v62
	v_pk_add_f16 v54, v34, v26
	v_pk_add_f16 v23, v23, v25
	;; [unrolled: 1-line block ×6, first 2 shown]
	v_pk_min_f16 v13, v29, v3
	v_pk_min_f16 v14, v29, v5
	;; [unrolled: 1-line block ×4, first 2 shown]
	v_pk_max_f16 v17, v64, v64
	v_pk_add_f16 v29, v47, v13
	v_pk_add_f16 v30, v48, v14
	;; [unrolled: 1-line block ×4, first 2 shown]
	v_pk_min_f16 v13, v17, v3
	v_pk_min_f16 v14, v17, v5
	;; [unrolled: 1-line block ×4, first 2 shown]
	v_pk_max_f16 v17, v66, v66
	v_pk_add_f16 v10, v33, v10
	v_pk_add_f16 v33, v50, v13
	;; [unrolled: 1-line block ×4, first 2 shown]
	v_pk_min_f16 v13, v17, v3
	v_pk_min_f16 v14, v17, v5
	v_pk_max_f16 v16, v68, v68
	v_pk_max_f16 v7, v7, v7
	v_pk_add_f16 v52, v38, v52
	v_pk_add_f16 v2, v40, v2
	;; [unrolled: 1-line block ×5, first 2 shown]
	v_pk_min_f16 v13, v16, v3
	v_pk_min_f16 v14, v16, v5
	;; [unrolled: 1-line block ×4, first 2 shown]
	v_pk_add_f16 v35, v44, v15
	v_pk_min_f16 v15, v17, v11
	v_pk_min_f16 v17, v17, v6
	v_pk_add_f16 v45, v2, v3
	v_pk_min_f16 v3, v7, v11
	v_add_nc_u32_e32 v2, s21, v0
	v_pk_add_f16 v0, v4, v5
	v_pk_min_f16 v5, v7, v6
	v_pk_min_f16 v7, v9, v6
	v_pk_add_f16 v39, v53, v15
	v_pk_min_f16 v15, v16, v11
	v_pk_add_f16 v41, v46, v13
	;; [unrolled: 2-line block ×3, first 2 shown]
	v_pk_add_f16 v46, v10, v3
	v_add_nc_u32_e32 v4, 8, v2
	v_add_nc_u32_e32 v6, 16, v2
	v_pk_add_f16 v47, v12, v5
	v_pk_add_f16 v48, v8, v7
	v_add_nc_u32_e32 v8, 24, v2
	v_add_nc_u32_e32 v10, 32, v2
	v_add_nc_u32_e32 v12, 40, v2
	v_add_nc_u32_e32 v14, 48, v2
	v_add_nc_u32_e32 v16, 56, v2
	v_pk_add_f16 v40, v54, v17
	v_pk_add_f16 v43, v55, v15
	;; [unrolled: 1-line block ×3, first 2 shown]
	v_ashrrev_i32_e32 v3, 31, v2
	v_ashrrev_i32_e32 v5, 31, v4
	;; [unrolled: 1-line block ×8, first 2 shown]
	v_lshlrev_b64 v[2:3], 1, v[2:3]
	v_lshlrev_b64 v[4:5], 1, v[4:5]
	;; [unrolled: 1-line block ×8, first 2 shown]
	s_add_u32 s5, s0, s2
	s_addc_u32 s10, s1, s3
	s_mov_b64 s[2:3], 15
	s_branch .LBB244_13
.LBB244_12:                             ;   in Loop: Header=BB244_13 Depth=1
	s_add_i32 s0, s2, -1
	v_add_nc_u32_e32 v1, 32, v1
	s_cmp_eq_u32 s0, 1
	s_cselect_b32 vcc_lo, -1, 0
	s_cmp_eq_u32 s0, 2
	v_cndmask_b32_e32 v81, v21, v49, vcc_lo
	s_cselect_b32 vcc_lo, -1, 0
	s_cmp_eq_u32 s0, 3
	v_cndmask_b32_e32 v81, v81, v25, vcc_lo
	;; [unrolled: 3-line block ×62, first 2 shown]
	s_cselect_b32 vcc_lo, -1, 0
	s_cmp_eq_u32 s2, 1
	s_cselect_b32 s0, -1, 0
	s_cmp_eq_u32 s2, 2
	v_cndmask_b32_e64 v49, v21, v49, s0
	s_cselect_b32 s0, -1, 0
	s_cmp_eq_u32 s2, 3
	v_cndmask_b32_e64 v49, v49, v25, s0
	;; [unrolled: 3-line block ×3, first 2 shown]
	s_cselect_b32 s0, -1, 0
	s_cmp_eq_u32 s2, 5
	v_cndmask_b32_e32 v50, v81, v80, vcc_lo
	v_cndmask_b32_e64 v49, v49, v29, s0
	s_cselect_b32 s0, -1, 0
	s_cmp_eq_u32 s2, 6
	v_cndmask_b32_e64 v49, v49, v51, s0
	s_cselect_b32 s0, -1, 0
	s_cmp_eq_u32 s2, 7
	;; [unrolled: 3-line block ×58, first 2 shown]
	s_cselect_b32 vcc_lo, -1, 0
	v_cndmask_b32_e64 v49, v49, v48, s0
	s_add_u32 s2, s2, 16
	s_addc_u32 s3, s3, 0
	s_cmpk_lg_i32 s2, 0x4f
	v_cndmask_b32_e32 v49, v49, v80, vcc_lo
	v_add_f16_e32 v51, v50, v49
	v_add_co_u32 v49, vcc_lo, v83, v16
	v_add_co_ci_u32_e64 v50, null, v84, v17, vcc_lo
	v_add_f16_e32 v51, v51, v85
	flat_store_short v[49:50], v51
	s_cbranch_scc0 .LBB244_29
.LBB244_13:                             ; =>This Inner Loop Header: Depth=1
	v_mad_i64_i32 v[49:50], null, v1, s7, 0
	v_cndmask_b32_e64 v51, 0, 1, s6
	v_mov_b32_e32 v85, 0
	v_mov_b32_e32 v86, 0
	v_cmp_ne_u32_e64 s0, 1, v51
	v_lshlrev_b64 v[49:50], 1, v[49:50]
	v_add_co_u32 v81, vcc_lo, s8, v49
	v_add_co_ci_u32_e64 v82, null, s9, v50, vcc_lo
	s_andn2_b32 vcc_lo, exec_lo, s6
	s_cbranch_vccnz .LBB244_15
; %bb.14:                               ;   in Loop: Header=BB244_13 Depth=1
	v_add_co_u32 v49, vcc_lo, v81, v2
	v_add_co_ci_u32_e64 v50, null, v82, v3, vcc_lo
	flat_load_ushort v49, v[49:50]
	s_waitcnt vmcnt(0) lgkmcnt(0)
	v_mul_f16_e32 v86, s11, v49
.LBB244_15:                             ;   in Loop: Header=BB244_13 Depth=1
	s_add_i32 s1, s2, -15
	v_lshrrev_b32_e32 v49, 16, v21
	s_cmp_eq_u32 s1, 1
	v_lshrrev_b32_e32 v50, 16, v25
	s_cselect_b32 vcc_lo, -1, 0
	s_cmp_eq_u32 s1, 2
	v_cndmask_b32_e32 v51, v21, v49, vcc_lo
	s_cselect_b32 vcc_lo, -1, 0
	s_cmp_eq_u32 s1, 3
	v_cndmask_b32_e32 v51, v51, v25, vcc_lo
	;; [unrolled: 3-line block ×3, first 2 shown]
	s_cselect_b32 vcc_lo, -1, 0
	v_lshrrev_b32_e32 v51, 16, v29
	s_cmp_eq_u32 s1, 5
	v_cndmask_b32_e32 v52, v52, v29, vcc_lo
	s_cselect_b32 vcc_lo, -1, 0
	s_cmp_eq_u32 s1, 6
	v_cndmask_b32_e32 v53, v52, v51, vcc_lo
	s_cselect_b32 vcc_lo, -1, 0
	v_lshrrev_b32_e32 v52, 16, v33
	s_cmp_eq_u32 s1, 7
	v_cndmask_b32_e32 v53, v53, v33, vcc_lo
	s_cselect_b32 vcc_lo, -1, 0
	s_cmp_eq_u32 s1, 8
	v_cndmask_b32_e32 v54, v53, v52, vcc_lo
	;; [unrolled: 7-line block ×29, first 2 shown]
	s_cselect_b32 vcc_lo, -1, 0
	s_cmp_eq_u32 s1, 63
	v_lshrrev_b32_e32 v80, 16, v48
	v_cndmask_b32_e32 v87, v83, v48, vcc_lo
	s_cselect_b32 vcc_lo, -1, 0
	s_add_i32 s12, s2, -14
	s_cmp_eq_u32 s12, 1
	v_cndmask_b32_e32 v87, v87, v80, vcc_lo
	s_cselect_b32 s1, -1, 0
	s_cmp_eq_u32 s12, 2
	v_cndmask_b32_e64 v83, v21, v49, s1
	s_cselect_b32 s1, -1, 0
	s_cmp_eq_u32 s12, 3
	v_cndmask_b32_e64 v83, v83, v25, s1
	;; [unrolled: 3-line block ×61, first 2 shown]
	v_mad_i64_i32 v[83:84], null, v1, s4, 0
	s_cselect_b32 s1, -1, 0
	s_cmp_eq_u32 s12, 63
	v_cndmask_b32_e64 v88, v88, v48, s1
	s_cselect_b32 vcc_lo, -1, 0
	v_lshlrev_b64 v[83:84], 1, v[83:84]
	v_cndmask_b32_e32 v88, v88, v80, vcc_lo
	v_add_co_u32 v83, vcc_lo, s5, v83
	v_add_f16_e32 v87, v87, v88
	v_add_co_ci_u32_e64 v84, null, s10, v84, vcc_lo
	v_add_f16_e32 v88, v87, v86
	v_add_co_u32 v86, vcc_lo, v83, v2
	v_add_co_ci_u32_e64 v87, null, v84, v3, vcc_lo
	s_and_b32 vcc_lo, exec_lo, s0
	flat_store_short v[86:87], v88
	s_cbranch_vccnz .LBB244_17
; %bb.16:                               ;   in Loop: Header=BB244_13 Depth=1
	v_add_co_u32 v85, vcc_lo, v81, v4
	v_add_co_ci_u32_e64 v86, null, v82, v5, vcc_lo
	flat_load_ushort v85, v[85:86]
	s_waitcnt vmcnt(0) lgkmcnt(0)
	v_mul_f16_e32 v85, s11, v85
.LBB244_17:                             ;   in Loop: Header=BB244_13 Depth=1
	s_add_i32 s1, s2, -13
	s_cmp_eq_u32 s1, 1
	s_cselect_b32 vcc_lo, -1, 0
	s_cmp_eq_u32 s1, 2
	v_cndmask_b32_e32 v86, v21, v49, vcc_lo
	s_cselect_b32 vcc_lo, -1, 0
	s_cmp_eq_u32 s1, 3
	v_cndmask_b32_e32 v86, v86, v25, vcc_lo
	;; [unrolled: 3-line block ×62, first 2 shown]
	s_cselect_b32 vcc_lo, -1, 0
	s_add_i32 s12, s2, -12
	s_cmp_eq_u32 s12, 1
	v_cndmask_b32_e32 v86, v86, v80, vcc_lo
	s_cselect_b32 s1, -1, 0
	s_cmp_eq_u32 s12, 2
	v_cndmask_b32_e64 v87, v21, v49, s1
	s_cselect_b32 s1, -1, 0
	s_cmp_eq_u32 s12, 3
	v_cndmask_b32_e64 v87, v87, v25, s1
	;; [unrolled: 3-line block ×61, first 2 shown]
	s_cselect_b32 s1, -1, 0
	s_cmp_eq_u32 s12, 63
	s_cselect_b32 vcc_lo, -1, 0
	v_cndmask_b32_e64 v87, v87, v48, s1
	v_cndmask_b32_e32 v87, v87, v80, vcc_lo
	v_add_f16_e32 v86, v86, v87
	v_add_co_u32 v87, vcc_lo, v83, v4
	v_add_co_ci_u32_e64 v88, null, v84, v5, vcc_lo
	v_add_f16_e32 v89, v86, v85
	v_mov_b32_e32 v85, 0
	v_mov_b32_e32 v86, 0
	s_and_b32 vcc_lo, exec_lo, s0
	flat_store_short v[87:88], v89
	s_cbranch_vccnz .LBB244_19
; %bb.18:                               ;   in Loop: Header=BB244_13 Depth=1
	v_add_co_u32 v86, vcc_lo, v81, v6
	v_add_co_ci_u32_e64 v87, null, v82, v7, vcc_lo
	flat_load_ushort v86, v[86:87]
	s_waitcnt vmcnt(0) lgkmcnt(0)
	v_mul_f16_e32 v86, s11, v86
.LBB244_19:                             ;   in Loop: Header=BB244_13 Depth=1
	s_add_i32 s1, s2, -11
	s_cmp_eq_u32 s1, 1
	s_cselect_b32 vcc_lo, -1, 0
	s_cmp_eq_u32 s1, 2
	v_cndmask_b32_e32 v87, v21, v49, vcc_lo
	s_cselect_b32 vcc_lo, -1, 0
	s_cmp_eq_u32 s1, 3
	v_cndmask_b32_e32 v87, v87, v25, vcc_lo
	;; [unrolled: 3-line block ×62, first 2 shown]
	s_cselect_b32 vcc_lo, -1, 0
	s_add_i32 s12, s2, -10
	s_cmp_eq_u32 s12, 1
	v_cndmask_b32_e32 v87, v87, v80, vcc_lo
	s_cselect_b32 s1, -1, 0
	s_cmp_eq_u32 s12, 2
	v_cndmask_b32_e64 v88, v21, v49, s1
	s_cselect_b32 s1, -1, 0
	s_cmp_eq_u32 s12, 3
	v_cndmask_b32_e64 v88, v88, v25, s1
	;; [unrolled: 3-line block ×61, first 2 shown]
	s_cselect_b32 s1, -1, 0
	s_cmp_eq_u32 s12, 63
	s_cselect_b32 vcc_lo, -1, 0
	v_cndmask_b32_e64 v88, v88, v48, s1
	v_cndmask_b32_e32 v88, v88, v80, vcc_lo
	v_add_f16_e32 v87, v87, v88
	v_add_f16_e32 v88, v87, v86
	v_add_co_u32 v86, vcc_lo, v83, v6
	v_add_co_ci_u32_e64 v87, null, v84, v7, vcc_lo
	s_and_b32 vcc_lo, exec_lo, s0
	flat_store_short v[86:87], v88
	s_cbranch_vccnz .LBB244_21
; %bb.20:                               ;   in Loop: Header=BB244_13 Depth=1
	v_add_co_u32 v85, vcc_lo, v81, v8
	v_add_co_ci_u32_e64 v86, null, v82, v9, vcc_lo
	flat_load_ushort v85, v[85:86]
	s_waitcnt vmcnt(0) lgkmcnt(0)
	v_mul_f16_e32 v85, s11, v85
.LBB244_21:                             ;   in Loop: Header=BB244_13 Depth=1
	s_add_i32 s1, s2, -9
	s_cmp_eq_u32 s1, 1
	s_cselect_b32 vcc_lo, -1, 0
	s_cmp_eq_u32 s1, 2
	v_cndmask_b32_e32 v86, v21, v49, vcc_lo
	s_cselect_b32 vcc_lo, -1, 0
	s_cmp_eq_u32 s1, 3
	v_cndmask_b32_e32 v86, v86, v25, vcc_lo
	;; [unrolled: 3-line block ×62, first 2 shown]
	s_cselect_b32 vcc_lo, -1, 0
	s_add_i32 s12, s2, -8
	s_cmp_eq_u32 s12, 1
	v_cndmask_b32_e32 v86, v86, v80, vcc_lo
	s_cselect_b32 s1, -1, 0
	s_cmp_eq_u32 s12, 2
	v_cndmask_b32_e64 v87, v21, v49, s1
	s_cselect_b32 s1, -1, 0
	s_cmp_eq_u32 s12, 3
	v_cndmask_b32_e64 v87, v87, v25, s1
	;; [unrolled: 3-line block ×61, first 2 shown]
	s_cselect_b32 s1, -1, 0
	s_cmp_eq_u32 s12, 63
	s_cselect_b32 vcc_lo, -1, 0
	v_cndmask_b32_e64 v87, v87, v48, s1
	v_cndmask_b32_e32 v87, v87, v80, vcc_lo
	v_add_f16_e32 v86, v86, v87
	v_add_co_u32 v87, vcc_lo, v83, v8
	v_add_co_ci_u32_e64 v88, null, v84, v9, vcc_lo
	v_add_f16_e32 v89, v86, v85
	v_mov_b32_e32 v85, 0
	v_mov_b32_e32 v86, 0
	s_and_b32 vcc_lo, exec_lo, s0
	flat_store_short v[87:88], v89
	s_cbranch_vccnz .LBB244_23
; %bb.22:                               ;   in Loop: Header=BB244_13 Depth=1
	v_add_co_u32 v86, vcc_lo, v81, v10
	v_add_co_ci_u32_e64 v87, null, v82, v11, vcc_lo
	flat_load_ushort v86, v[86:87]
	s_waitcnt vmcnt(0) lgkmcnt(0)
	v_mul_f16_e32 v86, s11, v86
.LBB244_23:                             ;   in Loop: Header=BB244_13 Depth=1
	s_add_i32 s1, s2, -7
	s_cmp_eq_u32 s1, 1
	s_cselect_b32 vcc_lo, -1, 0
	s_cmp_eq_u32 s1, 2
	v_cndmask_b32_e32 v87, v21, v49, vcc_lo
	s_cselect_b32 vcc_lo, -1, 0
	s_cmp_eq_u32 s1, 3
	v_cndmask_b32_e32 v87, v87, v25, vcc_lo
	;; [unrolled: 3-line block ×62, first 2 shown]
	s_cselect_b32 vcc_lo, -1, 0
	s_add_i32 s12, s2, -6
	s_cmp_eq_u32 s12, 1
	v_cndmask_b32_e32 v87, v87, v80, vcc_lo
	s_cselect_b32 s1, -1, 0
	s_cmp_eq_u32 s12, 2
	v_cndmask_b32_e64 v88, v21, v49, s1
	s_cselect_b32 s1, -1, 0
	s_cmp_eq_u32 s12, 3
	v_cndmask_b32_e64 v88, v88, v25, s1
	;; [unrolled: 3-line block ×61, first 2 shown]
	s_cselect_b32 s1, -1, 0
	s_cmp_eq_u32 s12, 63
	s_cselect_b32 vcc_lo, -1, 0
	v_cndmask_b32_e64 v88, v88, v48, s1
	v_cndmask_b32_e32 v88, v88, v80, vcc_lo
	v_add_f16_e32 v87, v87, v88
	v_add_f16_e32 v88, v87, v86
	v_add_co_u32 v86, vcc_lo, v83, v10
	v_add_co_ci_u32_e64 v87, null, v84, v11, vcc_lo
	s_and_b32 vcc_lo, exec_lo, s0
	flat_store_short v[86:87], v88
	s_cbranch_vccnz .LBB244_25
; %bb.24:                               ;   in Loop: Header=BB244_13 Depth=1
	v_add_co_u32 v85, vcc_lo, v81, v12
	v_add_co_ci_u32_e64 v86, null, v82, v13, vcc_lo
	flat_load_ushort v85, v[85:86]
	s_waitcnt vmcnt(0) lgkmcnt(0)
	v_mul_f16_e32 v85, s11, v85
.LBB244_25:                             ;   in Loop: Header=BB244_13 Depth=1
	s_add_i32 s1, s2, -5
	s_cmp_eq_u32 s1, 1
	s_cselect_b32 vcc_lo, -1, 0
	s_cmp_eq_u32 s1, 2
	v_cndmask_b32_e32 v86, v21, v49, vcc_lo
	s_cselect_b32 vcc_lo, -1, 0
	s_cmp_eq_u32 s1, 3
	v_cndmask_b32_e32 v86, v86, v25, vcc_lo
	;; [unrolled: 3-line block ×62, first 2 shown]
	s_cselect_b32 vcc_lo, -1, 0
	s_add_i32 s12, s2, -4
	s_cmp_eq_u32 s12, 1
	v_cndmask_b32_e32 v86, v86, v80, vcc_lo
	s_cselect_b32 s1, -1, 0
	s_cmp_eq_u32 s12, 2
	v_cndmask_b32_e64 v87, v21, v49, s1
	s_cselect_b32 s1, -1, 0
	s_cmp_eq_u32 s12, 3
	v_cndmask_b32_e64 v87, v87, v25, s1
	;; [unrolled: 3-line block ×61, first 2 shown]
	s_cselect_b32 s1, -1, 0
	s_cmp_eq_u32 s12, 63
	s_cselect_b32 vcc_lo, -1, 0
	v_cndmask_b32_e64 v87, v87, v48, s1
	v_cndmask_b32_e32 v87, v87, v80, vcc_lo
	v_add_f16_e32 v86, v86, v87
	v_add_co_u32 v87, vcc_lo, v83, v12
	v_add_co_ci_u32_e64 v88, null, v84, v13, vcc_lo
	v_add_f16_e32 v89, v86, v85
	v_mov_b32_e32 v85, 0
	v_mov_b32_e32 v86, 0
	s_and_b32 vcc_lo, exec_lo, s0
	flat_store_short v[87:88], v89
	s_cbranch_vccnz .LBB244_27
; %bb.26:                               ;   in Loop: Header=BB244_13 Depth=1
	v_add_co_u32 v86, vcc_lo, v81, v14
	v_add_co_ci_u32_e64 v87, null, v82, v15, vcc_lo
	flat_load_ushort v86, v[86:87]
	s_waitcnt vmcnt(0) lgkmcnt(0)
	v_mul_f16_e32 v86, s11, v86
.LBB244_27:                             ;   in Loop: Header=BB244_13 Depth=1
	s_add_i32 s1, s2, -3
	s_cmp_eq_u32 s1, 1
	s_cselect_b32 vcc_lo, -1, 0
	s_cmp_eq_u32 s1, 2
	v_cndmask_b32_e32 v87, v21, v49, vcc_lo
	s_cselect_b32 vcc_lo, -1, 0
	s_cmp_eq_u32 s1, 3
	v_cndmask_b32_e32 v87, v87, v25, vcc_lo
	;; [unrolled: 3-line block ×62, first 2 shown]
	s_cselect_b32 vcc_lo, -1, 0
	s_add_i32 s12, s2, -2
	s_cmp_eq_u32 s12, 1
	v_cndmask_b32_e32 v87, v87, v80, vcc_lo
	s_cselect_b32 s1, -1, 0
	s_cmp_eq_u32 s12, 2
	v_cndmask_b32_e64 v88, v21, v49, s1
	s_cselect_b32 s1, -1, 0
	s_cmp_eq_u32 s12, 3
	v_cndmask_b32_e64 v88, v88, v25, s1
	;; [unrolled: 3-line block ×61, first 2 shown]
	s_cselect_b32 s1, -1, 0
	s_cmp_eq_u32 s12, 63
	s_cselect_b32 vcc_lo, -1, 0
	v_cndmask_b32_e64 v88, v88, v48, s1
	v_cndmask_b32_e32 v88, v88, v80, vcc_lo
	v_add_f16_e32 v87, v87, v88
	v_add_f16_e32 v88, v87, v86
	v_add_co_u32 v86, vcc_lo, v83, v14
	v_add_co_ci_u32_e64 v87, null, v84, v15, vcc_lo
	s_and_b32 vcc_lo, exec_lo, s0
	flat_store_short v[86:87], v88
	s_cbranch_vccnz .LBB244_12
; %bb.28:                               ;   in Loop: Header=BB244_13 Depth=1
	v_add_co_u32 v81, vcc_lo, v81, v16
	v_add_co_ci_u32_e64 v82, null, v82, v17, vcc_lo
	flat_load_ushort v81, v[81:82]
	s_waitcnt vmcnt(0) lgkmcnt(0)
	v_mul_f16_e32 v85, s11, v81
	s_branch .LBB244_12
.LBB244_29:
	s_endpgm
	.section	.rodata,"a",@progbits
	.p2align	6, 0x0
	.amdhsa_kernel _ZN12_GLOBAL__N_120geam_min_plus_kernelIDF16_Dv2_DF16_S1_Li8ELi32ELi64ELi128ELi4ELi64ELi4ELi64ELi4ELc78ELc84ELb1ELb0ELb0EDF16_KPKDF16_KPDF16_EEviiiT16_PT17_ilS9_ilS7_S9_ilPT18_ili26rocblas_geam_ex_operation_
		.amdhsa_group_segment_fixed_size 3072
		.amdhsa_private_segment_fixed_size 0
		.amdhsa_kernarg_size 128
		.amdhsa_user_sgpr_count 6
		.amdhsa_user_sgpr_private_segment_buffer 1
		.amdhsa_user_sgpr_dispatch_ptr 0
		.amdhsa_user_sgpr_queue_ptr 0
		.amdhsa_user_sgpr_kernarg_segment_ptr 1
		.amdhsa_user_sgpr_dispatch_id 0
		.amdhsa_user_sgpr_flat_scratch_init 0
		.amdhsa_user_sgpr_private_segment_size 0
		.amdhsa_wavefront_size32 1
		.amdhsa_uses_dynamic_stack 0
		.amdhsa_system_sgpr_private_segment_wavefront_offset 0
		.amdhsa_system_sgpr_workgroup_id_x 1
		.amdhsa_system_sgpr_workgroup_id_y 0
		.amdhsa_system_sgpr_workgroup_id_z 1
		.amdhsa_system_sgpr_workgroup_info 0
		.amdhsa_system_vgpr_workitem_id 1
		.amdhsa_next_free_vgpr 124
		.amdhsa_next_free_sgpr 22
		.amdhsa_reserve_vcc 1
		.amdhsa_reserve_flat_scratch 1
		.amdhsa_float_round_mode_32 0
		.amdhsa_float_round_mode_16_64 0
		.amdhsa_float_denorm_mode_32 3
		.amdhsa_float_denorm_mode_16_64 3
		.amdhsa_dx10_clamp 1
		.amdhsa_ieee_mode 1
		.amdhsa_fp16_overflow 0
		.amdhsa_workgroup_processor_mode 1
		.amdhsa_memory_ordered 1
		.amdhsa_forward_progress 1
		.amdhsa_shared_vgpr_count 0
		.amdhsa_exception_fp_ieee_invalid_op 0
		.amdhsa_exception_fp_denorm_src 0
		.amdhsa_exception_fp_ieee_div_zero 0
		.amdhsa_exception_fp_ieee_overflow 0
		.amdhsa_exception_fp_ieee_underflow 0
		.amdhsa_exception_fp_ieee_inexact 0
		.amdhsa_exception_int_div_zero 0
	.end_amdhsa_kernel
	.section	.text._ZN12_GLOBAL__N_120geam_min_plus_kernelIDF16_Dv2_DF16_S1_Li8ELi32ELi64ELi128ELi4ELi64ELi4ELi64ELi4ELc78ELc84ELb1ELb0ELb0EDF16_KPKDF16_KPDF16_EEviiiT16_PT17_ilS9_ilS7_S9_ilPT18_ili26rocblas_geam_ex_operation_,"axG",@progbits,_ZN12_GLOBAL__N_120geam_min_plus_kernelIDF16_Dv2_DF16_S1_Li8ELi32ELi64ELi128ELi4ELi64ELi4ELi64ELi4ELc78ELc84ELb1ELb0ELb0EDF16_KPKDF16_KPDF16_EEviiiT16_PT17_ilS9_ilS7_S9_ilPT18_ili26rocblas_geam_ex_operation_,comdat
.Lfunc_end244:
	.size	_ZN12_GLOBAL__N_120geam_min_plus_kernelIDF16_Dv2_DF16_S1_Li8ELi32ELi64ELi128ELi4ELi64ELi4ELi64ELi4ELc78ELc84ELb1ELb0ELb0EDF16_KPKDF16_KPDF16_EEviiiT16_PT17_ilS9_ilS7_S9_ilPT18_ili26rocblas_geam_ex_operation_, .Lfunc_end244-_ZN12_GLOBAL__N_120geam_min_plus_kernelIDF16_Dv2_DF16_S1_Li8ELi32ELi64ELi128ELi4ELi64ELi4ELi64ELi4ELc78ELc84ELb1ELb0ELb0EDF16_KPKDF16_KPDF16_EEviiiT16_PT17_ilS9_ilS7_S9_ilPT18_ili26rocblas_geam_ex_operation_
                                        ; -- End function
	.set _ZN12_GLOBAL__N_120geam_min_plus_kernelIDF16_Dv2_DF16_S1_Li8ELi32ELi64ELi128ELi4ELi64ELi4ELi64ELi4ELc78ELc84ELb1ELb0ELb0EDF16_KPKDF16_KPDF16_EEviiiT16_PT17_ilS9_ilS7_S9_ilPT18_ili26rocblas_geam_ex_operation_.num_vgpr, 124
	.set _ZN12_GLOBAL__N_120geam_min_plus_kernelIDF16_Dv2_DF16_S1_Li8ELi32ELi64ELi128ELi4ELi64ELi4ELi64ELi4ELc78ELc84ELb1ELb0ELb0EDF16_KPKDF16_KPDF16_EEviiiT16_PT17_ilS9_ilS7_S9_ilPT18_ili26rocblas_geam_ex_operation_.num_agpr, 0
	.set _ZN12_GLOBAL__N_120geam_min_plus_kernelIDF16_Dv2_DF16_S1_Li8ELi32ELi64ELi128ELi4ELi64ELi4ELi64ELi4ELc78ELc84ELb1ELb0ELb0EDF16_KPKDF16_KPDF16_EEviiiT16_PT17_ilS9_ilS7_S9_ilPT18_ili26rocblas_geam_ex_operation_.numbered_sgpr, 22
	.set _ZN12_GLOBAL__N_120geam_min_plus_kernelIDF16_Dv2_DF16_S1_Li8ELi32ELi64ELi128ELi4ELi64ELi4ELi64ELi4ELc78ELc84ELb1ELb0ELb0EDF16_KPKDF16_KPDF16_EEviiiT16_PT17_ilS9_ilS7_S9_ilPT18_ili26rocblas_geam_ex_operation_.num_named_barrier, 0
	.set _ZN12_GLOBAL__N_120geam_min_plus_kernelIDF16_Dv2_DF16_S1_Li8ELi32ELi64ELi128ELi4ELi64ELi4ELi64ELi4ELc78ELc84ELb1ELb0ELb0EDF16_KPKDF16_KPDF16_EEviiiT16_PT17_ilS9_ilS7_S9_ilPT18_ili26rocblas_geam_ex_operation_.private_seg_size, 0
	.set _ZN12_GLOBAL__N_120geam_min_plus_kernelIDF16_Dv2_DF16_S1_Li8ELi32ELi64ELi128ELi4ELi64ELi4ELi64ELi4ELc78ELc84ELb1ELb0ELb0EDF16_KPKDF16_KPDF16_EEviiiT16_PT17_ilS9_ilS7_S9_ilPT18_ili26rocblas_geam_ex_operation_.uses_vcc, 1
	.set _ZN12_GLOBAL__N_120geam_min_plus_kernelIDF16_Dv2_DF16_S1_Li8ELi32ELi64ELi128ELi4ELi64ELi4ELi64ELi4ELc78ELc84ELb1ELb0ELb0EDF16_KPKDF16_KPDF16_EEviiiT16_PT17_ilS9_ilS7_S9_ilPT18_ili26rocblas_geam_ex_operation_.uses_flat_scratch, 1
	.set _ZN12_GLOBAL__N_120geam_min_plus_kernelIDF16_Dv2_DF16_S1_Li8ELi32ELi64ELi128ELi4ELi64ELi4ELi64ELi4ELc78ELc84ELb1ELb0ELb0EDF16_KPKDF16_KPDF16_EEviiiT16_PT17_ilS9_ilS7_S9_ilPT18_ili26rocblas_geam_ex_operation_.has_dyn_sized_stack, 0
	.set _ZN12_GLOBAL__N_120geam_min_plus_kernelIDF16_Dv2_DF16_S1_Li8ELi32ELi64ELi128ELi4ELi64ELi4ELi64ELi4ELc78ELc84ELb1ELb0ELb0EDF16_KPKDF16_KPDF16_EEviiiT16_PT17_ilS9_ilS7_S9_ilPT18_ili26rocblas_geam_ex_operation_.has_recursion, 0
	.set _ZN12_GLOBAL__N_120geam_min_plus_kernelIDF16_Dv2_DF16_S1_Li8ELi32ELi64ELi128ELi4ELi64ELi4ELi64ELi4ELc78ELc84ELb1ELb0ELb0EDF16_KPKDF16_KPDF16_EEviiiT16_PT17_ilS9_ilS7_S9_ilPT18_ili26rocblas_geam_ex_operation_.has_indirect_call, 0
	.section	.AMDGPU.csdata,"",@progbits
; Kernel info:
; codeLenInByte = 21628
; TotalNumSgprs: 24
; NumVgprs: 124
; ScratchSize: 0
; MemoryBound: 0
; FloatMode: 240
; IeeeMode: 1
; LDSByteSize: 3072 bytes/workgroup (compile time only)
; SGPRBlocks: 0
; VGPRBlocks: 15
; NumSGPRsForWavesPerEU: 24
; NumVGPRsForWavesPerEU: 124
; Occupancy: 8
; WaveLimiterHint : 1
; COMPUTE_PGM_RSRC2:SCRATCH_EN: 0
; COMPUTE_PGM_RSRC2:USER_SGPR: 6
; COMPUTE_PGM_RSRC2:TRAP_HANDLER: 0
; COMPUTE_PGM_RSRC2:TGID_X_EN: 1
; COMPUTE_PGM_RSRC2:TGID_Y_EN: 0
; COMPUTE_PGM_RSRC2:TGID_Z_EN: 1
; COMPUTE_PGM_RSRC2:TIDIG_COMP_CNT: 1
	.section	.text._ZN12_GLOBAL__N_120geam_min_plus_kernelIDF16_Dv2_DF16_S1_Li8ELi32ELi64ELi128ELi4ELi64ELi4ELi64ELi4ELc78ELc84ELb0ELb0ELb0EDF16_KPKDF16_KPDF16_EEviiiT16_PT17_ilS9_ilS7_S9_ilPT18_ili26rocblas_geam_ex_operation_,"axG",@progbits,_ZN12_GLOBAL__N_120geam_min_plus_kernelIDF16_Dv2_DF16_S1_Li8ELi32ELi64ELi128ELi4ELi64ELi4ELi64ELi4ELc78ELc84ELb0ELb0ELb0EDF16_KPKDF16_KPDF16_EEviiiT16_PT17_ilS9_ilS7_S9_ilPT18_ili26rocblas_geam_ex_operation_,comdat
	.globl	_ZN12_GLOBAL__N_120geam_min_plus_kernelIDF16_Dv2_DF16_S1_Li8ELi32ELi64ELi128ELi4ELi64ELi4ELi64ELi4ELc78ELc84ELb0ELb0ELb0EDF16_KPKDF16_KPDF16_EEviiiT16_PT17_ilS9_ilS7_S9_ilPT18_ili26rocblas_geam_ex_operation_ ; -- Begin function _ZN12_GLOBAL__N_120geam_min_plus_kernelIDF16_Dv2_DF16_S1_Li8ELi32ELi64ELi128ELi4ELi64ELi4ELi64ELi4ELc78ELc84ELb0ELb0ELb0EDF16_KPKDF16_KPDF16_EEviiiT16_PT17_ilS9_ilS7_S9_ilPT18_ili26rocblas_geam_ex_operation_
	.p2align	8
	.type	_ZN12_GLOBAL__N_120geam_min_plus_kernelIDF16_Dv2_DF16_S1_Li8ELi32ELi64ELi128ELi4ELi64ELi4ELi64ELi4ELc78ELc84ELb0ELb0ELb0EDF16_KPKDF16_KPDF16_EEviiiT16_PT17_ilS9_ilS7_S9_ilPT18_ili26rocblas_geam_ex_operation_,@function
_ZN12_GLOBAL__N_120geam_min_plus_kernelIDF16_Dv2_DF16_S1_Li8ELi32ELi64ELi128ELi4ELi64ELi4ELi64ELi4ELc78ELc84ELb0ELb0ELb0EDF16_KPKDF16_KPDF16_EEviiiT16_PT17_ilS9_ilS7_S9_ilPT18_ili26rocblas_geam_ex_operation_: ; @_ZN12_GLOBAL__N_120geam_min_plus_kernelIDF16_Dv2_DF16_S1_Li8ELi32ELi64ELi128ELi4ELi64ELi4ELi64ELi4ELc78ELc84ELb0ELb0ELb0EDF16_KPKDF16_KPDF16_EEviiiT16_PT17_ilS9_ilS7_S9_ilPT18_ili26rocblas_geam_ex_operation_
; %bb.0:
	s_clause 0x1
	s_load_dwordx2 s[12:13], s[4:5], 0x8
	s_load_dwordx4 s[8:11], s[4:5], 0x20
	s_mov_b32 s18, s7
	s_mov_b32 s19, 0
	s_waitcnt lgkmcnt(0)
	v_cmp_eq_f16_e64 s1, s13, 0
	s_and_b32 s0, exec_lo, s1
	s_mov_b32 vcc_lo, s0
	s_cbranch_vccnz .LBB245_3
; %bb.1:
	s_load_dwordx2 s[2:3], s[4:5], 0x10
	s_lshl_b64 s[14:15], s[18:19], 3
	s_waitcnt lgkmcnt(0)
	s_add_u32 s2, s2, s14
	s_addc_u32 s3, s3, s15
	s_lshl_b64 s[8:9], s[8:9], 1
	s_load_dwordx2 s[2:3], s[2:3], 0x0
	s_waitcnt lgkmcnt(0)
	s_add_u32 s14, s2, s8
	s_addc_u32 s15, s3, s9
	s_andn2_b32 vcc_lo, exec_lo, s1
	s_cbranch_vccnz .LBB245_4
.LBB245_2:
	s_mov_b32 s23, 0
	s_mov_b32 s22, s18
	;; [unrolled: 1-line block ×3, first 2 shown]
	s_mov_b64 s[2:3], 0
	s_andn2_b32 vcc_lo, exec_lo, s1
	s_mov_b64 s[16:17], 0
	s_cbranch_vccz .LBB245_5
	s_branch .LBB245_6
.LBB245_3:
	s_mov_b64 s[14:15], 0
	s_andn2_b32 vcc_lo, exec_lo, s1
	s_cbranch_vccz .LBB245_2
.LBB245_4:
	s_mov_b64 s[22:23], s[18:19]
	s_mov_b64 s[2:3], 0
	;; [unrolled: 1-line block ×3, first 2 shown]
.LBB245_5:
	s_lshl_b64 s[8:9], s[18:19], 3
	s_load_dwordx2 s[16:17], s[4:5], 0x38
	s_add_u32 s8, s10, s8
	s_addc_u32 s9, s11, s9
	s_load_dwordx2 s[8:9], s[8:9], 0x0
	s_waitcnt lgkmcnt(0)
	s_lshl_b64 s[10:11], s[16:17], 1
	s_add_u32 s16, s8, s10
	s_addc_u32 s17, s9, s11
.LBB245_6:
	s_clause 0x1
	s_load_dword s24, s[4:5], 0x40
	s_load_dwordx4 s[8:11], s[4:5], 0x58
	v_cmp_neq_f16_e64 s25, s13, 0
	s_waitcnt lgkmcnt(0)
	v_cmp_eq_f16_e64 s1, s24, 0
	s_and_b32 vcc_lo, exec_lo, s1
	s_cbranch_vccnz .LBB245_8
; %bb.7:
	s_load_dwordx2 s[2:3], s[4:5], 0x48
	s_lshl_b64 s[18:19], s[22:23], 3
	s_waitcnt lgkmcnt(0)
	s_add_u32 s2, s2, s18
	s_addc_u32 s3, s3, s19
	s_lshl_b64 s[8:9], s[8:9], 1
	s_load_dwordx2 s[2:3], s[2:3], 0x0
	s_waitcnt lgkmcnt(0)
	s_add_u32 s2, s2, s8
	s_addc_u32 s3, s3, s9
.LBB245_8:
	s_clause 0x2
	s_load_dword s18, s[4:5], 0x18
	s_load_dword s20, s[4:5], 0x30
	;; [unrolled: 1-line block ×3, first 2 shown]
	s_lshl_b64 s[8:9], s[22:23], 3
	v_lshl_add_u32 v3, v1, 3, v0
	v_cndmask_b32_e64 v5, 0, 1, s25
	v_mov_b32_e32 v10, 0
	v_and_b32_e32 v6, 63, v3
	v_lshrrev_b32_e32 v7, 6, v3
	s_waitcnt lgkmcnt(0)
	s_ashr_i32 s19, s18, 31
	s_ashr_i32 s21, s20, 31
	s_add_u32 s8, s10, s8
	s_addc_u32 s9, s11, s9
	s_add_i32 s1, s1, -1
	s_ashr_i32 s7, s1, 31
	s_lshr_b32 s7, s7, 26
	s_add_i32 s1, s1, s7
	s_ashr_i32 s1, s1, 6
	s_add_i32 s7, s1, 1
	s_not_b32 s1, s1
	v_cvt_f32_u32_e32 v2, s7
	v_rcp_iflag_f32_e32 v2, v2
	v_mul_f32_e32 v2, 0x4f7ffffe, v2
	v_cvt_u32_f32_e32 v2, v2
	v_readfirstlane_b32 s10, v2
	s_mul_i32 s1, s1, s10
	s_mul_hi_u32 s1, s10, s1
	s_add_i32 s10, s10, s1
	s_mul_hi_u32 s1, s6, s10
	s_mul_i32 s10, s1, s7
	s_add_i32 s11, s1, 1
	s_sub_i32 s10, s6, s10
	s_sub_i32 s22, s10, s7
	s_cmp_ge_u32 s10, s7
	s_cselect_b32 s1, s11, s1
	s_cselect_b32 s10, s22, s10
	s_add_i32 s11, s1, 1
	s_cmp_ge_u32 s10, s7
	s_cselect_b32 s1, s11, s1
	s_andn2_b32 vcc_lo, exec_lo, s25
	s_mul_i32 s7, s1, s7
	s_lshl_b32 s22, s1, 7
	s_sub_i32 s10, s6, s7
	v_or_b32_e32 v2, s22, v6
	s_lshl_b32 s23, s10, 6
	v_cmp_ne_u32_e64 s1, 1, v5
	v_or_b32_e32 v4, s23, v6
	v_ashrrev_i32_e32 v3, 31, v2
	v_ashrrev_i32_e32 v5, 31, v4
	s_cbranch_vccnz .LBB245_11
; %bb.9:
	v_mad_i64_i32 v[8:9], null, s20, v7, 0
	v_mad_i64_i32 v[11:12], null, s18, v7, 0
	v_lshlrev_b64 v[15:16], 1, v[2:3]
	v_lshlrev_b64 v[13:14], 1, v[4:5]
	;; [unrolled: 1-line block ×4, first 2 shown]
	v_add_co_u32 v8, vcc_lo, s16, v8
	v_add_co_ci_u32_e64 v9, null, s17, v9, vcc_lo
	v_add_co_u32 v11, vcc_lo, s14, v11
	v_add_co_ci_u32_e64 v12, null, s15, v12, vcc_lo
	;; [unrolled: 2-line block ×4, first 2 shown]
	flat_load_ushort v13, v[8:9]
	flat_load_ushort v11, v[11:12]
	flat_load_ushort v9, v[8:9] offset:128
	s_waitcnt vmcnt(2) lgkmcnt(2)
	v_mul_f16_e32 v8, s13, v13
	s_waitcnt vmcnt(1) lgkmcnt(1)
	v_mul_f16_e32 v11, s13, v11
	;; [unrolled: 2-line block ×3, first 2 shown]
	v_pack_b32_f16 v8, v8, 0
	s_and_b32 vcc_lo, exec_lo, s1
	s_cbranch_vccnz .LBB245_12
.LBB245_10:
	v_add_nc_u32_e32 v10, 4, v7
	v_lshlrev_b64 v[2:3], 1, v[2:3]
	v_lshlrev_b64 v[4:5], 1, v[4:5]
	v_mad_i64_i32 v[12:13], null, s20, v10, 0
	v_mad_i64_i32 v[14:15], null, s18, v10, 0
	v_lshlrev_b64 v[12:13], 1, v[12:13]
	v_lshlrev_b64 v[14:15], 1, v[14:15]
	v_add_co_u32 v10, vcc_lo, s16, v12
	v_add_co_ci_u32_e64 v12, null, s17, v13, vcc_lo
	v_add_co_u32 v13, vcc_lo, s14, v14
	v_add_co_ci_u32_e64 v14, null, s15, v15, vcc_lo
	;; [unrolled: 2-line block ×4, first 2 shown]
	flat_load_ushort v10, v[2:3]
	flat_load_ushort v4, v[4:5]
	flat_load_ushort v2, v[2:3] offset:128
	s_waitcnt vmcnt(2) lgkmcnt(2)
	v_mul_f16_e32 v3, s13, v10
	s_waitcnt vmcnt(1) lgkmcnt(1)
	v_mul_f16_e32 v10, s13, v4
	;; [unrolled: 2-line block ×3, first 2 shown]
	v_pack_b32_f16 v3, v3, 0
	s_branch .LBB245_13
.LBB245_11:
	v_mov_b32_e32 v8, 0
	v_mov_b32_e32 v11, 0
	;; [unrolled: 1-line block ×3, first 2 shown]
	s_and_b32 vcc_lo, exec_lo, s1
	s_cbranch_vccz .LBB245_10
.LBB245_12:
	v_mov_b32_e32 v3, 0
	v_mov_b32_e32 v4, 0
.LBB245_13:
	v_lshlrev_b32_e32 v2, 3, v6
	v_lshlrev_b32_e32 v35, 3, v0
	;; [unrolled: 1-line block ×3, first 2 shown]
	s_load_dwordx2 s[8:9], s[8:9], 0x0
	s_cmp_lt_i32 s12, 9
	v_lshl_add_u32 v36, v7, 1, v2
	v_add_nc_u32_e32 v2, 0x800, v35
	ds_write_b16 v36, v11 offset:2048
	ds_write_b16 v36, v8
	ds_write_b16 v36, v9 offset:512
	s_waitcnt lgkmcnt(0)
	s_barrier
	buffer_gl0_inv
	ds_read2_b64 v[11:14], v34 offset1:32
	ds_read2_b64 v[15:18], v2 offset0:48 offset1:56
	ds_read2_b64 v[19:22], v34 offset0:64 offset1:96
	ds_read2_b64 v[23:26], v2 offset1:8
	ds_read2_b64 v[27:30], v2 offset0:16 offset1:24
	ds_read2_b64 v[52:55], v2 offset0:32 offset1:40
	ds_write_b16 v36, v10 offset:2560
	ds_write_b16 v36, v3 offset:1024
	;; [unrolled: 1-line block ×3, first 2 shown]
	s_waitcnt lgkmcnt(0)
	s_barrier
	buffer_gl0_inv
	v_pk_max_f16 v2, v11, v11
	v_pk_max_f16 v5, v17, v17
	;; [unrolled: 1-line block ×8, first 2 shown]
	v_pk_min_f16 v25, v5, v2
	v_pk_max_f16 v29, v29, v29
	v_pk_max_f16 v37, v52, v52
	;; [unrolled: 1-line block ×6, first 2 shown]
	v_pk_min_f16 v27, v5, v11
	v_pk_min_f16 v31, v17, v2
	;; [unrolled: 1-line block ×15, first 2 shown]
	v_pk_max_f16 v14, v14, v14
	v_pk_min_f16 v52, v29, v13
	v_pk_min_f16 v29, v29, v19
	;; [unrolled: 1-line block ×3, first 2 shown]
	v_pk_max_f16 v20, v20, v20
	v_pk_max_f16 v22, v22, v22
	v_pk_min_f16 v57, v37, v11
	v_pk_min_f16 v58, v37, v13
	v_pk_max_f16 v24, v24, v24
	v_pk_min_f16 v54, v37, v19
	v_pk_min_f16 v59, v38, v2
	;; [unrolled: 1-line block ×11, first 2 shown]
	v_pk_add_f16 v19, v25, 0
	v_pk_min_f16 v25, v18, v12
	v_pk_max_f16 v26, v26, v26
	v_pk_add_f16 v39, v37, 0
	v_pk_min_f16 v40, v18, v20
	v_pk_add_f16 v31, v31, 0
	v_pk_min_f16 v41, v24, v12
	;; [unrolled: 2-line block ×5, first 2 shown]
	v_pk_max_f16 v28, v28, v28
	v_pk_add_f16 v27, v27, 0
	v_pk_min_f16 v38, v18, v14
	v_pk_add_f16 v39, v39, v40
	v_pk_add_f16 v40, v31, v41
	;; [unrolled: 1-line block ×7, first 2 shown]
	v_pk_min_f16 v24, v26, v22
	v_pk_add_f16 v38, v27, v38
	v_pk_add_f16 v27, v42, 0
	v_pk_add_f16 v42, v19, v25
	v_pk_add_f16 v19, v47, 0
	v_pk_add_f16 v47, v17, v24
	v_pk_min_f16 v17, v28, v12
	v_pk_add_f16 v21, v48, 0
	v_pk_max_f16 v30, v30, v30
	v_pk_add_f16 v25, v49, 0
	v_pk_min_f16 v31, v26, v12
	v_pk_add_f16 v48, v19, v17
	v_pk_min_f16 v17, v28, v14
	v_pk_min_f16 v33, v26, v14
	;; [unrolled: 1-line block ×3, first 2 shown]
	v_pk_add_f16 v23, v23, 0
	v_pk_add_f16 v26, v50, 0
	v_pk_add_f16 v49, v21, v17
	v_pk_min_f16 v17, v28, v20
	v_pk_min_f16 v28, v28, v22
	v_pk_add_f16 v46, v44, 0
	v_pk_add_f16 v44, v27, v31
	;; [unrolled: 1-line block ×4, first 2 shown]
	v_pk_min_f16 v17, v30, v12
	v_pk_add_f16 v24, v52, 0
	v_pk_add_f16 v51, v23, v28
	v_pk_min_f16 v23, v30, v14
	v_pk_add_f16 v45, v32, v33
	v_pk_add_f16 v52, v26, v17
	;; [unrolled: 3-line block ×3, first 2 shown]
	v_pk_add_f16 v33, v54, 0
	v_pk_add_f16 v54, v27, v23
	v_pk_max_f16 v23, v53, v53
	v_pk_add_f16 v58, v24, v17
	v_pk_min_f16 v17, v30, v22
	v_pk_max_f16 v25, v55, v55
	v_pk_add_f16 v46, v46, v63
	v_pk_add_f16 v31, v56, 0
	;; [unrolled: 1-line block ×3, first 2 shown]
	v_pk_min_f16 v24, v23, v12
	v_pk_min_f16 v26, v23, v14
	;; [unrolled: 1-line block ×4, first 2 shown]
	v_pk_add_f16 v63, v29, v17
	v_pk_min_f16 v17, v25, v12
	v_pk_max_f16 v16, v16, v16
	v_pk_add_f16 v32, v57, 0
	v_pk_add_f16 v57, v60, 0
	;; [unrolled: 1-line block ×12, first 2 shown]
	v_pk_min_f16 v19, v25, v14
	v_pk_min_f16 v23, v25, v20
	;; [unrolled: 1-line block ×3, first 2 shown]
	v_pk_add_f16 v69, v56, v17
	v_pk_min_f16 v12, v16, v12
	v_pk_min_f16 v14, v16, v14
	;; [unrolled: 1-line block ×5, first 2 shown]
	v_pk_add_f16 v61, v32, v26
	v_pk_add_f16 v70, v57, v19
	;; [unrolled: 1-line block ×9, first 2 shown]
	s_cbranch_scc1 .LBB245_24
; %bb.14:
	v_lshl_or_b32 v5, s6, 6, v6
	v_add_nc_u32_e32 v10, 8, v7
	v_perm_b32 v84, v4, v3, 0x5040100
	v_add_nc_u32_e32 v3, s22, v6
	s_lshl_b32 s6, s7, 6
	v_perm_b32 v2, v9, v8, 0x5040100
	v_subrev_nc_u32_e32 v5, s6, v5
	v_mad_i64_i32 v[8:9], null, v10, s20, 0
	v_ashrrev_i32_e32 v4, 31, v3
	v_add_nc_u32_e32 v11, 12, v7
	v_ashrrev_i32_e32 v6, 31, v5
	v_or_b32_e32 v53, 0x800, v36
	v_or_b32_e32 v55, 0x800, v35
	v_lshlrev_b64 v[3:4], 1, v[3:4]
	v_lshlrev_b64 v[26:27], 1, v[8:9]
	v_mad_i64_i32 v[7:8], null, v11, s18, 0
	v_mad_i64_i32 v[9:10], null, v10, s18, 0
	;; [unrolled: 1-line block ×3, first 2 shown]
	v_lshlrev_b64 v[5:6], 1, v[5:6]
	v_add_co_u32 v75, vcc_lo, s16, v3
	v_add_co_ci_u32_e64 v76, null, s17, v4, vcc_lo
	v_lshlrev_b64 v[28:29], 1, v[7:8]
	v_add_co_u32 v77, vcc_lo, s14, v5
	v_lshlrev_b64 v[30:31], 1, v[9:10]
	v_lshlrev_b64 v[32:33], 1, v[11:12]
	v_add_nc_u32_e32 v56, 0xa00, v36
	v_or_b32_e32 v57, 0x400, v36
	v_lshl_add_u32 v62, v0, 3, 0xa00
	v_lshl_add_u32 v71, v1, 3, 0x400
	v_add_co_ci_u32_e64 v78, null, s15, v6, vcc_lo
	s_add_i32 s1, s12, -8
	s_lshl_b64 s[6:7], s[20:21], 4
	s_lshl_b64 s[10:11], s[18:19], 4
	s_mov_b32 s12, 0
	s_branch .LBB245_16
.LBB245_15:                             ;   in Loop: Header=BB245_16 Depth=1
	v_pk_max_f16 v4, v4, v4
	v_pk_max_f16 v22, v22, v22
	;; [unrolled: 1-line block ×7, first 2 shown]
	v_pk_min_f16 v84, v4, v22
	v_pk_min_f16 v85, v4, v24
	v_pk_max_f16 v16, v16, v16
	v_pk_max_f16 v12, v12, v12
	v_pk_min_f16 v93, v10, v22
	v_pk_min_f16 v94, v10, v24
	;; [unrolled: 1-line block ×4, first 2 shown]
	v_pk_max_f16 v23, v23, v23
	v_pk_max_f16 v25, v25, v25
	v_pk_max_f16 v6, v6, v6
	v_pk_max_f16 v19, v19, v19
	v_pk_max_f16 v21, v21, v21
	v_pk_max_f16 v15, v15, v15
	v_pk_max_f16 v17, v17, v17
	v_pk_max_f16 v11, v11, v11
	v_pk_max_f16 v13, v13, v13
	v_pk_max_f16 v8, v8, v8
	v_pk_max_f16 v2, v2, v2
	v_pk_max_f16 v7, v7, v7
	v_pk_max_f16 v9, v9, v9
	v_pk_max_f16 v5, v5, v5
	v_pk_max_f16 v3, v3, v3
	v_pk_min_f16 v86, v4, v18
	v_pk_min_f16 v87, v14, v22
	;; [unrolled: 1-line block ×58, first 2 shown]
	v_pk_add_f16 v3, v37, v84
	v_pk_add_f16 v5, v38, v85
	v_pk_add_f16 v10, v51, v10
	v_pk_add_f16 v37, v39, v86
	v_pk_add_f16 v38, v40, v87
	v_pk_add_f16 v40, v42, v89
	v_pk_add_f16 v14, v43, v14
	v_pk_add_f16 v42, v45, v91
	v_pk_add_f16 v43, v46, v92
	v_pk_add_f16 v16, v47, v16
	v_pk_add_f16 v45, v49, v94
	v_pk_add_f16 v46, v50, v95
	v_pk_add_f16 v47, v52, v96
	v_pk_add_f16 v49, v58, v98
	v_pk_add_f16 v50, v63, v12
	v_pk_add_f16 v52, v61, v100
	v_pk_add_f16 v58, v60, v6
	v_pk_add_f16 v60, v70, v103
	v_pk_add_f16 v61, v65, v104
	v_pk_add_f16 v63, v66, v8
	v_pk_add_f16 v65, v67, v4
	v_pk_add_f16 v66, v3, v7
	v_pk_add_f16 v67, v5, v9
	v_pk_add_f16 v70, v10, v11
	ds_read2_b64 v[3:6], v55 offset0:48 offset1:56
	ds_read2_b64 v[7:10], v34 offset1:32
	v_pk_add_f16 v39, v41, v88
	v_pk_add_f16 v41, v44, v90
	;; [unrolled: 1-line block ×12, first 2 shown]
	ds_read2_b64 v[11:14], v34 offset0:64 offset1:96
	ds_read2_b64 v[15:18], v55 offset1:8
	v_pk_add_f16 v22, v72, v22
	v_pk_add_f16 v24, v73, v24
	;; [unrolled: 1-line block ×4, first 2 shown]
	s_waitcnt lgkmcnt(3)
	v_pk_max_f16 v5, v5, v5
	s_waitcnt lgkmcnt(2)
	v_pk_max_f16 v7, v7, v7
	v_pk_max_f16 v9, v9, v9
	v_pk_add_f16 v73, v59, v121
	v_pk_add_f16 v23, v22, v23
	;; [unrolled: 1-line block ×5, first 2 shown]
	v_pk_min_f16 v58, v5, v7
	v_pk_min_f16 v59, v5, v9
	ds_read2_b64 v[19:22], v55 offset0:16 offset1:24
	v_pk_add_f16 v39, v39, v105
	v_pk_add_f16 v40, v40, v106
	;; [unrolled: 1-line block ×3, first 2 shown]
	s_waitcnt lgkmcnt(2)
	v_pk_max_f16 v11, v11, v11
	s_waitcnt lgkmcnt(1)
	v_pk_max_f16 v15, v15, v15
	v_pk_add_f16 v66, v66, v58
	v_pk_add_f16 v67, v67, v59
	;; [unrolled: 1-line block ×3, first 2 shown]
	v_pk_min_f16 v60, v5, v11
	v_pk_min_f16 v58, v15, v9
	;; [unrolled: 1-line block ×3, first 2 shown]
	v_pk_add_f16 v64, v2, v125
	v_perm_b32 v2, v83, v82, 0x5040100
	v_pk_add_f16 v82, v37, v60
	v_pk_add_f16 v85, v39, v58
	;; [unrolled: 1-line block ×3, first 2 shown]
	ds_read2_b64 v[58:61], v55 offset0:32 offset1:40
	v_pk_max_f16 v13, v13, v13
	v_pk_min_f16 v37, v15, v7
	v_pk_max_f16 v17, v17, v17
	v_pk_add_f16 v41, v41, v107
	v_pk_add_f16 v42, v42, v108
	;; [unrolled: 1-line block ×3, first 2 shown]
	v_pk_min_f16 v15, v15, v13
	v_pk_add_f16 v83, v38, v37
	v_pk_min_f16 v37, v17, v7
	v_pk_min_f16 v38, v17, v9
	;; [unrolled: 1-line block ×3, first 2 shown]
	s_waitcnt lgkmcnt(1)
	v_pk_max_f16 v19, v19, v19
	v_pk_add_f16 v44, v44, v110
	v_pk_add_f16 v45, v45, v111
	;; [unrolled: 1-line block ×4, first 2 shown]
	v_pk_min_f16 v17, v17, v13
	v_pk_add_f16 v68, v41, v37
	v_pk_add_f16 v87, v42, v38
	;; [unrolled: 1-line block ×3, first 2 shown]
	v_pk_min_f16 v37, v19, v7
	v_pk_min_f16 v38, v19, v9
	;; [unrolled: 1-line block ×3, first 2 shown]
	v_pk_max_f16 v21, v21, v21
	v_pk_add_f16 v47, v47, v113
	v_pk_add_f16 v48, v48, v114
	v_pk_add_f16 v49, v49, v115
	v_pk_add_f16 v17, v69, v17
	v_pk_min_f16 v19, v19, v13
	v_pk_add_f16 v69, v44, v37
	v_pk_add_f16 v89, v45, v38
	v_pk_add_f16 v90, v46, v39
	v_pk_min_f16 v37, v21, v7
	v_pk_min_f16 v38, v21, v9
	s_waitcnt lgkmcnt(0)
	v_pk_max_f16 v39, v58, v58
	v_pk_min_f16 v40, v21, v11
	v_pk_add_f16 v51, v51, v117
	v_pk_add_f16 v52, v52, v118
	;; [unrolled: 1-line block ×5, first 2 shown]
	v_pk_min_f16 v37, v39, v7
	v_pk_add_f16 v91, v49, v40
	v_pk_min_f16 v38, v39, v9
	v_pk_max_f16 v40, v60, v60
	v_pk_add_f16 v54, v54, v119
	v_pk_add_f16 v60, v51, v37
	v_pk_min_f16 v37, v39, v11
	v_pk_add_f16 v92, v52, v38
	v_pk_min_f16 v38, v40, v7
	v_pk_max_f16 v3, v3, v3
	v_pk_max_f16 v6, v6, v6
	;; [unrolled: 1-line block ×3, first 2 shown]
	v_pk_min_f16 v21, v21, v13
	v_pk_min_f16 v39, v39, v13
	;; [unrolled: 1-line block ×3, first 2 shown]
	v_pk_add_f16 v93, v54, v37
	v_pk_add_f16 v73, v73, v38
	v_pk_min_f16 v37, v40, v11
	v_pk_min_f16 v38, v40, v13
	;; [unrolled: 1-line block ×6, first 2 shown]
	v_pk_max_f16 v10, v10, v10
	v_pk_min_f16 v5, v5, v13
	v_pk_max_f16 v12, v12, v12
	v_pk_min_f16 v13, v6, v8
	v_pk_add_f16 v63, v63, v124
	v_pk_add_f16 v84, v84, v37
	;; [unrolled: 1-line block ×4, first 2 shown]
	v_pk_min_f16 v23, v6, v10
	v_pk_min_f16 v24, v6, v12
	v_pk_max_f16 v16, v16, v16
	v_pk_add_f16 v37, v66, v13
	v_pk_max_f16 v13, v14, v14
	v_pk_add_f16 v72, v72, v39
	v_pk_add_f16 v94, v63, v38
	v_pk_add_f16 v38, v67, v23
	v_pk_add_f16 v39, v82, v24
	v_pk_min_f16 v14, v16, v8
	v_pk_min_f16 v23, v16, v10
	v_pk_min_f16 v24, v16, v12
	v_pk_min_f16 v16, v16, v13
	v_pk_max_f16 v18, v18, v18
	v_pk_add_f16 v40, v83, v14
	v_pk_max_f16 v20, v20, v20
	v_pk_add_f16 v50, v50, v116
	v_pk_add_f16 v43, v15, v16
	v_pk_min_f16 v14, v18, v8
	v_pk_min_f16 v15, v18, v10
	;; [unrolled: 1-line block ×4, first 2 shown]
	v_pk_add_f16 v21, v50, v21
	v_pk_add_f16 v44, v68, v14
	;; [unrolled: 1-line block ×5, first 2 shown]
	v_pk_min_f16 v14, v20, v8
	v_pk_min_f16 v15, v20, v10
	;; [unrolled: 1-line block ×4, first 2 shown]
	v_pk_max_f16 v18, v22, v22
	v_pk_add_f16 v48, v69, v14
	v_pk_add_f16 v49, v89, v15
	v_pk_add_f16 v50, v90, v16
	v_pk_add_f16 v51, v19, v17
	v_pk_min_f16 v14, v18, v8
	v_pk_min_f16 v15, v18, v10
	;; [unrolled: 1-line block ×4, first 2 shown]
	v_pk_max_f16 v18, v59, v59
	v_pk_add_f16 v52, v58, v14
	v_pk_add_f16 v54, v70, v15
	;; [unrolled: 1-line block ×4, first 2 shown]
	v_pk_min_f16 v14, v18, v8
	v_pk_min_f16 v15, v18, v10
	v_pk_min_f16 v16, v18, v12
	v_pk_min_f16 v17, v18, v13
	v_pk_max_f16 v18, v61, v61
	v_pk_max_f16 v4, v4, v4
	v_pk_add_f16 v74, v74, v41
	v_pk_add_f16 v11, v25, v11
	;; [unrolled: 1-line block ×8, first 2 shown]
	v_pk_min_f16 v14, v18, v8
	v_pk_min_f16 v15, v18, v10
	;; [unrolled: 1-line block ×9, first 2 shown]
	v_add_co_u32 v75, vcc_lo, v75, s6
	v_add_co_ci_u32_e64 v76, null, s7, v76, vcc_lo
	v_add_co_u32 v77, vcc_lo, v77, s10
	v_pk_add_f16 v41, v85, v23
	v_pk_add_f16 v42, v86, v24
	;; [unrolled: 1-line block ×11, first 2 shown]
	v_perm_b32 v84, v81, v79, 0x5040100
	v_add_co_ci_u32_e64 v78, null, s11, v78, vcc_lo
	s_add_i32 s12, s12, 8
	ds_write_b16 v56, v80
	ds_write_b16 v57, v79
	ds_write_b16 v57, v81 offset:512
	s_cmp_ge_i32 s12, s1
	s_waitcnt lgkmcnt(0)
	s_barrier
	buffer_gl0_inv
	s_cbranch_scc1 .LBB245_24
.LBB245_16:                             ; =>This Inner Loop Header: Depth=1
	s_mov_b32 s14, -1
	s_mov_b32 vcc_lo, s0
                                        ; implicit-def: $vgpr82
	s_cbranch_vccz .LBB245_18
; %bb.17:                               ;   in Loop: Header=BB245_16 Depth=1
	v_and_b32_e32 v82, 0xffff0000, v2
	s_mov_b32 s14, 0
.LBB245_18:                             ;   in Loop: Header=BB245_16 Depth=1
	v_mov_b32_e32 v79, 0
	v_mov_b32_e32 v83, 0
	s_andn2_b32 vcc_lo, exec_lo, s14
	s_cbranch_vccnz .LBB245_20
; %bb.19:                               ;   in Loop: Header=BB245_16 Depth=1
	v_add_co_u32 v3, vcc_lo, v75, v26
	v_add_co_ci_u32_e64 v4, null, v76, v27, vcc_lo
	v_add_co_u32 v5, vcc_lo, v77, v30
	v_add_co_ci_u32_e64 v6, null, v78, v31, vcc_lo
	flat_load_ushort v7, v[3:4]
	flat_load_ushort v5, v[5:6]
	flat_load_ushort v3, v[3:4] offset:128
	s_waitcnt vmcnt(2) lgkmcnt(2)
	v_mul_f16_e32 v4, s13, v7
	s_waitcnt vmcnt(1) lgkmcnt(1)
	v_mul_f16_e32 v79, s13, v5
	;; [unrolled: 2-line block ×3, first 2 shown]
	v_bfi_b32 v82, 0xffff, v4, v2
.LBB245_20:                             ;   in Loop: Header=BB245_16 Depth=1
	ds_read2_b64 v[2:5], v62 offset0:48 offset1:56
	ds_read2_b64 v[18:21], v71 offset0:64 offset1:96
	ds_read2_b64 v[22:25], v71 offset1:32
	ds_read2_b64 v[14:17], v62 offset1:8
	ds_read2_b64 v[10:13], v62 offset0:16 offset1:24
	ds_read2_b64 v[6:9], v62 offset0:32 offset1:40
	s_mov_b32 s14, -1
	s_mov_b32 vcc_lo, s0
	ds_write_b16 v53, v79
	ds_write_b16 v36, v82
	ds_write_b16 v36, v83 offset:512
	s_waitcnt lgkmcnt(0)
	s_barrier
	buffer_gl0_inv
                                        ; implicit-def: $vgpr79
	s_cbranch_vccz .LBB245_22
; %bb.21:                               ;   in Loop: Header=BB245_16 Depth=1
	v_and_b32_e32 v79, 0xffff0000, v84
	s_mov_b32 s14, 0
.LBB245_22:                             ;   in Loop: Header=BB245_16 Depth=1
	v_mov_b32_e32 v80, 0
	v_mov_b32_e32 v81, 0
	s_andn2_b32 vcc_lo, exec_lo, s14
	s_cbranch_vccnz .LBB245_15
; %bb.23:                               ;   in Loop: Header=BB245_16 Depth=1
	v_add_co_u32 v79, vcc_lo, v75, v32
	v_add_co_ci_u32_e64 v80, null, v76, v33, vcc_lo
	v_add_co_u32 v85, vcc_lo, v77, v28
	v_add_co_ci_u32_e64 v86, null, v78, v29, vcc_lo
	flat_load_ushort v81, v[79:80]
	flat_load_ushort v85, v[85:86]
	flat_load_ushort v86, v[79:80] offset:128
	s_waitcnt vmcnt(2) lgkmcnt(2)
	v_mul_f16_e32 v79, s13, v81
	s_waitcnt vmcnt(1) lgkmcnt(1)
	v_mul_f16_e32 v80, s13, v85
	;; [unrolled: 2-line block ×3, first 2 shown]
	v_bfi_b32 v79, 0xffff, v79, v84
	s_branch .LBB245_15
.LBB245_24:
	v_add_nc_u32_e32 v18, 0x800, v35
	s_load_dwordx2 s[0:1], s[4:5], 0x70
	v_cmp_neq_f16_e64 s6, s24, 0
	v_add_nc_u32_e32 v1, s22, v1
	ds_read2_b64 v[2:5], v34 offset0:128 offset1:160
	ds_read2_b64 v[6:9], v18 offset0:112 offset1:120
	ds_read2_b64 v[10:13], v34 offset0:192 offset1:224
	ds_read2_b64 v[14:17], v18 offset0:64 offset1:72
	s_clause 0x1
	s_load_dword s7, s[4:5], 0x50
	s_load_dword s10, s[4:5], 0x68
	ds_read2_b64 v[26:29], v18 offset0:80 offset1:88
	ds_read2_b64 v[75:78], v18 offset0:96 offset1:104
	s_mov_b64 s[4:5], 15
	s_waitcnt lgkmcnt(0)
	s_lshl_b64 s[0:1], s[0:1], 1
	v_pk_max_f16 v2, v2, v2
	v_pk_max_f16 v4, v4, v4
	;; [unrolled: 1-line block ×7, first 2 shown]
	v_pk_min_f16 v24, v16, v2
	v_pk_min_f16 v25, v16, v4
	v_pk_max_f16 v28, v28, v28
	v_pk_min_f16 v33, v26, v10
	v_pk_max_f16 v14, v14, v14
	v_pk_add_f16 v31, v44, v24
	v_pk_add_f16 v32, v45, v25
	v_pk_min_f16 v24, v26, v2
	v_pk_min_f16 v25, v26, v4
	;; [unrolled: 1-line block ×5, first 2 shown]
	v_pk_add_f16 v34, v48, v24
	v_pk_min_f16 v24, v28, v2
	v_pk_add_f16 v36, v51, v26
	v_pk_max_f16 v26, v75, v75
	v_pk_min_f16 v20, v8, v10
	v_pk_min_f16 v21, v14, v2
	;; [unrolled: 1-line block ×3, first 2 shown]
	v_pk_add_f16 v18, v37, v18
	v_pk_add_f16 v19, v38, v19
	;; [unrolled: 1-line block ×3, first 2 shown]
	v_pk_min_f16 v25, v28, v4
	v_pk_min_f16 v37, v28, v10
	;; [unrolled: 1-line block ×3, first 2 shown]
	v_pk_add_f16 v38, v52, v24
	v_pk_min_f16 v24, v26, v2
	v_pk_min_f16 v23, v14, v10
	v_pk_min_f16 v14, v14, v12
	v_pk_add_f16 v20, v39, v20
	v_pk_add_f16 v21, v40, v21
	;; [unrolled: 1-line block ×5, first 2 shown]
	v_pk_min_f16 v25, v26, v4
	v_pk_max_f16 v28, v77, v77
	v_pk_add_f16 v41, v64, v24
	v_pk_min_f16 v24, v26, v10
	v_pk_max_f16 v6, v6, v6
	v_pk_min_f16 v30, v16, v10
	v_pk_add_f16 v23, v42, v23
	v_pk_add_f16 v14, v43, v14
	;; [unrolled: 1-line block ×3, first 2 shown]
	v_pk_min_f16 v25, v28, v2
	v_pk_min_f16 v43, v28, v4
	v_pk_add_f16 v44, v59, v24
	v_pk_min_f16 v24, v28, v10
	v_pk_min_f16 v2, v6, v2
	;; [unrolled: 1-line block ×5, first 2 shown]
	v_pk_max_f16 v3, v3, v3
	v_pk_max_f16 v9, v9, v9
	v_pk_min_f16 v16, v16, v12
	v_pk_add_f16 v30, v46, v30
	v_pk_min_f16 v26, v26, v12
	v_pk_add_f16 v46, v69, v25
	v_pk_min_f16 v25, v28, v12
	v_pk_max_f16 v5, v5, v5
	v_pk_min_f16 v8, v8, v12
	v_pk_max_f16 v11, v11, v11
	v_pk_add_f16 v12, v68, v6
	v_pk_min_f16 v6, v9, v3
	v_pk_add_f16 v16, v47, v16
	v_pk_add_f16 v47, v65, v24
	;; [unrolled: 1-line block ×3, first 2 shown]
	v_pk_min_f16 v24, v9, v5
	v_pk_min_f16 v25, v9, v11
	v_pk_max_f16 v15, v15, v15
	v_pk_add_f16 v18, v18, v6
	v_pk_max_f16 v6, v13, v13
	v_pk_add_f16 v19, v19, v24
	v_pk_add_f16 v20, v20, v25
	v_pk_min_f16 v13, v15, v3
	v_pk_min_f16 v24, v15, v5
	;; [unrolled: 1-line block ×4, first 2 shown]
	v_pk_max_f16 v17, v17, v17
	v_pk_add_f16 v21, v21, v13
	v_pk_add_f16 v22, v22, v24
	v_pk_max_f16 v49, v27, v27
	v_pk_add_f16 v24, v14, v15
	v_pk_min_f16 v13, v17, v3
	v_pk_min_f16 v14, v17, v5
	;; [unrolled: 1-line block ×4, first 2 shown]
	v_pk_add_f16 v33, v50, v33
	v_pk_add_f16 v45, v60, v26
	;; [unrolled: 1-line block ×7, first 2 shown]
	v_pk_min_f16 v13, v49, v3
	v_pk_min_f16 v14, v49, v5
	;; [unrolled: 1-line block ×4, first 2 shown]
	v_pk_max_f16 v17, v29, v29
	v_pk_add_f16 v29, v34, v13
	v_pk_add_f16 v30, v35, v14
	;; [unrolled: 1-line block ×4, first 2 shown]
	v_pk_min_f16 v13, v17, v3
	v_pk_min_f16 v14, v17, v5
	;; [unrolled: 1-line block ×4, first 2 shown]
	v_pk_max_f16 v17, v76, v76
	v_pk_add_f16 v37, v58, v37
	v_pk_add_f16 v33, v38, v13
	;; [unrolled: 1-line block ×4, first 2 shown]
	v_pk_min_f16 v13, v17, v3
	v_pk_min_f16 v14, v17, v5
	v_pk_max_f16 v16, v78, v78
	v_pk_max_f16 v7, v7, v7
	v_pk_add_f16 v2, v72, v2
	v_pk_add_f16 v4, v73, v4
	;; [unrolled: 1-line block ×3, first 2 shown]
	v_pk_min_f16 v15, v17, v11
	v_pk_min_f16 v17, v17, v6
	v_pk_add_f16 v37, v41, v13
	v_pk_add_f16 v38, v42, v14
	v_pk_min_f16 v13, v16, v3
	v_pk_min_f16 v14, v16, v5
	;; [unrolled: 1-line block ×4, first 2 shown]
	v_pk_add_f16 v43, v70, v43
	v_pk_add_f16 v10, v74, v10
	;; [unrolled: 1-line block ×5, first 2 shown]
	v_pk_min_f16 v15, v16, v11
	v_pk_add_f16 v41, v46, v13
	v_pk_min_f16 v13, v16, v6
	v_pk_add_f16 v45, v2, v3
	v_pk_min_f16 v3, v7, v11
	v_add_nc_u32_e32 v2, s23, v0
	v_pk_add_f16 v0, v4, v5
	v_pk_min_f16 v5, v7, v6
	v_pk_min_f16 v7, v9, v6
	v_pk_add_f16 v42, v43, v14
	v_pk_add_f16 v43, v47, v15
	;; [unrolled: 1-line block ×4, first 2 shown]
	v_add_nc_u32_e32 v4, 8, v2
	v_add_nc_u32_e32 v6, 16, v2
	v_pk_add_f16 v47, v12, v5
	v_pk_add_f16 v48, v8, v7
	v_add_nc_u32_e32 v8, 24, v2
	v_add_nc_u32_e32 v10, 32, v2
	;; [unrolled: 1-line block ×5, first 2 shown]
	v_ashrrev_i32_e32 v3, 31, v2
	v_ashrrev_i32_e32 v5, 31, v4
	v_ashrrev_i32_e32 v7, 31, v6
	v_ashrrev_i32_e32 v9, 31, v8
	v_ashrrev_i32_e32 v11, 31, v10
	v_ashrrev_i32_e32 v13, 31, v12
	v_ashrrev_i32_e32 v15, 31, v14
	v_ashrrev_i32_e32 v17, 31, v16
	v_lshlrev_b64 v[2:3], 1, v[2:3]
	v_lshlrev_b64 v[4:5], 1, v[4:5]
	;; [unrolled: 1-line block ×8, first 2 shown]
	s_add_u32 s8, s8, s0
	s_addc_u32 s9, s9, s1
	s_branch .LBB245_26
.LBB245_25:                             ;   in Loop: Header=BB245_26 Depth=1
	s_add_i32 s0, s4, -1
	v_add_nc_u32_e32 v1, 32, v1
	s_cmp_eq_u32 s0, 1
	s_cselect_b32 vcc_lo, -1, 0
	s_cmp_eq_u32 s0, 2
	v_cndmask_b32_e32 v81, v21, v49, vcc_lo
	s_cselect_b32 vcc_lo, -1, 0
	s_cmp_eq_u32 s0, 3
	v_cndmask_b32_e32 v81, v81, v25, vcc_lo
	;; [unrolled: 3-line block ×62, first 2 shown]
	s_cselect_b32 vcc_lo, -1, 0
	s_cmp_eq_u32 s4, 1
	s_cselect_b32 s0, -1, 0
	s_cmp_eq_u32 s4, 2
	v_cndmask_b32_e64 v49, v21, v49, s0
	s_cselect_b32 s0, -1, 0
	s_cmp_eq_u32 s4, 3
	v_cndmask_b32_e64 v49, v49, v25, s0
	;; [unrolled: 3-line block ×3, first 2 shown]
	s_cselect_b32 s0, -1, 0
	s_cmp_eq_u32 s4, 5
	v_cndmask_b32_e32 v50, v81, v80, vcc_lo
	v_cndmask_b32_e64 v49, v49, v29, s0
	s_cselect_b32 s0, -1, 0
	s_cmp_eq_u32 s4, 6
	v_cndmask_b32_e64 v49, v49, v51, s0
	s_cselect_b32 s0, -1, 0
	s_cmp_eq_u32 s4, 7
	;; [unrolled: 3-line block ×58, first 2 shown]
	s_cselect_b32 vcc_lo, -1, 0
	v_cndmask_b32_e64 v49, v49, v48, s0
	s_add_u32 s4, s4, 16
	s_addc_u32 s5, s5, 0
	s_cmpk_lg_i32 s4, 0x4f
	v_cndmask_b32_e32 v49, v49, v80, vcc_lo
	v_add_f16_e32 v51, v50, v49
	v_add_co_u32 v49, vcc_lo, v83, v16
	v_add_co_ci_u32_e64 v50, null, v84, v17, vcc_lo
	v_add_f16_e32 v51, v51, v85
	flat_store_short v[49:50], v51
	s_cbranch_scc0 .LBB245_42
.LBB245_26:                             ; =>This Inner Loop Header: Depth=1
	v_mad_i64_i32 v[49:50], null, v1, s7, 0
	v_cndmask_b32_e64 v51, 0, 1, s6
	v_mov_b32_e32 v85, 0
	v_mov_b32_e32 v86, 0
	v_cmp_ne_u32_e64 s0, 1, v51
	v_lshlrev_b64 v[49:50], 1, v[49:50]
	v_add_co_u32 v81, vcc_lo, s2, v49
	v_add_co_ci_u32_e64 v82, null, s3, v50, vcc_lo
	s_andn2_b32 vcc_lo, exec_lo, s6
	s_cbranch_vccnz .LBB245_28
; %bb.27:                               ;   in Loop: Header=BB245_26 Depth=1
	v_add_co_u32 v49, vcc_lo, v81, v2
	v_add_co_ci_u32_e64 v50, null, v82, v3, vcc_lo
	flat_load_ushort v49, v[49:50]
	s_waitcnt vmcnt(0) lgkmcnt(0)
	v_mul_f16_e32 v86, s24, v49
.LBB245_28:                             ;   in Loop: Header=BB245_26 Depth=1
	s_add_i32 s1, s4, -15
	v_lshrrev_b32_e32 v49, 16, v21
	s_cmp_eq_u32 s1, 1
	v_lshrrev_b32_e32 v50, 16, v25
	s_cselect_b32 vcc_lo, -1, 0
	s_cmp_eq_u32 s1, 2
	v_cndmask_b32_e32 v51, v21, v49, vcc_lo
	s_cselect_b32 vcc_lo, -1, 0
	s_cmp_eq_u32 s1, 3
	v_cndmask_b32_e32 v51, v51, v25, vcc_lo
	;; [unrolled: 3-line block ×3, first 2 shown]
	s_cselect_b32 vcc_lo, -1, 0
	v_lshrrev_b32_e32 v51, 16, v29
	s_cmp_eq_u32 s1, 5
	v_cndmask_b32_e32 v52, v52, v29, vcc_lo
	s_cselect_b32 vcc_lo, -1, 0
	s_cmp_eq_u32 s1, 6
	v_cndmask_b32_e32 v53, v52, v51, vcc_lo
	s_cselect_b32 vcc_lo, -1, 0
	v_lshrrev_b32_e32 v52, 16, v33
	s_cmp_eq_u32 s1, 7
	v_cndmask_b32_e32 v53, v53, v33, vcc_lo
	s_cselect_b32 vcc_lo, -1, 0
	s_cmp_eq_u32 s1, 8
	v_cndmask_b32_e32 v54, v53, v52, vcc_lo
	;; [unrolled: 7-line block ×29, first 2 shown]
	s_cselect_b32 vcc_lo, -1, 0
	s_cmp_eq_u32 s1, 63
	v_lshrrev_b32_e32 v80, 16, v48
	v_cndmask_b32_e32 v87, v83, v48, vcc_lo
	s_cselect_b32 vcc_lo, -1, 0
	s_add_i32 s11, s4, -14
	s_cmp_eq_u32 s11, 1
	v_cndmask_b32_e32 v87, v87, v80, vcc_lo
	s_cselect_b32 s1, -1, 0
	s_cmp_eq_u32 s11, 2
	v_cndmask_b32_e64 v83, v21, v49, s1
	s_cselect_b32 s1, -1, 0
	s_cmp_eq_u32 s11, 3
	v_cndmask_b32_e64 v83, v83, v25, s1
	;; [unrolled: 3-line block ×61, first 2 shown]
	v_mad_i64_i32 v[83:84], null, v1, s10, 0
	s_cselect_b32 s1, -1, 0
	s_cmp_eq_u32 s11, 63
	v_cndmask_b32_e64 v88, v88, v48, s1
	s_cselect_b32 vcc_lo, -1, 0
	v_lshlrev_b64 v[83:84], 1, v[83:84]
	v_cndmask_b32_e32 v88, v88, v80, vcc_lo
	v_add_co_u32 v83, vcc_lo, s8, v83
	v_add_f16_e32 v87, v87, v88
	v_add_co_ci_u32_e64 v84, null, s9, v84, vcc_lo
	v_add_f16_e32 v88, v87, v86
	v_add_co_u32 v86, vcc_lo, v83, v2
	v_add_co_ci_u32_e64 v87, null, v84, v3, vcc_lo
	s_and_b32 vcc_lo, exec_lo, s0
	flat_store_short v[86:87], v88
	s_cbranch_vccnz .LBB245_30
; %bb.29:                               ;   in Loop: Header=BB245_26 Depth=1
	v_add_co_u32 v85, vcc_lo, v81, v4
	v_add_co_ci_u32_e64 v86, null, v82, v5, vcc_lo
	flat_load_ushort v85, v[85:86]
	s_waitcnt vmcnt(0) lgkmcnt(0)
	v_mul_f16_e32 v85, s24, v85
.LBB245_30:                             ;   in Loop: Header=BB245_26 Depth=1
	s_add_i32 s1, s4, -13
	s_cmp_eq_u32 s1, 1
	s_cselect_b32 vcc_lo, -1, 0
	s_cmp_eq_u32 s1, 2
	v_cndmask_b32_e32 v86, v21, v49, vcc_lo
	s_cselect_b32 vcc_lo, -1, 0
	s_cmp_eq_u32 s1, 3
	v_cndmask_b32_e32 v86, v86, v25, vcc_lo
	;; [unrolled: 3-line block ×62, first 2 shown]
	s_cselect_b32 vcc_lo, -1, 0
	s_add_i32 s11, s4, -12
	s_cmp_eq_u32 s11, 1
	v_cndmask_b32_e32 v86, v86, v80, vcc_lo
	s_cselect_b32 s1, -1, 0
	s_cmp_eq_u32 s11, 2
	v_cndmask_b32_e64 v87, v21, v49, s1
	s_cselect_b32 s1, -1, 0
	s_cmp_eq_u32 s11, 3
	v_cndmask_b32_e64 v87, v87, v25, s1
	;; [unrolled: 3-line block ×61, first 2 shown]
	s_cselect_b32 s1, -1, 0
	s_cmp_eq_u32 s11, 63
	s_cselect_b32 vcc_lo, -1, 0
	v_cndmask_b32_e64 v87, v87, v48, s1
	v_cndmask_b32_e32 v87, v87, v80, vcc_lo
	v_add_f16_e32 v86, v86, v87
	v_add_co_u32 v87, vcc_lo, v83, v4
	v_add_co_ci_u32_e64 v88, null, v84, v5, vcc_lo
	v_add_f16_e32 v89, v86, v85
	v_mov_b32_e32 v85, 0
	v_mov_b32_e32 v86, 0
	s_and_b32 vcc_lo, exec_lo, s0
	flat_store_short v[87:88], v89
	s_cbranch_vccnz .LBB245_32
; %bb.31:                               ;   in Loop: Header=BB245_26 Depth=1
	v_add_co_u32 v86, vcc_lo, v81, v6
	v_add_co_ci_u32_e64 v87, null, v82, v7, vcc_lo
	flat_load_ushort v86, v[86:87]
	s_waitcnt vmcnt(0) lgkmcnt(0)
	v_mul_f16_e32 v86, s24, v86
.LBB245_32:                             ;   in Loop: Header=BB245_26 Depth=1
	s_add_i32 s1, s4, -11
	s_cmp_eq_u32 s1, 1
	s_cselect_b32 vcc_lo, -1, 0
	s_cmp_eq_u32 s1, 2
	v_cndmask_b32_e32 v87, v21, v49, vcc_lo
	s_cselect_b32 vcc_lo, -1, 0
	s_cmp_eq_u32 s1, 3
	v_cndmask_b32_e32 v87, v87, v25, vcc_lo
	;; [unrolled: 3-line block ×62, first 2 shown]
	s_cselect_b32 vcc_lo, -1, 0
	s_add_i32 s11, s4, -10
	s_cmp_eq_u32 s11, 1
	v_cndmask_b32_e32 v87, v87, v80, vcc_lo
	s_cselect_b32 s1, -1, 0
	s_cmp_eq_u32 s11, 2
	v_cndmask_b32_e64 v88, v21, v49, s1
	s_cselect_b32 s1, -1, 0
	s_cmp_eq_u32 s11, 3
	v_cndmask_b32_e64 v88, v88, v25, s1
	;; [unrolled: 3-line block ×61, first 2 shown]
	s_cselect_b32 s1, -1, 0
	s_cmp_eq_u32 s11, 63
	s_cselect_b32 vcc_lo, -1, 0
	v_cndmask_b32_e64 v88, v88, v48, s1
	v_cndmask_b32_e32 v88, v88, v80, vcc_lo
	v_add_f16_e32 v87, v87, v88
	v_add_f16_e32 v88, v87, v86
	v_add_co_u32 v86, vcc_lo, v83, v6
	v_add_co_ci_u32_e64 v87, null, v84, v7, vcc_lo
	s_and_b32 vcc_lo, exec_lo, s0
	flat_store_short v[86:87], v88
	s_cbranch_vccnz .LBB245_34
; %bb.33:                               ;   in Loop: Header=BB245_26 Depth=1
	v_add_co_u32 v85, vcc_lo, v81, v8
	v_add_co_ci_u32_e64 v86, null, v82, v9, vcc_lo
	flat_load_ushort v85, v[85:86]
	s_waitcnt vmcnt(0) lgkmcnt(0)
	v_mul_f16_e32 v85, s24, v85
.LBB245_34:                             ;   in Loop: Header=BB245_26 Depth=1
	s_add_i32 s1, s4, -9
	s_cmp_eq_u32 s1, 1
	s_cselect_b32 vcc_lo, -1, 0
	s_cmp_eq_u32 s1, 2
	v_cndmask_b32_e32 v86, v21, v49, vcc_lo
	s_cselect_b32 vcc_lo, -1, 0
	s_cmp_eq_u32 s1, 3
	v_cndmask_b32_e32 v86, v86, v25, vcc_lo
	;; [unrolled: 3-line block ×62, first 2 shown]
	s_cselect_b32 vcc_lo, -1, 0
	s_add_i32 s11, s4, -8
	s_cmp_eq_u32 s11, 1
	v_cndmask_b32_e32 v86, v86, v80, vcc_lo
	s_cselect_b32 s1, -1, 0
	s_cmp_eq_u32 s11, 2
	v_cndmask_b32_e64 v87, v21, v49, s1
	s_cselect_b32 s1, -1, 0
	s_cmp_eq_u32 s11, 3
	v_cndmask_b32_e64 v87, v87, v25, s1
	;; [unrolled: 3-line block ×61, first 2 shown]
	s_cselect_b32 s1, -1, 0
	s_cmp_eq_u32 s11, 63
	s_cselect_b32 vcc_lo, -1, 0
	v_cndmask_b32_e64 v87, v87, v48, s1
	v_cndmask_b32_e32 v87, v87, v80, vcc_lo
	v_add_f16_e32 v86, v86, v87
	v_add_co_u32 v87, vcc_lo, v83, v8
	v_add_co_ci_u32_e64 v88, null, v84, v9, vcc_lo
	v_add_f16_e32 v89, v86, v85
	v_mov_b32_e32 v85, 0
	v_mov_b32_e32 v86, 0
	s_and_b32 vcc_lo, exec_lo, s0
	flat_store_short v[87:88], v89
	s_cbranch_vccnz .LBB245_36
; %bb.35:                               ;   in Loop: Header=BB245_26 Depth=1
	v_add_co_u32 v86, vcc_lo, v81, v10
	v_add_co_ci_u32_e64 v87, null, v82, v11, vcc_lo
	flat_load_ushort v86, v[86:87]
	s_waitcnt vmcnt(0) lgkmcnt(0)
	v_mul_f16_e32 v86, s24, v86
.LBB245_36:                             ;   in Loop: Header=BB245_26 Depth=1
	s_add_i32 s1, s4, -7
	s_cmp_eq_u32 s1, 1
	s_cselect_b32 vcc_lo, -1, 0
	s_cmp_eq_u32 s1, 2
	v_cndmask_b32_e32 v87, v21, v49, vcc_lo
	s_cselect_b32 vcc_lo, -1, 0
	s_cmp_eq_u32 s1, 3
	v_cndmask_b32_e32 v87, v87, v25, vcc_lo
	;; [unrolled: 3-line block ×62, first 2 shown]
	s_cselect_b32 vcc_lo, -1, 0
	s_add_i32 s11, s4, -6
	s_cmp_eq_u32 s11, 1
	v_cndmask_b32_e32 v87, v87, v80, vcc_lo
	s_cselect_b32 s1, -1, 0
	s_cmp_eq_u32 s11, 2
	v_cndmask_b32_e64 v88, v21, v49, s1
	s_cselect_b32 s1, -1, 0
	s_cmp_eq_u32 s11, 3
	v_cndmask_b32_e64 v88, v88, v25, s1
	;; [unrolled: 3-line block ×61, first 2 shown]
	s_cselect_b32 s1, -1, 0
	s_cmp_eq_u32 s11, 63
	s_cselect_b32 vcc_lo, -1, 0
	v_cndmask_b32_e64 v88, v88, v48, s1
	v_cndmask_b32_e32 v88, v88, v80, vcc_lo
	v_add_f16_e32 v87, v87, v88
	v_add_f16_e32 v88, v87, v86
	v_add_co_u32 v86, vcc_lo, v83, v10
	v_add_co_ci_u32_e64 v87, null, v84, v11, vcc_lo
	s_and_b32 vcc_lo, exec_lo, s0
	flat_store_short v[86:87], v88
	s_cbranch_vccnz .LBB245_38
; %bb.37:                               ;   in Loop: Header=BB245_26 Depth=1
	v_add_co_u32 v85, vcc_lo, v81, v12
	v_add_co_ci_u32_e64 v86, null, v82, v13, vcc_lo
	flat_load_ushort v85, v[85:86]
	s_waitcnt vmcnt(0) lgkmcnt(0)
	v_mul_f16_e32 v85, s24, v85
.LBB245_38:                             ;   in Loop: Header=BB245_26 Depth=1
	s_add_i32 s1, s4, -5
	s_cmp_eq_u32 s1, 1
	s_cselect_b32 vcc_lo, -1, 0
	s_cmp_eq_u32 s1, 2
	v_cndmask_b32_e32 v86, v21, v49, vcc_lo
	s_cselect_b32 vcc_lo, -1, 0
	s_cmp_eq_u32 s1, 3
	v_cndmask_b32_e32 v86, v86, v25, vcc_lo
	;; [unrolled: 3-line block ×62, first 2 shown]
	s_cselect_b32 vcc_lo, -1, 0
	s_add_i32 s11, s4, -4
	s_cmp_eq_u32 s11, 1
	v_cndmask_b32_e32 v86, v86, v80, vcc_lo
	s_cselect_b32 s1, -1, 0
	s_cmp_eq_u32 s11, 2
	v_cndmask_b32_e64 v87, v21, v49, s1
	s_cselect_b32 s1, -1, 0
	s_cmp_eq_u32 s11, 3
	v_cndmask_b32_e64 v87, v87, v25, s1
	;; [unrolled: 3-line block ×61, first 2 shown]
	s_cselect_b32 s1, -1, 0
	s_cmp_eq_u32 s11, 63
	s_cselect_b32 vcc_lo, -1, 0
	v_cndmask_b32_e64 v87, v87, v48, s1
	v_cndmask_b32_e32 v87, v87, v80, vcc_lo
	v_add_f16_e32 v86, v86, v87
	v_add_co_u32 v87, vcc_lo, v83, v12
	v_add_co_ci_u32_e64 v88, null, v84, v13, vcc_lo
	v_add_f16_e32 v89, v86, v85
	v_mov_b32_e32 v85, 0
	v_mov_b32_e32 v86, 0
	s_and_b32 vcc_lo, exec_lo, s0
	flat_store_short v[87:88], v89
	s_cbranch_vccnz .LBB245_40
; %bb.39:                               ;   in Loop: Header=BB245_26 Depth=1
	v_add_co_u32 v86, vcc_lo, v81, v14
	v_add_co_ci_u32_e64 v87, null, v82, v15, vcc_lo
	flat_load_ushort v86, v[86:87]
	s_waitcnt vmcnt(0) lgkmcnt(0)
	v_mul_f16_e32 v86, s24, v86
.LBB245_40:                             ;   in Loop: Header=BB245_26 Depth=1
	s_add_i32 s1, s4, -3
	s_cmp_eq_u32 s1, 1
	s_cselect_b32 vcc_lo, -1, 0
	s_cmp_eq_u32 s1, 2
	v_cndmask_b32_e32 v87, v21, v49, vcc_lo
	s_cselect_b32 vcc_lo, -1, 0
	s_cmp_eq_u32 s1, 3
	v_cndmask_b32_e32 v87, v87, v25, vcc_lo
	;; [unrolled: 3-line block ×62, first 2 shown]
	s_cselect_b32 vcc_lo, -1, 0
	s_add_i32 s11, s4, -2
	s_cmp_eq_u32 s11, 1
	v_cndmask_b32_e32 v87, v87, v80, vcc_lo
	s_cselect_b32 s1, -1, 0
	s_cmp_eq_u32 s11, 2
	v_cndmask_b32_e64 v88, v21, v49, s1
	s_cselect_b32 s1, -1, 0
	s_cmp_eq_u32 s11, 3
	v_cndmask_b32_e64 v88, v88, v25, s1
	;; [unrolled: 3-line block ×61, first 2 shown]
	s_cselect_b32 s1, -1, 0
	s_cmp_eq_u32 s11, 63
	s_cselect_b32 vcc_lo, -1, 0
	v_cndmask_b32_e64 v88, v88, v48, s1
	v_cndmask_b32_e32 v88, v88, v80, vcc_lo
	v_add_f16_e32 v87, v87, v88
	v_add_f16_e32 v88, v87, v86
	v_add_co_u32 v86, vcc_lo, v83, v14
	v_add_co_ci_u32_e64 v87, null, v84, v15, vcc_lo
	s_and_b32 vcc_lo, exec_lo, s0
	flat_store_short v[86:87], v88
	s_cbranch_vccnz .LBB245_25
; %bb.41:                               ;   in Loop: Header=BB245_26 Depth=1
	v_add_co_u32 v81, vcc_lo, v81, v16
	v_add_co_ci_u32_e64 v82, null, v82, v17, vcc_lo
	flat_load_ushort v81, v[81:82]
	s_waitcnt vmcnt(0) lgkmcnt(0)
	v_mul_f16_e32 v85, s24, v81
	s_branch .LBB245_25
.LBB245_42:
	s_endpgm
	.section	.rodata,"a",@progbits
	.p2align	6, 0x0
	.amdhsa_kernel _ZN12_GLOBAL__N_120geam_min_plus_kernelIDF16_Dv2_DF16_S1_Li8ELi32ELi64ELi128ELi4ELi64ELi4ELi64ELi4ELc78ELc84ELb0ELb0ELb0EDF16_KPKDF16_KPDF16_EEviiiT16_PT17_ilS9_ilS7_S9_ilPT18_ili26rocblas_geam_ex_operation_
		.amdhsa_group_segment_fixed_size 3072
		.amdhsa_private_segment_fixed_size 0
		.amdhsa_kernarg_size 128
		.amdhsa_user_sgpr_count 6
		.amdhsa_user_sgpr_private_segment_buffer 1
		.amdhsa_user_sgpr_dispatch_ptr 0
		.amdhsa_user_sgpr_queue_ptr 0
		.amdhsa_user_sgpr_kernarg_segment_ptr 1
		.amdhsa_user_sgpr_dispatch_id 0
		.amdhsa_user_sgpr_flat_scratch_init 0
		.amdhsa_user_sgpr_private_segment_size 0
		.amdhsa_wavefront_size32 1
		.amdhsa_uses_dynamic_stack 0
		.amdhsa_system_sgpr_private_segment_wavefront_offset 0
		.amdhsa_system_sgpr_workgroup_id_x 1
		.amdhsa_system_sgpr_workgroup_id_y 0
		.amdhsa_system_sgpr_workgroup_id_z 1
		.amdhsa_system_sgpr_workgroup_info 0
		.amdhsa_system_vgpr_workitem_id 1
		.amdhsa_next_free_vgpr 126
		.amdhsa_next_free_sgpr 26
		.amdhsa_reserve_vcc 1
		.amdhsa_reserve_flat_scratch 0
		.amdhsa_float_round_mode_32 0
		.amdhsa_float_round_mode_16_64 0
		.amdhsa_float_denorm_mode_32 3
		.amdhsa_float_denorm_mode_16_64 3
		.amdhsa_dx10_clamp 1
		.amdhsa_ieee_mode 1
		.amdhsa_fp16_overflow 0
		.amdhsa_workgroup_processor_mode 1
		.amdhsa_memory_ordered 1
		.amdhsa_forward_progress 1
		.amdhsa_shared_vgpr_count 0
		.amdhsa_exception_fp_ieee_invalid_op 0
		.amdhsa_exception_fp_denorm_src 0
		.amdhsa_exception_fp_ieee_div_zero 0
		.amdhsa_exception_fp_ieee_overflow 0
		.amdhsa_exception_fp_ieee_underflow 0
		.amdhsa_exception_fp_ieee_inexact 0
		.amdhsa_exception_int_div_zero 0
	.end_amdhsa_kernel
	.section	.text._ZN12_GLOBAL__N_120geam_min_plus_kernelIDF16_Dv2_DF16_S1_Li8ELi32ELi64ELi128ELi4ELi64ELi4ELi64ELi4ELc78ELc84ELb0ELb0ELb0EDF16_KPKDF16_KPDF16_EEviiiT16_PT17_ilS9_ilS7_S9_ilPT18_ili26rocblas_geam_ex_operation_,"axG",@progbits,_ZN12_GLOBAL__N_120geam_min_plus_kernelIDF16_Dv2_DF16_S1_Li8ELi32ELi64ELi128ELi4ELi64ELi4ELi64ELi4ELc78ELc84ELb0ELb0ELb0EDF16_KPKDF16_KPDF16_EEviiiT16_PT17_ilS9_ilS7_S9_ilPT18_ili26rocblas_geam_ex_operation_,comdat
.Lfunc_end245:
	.size	_ZN12_GLOBAL__N_120geam_min_plus_kernelIDF16_Dv2_DF16_S1_Li8ELi32ELi64ELi128ELi4ELi64ELi4ELi64ELi4ELc78ELc84ELb0ELb0ELb0EDF16_KPKDF16_KPDF16_EEviiiT16_PT17_ilS9_ilS7_S9_ilPT18_ili26rocblas_geam_ex_operation_, .Lfunc_end245-_ZN12_GLOBAL__N_120geam_min_plus_kernelIDF16_Dv2_DF16_S1_Li8ELi32ELi64ELi128ELi4ELi64ELi4ELi64ELi4ELc78ELc84ELb0ELb0ELb0EDF16_KPKDF16_KPDF16_EEviiiT16_PT17_ilS9_ilS7_S9_ilPT18_ili26rocblas_geam_ex_operation_
                                        ; -- End function
	.set _ZN12_GLOBAL__N_120geam_min_plus_kernelIDF16_Dv2_DF16_S1_Li8ELi32ELi64ELi128ELi4ELi64ELi4ELi64ELi4ELc78ELc84ELb0ELb0ELb0EDF16_KPKDF16_KPDF16_EEviiiT16_PT17_ilS9_ilS7_S9_ilPT18_ili26rocblas_geam_ex_operation_.num_vgpr, 126
	.set _ZN12_GLOBAL__N_120geam_min_plus_kernelIDF16_Dv2_DF16_S1_Li8ELi32ELi64ELi128ELi4ELi64ELi4ELi64ELi4ELc78ELc84ELb0ELb0ELb0EDF16_KPKDF16_KPDF16_EEviiiT16_PT17_ilS9_ilS7_S9_ilPT18_ili26rocblas_geam_ex_operation_.num_agpr, 0
	.set _ZN12_GLOBAL__N_120geam_min_plus_kernelIDF16_Dv2_DF16_S1_Li8ELi32ELi64ELi128ELi4ELi64ELi4ELi64ELi4ELc78ELc84ELb0ELb0ELb0EDF16_KPKDF16_KPDF16_EEviiiT16_PT17_ilS9_ilS7_S9_ilPT18_ili26rocblas_geam_ex_operation_.numbered_sgpr, 26
	.set _ZN12_GLOBAL__N_120geam_min_plus_kernelIDF16_Dv2_DF16_S1_Li8ELi32ELi64ELi128ELi4ELi64ELi4ELi64ELi4ELc78ELc84ELb0ELb0ELb0EDF16_KPKDF16_KPDF16_EEviiiT16_PT17_ilS9_ilS7_S9_ilPT18_ili26rocblas_geam_ex_operation_.num_named_barrier, 0
	.set _ZN12_GLOBAL__N_120geam_min_plus_kernelIDF16_Dv2_DF16_S1_Li8ELi32ELi64ELi128ELi4ELi64ELi4ELi64ELi4ELc78ELc84ELb0ELb0ELb0EDF16_KPKDF16_KPDF16_EEviiiT16_PT17_ilS9_ilS7_S9_ilPT18_ili26rocblas_geam_ex_operation_.private_seg_size, 0
	.set _ZN12_GLOBAL__N_120geam_min_plus_kernelIDF16_Dv2_DF16_S1_Li8ELi32ELi64ELi128ELi4ELi64ELi4ELi64ELi4ELc78ELc84ELb0ELb0ELb0EDF16_KPKDF16_KPDF16_EEviiiT16_PT17_ilS9_ilS7_S9_ilPT18_ili26rocblas_geam_ex_operation_.uses_vcc, 1
	.set _ZN12_GLOBAL__N_120geam_min_plus_kernelIDF16_Dv2_DF16_S1_Li8ELi32ELi64ELi128ELi4ELi64ELi4ELi64ELi4ELc78ELc84ELb0ELb0ELb0EDF16_KPKDF16_KPDF16_EEviiiT16_PT17_ilS9_ilS7_S9_ilPT18_ili26rocblas_geam_ex_operation_.uses_flat_scratch, 0
	.set _ZN12_GLOBAL__N_120geam_min_plus_kernelIDF16_Dv2_DF16_S1_Li8ELi32ELi64ELi128ELi4ELi64ELi4ELi64ELi4ELc78ELc84ELb0ELb0ELb0EDF16_KPKDF16_KPDF16_EEviiiT16_PT17_ilS9_ilS7_S9_ilPT18_ili26rocblas_geam_ex_operation_.has_dyn_sized_stack, 0
	.set _ZN12_GLOBAL__N_120geam_min_plus_kernelIDF16_Dv2_DF16_S1_Li8ELi32ELi64ELi128ELi4ELi64ELi4ELi64ELi4ELc78ELc84ELb0ELb0ELb0EDF16_KPKDF16_KPDF16_EEviiiT16_PT17_ilS9_ilS7_S9_ilPT18_ili26rocblas_geam_ex_operation_.has_recursion, 0
	.set _ZN12_GLOBAL__N_120geam_min_plus_kernelIDF16_Dv2_DF16_S1_Li8ELi32ELi64ELi128ELi4ELi64ELi4ELi64ELi4ELc78ELc84ELb0ELb0ELb0EDF16_KPKDF16_KPDF16_EEviiiT16_PT17_ilS9_ilS7_S9_ilPT18_ili26rocblas_geam_ex_operation_.has_indirect_call, 0
	.section	.AMDGPU.csdata,"",@progbits
; Kernel info:
; codeLenInByte = 21972
; TotalNumSgprs: 28
; NumVgprs: 126
; ScratchSize: 0
; MemoryBound: 0
; FloatMode: 240
; IeeeMode: 1
; LDSByteSize: 3072 bytes/workgroup (compile time only)
; SGPRBlocks: 0
; VGPRBlocks: 15
; NumSGPRsForWavesPerEU: 28
; NumVGPRsForWavesPerEU: 126
; Occupancy: 8
; WaveLimiterHint : 1
; COMPUTE_PGM_RSRC2:SCRATCH_EN: 0
; COMPUTE_PGM_RSRC2:USER_SGPR: 6
; COMPUTE_PGM_RSRC2:TRAP_HANDLER: 0
; COMPUTE_PGM_RSRC2:TGID_X_EN: 1
; COMPUTE_PGM_RSRC2:TGID_Y_EN: 0
; COMPUTE_PGM_RSRC2:TGID_Z_EN: 1
; COMPUTE_PGM_RSRC2:TIDIG_COMP_CNT: 1
	.section	.text._ZN12_GLOBAL__N_120geam_min_plus_kernelIDF16_Dv2_DF16_S1_Li8ELi32ELi64ELi128ELi4ELi64ELi4ELi64ELi4ELc78ELc84ELb0ELb1ELb0EPKDF16_KS3_KPDF16_EEviiiT16_PT17_ilS9_ilS7_S9_ilPT18_ili26rocblas_geam_ex_operation_,"axG",@progbits,_ZN12_GLOBAL__N_120geam_min_plus_kernelIDF16_Dv2_DF16_S1_Li8ELi32ELi64ELi128ELi4ELi64ELi4ELi64ELi4ELc78ELc84ELb0ELb1ELb0EPKDF16_KS3_KPDF16_EEviiiT16_PT17_ilS9_ilS7_S9_ilPT18_ili26rocblas_geam_ex_operation_,comdat
	.globl	_ZN12_GLOBAL__N_120geam_min_plus_kernelIDF16_Dv2_DF16_S1_Li8ELi32ELi64ELi128ELi4ELi64ELi4ELi64ELi4ELc78ELc84ELb0ELb1ELb0EPKDF16_KS3_KPDF16_EEviiiT16_PT17_ilS9_ilS7_S9_ilPT18_ili26rocblas_geam_ex_operation_ ; -- Begin function _ZN12_GLOBAL__N_120geam_min_plus_kernelIDF16_Dv2_DF16_S1_Li8ELi32ELi64ELi128ELi4ELi64ELi4ELi64ELi4ELc78ELc84ELb0ELb1ELb0EPKDF16_KS3_KPDF16_EEviiiT16_PT17_ilS9_ilS7_S9_ilPT18_ili26rocblas_geam_ex_operation_
	.p2align	8
	.type	_ZN12_GLOBAL__N_120geam_min_plus_kernelIDF16_Dv2_DF16_S1_Li8ELi32ELi64ELi128ELi4ELi64ELi4ELi64ELi4ELc78ELc84ELb0ELb1ELb0EPKDF16_KS3_KPDF16_EEviiiT16_PT17_ilS9_ilS7_S9_ilPT18_ili26rocblas_geam_ex_operation_,@function
_ZN12_GLOBAL__N_120geam_min_plus_kernelIDF16_Dv2_DF16_S1_Li8ELi32ELi64ELi128ELi4ELi64ELi4ELi64ELi4ELc78ELc84ELb0ELb1ELb0EPKDF16_KS3_KPDF16_EEviiiT16_PT17_ilS9_ilS7_S9_ilPT18_ili26rocblas_geam_ex_operation_: ; @_ZN12_GLOBAL__N_120geam_min_plus_kernelIDF16_Dv2_DF16_S1_Li8ELi32ELi64ELi128ELi4ELi64ELi4ELi64ELi4ELc78ELc84ELb0ELb1ELb0EPKDF16_KS3_KPDF16_EEviiiT16_PT17_ilS9_ilS7_S9_ilPT18_ili26rocblas_geam_ex_operation_
; %bb.0:
	s_clause 0x1
	s_load_dwordx4 s[0:3], s[4:5], 0x10
	s_load_dwordx4 s[8:11], s[4:5], 0x40
	s_mov_b32 s22, s7
	s_mov_b32 s23, 0
	v_mov_b32_e32 v2, 0
	s_lshl_b64 s[18:19], s[22:23], 1
	s_clause 0x1
	s_load_dwordx4 s[12:15], s[4:5], 0x28
	s_load_dwordx2 s[16:17], s[4:5], 0x50
	s_mov_b64 s[20:21], 0
	s_waitcnt lgkmcnt(0)
	s_add_u32 s0, s0, s18
	s_addc_u32 s1, s1, s19
	global_load_ushort v32, v2, s[0:1]
	s_add_u32 s0, s10, s18
	s_addc_u32 s1, s11, s19
	s_mov_b64 s[18:19], 0
	global_load_ushort v42, v2, s[0:1]
	s_waitcnt vmcnt(1)
	v_cmp_eq_f16_e32 vcc_lo, 0, v32
	v_cmp_neq_f16_e64 s1, 0, v32
	s_cbranch_vccnz .LBB246_2
; %bb.1:
	s_lshl_b64 s[10:11], s[22:23], 3
	s_add_u32 s2, s2, s10
	s_addc_u32 s3, s3, s11
	s_lshl_b64 s[10:11], s[12:13], 1
	s_load_dwordx2 s[2:3], s[2:3], 0x0
	s_waitcnt lgkmcnt(0)
	s_add_u32 s20, s2, s10
	s_addc_u32 s21, s3, s11
.LBB246_2:
	s_andn2_b32 vcc_lo, exec_lo, s1
	s_cbranch_vccnz .LBB246_4
; %bb.3:
	s_lshl_b64 s[2:3], s[22:23], 3
	s_add_u32 s2, s14, s2
	s_addc_u32 s3, s15, s3
	s_lshl_b64 s[8:9], s[8:9], 1
	s_load_dwordx2 s[2:3], s[2:3], 0x0
	s_waitcnt lgkmcnt(0)
	s_add_u32 s18, s2, s8
	s_addc_u32 s19, s3, s9
.LBB246_4:
	s_load_dwordx4 s[8:11], s[4:5], 0x60
	s_waitcnt vmcnt(0)
	v_cmp_eq_f16_e32 vcc_lo, 0, v42
	v_cmp_neq_f16_e64 s0, 0, v42
	s_cbranch_vccnz .LBB246_6
; %bb.5:
	s_lshl_b64 s[2:3], s[22:23], 3
	s_add_u32 s2, s16, s2
	s_addc_u32 s3, s17, s3
	s_waitcnt lgkmcnt(0)
	s_lshl_b64 s[8:9], s[8:9], 1
	s_load_dwordx2 s[2:3], s[2:3], 0x0
	s_waitcnt lgkmcnt(0)
	s_add_u32 s16, s2, s8
	s_addc_u32 s17, s3, s9
	s_branch .LBB246_7
.LBB246_6:
	s_mov_b64 s[16:17], 0
.LBB246_7:
	s_waitcnt lgkmcnt(0)
	s_clause 0x1
	s_load_dword s8, s[4:5], 0x20
	s_load_dwordx4 s[12:15], s[4:5], 0x0
	s_lshl_b64 s[2:3], s[22:23], 3
	v_lshl_add_u32 v3, v1, 3, v0
	v_mov_b32_e32 v10, 0
	v_mov_b32_e32 v11, 0
	v_and_b32_e32 v9, 63, v3
	v_lshrrev_b32_e32 v33, 6, v3
	s_waitcnt lgkmcnt(0)
	s_ashr_i32 s9, s8, 31
	s_add_u32 s10, s10, s2
	s_addc_u32 s11, s11, s3
	s_add_i32 s2, s12, -1
	s_ashr_i32 s3, s2, 31
	s_lshr_b32 s3, s3, 26
	s_add_i32 s2, s2, s3
	s_ashr_i32 s2, s2, 6
	s_add_i32 s7, s2, 1
	s_not_b32 s2, s2
	v_cvt_f32_u32_e32 v2, s7
	v_rcp_iflag_f32_e32 v2, v2
	v_mul_f32_e32 v2, 0x4f7ffffe, v2
	v_cvt_u32_f32_e32 v2, v2
	v_readfirstlane_b32 s3, v2
	s_mul_i32 s2, s2, s3
	s_mul_hi_u32 s2, s3, s2
	s_add_i32 s3, s3, s2
	s_mul_hi_u32 s2, s6, s3
	s_mul_i32 s3, s2, s7
	s_add_i32 s15, s2, 1
	s_sub_i32 s3, s6, s3
	s_sub_i32 s22, s3, s7
	s_cmp_ge_u32 s3, s7
	s_cselect_b32 s2, s15, s2
	s_cselect_b32 s3, s22, s3
	s_add_i32 s15, s2, 1
	s_cmp_ge_u32 s3, s7
	s_cselect_b32 s3, s15, s2
	s_mul_i32 s2, s3, s7
	s_sub_i32 s2, s6, s2
	s_lshl_b32 s15, s2, 6
	v_cmp_gt_i32_e64 s2, s14, v33
	v_or_b32_e32 v2, s15, v9
	v_cmp_gt_i32_e32 vcc_lo, s12, v2
	v_ashrrev_i32_e32 v3, 31, v2
	s_and_b32 s2, s2, vcc_lo
	s_and_b32 s2, s1, s2
	s_and_saveexec_b32 s6, s2
	s_cbranch_execz .LBB246_9
; %bb.8:
	v_mad_i64_i32 v[4:5], null, s8, v33, 0
	v_lshlrev_b64 v[6:7], 1, v[2:3]
	v_lshlrev_b64 v[4:5], 1, v[4:5]
	v_add_co_u32 v4, s2, s20, v4
	v_add_co_ci_u32_e64 v5, null, s21, v5, s2
	v_add_co_u32 v4, s2, v4, v6
	v_add_co_ci_u32_e64 v5, null, v5, v7, s2
	flat_load_ushort v4, v[4:5]
	s_waitcnt vmcnt(0) lgkmcnt(0)
	v_mul_f16_e32 v11, v32, v4
.LBB246_9:
	s_or_b32 exec_lo, exec_lo, s6
	s_load_dword s23, s[4:5], 0x38
	s_add_i32 s24, s14, -1
	s_lshl_b32 s22, s3, 7
	v_min_i32_e32 v4, s24, v33
	v_cmp_le_i32_e64 s6, s14, v33
	s_xor_b32 s25, s1, -1
	s_waitcnt lgkmcnt(0)
	v_mad_i64_i32 v[5:6], null, s23, v4, 0
	v_or_b32_e32 v4, s22, v9
	v_cmp_le_i32_e64 s2, s13, v4
	v_lshlrev_b64 v[5:6], 1, v[5:6]
	s_or_b32 s7, s6, s2
	v_add_co_u32 v7, s3, s18, v5
	v_add_co_ci_u32_e64 v8, null, s19, v6, s3
	v_ashrrev_i32_e32 v5, 31, v4
	s_nor_b32 s3, s7, s25
	s_and_saveexec_b32 s7, s3
	s_cbranch_execz .LBB246_11
; %bb.10:
	v_lshlrev_b64 v[12:13], 1, v[4:5]
	v_add_co_u32 v12, s3, v7, v12
	v_add_co_ci_u32_e64 v13, null, v8, v13, s3
	flat_load_ushort v6, v[12:13]
	s_waitcnt vmcnt(0) lgkmcnt(0)
	v_mul_f16_e32 v10, v32, v6
.LBB246_11:
	s_or_b32 exec_lo, exec_lo, s7
	v_or_b32_e32 v6, 64, v4
	v_mov_b32_e32 v12, 0
	v_cmp_le_i32_e64 s3, s13, v6
	v_mov_b32_e32 v6, 0
	s_or_b32 s6, s6, s3
	s_nor_b32 s6, s6, s25
	s_and_saveexec_b32 s7, s6
	s_cbranch_execz .LBB246_13
; %bb.12:
	v_lshlrev_b64 v[12:13], 1, v[4:5]
	v_add_co_u32 v7, s6, v7, v12
	v_add_co_ci_u32_e64 v8, null, v8, v13, s6
	flat_load_ushort v7, v[7:8] offset:128
	s_waitcnt vmcnt(0) lgkmcnt(0)
	v_mul_f16_e32 v12, v32, v7
.LBB246_13:
	s_or_b32 exec_lo, exec_lo, s7
	v_add_nc_u32_e32 v7, 4, v33
	v_cmp_gt_i32_e64 s6, s14, v7
	s_and_b32 s6, vcc_lo, s6
	s_and_b32 s6, s1, s6
	s_and_saveexec_b32 s7, s6
	s_cbranch_execz .LBB246_15
; %bb.14:
	v_mad_u64_u32 v[13:14], null, s8, v7, 0
	v_mov_b32_e32 v6, v14
	v_mad_u64_u32 v[14:15], null, s9, v7, v[6:7]
	v_lshlrev_b64 v[15:16], 1, v[2:3]
	v_lshlrev_b64 v[13:14], 1, v[13:14]
	v_add_co_u32 v6, s6, s20, v13
	v_add_co_ci_u32_e64 v8, null, s21, v14, s6
	v_add_co_u32 v13, s6, v6, v15
	v_add_co_ci_u32_e64 v14, null, v8, v16, s6
	flat_load_ushort v6, v[13:14]
	s_waitcnt vmcnt(0) lgkmcnt(0)
	v_mul_f16_e32 v6, v32, v6
.LBB246_15:
	s_or_b32 exec_lo, exec_lo, s7
	v_min_i32_e32 v8, s24, v7
	v_cmp_le_i32_e64 s6, s14, v7
	v_mov_b32_e32 v7, 0
	v_mad_i64_i32 v[13:14], null, s23, v8, 0
	v_mov_b32_e32 v8, 0
	v_lshlrev_b64 v[13:14], 1, v[13:14]
	v_add_co_u32 v13, s7, s18, v13
	v_add_co_ci_u32_e64 v14, null, s19, v14, s7
	s_or_b32 s7, s2, s6
	s_nor_b32 s7, s7, s25
	s_and_saveexec_b32 s26, s7
	s_cbranch_execz .LBB246_17
; %bb.16:
	v_lshlrev_b64 v[15:16], 1, v[4:5]
	v_add_co_u32 v15, s7, v13, v15
	v_add_co_ci_u32_e64 v16, null, v14, v16, s7
	flat_load_ushort v8, v[15:16]
	s_waitcnt vmcnt(0) lgkmcnt(0)
	v_mul_f16_e32 v8, v32, v8
.LBB246_17:
	s_or_b32 exec_lo, exec_lo, s26
	s_or_b32 s6, s3, s6
	s_nor_b32 s6, s6, s25
	s_and_saveexec_b32 s7, s6
	s_cbranch_execz .LBB246_19
; %bb.18:
	v_lshlrev_b64 v[15:16], 1, v[4:5]
	v_add_co_u32 v13, s6, v13, v15
	v_add_co_ci_u32_e64 v14, null, v14, v16, s6
	flat_load_ushort v7, v[13:14] offset:128
	s_waitcnt vmcnt(0) lgkmcnt(0)
	v_mul_f16_e32 v7, v32, v7
.LBB246_19:
	s_or_b32 exec_lo, exec_lo, s7
	v_lshlrev_b32_e32 v9, 3, v9
	v_lshlrev_b32_e32 v35, 3, v0
	;; [unrolled: 1-line block ×3, first 2 shown]
	s_load_dwordx2 s[10:11], s[10:11], 0x0
	s_mov_b32 s26, 0
	v_lshl_add_u32 v36, v33, 1, v9
	v_add_nc_u32_e32 v29, 0x800, v35
	s_cmp_lt_i32 s14, 9
	ds_write_b16 v36, v11 offset:2048
	ds_write_b16 v36, v10
	ds_write_b16 v36, v12 offset:512
	s_waitcnt lgkmcnt(0)
	s_barrier
	buffer_gl0_inv
	ds_read2_b64 v[9:12], v34 offset1:32
	ds_read2_b64 v[13:16], v29 offset0:48 offset1:56
	ds_read2_b64 v[17:20], v34 offset0:64 offset1:96
	ds_read2_b64 v[21:24], v29 offset1:8
	ds_read2_b64 v[25:28], v29 offset0:16 offset1:24
	ds_read2_b64 v[37:40], v29 offset0:32 offset1:40
	ds_write_b16 v36, v6 offset:2560
	ds_write_b16 v36, v8 offset:1024
	;; [unrolled: 1-line block ×3, first 2 shown]
	s_waitcnt lgkmcnt(0)
	s_barrier
	buffer_gl0_inv
	v_pk_max_f16 v9, v9, v9
	v_pk_max_f16 v15, v15, v15
	v_pk_max_f16 v11, v11, v11
	v_pk_max_f16 v10, v10, v10
	v_pk_max_f16 v16, v16, v16
	v_pk_max_f16 v17, v17, v17
	v_pk_min_f16 v29, v15, v9
	v_pk_max_f16 v21, v21, v21
	v_pk_max_f16 v19, v19, v19
	v_pk_max_f16 v23, v23, v23
	v_pk_max_f16 v25, v25, v25
	v_pk_min_f16 v30, v15, v11
	v_pk_max_f16 v27, v27, v27
	v_pk_max_f16 v37, v37, v37
	;; [unrolled: 1-line block ×5, first 2 shown]
	v_pk_add_f16 v29, v29, 0
	v_pk_min_f16 v51, v16, v10
	v_pk_min_f16 v31, v15, v17
	;; [unrolled: 1-line block ×21, first 2 shown]
	v_pk_max_f16 v18, v18, v18
	v_pk_max_f16 v20, v20, v20
	v_pk_min_f16 v37, v37, v19
	v_pk_max_f16 v22, v22, v22
	v_pk_min_f16 v60, v39, v9
	v_pk_min_f16 v61, v39, v11
	;; [unrolled: 1-line block ×9, first 2 shown]
	v_pk_add_f16 v69, v29, v51
	v_pk_add_f16 v19, v30, 0
	v_pk_min_f16 v29, v16, v12
	v_pk_max_f16 v24, v24, v24
	v_pk_add_f16 v41, v41, 0
	v_pk_min_f16 v58, v22, v10
	v_pk_min_f16 v63, v22, v12
	v_pk_add_f16 v44, v44, 0
	v_pk_min_f16 v64, v22, v18
	v_pk_add_f16 v59, v19, v29
	v_pk_add_f16 v19, v21, 0
	v_pk_min_f16 v22, v22, v20
	v_pk_add_f16 v71, v41, v58
	v_pk_add_f16 v58, v44, v64
	;; [unrolled: 1-line block ×5, first 2 shown]
	v_pk_min_f16 v19, v24, v10
	v_pk_add_f16 v30, v31, 0
	v_pk_min_f16 v31, v16, v18
	v_pk_add_f16 v29, v46, 0
	v_pk_add_f16 v46, v53, 0
	;; [unrolled: 1-line block ×3, first 2 shown]
	v_pk_min_f16 v19, v24, v12
	v_pk_add_f16 v51, v30, v31
	v_pk_add_f16 v30, v47, 0
	;; [unrolled: 1-line block ×5, first 2 shown]
	v_pk_min_f16 v19, v24, v18
	v_pk_add_f16 v23, v23, 0
	v_pk_add_f16 v25, v25, 0
	;; [unrolled: 1-line block ×3, first 2 shown]
	v_pk_min_f16 v24, v24, v20
	v_pk_add_f16 v57, v30, v19
	v_pk_max_f16 v19, v26, v26
	v_pk_max_f16 v26, v28, v28
	v_pk_add_f16 v67, v43, v63
	v_pk_add_f16 v31, v48, 0
	;; [unrolled: 1-line block ×3, first 2 shown]
	v_pk_min_f16 v28, v19, v10
	v_pk_min_f16 v30, v19, v12
	;; [unrolled: 1-line block ×4, first 2 shown]
	v_pk_add_f16 v45, v52, 0
	v_pk_add_f16 v47, v54, 0
	;; [unrolled: 1-line block ×5, first 2 shown]
	v_pk_min_f16 v19, v26, v10
	v_pk_min_f16 v23, v26, v12
	;; [unrolled: 1-line block ×4, first 2 shown]
	v_pk_max_f16 v26, v38, v38
	v_pk_add_f16 v27, v55, 0
	v_pk_add_f16 v52, v56, 0
	v_pk_add_f16 v29, v39, 0
	v_pk_add_f16 v39, v45, v19
	v_pk_add_f16 v64, v46, v23
	v_pk_add_f16 v55, v47, v24
	v_pk_add_f16 v47, v22, v25
	v_pk_min_f16 v19, v26, v10
	v_pk_min_f16 v22, v26, v12
	v_pk_min_f16 v23, v26, v18
	v_pk_min_f16 v24, v26, v20
	v_pk_max_f16 v25, v40, v40
	v_pk_max_f16 v14, v14, v14
	v_pk_add_f16 v60, v60, 0
	v_pk_add_f16 v61, v61, 0
	;; [unrolled: 1-line block ×13, first 2 shown]
	v_pk_min_f16 v19, v25, v10
	v_pk_min_f16 v21, v25, v12
	;; [unrolled: 1-line block ×9, first 2 shown]
	v_pk_add_f16 v41, v31, v28
	v_pk_add_f16 v65, v43, v30
	;; [unrolled: 1-line block ×11, first 2 shown]
	s_cbranch_scc1 .LBB246_34
; %bb.20:
	v_add_nc_u32_e32 v6, v34, v0
	v_lshlrev_b64 v[2:3], 1, v[2:3]
	v_lshlrev_b64 v[30:31], 1, v[4:5]
	v_or_b32_e32 v60, 0x800, v36
	v_or_b32_e32 v68, 0x800, v35
	v_lshrrev_b32_e32 v6, 6, v6
	v_add_nc_u32_e32 v72, 0xa00, v36
	v_add_co_u32 v75, s6, s20, v2
	v_or_b32_e32 v73, 0x400, v36
	v_add_nc_u32_e32 v7, 12, v6
	v_add_nc_u32_e32 v8, 8, v6
	v_lshl_add_u32 v74, v0, 3, 0xa00
	v_add_co_ci_u32_e64 v76, null, s21, v3, s6
	v_mad_i64_i32 v[6:7], null, v7, s8, 0
	v_mad_i64_i32 v[8:9], null, v8, s8, 0
	v_add_nc_u32_e32 v77, 0x400, v34
	s_add_i32 s20, s14, -8
	s_lshl_b64 s[8:9], s[8:9], 4
	v_lshlrev_b64 v[26:27], 1, v[6:7]
	v_lshlrev_b64 v[28:29], 1, v[8:9]
	s_branch .LBB246_22
.LBB246_21:                             ;   in Loop: Header=BB246_22 Depth=1
	s_or_b32 exec_lo, exec_lo, s7
	v_pk_max_f16 v4, v4, v4
	v_pk_max_f16 v22, v22, v22
	;; [unrolled: 1-line block ×7, first 2 shown]
	v_pk_min_f16 v81, v4, v22
	v_pk_min_f16 v82, v4, v24
	;; [unrolled: 1-line block ×3, first 2 shown]
	v_pk_max_f16 v16, v16, v16
	v_pk_min_f16 v85, v14, v24
	v_pk_min_f16 v90, v10, v22
	v_pk_max_f16 v12, v12, v12
	v_pk_min_f16 v91, v10, v24
	v_pk_min_f16 v92, v10, v18
	;; [unrolled: 1-line block ×3, first 2 shown]
	v_pk_max_f16 v6, v6, v6
	v_pk_max_f16 v23, v23, v23
	;; [unrolled: 1-line block ×15, first 2 shown]
	v_pk_min_f16 v84, v14, v22
	v_pk_min_f16 v86, v14, v18
	;; [unrolled: 1-line block ×56, first 2 shown]
	v_pk_add_f16 v3, v69, v81
	v_pk_add_f16 v5, v59, v82
	;; [unrolled: 1-line block ×20, first 2 shown]
	ds_read2_b64 v[2:5], v68 offset0:48 offset1:56
	ds_read2_b64 v[6:9], v34 offset1:32
	v_pk_add_f16 v67, v10, v11
	ds_read2_b64 v[10:13], v34 offset0:64 offset1:96
	v_pk_add_f16 v49, v65, v91
	v_pk_add_f16 v48, v64, v94
	;; [unrolled: 1-line block ×5, first 2 shown]
	ds_read2_b64 v[14:17], v68 offset1:8
	v_pk_add_f16 v59, v71, v84
	v_pk_add_f16 v58, v58, v86
	;; [unrolled: 1-line block ×8, first 2 shown]
	ds_read2_b64 v[18:21], v68 offset0:16 offset1:24
	v_pk_add_f16 v58, v58, v103
	s_waitcnt lgkmcnt(4)
	v_pk_max_f16 v4, v4, v4
	s_waitcnt lgkmcnt(3)
	v_pk_max_f16 v6, v6, v6
	v_pk_max_f16 v8, v8, v8
	s_waitcnt lgkmcnt(2)
	v_pk_max_f16 v10, v10, v10
	v_pk_add_f16 v41, v41, v90
	v_pk_add_f16 v50, v50, v104
	v_pk_min_f16 v22, v4, v6
	v_pk_min_f16 v23, v4, v8
	;; [unrolled: 1-line block ×3, first 2 shown]
	s_waitcnt lgkmcnt(1)
	v_pk_max_f16 v14, v14, v14
	v_pk_max_f16 v16, v16, v16
	v_pk_add_f16 v44, v44, v22
	v_pk_add_f16 v52, v52, v23
	;; [unrolled: 1-line block ×3, first 2 shown]
	v_pk_min_f16 v22, v14, v6
	v_pk_min_f16 v23, v14, v8
	;; [unrolled: 1-line block ×3, first 2 shown]
	v_pk_add_f16 v57, v57, v89
	s_waitcnt lgkmcnt(0)
	v_pk_max_f16 v18, v18, v18
	v_pk_add_f16 v81, v59, v22
	v_pk_add_f16 v61, v61, v23
	;; [unrolled: 1-line block ×3, first 2 shown]
	ds_read2_b64 v[22:25], v68 offset0:32 offset1:40
	v_pk_min_f16 v59, v16, v6
	v_pk_add_f16 v41, v41, v107
	v_pk_max_f16 v20, v20, v20
	v_pk_add_f16 v37, v37, v96
	v_pk_add_f16 v57, v57, v106
	;; [unrolled: 1-line block ×3, first 2 shown]
	v_pk_min_f16 v50, v18, v6
	v_pk_add_f16 v49, v49, v108
	v_pk_add_f16 v48, v48, v111
	v_pk_max_f16 v12, v12, v12
	v_pk_min_f16 v82, v16, v10
	v_pk_min_f16 v59, v18, v8
	v_pk_add_f16 v41, v41, v50
	v_pk_min_f16 v50, v20, v8
	v_pk_add_f16 v39, v39, v93
	v_pk_add_f16 v63, v63, v97
	;; [unrolled: 1-line block ×4, first 2 shown]
	v_pk_min_f16 v14, v14, v12
	s_waitcnt lgkmcnt(0)
	v_pk_max_f16 v22, v22, v22
	v_pk_add_f16 v57, v57, v82
	v_pk_add_f16 v82, v49, v59
	v_pk_min_f16 v49, v20, v6
	v_pk_min_f16 v59, v20, v10
	;; [unrolled: 1-line block ×3, first 2 shown]
	v_pk_add_f16 v84, v48, v50
	v_pk_min_f16 v48, v22, v6
	v_pk_add_f16 v39, v39, v110
	v_pk_add_f16 v63, v63, v115
	;; [unrolled: 1-line block ×4, first 2 shown]
	v_pk_min_f16 v64, v16, v8
	v_pk_add_f16 v20, v47, v20
	v_pk_min_f16 v47, v22, v8
	v_pk_max_f16 v24, v24, v24
	v_pk_add_f16 v37, v37, v48
	v_pk_min_f16 v48, v22, v10
	v_pk_min_f16 v22, v22, v12
	v_pk_max_f16 v2, v2, v2
	v_pk_max_f16 v5, v5, v5
	;; [unrolled: 1-line block ×3, first 2 shown]
	v_pk_add_f16 v55, v55, v95
	v_pk_add_f16 v40, v40, v122
	v_pk_min_f16 v16, v16, v12
	v_pk_add_f16 v64, v65, v64
	v_pk_min_f16 v65, v18, v10
	v_pk_min_f16 v18, v18, v12
	v_pk_add_f16 v39, v39, v49
	v_pk_add_f16 v63, v63, v47
	v_pk_min_f16 v47, v24, v6
	v_pk_min_f16 v49, v24, v8
	v_pk_add_f16 v22, v46, v22
	v_pk_min_f16 v46, v24, v10
	v_pk_min_f16 v24, v24, v12
	;; [unrolled: 1-line block ×6, first 2 shown]
	v_pk_max_f16 v9, v9, v9
	v_pk_min_f16 v4, v4, v12
	v_pk_max_f16 v11, v11, v11
	v_pk_min_f16 v12, v5, v7
	v_pk_add_f16 v55, v55, v112
	v_pk_add_f16 v6, v69, v6
	;; [unrolled: 1-line block ×3, first 2 shown]
	v_pk_min_f16 v40, v5, v9
	v_pk_add_f16 v4, v43, v4
	v_pk_min_f16 v43, v5, v11
	v_pk_max_f16 v15, v15, v15
	v_pk_add_f16 v69, v44, v12
	v_pk_max_f16 v12, v13, v13
	v_pk_add_f16 v56, v56, v92
	v_pk_add_f16 v62, v62, v100
	;; [unrolled: 1-line block ×5, first 2 shown]
	v_pk_min_f16 v13, v15, v7
	v_pk_min_f16 v40, v15, v9
	;; [unrolled: 1-line block ×4, first 2 shown]
	v_pk_max_f16 v17, v17, v17
	v_pk_add_f16 v54, v54, v98
	v_pk_add_f16 v56, v56, v109
	;; [unrolled: 1-line block ×7, first 2 shown]
	v_pk_min_f16 v13, v17, v7
	v_pk_min_f16 v14, v17, v9
	;; [unrolled: 1-line block ×4, first 2 shown]
	v_pk_max_f16 v19, v19, v19
	v_pk_add_f16 v38, v38, v99
	v_pk_add_f16 v54, v54, v116
	;; [unrolled: 1-line block ×10, first 2 shown]
	v_pk_min_f16 v13, v19, v7
	v_pk_min_f16 v14, v19, v9
	v_pk_min_f16 v15, v19, v11
	v_pk_min_f16 v16, v19, v12
	v_pk_max_f16 v17, v21, v21
	v_pk_add_f16 v53, v53, v101
	v_pk_add_f16 v38, v38, v118
	;; [unrolled: 1-line block ×7, first 2 shown]
	v_pk_min_f16 v13, v17, v7
	v_pk_min_f16 v14, v17, v9
	;; [unrolled: 1-line block ×4, first 2 shown]
	v_pk_max_f16 v17, v23, v23
	v_pk_add_f16 v53, v53, v120
	v_pk_add_f16 v45, v45, v121
	;; [unrolled: 1-line block ×7, first 2 shown]
	v_pk_min_f16 v13, v17, v7
	v_pk_min_f16 v14, v17, v9
	v_pk_min_f16 v15, v17, v11
	v_pk_min_f16 v16, v17, v12
	v_pk_max_f16 v17, v25, v25
	v_pk_max_f16 v3, v3, v3
	v_pk_add_f16 v53, v53, v46
	v_pk_add_f16 v24, v45, v24
	v_pk_add_f16 v37, v37, v13
	v_pk_add_f16 v63, v63, v14
	v_pk_add_f16 v54, v54, v15
	v_pk_add_f16 v46, v22, v16
	v_pk_min_f16 v13, v17, v7
	v_pk_min_f16 v14, v17, v9
	;; [unrolled: 1-line block ×9, first 2 shown]
	v_add_co_u32 v75, s6, v75, s8
	v_pk_add_f16 v67, v61, v40
	v_pk_add_f16 v58, v58, v43
	;; [unrolled: 1-line block ×11, first 2 shown]
	v_add_co_ci_u32_e64 v76, null, s9, v76, s6
	s_add_i32 s26, s26, 8
	ds_write_b16 v72, v78
	ds_write_b16 v73, v80
	ds_write_b16 v73, v79 offset:512
	s_cmp_ge_i32 s26, s20
	s_waitcnt lgkmcnt(0)
	s_barrier
	buffer_gl0_inv
	s_cbranch_scc1 .LBB246_34
.LBB246_22:                             ; =>This Inner Loop Header: Depth=1
	v_add_nc_u32_e32 v79, s26, v33
	v_mov_b32_e32 v80, 0
	v_mov_b32_e32 v81, 0
	v_add_nc_u32_e32 v2, 8, v79
	v_cmp_gt_i32_e64 s6, s14, v2
	s_and_b32 s6, vcc_lo, s6
	s_and_b32 s6, s1, s6
	s_and_saveexec_b32 s7, s6
	s_cbranch_execz .LBB246_24
; %bb.23:                               ;   in Loop: Header=BB246_22 Depth=1
	v_add_co_u32 v3, s6, v75, v28
	v_add_co_ci_u32_e64 v4, null, v76, v29, s6
	flat_load_ushort v3, v[3:4]
	s_waitcnt vmcnt(0) lgkmcnt(0)
	v_mul_f16_e32 v81, v32, v3
.LBB246_24:                             ;   in Loop: Header=BB246_22 Depth=1
	s_or_b32 exec_lo, exec_lo, s7
	v_min_i32_e32 v3, s24, v2
	v_cmp_le_i32_e64 s6, s14, v2
	v_mad_i64_i32 v[3:4], null, v3, s23, 0
	v_lshlrev_b64 v[3:4], 1, v[3:4]
	v_add_co_u32 v2, s7, s18, v3
	v_add_co_ci_u32_e64 v3, null, s19, v4, s7
	s_or_b32 s7, s2, s6
	s_nor_b32 s7, s7, s25
	s_and_saveexec_b32 s21, s7
	s_cbranch_execz .LBB246_26
; %bb.25:                               ;   in Loop: Header=BB246_22 Depth=1
	v_add_co_u32 v4, s7, v2, v30
	v_add_co_ci_u32_e64 v5, null, v3, v31, s7
	flat_load_ushort v4, v[4:5]
	s_waitcnt vmcnt(0) lgkmcnt(0)
	v_mul_f16_e32 v80, v32, v4
.LBB246_26:                             ;   in Loop: Header=BB246_22 Depth=1
	s_or_b32 exec_lo, exec_lo, s21
	v_mov_b32_e32 v78, 0
	v_mov_b32_e32 v82, 0
	s_or_b32 s6, s3, s6
	s_nor_b32 s6, s6, s25
	s_and_saveexec_b32 s7, s6
	s_cbranch_execz .LBB246_28
; %bb.27:                               ;   in Loop: Header=BB246_22 Depth=1
	v_add_co_u32 v2, s6, v2, v30
	v_add_co_ci_u32_e64 v3, null, v3, v31, s6
	flat_load_ushort v2, v[2:3] offset:128
	s_waitcnt vmcnt(0) lgkmcnt(0)
	v_mul_f16_e32 v82, v32, v2
.LBB246_28:                             ;   in Loop: Header=BB246_22 Depth=1
	s_or_b32 exec_lo, exec_lo, s7
	ds_read2_b64 v[2:5], v74 offset0:48 offset1:56
	ds_read2_b64 v[18:21], v77 offset0:64 offset1:96
	ds_read2_b64 v[22:25], v77 offset1:32
	ds_read2_b64 v[14:17], v74 offset1:8
	ds_read2_b64 v[10:13], v74 offset0:16 offset1:24
	ds_read2_b64 v[6:9], v74 offset0:32 offset1:40
	v_add_nc_u32_e32 v79, 12, v79
	ds_write_b16 v60, v81
	ds_write_b16 v36, v80
	ds_write_b16 v36, v82 offset:512
	s_waitcnt lgkmcnt(0)
	s_barrier
	buffer_gl0_inv
	v_cmp_gt_i32_e64 s6, s14, v79
	s_and_b32 s6, vcc_lo, s6
	s_and_b32 s6, s1, s6
	s_and_saveexec_b32 s7, s6
	s_xor_b32 s7, exec_lo, s7
	s_cbranch_execz .LBB246_30
; %bb.29:                               ;   in Loop: Header=BB246_22 Depth=1
	v_add_co_u32 v80, s6, v75, v26
	v_add_co_ci_u32_e64 v81, null, v76, v27, s6
	flat_load_ushort v78, v[80:81]
	s_waitcnt vmcnt(0) lgkmcnt(0)
	v_mul_f16_e32 v78, v32, v78
.LBB246_30:                             ;   in Loop: Header=BB246_22 Depth=1
	s_or_b32 exec_lo, exec_lo, s7
	v_min_i32_e32 v80, s24, v79
	v_cmp_le_i32_e64 s6, s14, v79
	v_mov_b32_e32 v79, 0
	v_mad_i64_i32 v[80:81], null, v80, s23, 0
	v_lshlrev_b64 v[81:82], 1, v[80:81]
	v_mov_b32_e32 v80, 0
	v_add_co_u32 v81, s7, s18, v81
	v_add_co_ci_u32_e64 v82, null, s19, v82, s7
	s_or_b32 s7, s2, s6
	s_nor_b32 s7, s7, s25
	s_and_saveexec_b32 s21, s7
	s_cbranch_execz .LBB246_32
; %bb.31:                               ;   in Loop: Header=BB246_22 Depth=1
	v_add_co_u32 v83, s7, v81, v30
	v_add_co_ci_u32_e64 v84, null, v82, v31, s7
	flat_load_ushort v80, v[83:84]
	s_waitcnt vmcnt(0) lgkmcnt(0)
	v_mul_f16_e32 v80, v32, v80
.LBB246_32:                             ;   in Loop: Header=BB246_22 Depth=1
	s_or_b32 exec_lo, exec_lo, s21
	s_or_b32 s6, s3, s6
	s_nor_b32 s6, s6, s25
	s_and_saveexec_b32 s7, s6
	s_cbranch_execz .LBB246_21
; %bb.33:                               ;   in Loop: Header=BB246_22 Depth=1
	v_add_co_u32 v81, s6, v81, v30
	v_add_co_ci_u32_e64 v82, null, v82, v31, s6
	flat_load_ushort v79, v[81:82] offset:128
	s_waitcnt vmcnt(0) lgkmcnt(0)
	v_mul_f16_e32 v79, v32, v79
	s_branch .LBB246_21
.LBB246_34:
	s_clause 0x2
	s_load_dword s14, s[4:5], 0x58
	s_load_dword s9, s[4:5], 0x70
	s_load_dwordx2 s[2:3], s[4:5], 0x78
	v_add_nc_u32_e32 v68, s22, v1
	v_add_nc_u32_e32 v10, 0x800, v35
	ds_read2_b64 v[2:5], v34 offset0:192 offset1:224
	ds_read2_b64 v[22:25], v34 offset0:128 offset1:160
	v_add_nc_u32_e32 v0, s15, v0
	ds_read2_b64 v[6:9], v10 offset0:112 offset1:120
	ds_read2_b64 v[18:21], v10 offset0:64 offset1:72
	;; [unrolled: 1-line block ×4, first 2 shown]
	v_cmp_gt_i32_e64 s8, s13, v68
	v_cmp_gt_i32_e64 s1, s12, v0
	v_ashrrev_i32_e32 v1, 31, v0
	v_cndmask_b32_e64 v60, 0, 1, s0
	s_waitcnt lgkmcnt(0)
	v_mad_i64_i32 v[26:27], null, v68, s14, 0
	v_mad_i64_i32 v[28:29], null, v68, s9, 0
	s_lshl_b64 s[2:3], s[2:3], 1
	s_add_u32 s10, s10, s2
	s_addc_u32 s11, s11, s3
	v_lshlrev_b64 v[26:27], 1, v[26:27]
	s_and_b32 s2, s1, s8
	v_lshlrev_b64 v[28:29], 1, v[28:29]
	v_add_co_u32 v74, vcc_lo, s16, v26
	v_add_co_ci_u32_e64 v75, null, s17, v27, vcc_lo
	v_add_co_u32 v72, vcc_lo, s10, v28
	v_add_co_ci_u32_e64 v73, null, s11, v29, vcc_lo
	s_and_saveexec_b32 s3, s2
	s_xor_b32 s2, exec_lo, s3
	s_cbranch_execz .LBB246_39
; %bb.35:
	v_lshlrev_b64 v[26:27], 1, v[0:1]
	s_andn2_b32 vcc_lo, exec_lo, s0
	s_cbranch_vccnz .LBB246_37
; %bb.36:
	v_add_co_u32 v28, vcc_lo, v74, v26
	v_add_co_ci_u32_e64 v29, null, v75, v27, vcc_lo
	flat_load_ushort v28, v[28:29]
	s_waitcnt vmcnt(0) lgkmcnt(0)
	v_mul_f16_e32 v28, v42, v28
	s_branch .LBB246_38
.LBB246_37:
	v_mov_b32_e32 v28, 0
.LBB246_38:
	v_pk_max_f16 v29, v22, v22
	v_pk_max_f16 v30, v18, v18
	;; [unrolled: 1-line block ×4, first 2 shown]
	v_add_co_u32 v26, vcc_lo, v72, v26
	v_pk_min_f16 v29, v30, v29
	v_add_co_ci_u32_e64 v27, null, v73, v27, vcc_lo
	v_pk_min_f16 v30, v32, v31
	v_pk_add_f16 v29, v71, v29
	v_pk_add_f16 v29, v29, v30
	v_add_f16_sdwa v29, v29, v29 dst_sel:DWORD dst_unused:UNUSED_PAD src0_sel:DWORD src1_sel:WORD_1
	v_add_f16_e32 v28, v29, v28
	flat_store_short v[26:27], v28
.LBB246_39:
	s_or_b32 exec_lo, exec_lo, s2
	v_add_nc_u32_e32 v26, 8, v0
	v_cmp_gt_i32_e64 s0, s12, v26
	v_ashrrev_i32_e32 v27, 31, v26
	s_and_b32 s3, s0, s8
	s_and_saveexec_b32 s2, s3
	s_cbranch_execz .LBB246_44
; %bb.40:
	v_cmp_ne_u32_e32 vcc_lo, 1, v60
	v_lshlrev_b64 v[28:29], 1, v[26:27]
	s_cbranch_vccnz .LBB246_42
; %bb.41:
	v_add_co_u32 v30, vcc_lo, v74, v28
	v_add_co_ci_u32_e64 v31, null, v75, v29, vcc_lo
	flat_load_ushort v30, v[30:31]
	s_waitcnt vmcnt(0) lgkmcnt(0)
	v_mul_f16_e32 v30, v42, v30
	s_branch .LBB246_43
.LBB246_42:
	v_mov_b32_e32 v30, 0
.LBB246_43:
	v_pk_max_f16 v31, v22, v22
	v_pk_max_f16 v32, v20, v20
	v_pk_max_f16 v33, v23, v23
	v_pk_max_f16 v34, v21, v21
	v_add_co_u32 v28, vcc_lo, v72, v28
	v_pk_min_f16 v31, v32, v31
	v_add_co_ci_u32_e64 v29, null, v73, v29, vcc_lo
	v_pk_min_f16 v32, v34, v33
	v_pk_add_f16 v31, v70, v31
	v_pk_add_f16 v31, v31, v32
	v_add_f16_sdwa v31, v31, v31 dst_sel:DWORD dst_unused:UNUSED_PAD src0_sel:DWORD src1_sel:WORD_1
	v_add_f16_e32 v30, v31, v30
	flat_store_short v[28:29], v30
.LBB246_44:
	s_or_b32 exec_lo, exec_lo, s2
	v_add_nc_u32_e32 v28, 16, v0
	v_cmp_gt_i32_e64 s2, s12, v28
	v_ashrrev_i32_e32 v29, 31, v28
	s_and_b32 s4, s2, s8
	s_and_saveexec_b32 s3, s4
	s_cbranch_execz .LBB246_49
; %bb.45:
	v_cmp_ne_u32_e32 vcc_lo, 1, v60
	v_lshlrev_b64 v[30:31], 1, v[28:29]
	s_cbranch_vccnz .LBB246_47
; %bb.46:
	v_add_co_u32 v32, vcc_lo, v74, v30
	v_add_co_ci_u32_e64 v33, null, v75, v31, vcc_lo
	flat_load_ushort v32, v[32:33]
	s_waitcnt vmcnt(0) lgkmcnt(0)
	v_mul_f16_e32 v32, v42, v32
	s_branch .LBB246_48
.LBB246_47:
	v_mov_b32_e32 v32, 0
.LBB246_48:
	v_pk_max_f16 v33, v22, v22
	v_pk_max_f16 v34, v14, v14
	v_pk_max_f16 v35, v23, v23
	v_pk_max_f16 v36, v15, v15
	v_add_co_u32 v30, vcc_lo, v72, v30
	v_pk_min_f16 v33, v34, v33
	v_add_co_ci_u32_e64 v31, null, v73, v31, vcc_lo
	v_pk_min_f16 v34, v36, v35
	v_pk_add_f16 v33, v41, v33
	v_pk_add_f16 v33, v33, v34
	v_add_f16_sdwa v33, v33, v33 dst_sel:DWORD dst_unused:UNUSED_PAD src0_sel:DWORD src1_sel:WORD_1
	v_add_f16_e32 v32, v33, v32
	flat_store_short v[30:31], v32
.LBB246_49:
	;; [unrolled: 35-line block ×6, first 2 shown]
	s_or_b32 exec_lo, exec_lo, s7
	v_add_nc_u32_e32 v38, 56, v0
	v_cmp_gt_i32_e64 s7, s12, v38
	v_ashrrev_i32_e32 v39, 31, v38
	s_and_b32 s12, s7, s8
	s_and_saveexec_b32 s8, s12
	s_cbranch_execz .LBB246_74
; %bb.70:
	v_cmp_ne_u32_e32 vcc_lo, 1, v60
	v_lshlrev_b64 v[40:41], 1, v[38:39]
	s_cbranch_vccnz .LBB246_72
; %bb.71:
	v_add_co_u32 v70, vcc_lo, v74, v40
	v_add_co_ci_u32_e64 v71, null, v75, v41, vcc_lo
	flat_load_ushort v70, v[70:71]
	s_waitcnt vmcnt(0) lgkmcnt(0)
	v_mul_f16_e32 v70, v42, v70
	s_branch .LBB246_73
.LBB246_72:
	v_mov_b32_e32 v70, 0
.LBB246_73:
	v_pk_max_f16 v22, v22, v22
	v_pk_max_f16 v71, v8, v8
	;; [unrolled: 1-line block ×4, first 2 shown]
	v_pk_min_f16 v22, v71, v22
	v_pk_min_f16 v23, v74, v23
	v_pk_add_f16 v22, v69, v22
	v_pk_add_f16 v22, v22, v23
	v_add_f16_sdwa v22, v22, v22 dst_sel:DWORD dst_unused:UNUSED_PAD src0_sel:DWORD src1_sel:WORD_1
	v_add_f16_e32 v69, v22, v70
	v_add_co_u32 v22, vcc_lo, v72, v40
	v_add_co_ci_u32_e64 v23, null, v73, v41, vcc_lo
	flat_store_short v[22:23], v69
.LBB246_74:
	s_or_b32 exec_lo, exec_lo, s8
	v_add_nc_u32_e32 v69, 32, v68
	v_mad_i64_i32 v[22:23], null, v69, s14, 0
	v_mad_i64_i32 v[40:41], null, v69, s9, 0
	v_cmp_gt_i32_e64 s8, s13, v69
	v_lshlrev_b64 v[22:23], 1, v[22:23]
	s_and_b32 s15, s1, s8
	v_lshlrev_b64 v[40:41], 1, v[40:41]
	v_add_co_u32 v69, vcc_lo, s16, v22
	v_add_co_ci_u32_e64 v70, null, s17, v23, vcc_lo
	v_add_co_u32 v40, vcc_lo, s10, v40
	v_add_co_ci_u32_e64 v41, null, s11, v41, vcc_lo
	s_and_saveexec_b32 s12, s15
	s_cbranch_execnz .LBB246_82
; %bb.75:
	s_or_b32 exec_lo, exec_lo, s12
	s_and_b32 s15, s0, s8
	s_and_saveexec_b32 s12, s15
	s_cbranch_execnz .LBB246_86
.LBB246_76:
	s_or_b32 exec_lo, exec_lo, s12
	s_and_b32 s15, s2, s8
	s_and_saveexec_b32 s12, s15
	s_cbranch_execnz .LBB246_90
.LBB246_77:
	s_or_b32 exec_lo, exec_lo, s12
	s_and_b32 s15, s3, s8
	s_and_saveexec_b32 s12, s15
	s_cbranch_execnz .LBB246_94
.LBB246_78:
	s_or_b32 exec_lo, exec_lo, s12
	s_and_b32 s15, s4, s8
	s_and_saveexec_b32 s12, s15
	s_cbranch_execnz .LBB246_98
.LBB246_79:
	s_or_b32 exec_lo, exec_lo, s12
	s_and_b32 s15, s5, s8
	s_and_saveexec_b32 s12, s15
	s_cbranch_execnz .LBB246_102
.LBB246_80:
	s_or_b32 exec_lo, exec_lo, s12
	s_and_b32 s15, s6, s8
	s_and_saveexec_b32 s12, s15
	s_cbranch_execnz .LBB246_106
.LBB246_81:
	s_or_b32 exec_lo, exec_lo, s12
	s_and_b32 s12, s7, s8
	s_and_saveexec_b32 s8, s12
	s_cbranch_execnz .LBB246_110
	s_branch .LBB246_114
.LBB246_82:
	v_cmp_ne_u32_e32 vcc_lo, 1, v60
	v_lshlrev_b64 v[22:23], 1, v[0:1]
	s_cbranch_vccnz .LBB246_84
; %bb.83:
	v_add_co_u32 v71, vcc_lo, v69, v22
	v_add_co_ci_u32_e64 v72, null, v70, v23, vcc_lo
	flat_load_ushort v71, v[71:72]
	s_waitcnt vmcnt(0) lgkmcnt(0)
	v_mul_f16_e32 v71, v42, v71
	s_branch .LBB246_85
.LBB246_84:
	v_mov_b32_e32 v71, 0
.LBB246_85:
	v_pk_max_f16 v72, v24, v24
	v_pk_max_f16 v73, v18, v18
	;; [unrolled: 1-line block ×4, first 2 shown]
	v_add_co_u32 v22, vcc_lo, v40, v22
	v_pk_min_f16 v72, v73, v72
	v_add_co_ci_u32_e64 v23, null, v41, v23, vcc_lo
	v_pk_min_f16 v73, v75, v74
	v_pk_add_f16 v67, v67, v72
	v_pk_add_f16 v67, v67, v73
	v_add_f16_sdwa v67, v67, v67 dst_sel:DWORD dst_unused:UNUSED_PAD src0_sel:DWORD src1_sel:WORD_1
	v_add_f16_e32 v67, v67, v71
	flat_store_short v[22:23], v67
	s_or_b32 exec_lo, exec_lo, s12
	s_and_b32 s15, s0, s8
	s_and_saveexec_b32 s12, s15
	s_cbranch_execz .LBB246_76
.LBB246_86:
	v_cmp_ne_u32_e32 vcc_lo, 1, v60
	v_lshlrev_b64 v[22:23], 1, v[26:27]
	s_cbranch_vccnz .LBB246_88
; %bb.87:
	v_add_co_u32 v71, vcc_lo, v69, v22
	v_add_co_ci_u32_e64 v72, null, v70, v23, vcc_lo
	flat_load_ushort v67, v[71:72]
	s_waitcnt vmcnt(0) lgkmcnt(0)
	v_mul_f16_e32 v67, v42, v67
	s_branch .LBB246_89
.LBB246_88:
	v_mov_b32_e32 v67, 0
.LBB246_89:
	v_pk_max_f16 v71, v24, v24
	v_pk_max_f16 v72, v20, v20
	;; [unrolled: 1-line block ×4, first 2 shown]
	v_add_co_u32 v22, vcc_lo, v40, v22
	v_pk_min_f16 v71, v72, v71
	v_add_co_ci_u32_e64 v23, null, v41, v23, vcc_lo
	v_pk_min_f16 v72, v74, v73
	v_pk_add_f16 v66, v66, v71
	v_pk_add_f16 v66, v66, v72
	v_add_f16_sdwa v66, v66, v66 dst_sel:DWORD dst_unused:UNUSED_PAD src0_sel:DWORD src1_sel:WORD_1
	v_add_f16_e32 v66, v66, v67
	flat_store_short v[22:23], v66
	s_or_b32 exec_lo, exec_lo, s12
	s_and_b32 s15, s2, s8
	s_and_saveexec_b32 s12, s15
	s_cbranch_execz .LBB246_77
.LBB246_90:
	v_cmp_ne_u32_e32 vcc_lo, 1, v60
	v_lshlrev_b64 v[22:23], 1, v[28:29]
	s_cbranch_vccnz .LBB246_92
; %bb.91:
	v_add_co_u32 v66, vcc_lo, v69, v22
	v_add_co_ci_u32_e64 v67, null, v70, v23, vcc_lo
	flat_load_ushort v66, v[66:67]
	s_waitcnt vmcnt(0) lgkmcnt(0)
	v_mul_f16_e32 v66, v42, v66
	s_branch .LBB246_93
.LBB246_92:
	v_mov_b32_e32 v66, 0
.LBB246_93:
	v_pk_max_f16 v67, v24, v24
	v_pk_max_f16 v71, v14, v14
	v_pk_max_f16 v72, v25, v25
	v_pk_max_f16 v73, v15, v15
	v_add_co_u32 v22, vcc_lo, v40, v22
	v_pk_min_f16 v67, v71, v67
	v_add_co_ci_u32_e64 v23, null, v41, v23, vcc_lo
	v_pk_min_f16 v71, v73, v72
	v_pk_add_f16 v65, v65, v67
	v_pk_add_f16 v65, v65, v71
	v_add_f16_sdwa v65, v65, v65 dst_sel:DWORD dst_unused:UNUSED_PAD src0_sel:DWORD src1_sel:WORD_1
	v_add_f16_e32 v65, v65, v66
	flat_store_short v[22:23], v65
	s_or_b32 exec_lo, exec_lo, s12
	s_and_b32 s15, s3, s8
	s_and_saveexec_b32 s12, s15
	s_cbranch_execz .LBB246_78
.LBB246_94:
	v_cmp_ne_u32_e32 vcc_lo, 1, v60
	v_lshlrev_b64 v[22:23], 1, v[30:31]
	s_cbranch_vccnz .LBB246_96
; %bb.95:
	v_add_co_u32 v65, vcc_lo, v69, v22
	v_add_co_ci_u32_e64 v66, null, v70, v23, vcc_lo
	flat_load_ushort v65, v[65:66]
	s_waitcnt vmcnt(0) lgkmcnt(0)
	v_mul_f16_e32 v65, v42, v65
	s_branch .LBB246_97
.LBB246_96:
	v_mov_b32_e32 v65, 0
.LBB246_97:
	v_pk_max_f16 v66, v24, v24
	v_pk_max_f16 v67, v16, v16
	;; [unrolled: 1-line block ×4, first 2 shown]
	v_add_co_u32 v22, vcc_lo, v40, v22
	v_pk_min_f16 v66, v67, v66
	v_add_co_ci_u32_e64 v23, null, v41, v23, vcc_lo
	v_pk_min_f16 v67, v72, v71
	v_pk_add_f16 v64, v64, v66
	v_pk_add_f16 v64, v64, v67
	v_add_f16_sdwa v64, v64, v64 dst_sel:DWORD dst_unused:UNUSED_PAD src0_sel:DWORD src1_sel:WORD_1
	v_add_f16_e32 v64, v64, v65
	flat_store_short v[22:23], v64
	s_or_b32 exec_lo, exec_lo, s12
	s_and_b32 s15, s4, s8
	s_and_saveexec_b32 s12, s15
	s_cbranch_execz .LBB246_79
.LBB246_98:
	v_cmp_ne_u32_e32 vcc_lo, 1, v60
	v_lshlrev_b64 v[22:23], 1, v[32:33]
	s_cbranch_vccnz .LBB246_100
; %bb.99:
	v_add_co_u32 v64, vcc_lo, v69, v22
	v_add_co_ci_u32_e64 v65, null, v70, v23, vcc_lo
	flat_load_ushort v64, v[64:65]
	s_waitcnt vmcnt(0) lgkmcnt(0)
	v_mul_f16_e32 v64, v42, v64
	s_branch .LBB246_101
.LBB246_100:
	v_mov_b32_e32 v64, 0
.LBB246_101:
	v_pk_max_f16 v65, v24, v24
	v_pk_max_f16 v66, v10, v10
	v_pk_max_f16 v67, v25, v25
	v_pk_max_f16 v71, v11, v11
	v_add_co_u32 v22, vcc_lo, v40, v22
	v_pk_min_f16 v65, v66, v65
	v_add_co_ci_u32_e64 v23, null, v41, v23, vcc_lo
	v_pk_min_f16 v66, v71, v67
	v_pk_add_f16 v63, v63, v65
	v_pk_add_f16 v63, v63, v66
	v_add_f16_sdwa v63, v63, v63 dst_sel:DWORD dst_unused:UNUSED_PAD src0_sel:DWORD src1_sel:WORD_1
	v_add_f16_e32 v63, v63, v64
	flat_store_short v[22:23], v63
	s_or_b32 exec_lo, exec_lo, s12
	s_and_b32 s15, s5, s8
	s_and_saveexec_b32 s12, s15
	s_cbranch_execz .LBB246_80
.LBB246_102:
	v_cmp_ne_u32_e32 vcc_lo, 1, v60
	v_lshlrev_b64 v[22:23], 1, v[34:35]
	s_cbranch_vccnz .LBB246_104
; %bb.103:
	v_add_co_u32 v63, vcc_lo, v69, v22
	v_add_co_ci_u32_e64 v64, null, v70, v23, vcc_lo
	flat_load_ushort v63, v[63:64]
	s_waitcnt vmcnt(0) lgkmcnt(0)
	v_mul_f16_e32 v63, v42, v63
	s_branch .LBB246_105
.LBB246_104:
	v_mov_b32_e32 v63, 0
.LBB246_105:
	v_pk_max_f16 v64, v24, v24
	v_pk_max_f16 v65, v12, v12
	;; [unrolled: 1-line block ×4, first 2 shown]
	v_add_co_u32 v22, vcc_lo, v40, v22
	v_pk_min_f16 v64, v65, v64
	v_add_co_ci_u32_e64 v23, null, v41, v23, vcc_lo
	v_pk_min_f16 v65, v67, v66
	v_pk_add_f16 v62, v62, v64
	v_pk_add_f16 v62, v62, v65
	v_add_f16_sdwa v62, v62, v62 dst_sel:DWORD dst_unused:UNUSED_PAD src0_sel:DWORD src1_sel:WORD_1
	v_add_f16_e32 v62, v62, v63
	flat_store_short v[22:23], v62
	s_or_b32 exec_lo, exec_lo, s12
	s_and_b32 s15, s6, s8
	s_and_saveexec_b32 s12, s15
	s_cbranch_execz .LBB246_81
.LBB246_106:
	v_cmp_ne_u32_e32 vcc_lo, 1, v60
	v_lshlrev_b64 v[22:23], 1, v[36:37]
	s_cbranch_vccnz .LBB246_108
; %bb.107:
	v_add_co_u32 v62, vcc_lo, v69, v22
	v_add_co_ci_u32_e64 v63, null, v70, v23, vcc_lo
	flat_load_ushort v62, v[62:63]
	s_waitcnt vmcnt(0) lgkmcnt(0)
	v_mul_f16_e32 v62, v42, v62
	s_branch .LBB246_109
.LBB246_108:
	v_mov_b32_e32 v62, 0
.LBB246_109:
	v_pk_max_f16 v63, v24, v24
	v_pk_max_f16 v64, v6, v6
	;; [unrolled: 1-line block ×4, first 2 shown]
	v_add_co_u32 v22, vcc_lo, v40, v22
	v_pk_min_f16 v63, v64, v63
	v_add_co_ci_u32_e64 v23, null, v41, v23, vcc_lo
	v_pk_min_f16 v64, v66, v65
	v_pk_add_f16 v61, v61, v63
	v_pk_add_f16 v61, v61, v64
	v_add_f16_sdwa v61, v61, v61 dst_sel:DWORD dst_unused:UNUSED_PAD src0_sel:DWORD src1_sel:WORD_1
	v_add_f16_e32 v61, v61, v62
	flat_store_short v[22:23], v61
	s_or_b32 exec_lo, exec_lo, s12
	s_and_b32 s12, s7, s8
	s_and_saveexec_b32 s8, s12
	s_cbranch_execz .LBB246_114
.LBB246_110:
	v_cmp_ne_u32_e32 vcc_lo, 1, v60
	v_lshlrev_b64 v[22:23], 1, v[38:39]
	s_cbranch_vccnz .LBB246_112
; %bb.111:
	v_add_co_u32 v61, vcc_lo, v69, v22
	v_add_co_ci_u32_e64 v62, null, v70, v23, vcc_lo
	flat_load_ushort v61, v[61:62]
	s_waitcnt vmcnt(0) lgkmcnt(0)
	v_mul_f16_e32 v61, v42, v61
	s_branch .LBB246_113
.LBB246_112:
	v_mov_b32_e32 v61, 0
.LBB246_113:
	v_pk_max_f16 v24, v24, v24
	v_pk_max_f16 v62, v8, v8
	;; [unrolled: 1-line block ×4, first 2 shown]
	v_add_co_u32 v22, vcc_lo, v40, v22
	v_pk_min_f16 v24, v62, v24
	v_add_co_ci_u32_e64 v23, null, v41, v23, vcc_lo
	v_pk_min_f16 v25, v63, v25
	v_pk_add_f16 v24, v59, v24
	v_pk_add_f16 v24, v24, v25
	v_add_f16_sdwa v24, v24, v24 dst_sel:DWORD dst_unused:UNUSED_PAD src0_sel:DWORD src1_sel:WORD_1
	v_add_f16_e32 v24, v24, v61
	flat_store_short v[22:23], v24
.LBB246_114:
	s_or_b32 exec_lo, exec_lo, s8
	v_add_nc_u32_e32 v40, 64, v68
	v_mad_i64_i32 v[22:23], null, v40, s14, 0
	v_mad_i64_i32 v[24:25], null, v40, s9, 0
	v_cmp_gt_i32_e64 s8, s13, v40
	v_lshlrev_b64 v[22:23], 1, v[22:23]
	s_and_b32 s15, s1, s8
	v_lshlrev_b64 v[24:25], 1, v[24:25]
	v_add_co_u32 v40, vcc_lo, s16, v22
	v_add_co_ci_u32_e64 v41, null, s17, v23, vcc_lo
	v_add_co_u32 v24, vcc_lo, s10, v24
	v_add_co_ci_u32_e64 v25, null, s11, v25, vcc_lo
	s_and_saveexec_b32 s12, s15
	s_cbranch_execnz .LBB246_122
; %bb.115:
	s_or_b32 exec_lo, exec_lo, s12
	s_and_b32 s15, s0, s8
	s_and_saveexec_b32 s12, s15
	s_cbranch_execnz .LBB246_126
.LBB246_116:
	s_or_b32 exec_lo, exec_lo, s12
	s_and_b32 s15, s2, s8
	s_and_saveexec_b32 s12, s15
	s_cbranch_execnz .LBB246_130
.LBB246_117:
	s_or_b32 exec_lo, exec_lo, s12
	s_and_b32 s15, s3, s8
	s_and_saveexec_b32 s12, s15
	s_cbranch_execnz .LBB246_134
.LBB246_118:
	s_or_b32 exec_lo, exec_lo, s12
	s_and_b32 s15, s4, s8
	s_and_saveexec_b32 s12, s15
	s_cbranch_execnz .LBB246_138
.LBB246_119:
	s_or_b32 exec_lo, exec_lo, s12
	s_and_b32 s15, s5, s8
	s_and_saveexec_b32 s12, s15
	s_cbranch_execnz .LBB246_142
.LBB246_120:
	s_or_b32 exec_lo, exec_lo, s12
	s_and_b32 s15, s6, s8
	s_and_saveexec_b32 s12, s15
	s_cbranch_execnz .LBB246_146
.LBB246_121:
	s_or_b32 exec_lo, exec_lo, s12
	s_and_b32 s12, s7, s8
	s_and_saveexec_b32 s8, s12
	s_cbranch_execnz .LBB246_150
	s_branch .LBB246_154
.LBB246_122:
	v_cmp_ne_u32_e32 vcc_lo, 1, v60
	v_lshlrev_b64 v[22:23], 1, v[0:1]
	s_cbranch_vccnz .LBB246_124
; %bb.123:
	v_add_co_u32 v61, vcc_lo, v40, v22
	v_add_co_ci_u32_e64 v62, null, v41, v23, vcc_lo
	flat_load_ushort v59, v[61:62]
	s_waitcnt vmcnt(0) lgkmcnt(0)
	v_mul_f16_e32 v59, v42, v59
	s_branch .LBB246_125
.LBB246_124:
	v_mov_b32_e32 v59, 0
.LBB246_125:
	v_pk_max_f16 v61, v2, v2
	v_pk_max_f16 v62, v18, v18
	;; [unrolled: 1-line block ×4, first 2 shown]
	v_add_co_u32 v22, vcc_lo, v24, v22
	v_pk_min_f16 v61, v62, v61
	v_add_co_ci_u32_e64 v23, null, v25, v23, vcc_lo
	v_pk_min_f16 v62, v64, v63
	v_pk_add_f16 v58, v58, v61
	v_pk_add_f16 v58, v58, v62
	v_add_f16_sdwa v58, v58, v58 dst_sel:DWORD dst_unused:UNUSED_PAD src0_sel:DWORD src1_sel:WORD_1
	v_add_f16_e32 v58, v58, v59
	flat_store_short v[22:23], v58
	s_or_b32 exec_lo, exec_lo, s12
	s_and_b32 s15, s0, s8
	s_and_saveexec_b32 s12, s15
	s_cbranch_execz .LBB246_116
.LBB246_126:
	v_cmp_ne_u32_e32 vcc_lo, 1, v60
	v_lshlrev_b64 v[22:23], 1, v[26:27]
	s_cbranch_vccnz .LBB246_128
; %bb.127:
	v_add_co_u32 v58, vcc_lo, v40, v22
	v_add_co_ci_u32_e64 v59, null, v41, v23, vcc_lo
	flat_load_ushort v58, v[58:59]
	s_waitcnt vmcnt(0) lgkmcnt(0)
	v_mul_f16_e32 v58, v42, v58
	s_branch .LBB246_129
.LBB246_128:
	v_mov_b32_e32 v58, 0
.LBB246_129:
	v_pk_max_f16 v59, v2, v2
	v_pk_max_f16 v61, v20, v20
	;; [unrolled: 1-line block ×4, first 2 shown]
	v_add_co_u32 v22, vcc_lo, v24, v22
	v_pk_min_f16 v59, v61, v59
	v_add_co_ci_u32_e64 v23, null, v25, v23, vcc_lo
	v_pk_min_f16 v61, v63, v62
	v_pk_add_f16 v57, v57, v59
	v_pk_add_f16 v57, v57, v61
	v_add_f16_sdwa v57, v57, v57 dst_sel:DWORD dst_unused:UNUSED_PAD src0_sel:DWORD src1_sel:WORD_1
	v_add_f16_e32 v57, v57, v58
	flat_store_short v[22:23], v57
	s_or_b32 exec_lo, exec_lo, s12
	s_and_b32 s15, s2, s8
	s_and_saveexec_b32 s12, s15
	s_cbranch_execz .LBB246_117
.LBB246_130:
	v_cmp_ne_u32_e32 vcc_lo, 1, v60
	v_lshlrev_b64 v[22:23], 1, v[28:29]
	s_cbranch_vccnz .LBB246_132
; %bb.131:
	v_add_co_u32 v57, vcc_lo, v40, v22
	v_add_co_ci_u32_e64 v58, null, v41, v23, vcc_lo
	flat_load_ushort v57, v[57:58]
	s_waitcnt vmcnt(0) lgkmcnt(0)
	v_mul_f16_e32 v57, v42, v57
	s_branch .LBB246_133
.LBB246_132:
	v_mov_b32_e32 v57, 0
.LBB246_133:
	v_pk_max_f16 v58, v2, v2
	v_pk_max_f16 v59, v14, v14
	;; [unrolled: 1-line block ×4, first 2 shown]
	v_add_co_u32 v22, vcc_lo, v24, v22
	v_pk_min_f16 v58, v59, v58
	v_add_co_ci_u32_e64 v23, null, v25, v23, vcc_lo
	v_pk_min_f16 v59, v62, v61
	v_pk_add_f16 v56, v56, v58
	v_pk_add_f16 v56, v56, v59
	v_add_f16_sdwa v56, v56, v56 dst_sel:DWORD dst_unused:UNUSED_PAD src0_sel:DWORD src1_sel:WORD_1
	v_add_f16_e32 v56, v56, v57
	flat_store_short v[22:23], v56
	s_or_b32 exec_lo, exec_lo, s12
	s_and_b32 s15, s3, s8
	s_and_saveexec_b32 s12, s15
	s_cbranch_execz .LBB246_118
.LBB246_134:
	v_cmp_ne_u32_e32 vcc_lo, 1, v60
	v_lshlrev_b64 v[22:23], 1, v[30:31]
	s_cbranch_vccnz .LBB246_136
; %bb.135:
	v_add_co_u32 v56, vcc_lo, v40, v22
	v_add_co_ci_u32_e64 v57, null, v41, v23, vcc_lo
	flat_load_ushort v56, v[56:57]
	s_waitcnt vmcnt(0) lgkmcnt(0)
	v_mul_f16_e32 v56, v42, v56
	s_branch .LBB246_137
.LBB246_136:
	v_mov_b32_e32 v56, 0
.LBB246_137:
	v_pk_max_f16 v57, v2, v2
	v_pk_max_f16 v58, v16, v16
	v_pk_max_f16 v59, v3, v3
	v_pk_max_f16 v61, v17, v17
	v_add_co_u32 v22, vcc_lo, v24, v22
	v_pk_min_f16 v57, v58, v57
	v_add_co_ci_u32_e64 v23, null, v25, v23, vcc_lo
	v_pk_min_f16 v58, v61, v59
	v_pk_add_f16 v55, v55, v57
	v_pk_add_f16 v55, v55, v58
	v_add_f16_sdwa v55, v55, v55 dst_sel:DWORD dst_unused:UNUSED_PAD src0_sel:DWORD src1_sel:WORD_1
	v_add_f16_e32 v55, v55, v56
	flat_store_short v[22:23], v55
	s_or_b32 exec_lo, exec_lo, s12
	s_and_b32 s15, s4, s8
	s_and_saveexec_b32 s12, s15
	s_cbranch_execz .LBB246_119
.LBB246_138:
	v_cmp_ne_u32_e32 vcc_lo, 1, v60
	v_lshlrev_b64 v[22:23], 1, v[32:33]
	s_cbranch_vccnz .LBB246_140
; %bb.139:
	v_add_co_u32 v55, vcc_lo, v40, v22
	v_add_co_ci_u32_e64 v56, null, v41, v23, vcc_lo
	flat_load_ushort v55, v[55:56]
	s_waitcnt vmcnt(0) lgkmcnt(0)
	v_mul_f16_e32 v55, v42, v55
	s_branch .LBB246_141
.LBB246_140:
	v_mov_b32_e32 v55, 0
.LBB246_141:
	v_pk_max_f16 v56, v2, v2
	v_pk_max_f16 v57, v10, v10
	;; [unrolled: 1-line block ×4, first 2 shown]
	v_add_co_u32 v22, vcc_lo, v24, v22
	v_pk_min_f16 v56, v57, v56
	v_add_co_ci_u32_e64 v23, null, v25, v23, vcc_lo
	v_pk_min_f16 v57, v59, v58
	v_pk_add_f16 v54, v54, v56
	v_pk_add_f16 v54, v54, v57
	v_add_f16_sdwa v54, v54, v54 dst_sel:DWORD dst_unused:UNUSED_PAD src0_sel:DWORD src1_sel:WORD_1
	v_add_f16_e32 v54, v54, v55
	flat_store_short v[22:23], v54
	s_or_b32 exec_lo, exec_lo, s12
	s_and_b32 s15, s5, s8
	s_and_saveexec_b32 s12, s15
	s_cbranch_execz .LBB246_120
.LBB246_142:
	v_cmp_ne_u32_e32 vcc_lo, 1, v60
	v_lshlrev_b64 v[22:23], 1, v[34:35]
	s_cbranch_vccnz .LBB246_144
; %bb.143:
	v_add_co_u32 v54, vcc_lo, v40, v22
	v_add_co_ci_u32_e64 v55, null, v41, v23, vcc_lo
	flat_load_ushort v54, v[54:55]
	s_waitcnt vmcnt(0) lgkmcnt(0)
	v_mul_f16_e32 v54, v42, v54
	s_branch .LBB246_145
.LBB246_144:
	v_mov_b32_e32 v54, 0
.LBB246_145:
	v_pk_max_f16 v55, v2, v2
	v_pk_max_f16 v56, v12, v12
	;; [unrolled: 1-line block ×4, first 2 shown]
	v_add_co_u32 v22, vcc_lo, v24, v22
	v_pk_min_f16 v55, v56, v55
	v_add_co_ci_u32_e64 v23, null, v25, v23, vcc_lo
	v_pk_min_f16 v56, v58, v57
	v_pk_add_f16 v53, v53, v55
	v_pk_add_f16 v53, v53, v56
	v_add_f16_sdwa v53, v53, v53 dst_sel:DWORD dst_unused:UNUSED_PAD src0_sel:DWORD src1_sel:WORD_1
	v_add_f16_e32 v53, v53, v54
	flat_store_short v[22:23], v53
	s_or_b32 exec_lo, exec_lo, s12
	s_and_b32 s15, s6, s8
	s_and_saveexec_b32 s12, s15
	s_cbranch_execz .LBB246_121
.LBB246_146:
	v_cmp_ne_u32_e32 vcc_lo, 1, v60
	v_lshlrev_b64 v[22:23], 1, v[36:37]
	s_cbranch_vccnz .LBB246_148
; %bb.147:
	v_add_co_u32 v53, vcc_lo, v40, v22
	v_add_co_ci_u32_e64 v54, null, v41, v23, vcc_lo
	flat_load_ushort v53, v[53:54]
	s_waitcnt vmcnt(0) lgkmcnt(0)
	v_mul_f16_e32 v53, v42, v53
	s_branch .LBB246_149
.LBB246_148:
	v_mov_b32_e32 v53, 0
.LBB246_149:
	v_pk_max_f16 v54, v2, v2
	v_pk_max_f16 v55, v6, v6
	;; [unrolled: 1-line block ×4, first 2 shown]
	v_add_co_u32 v22, vcc_lo, v24, v22
	v_pk_min_f16 v54, v55, v54
	v_add_co_ci_u32_e64 v23, null, v25, v23, vcc_lo
	v_pk_min_f16 v55, v57, v56
	v_pk_add_f16 v52, v52, v54
	v_pk_add_f16 v52, v52, v55
	v_add_f16_sdwa v52, v52, v52 dst_sel:DWORD dst_unused:UNUSED_PAD src0_sel:DWORD src1_sel:WORD_1
	v_add_f16_e32 v52, v52, v53
	flat_store_short v[22:23], v52
	s_or_b32 exec_lo, exec_lo, s12
	s_and_b32 s12, s7, s8
	s_and_saveexec_b32 s8, s12
	s_cbranch_execz .LBB246_154
.LBB246_150:
	v_cmp_ne_u32_e32 vcc_lo, 1, v60
	v_lshlrev_b64 v[22:23], 1, v[38:39]
	s_cbranch_vccnz .LBB246_152
; %bb.151:
	v_add_co_u32 v40, vcc_lo, v40, v22
	v_add_co_ci_u32_e64 v41, null, v41, v23, vcc_lo
	flat_load_ushort v40, v[40:41]
	s_waitcnt vmcnt(0) lgkmcnt(0)
	v_mul_f16_e32 v40, v42, v40
	s_branch .LBB246_153
.LBB246_152:
	v_mov_b32_e32 v40, 0
.LBB246_153:
	v_pk_max_f16 v2, v2, v2
	v_pk_max_f16 v41, v8, v8
	;; [unrolled: 1-line block ×4, first 2 shown]
	v_pk_min_f16 v2, v41, v2
	v_pk_min_f16 v3, v52, v3
	v_pk_add_f16 v2, v51, v2
	v_pk_add_f16 v2, v2, v3
	v_add_f16_sdwa v2, v2, v2 dst_sel:DWORD dst_unused:UNUSED_PAD src0_sel:DWORD src1_sel:WORD_1
	v_add_f16_e32 v40, v2, v40
	v_add_co_u32 v2, vcc_lo, v24, v22
	v_add_co_ci_u32_e64 v3, null, v25, v23, vcc_lo
	flat_store_short v[2:3], v40
.LBB246_154:
	s_or_b32 exec_lo, exec_lo, s8
	v_add_nc_u32_e32 v24, 0x60, v68
	v_mad_i64_i32 v[2:3], null, v24, s14, 0
	v_mad_i64_i32 v[22:23], null, v24, s9, 0
	v_cmp_gt_i32_e64 s8, s13, v24
	v_lshlrev_b64 v[2:3], 1, v[2:3]
	s_and_b32 s9, s1, s8
	v_lshlrev_b64 v[24:25], 1, v[22:23]
	v_add_co_u32 v22, vcc_lo, s16, v2
	v_add_co_ci_u32_e64 v23, null, s17, v3, vcc_lo
	v_add_co_u32 v2, vcc_lo, s10, v24
	v_add_co_ci_u32_e64 v3, null, s11, v25, vcc_lo
	s_and_saveexec_b32 s1, s9
	s_cbranch_execnz .LBB246_163
; %bb.155:
	s_or_b32 exec_lo, exec_lo, s1
	s_and_b32 s1, s0, s8
	s_and_saveexec_b32 s0, s1
	s_cbranch_execnz .LBB246_167
.LBB246_156:
	s_or_b32 exec_lo, exec_lo, s0
	s_and_b32 s1, s2, s8
	s_and_saveexec_b32 s0, s1
	s_cbranch_execnz .LBB246_171
.LBB246_157:
	s_or_b32 exec_lo, exec_lo, s0
	s_and_b32 s1, s3, s8
	s_and_saveexec_b32 s0, s1
	s_cbranch_execnz .LBB246_175
.LBB246_158:
	s_or_b32 exec_lo, exec_lo, s0
	s_and_b32 s1, s4, s8
	s_and_saveexec_b32 s0, s1
	s_cbranch_execnz .LBB246_179
.LBB246_159:
	s_or_b32 exec_lo, exec_lo, s0
	s_and_b32 s1, s5, s8
	s_and_saveexec_b32 s0, s1
	s_cbranch_execnz .LBB246_183
.LBB246_160:
	s_or_b32 exec_lo, exec_lo, s0
	s_and_b32 s1, s6, s8
	s_and_saveexec_b32 s0, s1
	s_cbranch_execnz .LBB246_187
.LBB246_161:
	s_or_b32 exec_lo, exec_lo, s0
	s_and_b32 s0, s7, s8
	s_and_saveexec_b32 s1, s0
	s_cbranch_execnz .LBB246_191
.LBB246_162:
	s_endpgm
.LBB246_163:
	v_cmp_ne_u32_e32 vcc_lo, 1, v60
	v_lshlrev_b64 v[0:1], 1, v[0:1]
	s_cbranch_vccnz .LBB246_165
; %bb.164:
	v_add_co_u32 v24, vcc_lo, v22, v0
	v_add_co_ci_u32_e64 v25, null, v23, v1, vcc_lo
	flat_load_ushort v24, v[24:25]
	s_waitcnt vmcnt(0) lgkmcnt(0)
	v_mul_f16_e32 v24, v42, v24
	s_branch .LBB246_166
.LBB246_165:
	v_mov_b32_e32 v24, 0
.LBB246_166:
	v_pk_max_f16 v25, v4, v4
	v_pk_max_f16 v18, v18, v18
	;; [unrolled: 1-line block ×4, first 2 shown]
	v_add_co_u32 v0, vcc_lo, v2, v0
	v_pk_min_f16 v18, v18, v25
	v_add_co_ci_u32_e64 v1, null, v3, v1, vcc_lo
	v_pk_min_f16 v19, v19, v40
	v_pk_add_f16 v18, v50, v18
	v_pk_add_f16 v18, v18, v19
	v_add_f16_sdwa v18, v18, v18 dst_sel:DWORD dst_unused:UNUSED_PAD src0_sel:DWORD src1_sel:WORD_1
	v_add_f16_e32 v18, v18, v24
	flat_store_short v[0:1], v18
	s_or_b32 exec_lo, exec_lo, s1
	s_and_b32 s1, s0, s8
	s_and_saveexec_b32 s0, s1
	s_cbranch_execz .LBB246_156
.LBB246_167:
	v_cmp_ne_u32_e32 vcc_lo, 1, v60
	v_lshlrev_b64 v[0:1], 1, v[26:27]
	s_cbranch_vccnz .LBB246_169
; %bb.168:
	v_add_co_u32 v18, vcc_lo, v22, v0
	v_add_co_ci_u32_e64 v19, null, v23, v1, vcc_lo
	flat_load_ushort v18, v[18:19]
	s_waitcnt vmcnt(0) lgkmcnt(0)
	v_mul_f16_e32 v18, v42, v18
	s_branch .LBB246_170
.LBB246_169:
	v_mov_b32_e32 v18, 0
.LBB246_170:
	v_pk_max_f16 v19, v4, v4
	v_pk_max_f16 v20, v20, v20
	;; [unrolled: 1-line block ×4, first 2 shown]
	v_add_co_u32 v0, vcc_lo, v2, v0
	v_pk_min_f16 v19, v20, v19
	v_add_co_ci_u32_e64 v1, null, v3, v1, vcc_lo
	v_pk_min_f16 v20, v21, v24
	v_pk_add_f16 v19, v49, v19
	v_pk_add_f16 v19, v19, v20
	v_add_f16_sdwa v19, v19, v19 dst_sel:DWORD dst_unused:UNUSED_PAD src0_sel:DWORD src1_sel:WORD_1
	v_add_f16_e32 v18, v19, v18
	flat_store_short v[0:1], v18
	s_or_b32 exec_lo, exec_lo, s0
	s_and_b32 s1, s2, s8
	s_and_saveexec_b32 s0, s1
	s_cbranch_execz .LBB246_157
.LBB246_171:
	v_cmp_ne_u32_e32 vcc_lo, 1, v60
	v_lshlrev_b64 v[0:1], 1, v[28:29]
	s_cbranch_vccnz .LBB246_173
; %bb.172:
	v_add_co_u32 v18, vcc_lo, v22, v0
	v_add_co_ci_u32_e64 v19, null, v23, v1, vcc_lo
	flat_load_ushort v18, v[18:19]
	s_waitcnt vmcnt(0) lgkmcnt(0)
	v_mul_f16_e32 v18, v42, v18
	s_branch .LBB246_174
.LBB246_173:
	v_mov_b32_e32 v18, 0
.LBB246_174:
	v_pk_max_f16 v19, v4, v4
	v_pk_max_f16 v14, v14, v14
	;; [unrolled: 1-line block ×4, first 2 shown]
	v_add_co_u32 v0, vcc_lo, v2, v0
	v_pk_min_f16 v14, v14, v19
	v_add_co_ci_u32_e64 v1, null, v3, v1, vcc_lo
	v_pk_min_f16 v15, v15, v20
	v_pk_add_f16 v14, v48, v14
	v_pk_add_f16 v14, v14, v15
	v_add_f16_sdwa v14, v14, v14 dst_sel:DWORD dst_unused:UNUSED_PAD src0_sel:DWORD src1_sel:WORD_1
	v_add_f16_e32 v14, v14, v18
	flat_store_short v[0:1], v14
	s_or_b32 exec_lo, exec_lo, s0
	s_and_b32 s1, s3, s8
	s_and_saveexec_b32 s0, s1
	s_cbranch_execz .LBB246_158
.LBB246_175:
	v_cmp_ne_u32_e32 vcc_lo, 1, v60
	v_lshlrev_b64 v[0:1], 1, v[30:31]
	s_cbranch_vccnz .LBB246_177
; %bb.176:
	v_add_co_u32 v14, vcc_lo, v22, v0
	v_add_co_ci_u32_e64 v15, null, v23, v1, vcc_lo
	flat_load_ushort v14, v[14:15]
	s_waitcnt vmcnt(0) lgkmcnt(0)
	v_mul_f16_e32 v14, v42, v14
	s_branch .LBB246_178
.LBB246_177:
	v_mov_b32_e32 v14, 0
.LBB246_178:
	v_pk_max_f16 v15, v4, v4
	v_pk_max_f16 v16, v16, v16
	;; [unrolled: 1-line block ×4, first 2 shown]
	v_add_co_u32 v0, vcc_lo, v2, v0
	v_pk_min_f16 v15, v16, v15
	v_add_co_ci_u32_e64 v1, null, v3, v1, vcc_lo
	v_pk_min_f16 v16, v17, v18
	v_pk_add_f16 v15, v47, v15
	v_pk_add_f16 v15, v15, v16
	v_add_f16_sdwa v15, v15, v15 dst_sel:DWORD dst_unused:UNUSED_PAD src0_sel:DWORD src1_sel:WORD_1
	v_add_f16_e32 v14, v15, v14
	flat_store_short v[0:1], v14
	s_or_b32 exec_lo, exec_lo, s0
	s_and_b32 s1, s4, s8
	s_and_saveexec_b32 s0, s1
	s_cbranch_execz .LBB246_159
.LBB246_179:
	v_cmp_ne_u32_e32 vcc_lo, 1, v60
	v_lshlrev_b64 v[0:1], 1, v[32:33]
	s_cbranch_vccnz .LBB246_181
; %bb.180:
	v_add_co_u32 v14, vcc_lo, v22, v0
	v_add_co_ci_u32_e64 v15, null, v23, v1, vcc_lo
	flat_load_ushort v14, v[14:15]
	s_waitcnt vmcnt(0) lgkmcnt(0)
	v_mul_f16_e32 v14, v42, v14
	s_branch .LBB246_182
.LBB246_181:
	v_mov_b32_e32 v14, 0
.LBB246_182:
	v_pk_max_f16 v15, v4, v4
	v_pk_max_f16 v10, v10, v10
	;; [unrolled: 1-line block ×4, first 2 shown]
	v_add_co_u32 v0, vcc_lo, v2, v0
	v_pk_min_f16 v10, v10, v15
	v_add_co_ci_u32_e64 v1, null, v3, v1, vcc_lo
	v_pk_min_f16 v11, v11, v16
	v_pk_add_f16 v10, v46, v10
	v_pk_add_f16 v10, v10, v11
	v_add_f16_sdwa v10, v10, v10 dst_sel:DWORD dst_unused:UNUSED_PAD src0_sel:DWORD src1_sel:WORD_1
	v_add_f16_e32 v10, v10, v14
	flat_store_short v[0:1], v10
	s_or_b32 exec_lo, exec_lo, s0
	s_and_b32 s1, s5, s8
	s_and_saveexec_b32 s0, s1
	s_cbranch_execz .LBB246_160
.LBB246_183:
	v_cmp_ne_u32_e32 vcc_lo, 1, v60
	v_lshlrev_b64 v[0:1], 1, v[34:35]
	s_cbranch_vccnz .LBB246_185
; %bb.184:
	v_add_co_u32 v10, vcc_lo, v22, v0
	v_add_co_ci_u32_e64 v11, null, v23, v1, vcc_lo
	flat_load_ushort v10, v[10:11]
	s_waitcnt vmcnt(0) lgkmcnt(0)
	v_mul_f16_e32 v10, v42, v10
	s_branch .LBB246_186
.LBB246_185:
	v_mov_b32_e32 v10, 0
.LBB246_186:
	v_pk_max_f16 v11, v4, v4
	v_pk_max_f16 v12, v12, v12
	;; [unrolled: 1-line block ×4, first 2 shown]
	v_add_co_u32 v0, vcc_lo, v2, v0
	v_pk_min_f16 v11, v12, v11
	v_add_co_ci_u32_e64 v1, null, v3, v1, vcc_lo
	v_pk_min_f16 v12, v13, v14
	v_pk_add_f16 v11, v45, v11
	v_pk_add_f16 v11, v11, v12
	v_add_f16_sdwa v11, v11, v11 dst_sel:DWORD dst_unused:UNUSED_PAD src0_sel:DWORD src1_sel:WORD_1
	v_add_f16_e32 v10, v11, v10
	flat_store_short v[0:1], v10
	s_or_b32 exec_lo, exec_lo, s0
	s_and_b32 s1, s6, s8
	s_and_saveexec_b32 s0, s1
	s_cbranch_execz .LBB246_161
.LBB246_187:
	v_cmp_ne_u32_e32 vcc_lo, 1, v60
	v_lshlrev_b64 v[0:1], 1, v[36:37]
	s_cbranch_vccnz .LBB246_189
; %bb.188:
	v_add_co_u32 v10, vcc_lo, v22, v0
	v_add_co_ci_u32_e64 v11, null, v23, v1, vcc_lo
	flat_load_ushort v10, v[10:11]
	s_waitcnt vmcnt(0) lgkmcnt(0)
	v_mul_f16_e32 v10, v42, v10
	s_branch .LBB246_190
.LBB246_189:
	v_mov_b32_e32 v10, 0
.LBB246_190:
	v_pk_max_f16 v11, v4, v4
	v_pk_max_f16 v6, v6, v6
	;; [unrolled: 1-line block ×4, first 2 shown]
	v_add_co_u32 v0, vcc_lo, v2, v0
	v_pk_min_f16 v6, v6, v11
	v_add_co_ci_u32_e64 v1, null, v3, v1, vcc_lo
	v_pk_min_f16 v7, v7, v12
	v_pk_add_f16 v6, v44, v6
	v_pk_add_f16 v6, v6, v7
	v_add_f16_sdwa v6, v6, v6 dst_sel:DWORD dst_unused:UNUSED_PAD src0_sel:DWORD src1_sel:WORD_1
	v_add_f16_e32 v6, v6, v10
	flat_store_short v[0:1], v6
	s_or_b32 exec_lo, exec_lo, s0
	s_and_b32 s0, s7, s8
	s_and_saveexec_b32 s1, s0
	s_cbranch_execz .LBB246_162
.LBB246_191:
	v_cmp_ne_u32_e32 vcc_lo, 1, v60
	v_lshlrev_b64 v[0:1], 1, v[38:39]
	s_cbranch_vccnz .LBB246_193
; %bb.192:
	v_add_co_u32 v6, vcc_lo, v22, v0
	v_add_co_ci_u32_e64 v7, null, v23, v1, vcc_lo
	flat_load_ushort v6, v[6:7]
	s_waitcnt vmcnt(0) lgkmcnt(0)
	v_mul_f16_e32 v6, v42, v6
	s_branch .LBB246_194
.LBB246_193:
	v_mov_b32_e32 v6, 0
.LBB246_194:
	v_pk_max_f16 v4, v4, v4
	v_pk_max_f16 v7, v8, v8
	;; [unrolled: 1-line block ×4, first 2 shown]
	v_add_co_u32 v0, vcc_lo, v2, v0
	v_pk_min_f16 v4, v7, v4
	v_add_co_ci_u32_e64 v1, null, v3, v1, vcc_lo
	v_pk_min_f16 v5, v8, v5
	v_pk_add_f16 v4, v43, v4
	v_pk_add_f16 v4, v4, v5
	v_add_f16_sdwa v4, v4, v4 dst_sel:DWORD dst_unused:UNUSED_PAD src0_sel:DWORD src1_sel:WORD_1
	v_add_f16_e32 v4, v4, v6
	flat_store_short v[0:1], v4
	s_endpgm
	.section	.rodata,"a",@progbits
	.p2align	6, 0x0
	.amdhsa_kernel _ZN12_GLOBAL__N_120geam_min_plus_kernelIDF16_Dv2_DF16_S1_Li8ELi32ELi64ELi128ELi4ELi64ELi4ELi64ELi4ELc78ELc84ELb0ELb1ELb0EPKDF16_KS3_KPDF16_EEviiiT16_PT17_ilS9_ilS7_S9_ilPT18_ili26rocblas_geam_ex_operation_
		.amdhsa_group_segment_fixed_size 3072
		.amdhsa_private_segment_fixed_size 0
		.amdhsa_kernarg_size 136
		.amdhsa_user_sgpr_count 6
		.amdhsa_user_sgpr_private_segment_buffer 1
		.amdhsa_user_sgpr_dispatch_ptr 0
		.amdhsa_user_sgpr_queue_ptr 0
		.amdhsa_user_sgpr_kernarg_segment_ptr 1
		.amdhsa_user_sgpr_dispatch_id 0
		.amdhsa_user_sgpr_flat_scratch_init 0
		.amdhsa_user_sgpr_private_segment_size 0
		.amdhsa_wavefront_size32 1
		.amdhsa_uses_dynamic_stack 0
		.amdhsa_system_sgpr_private_segment_wavefront_offset 0
		.amdhsa_system_sgpr_workgroup_id_x 1
		.amdhsa_system_sgpr_workgroup_id_y 0
		.amdhsa_system_sgpr_workgroup_id_z 1
		.amdhsa_system_sgpr_workgroup_info 0
		.amdhsa_system_vgpr_workitem_id 1
		.amdhsa_next_free_vgpr 123
		.amdhsa_next_free_sgpr 27
		.amdhsa_reserve_vcc 1
		.amdhsa_reserve_flat_scratch 0
		.amdhsa_float_round_mode_32 0
		.amdhsa_float_round_mode_16_64 0
		.amdhsa_float_denorm_mode_32 3
		.amdhsa_float_denorm_mode_16_64 3
		.amdhsa_dx10_clamp 1
		.amdhsa_ieee_mode 1
		.amdhsa_fp16_overflow 0
		.amdhsa_workgroup_processor_mode 1
		.amdhsa_memory_ordered 1
		.amdhsa_forward_progress 1
		.amdhsa_shared_vgpr_count 0
		.amdhsa_exception_fp_ieee_invalid_op 0
		.amdhsa_exception_fp_denorm_src 0
		.amdhsa_exception_fp_ieee_div_zero 0
		.amdhsa_exception_fp_ieee_overflow 0
		.amdhsa_exception_fp_ieee_underflow 0
		.amdhsa_exception_fp_ieee_inexact 0
		.amdhsa_exception_int_div_zero 0
	.end_amdhsa_kernel
	.section	.text._ZN12_GLOBAL__N_120geam_min_plus_kernelIDF16_Dv2_DF16_S1_Li8ELi32ELi64ELi128ELi4ELi64ELi4ELi64ELi4ELc78ELc84ELb0ELb1ELb0EPKDF16_KS3_KPDF16_EEviiiT16_PT17_ilS9_ilS7_S9_ilPT18_ili26rocblas_geam_ex_operation_,"axG",@progbits,_ZN12_GLOBAL__N_120geam_min_plus_kernelIDF16_Dv2_DF16_S1_Li8ELi32ELi64ELi128ELi4ELi64ELi4ELi64ELi4ELc78ELc84ELb0ELb1ELb0EPKDF16_KS3_KPDF16_EEviiiT16_PT17_ilS9_ilS7_S9_ilPT18_ili26rocblas_geam_ex_operation_,comdat
.Lfunc_end246:
	.size	_ZN12_GLOBAL__N_120geam_min_plus_kernelIDF16_Dv2_DF16_S1_Li8ELi32ELi64ELi128ELi4ELi64ELi4ELi64ELi4ELc78ELc84ELb0ELb1ELb0EPKDF16_KS3_KPDF16_EEviiiT16_PT17_ilS9_ilS7_S9_ilPT18_ili26rocblas_geam_ex_operation_, .Lfunc_end246-_ZN12_GLOBAL__N_120geam_min_plus_kernelIDF16_Dv2_DF16_S1_Li8ELi32ELi64ELi128ELi4ELi64ELi4ELi64ELi4ELc78ELc84ELb0ELb1ELb0EPKDF16_KS3_KPDF16_EEviiiT16_PT17_ilS9_ilS7_S9_ilPT18_ili26rocblas_geam_ex_operation_
                                        ; -- End function
	.set _ZN12_GLOBAL__N_120geam_min_plus_kernelIDF16_Dv2_DF16_S1_Li8ELi32ELi64ELi128ELi4ELi64ELi4ELi64ELi4ELc78ELc84ELb0ELb1ELb0EPKDF16_KS3_KPDF16_EEviiiT16_PT17_ilS9_ilS7_S9_ilPT18_ili26rocblas_geam_ex_operation_.num_vgpr, 123
	.set _ZN12_GLOBAL__N_120geam_min_plus_kernelIDF16_Dv2_DF16_S1_Li8ELi32ELi64ELi128ELi4ELi64ELi4ELi64ELi4ELc78ELc84ELb0ELb1ELb0EPKDF16_KS3_KPDF16_EEviiiT16_PT17_ilS9_ilS7_S9_ilPT18_ili26rocblas_geam_ex_operation_.num_agpr, 0
	.set _ZN12_GLOBAL__N_120geam_min_plus_kernelIDF16_Dv2_DF16_S1_Li8ELi32ELi64ELi128ELi4ELi64ELi4ELi64ELi4ELc78ELc84ELb0ELb1ELb0EPKDF16_KS3_KPDF16_EEviiiT16_PT17_ilS9_ilS7_S9_ilPT18_ili26rocblas_geam_ex_operation_.numbered_sgpr, 27
	.set _ZN12_GLOBAL__N_120geam_min_plus_kernelIDF16_Dv2_DF16_S1_Li8ELi32ELi64ELi128ELi4ELi64ELi4ELi64ELi4ELc78ELc84ELb0ELb1ELb0EPKDF16_KS3_KPDF16_EEviiiT16_PT17_ilS9_ilS7_S9_ilPT18_ili26rocblas_geam_ex_operation_.num_named_barrier, 0
	.set _ZN12_GLOBAL__N_120geam_min_plus_kernelIDF16_Dv2_DF16_S1_Li8ELi32ELi64ELi128ELi4ELi64ELi4ELi64ELi4ELc78ELc84ELb0ELb1ELb0EPKDF16_KS3_KPDF16_EEviiiT16_PT17_ilS9_ilS7_S9_ilPT18_ili26rocblas_geam_ex_operation_.private_seg_size, 0
	.set _ZN12_GLOBAL__N_120geam_min_plus_kernelIDF16_Dv2_DF16_S1_Li8ELi32ELi64ELi128ELi4ELi64ELi4ELi64ELi4ELc78ELc84ELb0ELb1ELb0EPKDF16_KS3_KPDF16_EEviiiT16_PT17_ilS9_ilS7_S9_ilPT18_ili26rocblas_geam_ex_operation_.uses_vcc, 1
	.set _ZN12_GLOBAL__N_120geam_min_plus_kernelIDF16_Dv2_DF16_S1_Li8ELi32ELi64ELi128ELi4ELi64ELi4ELi64ELi4ELc78ELc84ELb0ELb1ELb0EPKDF16_KS3_KPDF16_EEviiiT16_PT17_ilS9_ilS7_S9_ilPT18_ili26rocblas_geam_ex_operation_.uses_flat_scratch, 0
	.set _ZN12_GLOBAL__N_120geam_min_plus_kernelIDF16_Dv2_DF16_S1_Li8ELi32ELi64ELi128ELi4ELi64ELi4ELi64ELi4ELc78ELc84ELb0ELb1ELb0EPKDF16_KS3_KPDF16_EEviiiT16_PT17_ilS9_ilS7_S9_ilPT18_ili26rocblas_geam_ex_operation_.has_dyn_sized_stack, 0
	.set _ZN12_GLOBAL__N_120geam_min_plus_kernelIDF16_Dv2_DF16_S1_Li8ELi32ELi64ELi128ELi4ELi64ELi4ELi64ELi4ELc78ELc84ELb0ELb1ELb0EPKDF16_KS3_KPDF16_EEviiiT16_PT17_ilS9_ilS7_S9_ilPT18_ili26rocblas_geam_ex_operation_.has_recursion, 0
	.set _ZN12_GLOBAL__N_120geam_min_plus_kernelIDF16_Dv2_DF16_S1_Li8ELi32ELi64ELi128ELi4ELi64ELi4ELi64ELi4ELc78ELc84ELb0ELb1ELb0EPKDF16_KS3_KPDF16_EEviiiT16_PT17_ilS9_ilS7_S9_ilPT18_ili26rocblas_geam_ex_operation_.has_indirect_call, 0
	.section	.AMDGPU.csdata,"",@progbits
; Kernel info:
; codeLenInByte = 12144
; TotalNumSgprs: 29
; NumVgprs: 123
; ScratchSize: 0
; MemoryBound: 0
; FloatMode: 240
; IeeeMode: 1
; LDSByteSize: 3072 bytes/workgroup (compile time only)
; SGPRBlocks: 0
; VGPRBlocks: 15
; NumSGPRsForWavesPerEU: 29
; NumVGPRsForWavesPerEU: 123
; Occupancy: 8
; WaveLimiterHint : 1
; COMPUTE_PGM_RSRC2:SCRATCH_EN: 0
; COMPUTE_PGM_RSRC2:USER_SGPR: 6
; COMPUTE_PGM_RSRC2:TRAP_HANDLER: 0
; COMPUTE_PGM_RSRC2:TGID_X_EN: 1
; COMPUTE_PGM_RSRC2:TGID_Y_EN: 0
; COMPUTE_PGM_RSRC2:TGID_Z_EN: 1
; COMPUTE_PGM_RSRC2:TIDIG_COMP_CNT: 1
	.section	.text._ZN12_GLOBAL__N_120geam_min_plus_kernelIDF16_Dv2_DF16_S1_Li8ELi32ELi64ELi128ELi4ELi64ELi4ELi64ELi4ELc78ELc84ELb1ELb1ELb0EDF16_KPKDF16_KPDF16_EEviiiT16_PT17_ilS9_ilS7_S9_ilPT18_ili26rocblas_geam_ex_operation_,"axG",@progbits,_ZN12_GLOBAL__N_120geam_min_plus_kernelIDF16_Dv2_DF16_S1_Li8ELi32ELi64ELi128ELi4ELi64ELi4ELi64ELi4ELc78ELc84ELb1ELb1ELb0EDF16_KPKDF16_KPDF16_EEviiiT16_PT17_ilS9_ilS7_S9_ilPT18_ili26rocblas_geam_ex_operation_,comdat
	.globl	_ZN12_GLOBAL__N_120geam_min_plus_kernelIDF16_Dv2_DF16_S1_Li8ELi32ELi64ELi128ELi4ELi64ELi4ELi64ELi4ELc78ELc84ELb1ELb1ELb0EDF16_KPKDF16_KPDF16_EEviiiT16_PT17_ilS9_ilS7_S9_ilPT18_ili26rocblas_geam_ex_operation_ ; -- Begin function _ZN12_GLOBAL__N_120geam_min_plus_kernelIDF16_Dv2_DF16_S1_Li8ELi32ELi64ELi128ELi4ELi64ELi4ELi64ELi4ELc78ELc84ELb1ELb1ELb0EDF16_KPKDF16_KPDF16_EEviiiT16_PT17_ilS9_ilS7_S9_ilPT18_ili26rocblas_geam_ex_operation_
	.p2align	8
	.type	_ZN12_GLOBAL__N_120geam_min_plus_kernelIDF16_Dv2_DF16_S1_Li8ELi32ELi64ELi128ELi4ELi64ELi4ELi64ELi4ELc78ELc84ELb1ELb1ELb0EDF16_KPKDF16_KPDF16_EEviiiT16_PT17_ilS9_ilS7_S9_ilPT18_ili26rocblas_geam_ex_operation_,@function
_ZN12_GLOBAL__N_120geam_min_plus_kernelIDF16_Dv2_DF16_S1_Li8ELi32ELi64ELi128ELi4ELi64ELi4ELi64ELi4ELc78ELc84ELb1ELb1ELb0EDF16_KPKDF16_KPDF16_EEviiiT16_PT17_ilS9_ilS7_S9_ilPT18_ili26rocblas_geam_ex_operation_: ; @_ZN12_GLOBAL__N_120geam_min_plus_kernelIDF16_Dv2_DF16_S1_Li8ELi32ELi64ELi128ELi4ELi64ELi4ELi64ELi4ELc78ELc84ELb1ELb1ELb0EDF16_KPKDF16_KPDF16_EEviiiT16_PT17_ilS9_ilS7_S9_ilPT18_ili26rocblas_geam_ex_operation_
; %bb.0:
	s_clause 0x1
	s_load_dwordx4 s[12:15], s[4:5], 0x0
	s_load_dwordx4 s[0:3], s[4:5], 0x20
	s_mov_b32 s18, s7
	s_mov_b32 s19, 0
	s_waitcnt lgkmcnt(0)
	v_cmp_eq_f16_e64 s7, s15, 0
	s_and_b32 vcc_lo, exec_lo, s7
	s_cbranch_vccnz .LBB247_3
; %bb.1:
	s_load_dwordx2 s[8:9], s[4:5], 0x10
	s_lshl_b64 s[10:11], s[18:19], 3
	s_waitcnt lgkmcnt(0)
	s_add_u32 s8, s8, s10
	s_addc_u32 s9, s9, s11
	s_lshl_b64 s[0:1], s[0:1], 1
	s_load_dwordx2 s[8:9], s[8:9], 0x0
	s_waitcnt lgkmcnt(0)
	s_add_u32 s8, s8, s0
	s_addc_u32 s9, s9, s1
	s_andn2_b32 vcc_lo, exec_lo, s7
	s_cbranch_vccnz .LBB247_4
.LBB247_2:
	s_mov_b32 s21, 0
	s_mov_b32 s20, s18
	;; [unrolled: 1-line block ×3, first 2 shown]
	s_mov_b64 s[10:11], 0
	s_andn2_b32 vcc_lo, exec_lo, s0
	s_mov_b64 s[16:17], 0
	s_cbranch_vccz .LBB247_5
	s_branch .LBB247_6
.LBB247_3:
	s_mov_b64 s[8:9], 0
	s_andn2_b32 vcc_lo, exec_lo, s7
	s_cbranch_vccz .LBB247_2
.LBB247_4:
	s_mov_b64 s[20:21], s[18:19]
	s_mov_b64 s[10:11], 0
	s_mov_b64 s[16:17], 0
.LBB247_5:
	s_lshl_b64 s[0:1], s[18:19], 3
	s_load_dwordx2 s[16:17], s[4:5], 0x38
	s_add_u32 s0, s2, s0
	s_addc_u32 s1, s3, s1
	s_load_dwordx2 s[0:1], s[0:1], 0x0
	s_waitcnt lgkmcnt(0)
	s_lshl_b64 s[2:3], s[16:17], 1
	s_add_u32 s16, s0, s2
	s_addc_u32 s17, s1, s3
.LBB247_6:
	s_clause 0x1
	s_load_dword s15, s[4:5], 0x40
	s_load_dwordx4 s[0:3], s[4:5], 0x58
	s_waitcnt lgkmcnt(0)
	v_cmp_eq_f16_e64 s7, s15, 0
	v_cmp_neq_f16_e64 s24, s15, 0
	s_and_b32 vcc_lo, exec_lo, s7
	s_cbranch_vccnz .LBB247_8
; %bb.7:
	s_load_dwordx2 s[10:11], s[4:5], 0x48
	s_lshl_b64 s[18:19], s[20:21], 3
	s_waitcnt lgkmcnt(0)
	s_add_u32 s10, s10, s18
	s_addc_u32 s11, s11, s19
	s_lshl_b64 s[0:1], s[0:1], 1
	s_load_dwordx2 s[10:11], s[10:11], 0x0
	s_waitcnt lgkmcnt(0)
	s_add_u32 s10, s10, s0
	s_addc_u32 s11, s11, s1
.LBB247_8:
	s_load_dword s18, s[4:5], 0x18
	s_lshl_b64 s[0:1], s[20:21], 3
	v_mov_b32_e32 v10, 0
	v_mov_b32_e32 v11, 0
	s_waitcnt lgkmcnt(0)
	s_ashr_i32 s19, s18, 31
	s_add_u32 s22, s2, s0
	s_addc_u32 s23, s3, s1
	s_add_i32 s0, s12, -1
	s_ashr_i32 s1, s0, 31
	s_lshr_b32 s1, s1, 26
	s_add_i32 s0, s0, s1
	s_ashr_i32 s0, s0, 6
	s_add_i32 s2, s0, 1
	s_not_b32 s0, s0
	v_cvt_f32_u32_e32 v2, s2
	v_rcp_iflag_f32_e32 v2, v2
	v_mul_f32_e32 v2, 0x4f7ffffe, v2
	v_cvt_u32_f32_e32 v2, v2
	v_readfirstlane_b32 s1, v2
	v_lshl_add_u32 v2, v1, 3, v0
	s_mul_i32 s0, s0, s1
	v_and_b32_e32 v9, 63, v2
	s_mul_hi_u32 s0, s1, s0
	v_lshrrev_b32_e32 v34, 6, v2
	s_add_i32 s1, s1, s0
	s_mul_hi_u32 s0, s6, s1
	s_mul_i32 s1, s0, s2
	s_add_i32 s3, s0, 1
	s_sub_i32 s1, s6, s1
	s_sub_i32 s7, s1, s2
	s_cmp_ge_u32 s1, s2
	s_cselect_b32 s0, s3, s0
	s_cselect_b32 s1, s7, s1
	s_add_i32 s3, s0, 1
	s_cmp_ge_u32 s1, s2
	s_cselect_b32 s1, s3, s0
	s_mul_i32 s0, s1, s2
	v_cmp_le_i32_e64 s2, s14, v34
	s_sub_i32 s0, s6, s0
	s_lshl_b32 s25, s0, 6
	v_or_b32_e32 v2, s25, v9
	v_cmp_le_i32_e32 vcc_lo, s12, v2
	v_ashrrev_i32_e32 v3, 31, v2
	s_nor_b32 s0, s2, vcc_lo
	s_and_saveexec_b32 s3, s0
	s_cbranch_execz .LBB247_10
; %bb.9:
	v_mad_i64_i32 v[4:5], null, s18, v34, 0
	v_lshlrev_b64 v[6:7], 1, v[2:3]
	v_lshlrev_b64 v[4:5], 1, v[4:5]
	v_add_co_u32 v4, s0, s8, v4
	v_add_co_ci_u32_e64 v5, null, s9, v5, s0
	v_add_co_u32 v4, s0, v4, v6
	v_add_co_ci_u32_e64 v5, null, v5, v7, s0
	flat_load_ushort v11, v[4:5]
.LBB247_10:
	s_or_b32 exec_lo, exec_lo, s3
	s_load_dword s20, s[4:5], 0x30
	s_lshl_b32 s26, s1, 7
	v_or_b32_e32 v4, s26, v9
	v_cmp_le_i32_e64 s0, s13, v4
	s_waitcnt lgkmcnt(0)
	v_mad_i64_i32 v[5:6], null, v34, s20, 0
	s_ashr_i32 s21, s20, 31
	v_lshlrev_b64 v[5:6], 1, v[5:6]
	v_add_co_u32 v7, s1, s16, v5
	v_add_co_ci_u32_e64 v8, null, s17, v6, s1
	v_ashrrev_i32_e32 v5, 31, v4
	s_nor_b32 s1, s2, s0
	s_and_saveexec_b32 s3, s1
	s_cbranch_execz .LBB247_12
; %bb.11:
	v_lshlrev_b64 v[12:13], 1, v[4:5]
	v_add_co_u32 v12, s1, v7, v12
	v_add_co_ci_u32_e64 v13, null, v8, v13, s1
	flat_load_ushort v10, v[12:13]
.LBB247_12:
	s_or_b32 exec_lo, exec_lo, s3
	v_or_b32_e32 v6, 64, v4
	v_mov_b32_e32 v12, 0
	v_cmp_le_i32_e64 s1, s13, v6
	v_mov_b32_e32 v6, 0
	s_nor_b32 s2, s2, s1
	s_and_saveexec_b32 s3, s2
	s_cbranch_execz .LBB247_14
; %bb.13:
	v_lshlrev_b64 v[12:13], 1, v[4:5]
	v_add_co_u32 v7, s2, v7, v12
	v_add_co_ci_u32_e64 v8, null, v8, v13, s2
	flat_load_ushort v12, v[7:8] offset:128
.LBB247_14:
	s_or_b32 exec_lo, exec_lo, s3
	v_add_nc_u32_e32 v7, 4, v34
	v_cmp_le_i32_e64 s2, s14, v7
	s_nor_b32 s3, vcc_lo, s2
	s_and_saveexec_b32 s6, s3
	s_cbranch_execz .LBB247_16
; %bb.15:
	v_mad_u64_u32 v[13:14], null, s18, v7, 0
	v_mov_b32_e32 v6, v14
	v_mad_u64_u32 v[14:15], null, s19, v7, v[6:7]
	v_lshlrev_b64 v[15:16], 1, v[2:3]
	v_lshlrev_b64 v[13:14], 1, v[13:14]
	v_add_co_u32 v6, s3, s8, v13
	v_add_co_ci_u32_e64 v8, null, s9, v14, s3
	v_add_co_u32 v13, s3, v6, v15
	v_add_co_ci_u32_e64 v14, null, v8, v16, s3
	flat_load_ushort v6, v[13:14]
.LBB247_16:
	s_or_b32 exec_lo, exec_lo, s6
	v_mad_u64_u32 v[13:14], null, v7, s20, 0
	v_mov_b32_e32 v8, v14
	v_mad_u64_u32 v[7:8], null, v7, s21, v[8:9]
	v_mov_b32_e32 v8, 0
	v_mov_b32_e32 v14, v7
	;; [unrolled: 1-line block ×3, first 2 shown]
	v_lshlrev_b64 v[13:14], 1, v[13:14]
	v_add_co_u32 v13, s3, s16, v13
	v_add_co_ci_u32_e64 v14, null, s17, v14, s3
	s_nor_b32 s3, s0, s2
	s_and_saveexec_b32 s6, s3
	s_cbranch_execz .LBB247_18
; %bb.17:
	v_lshlrev_b64 v[15:16], 1, v[4:5]
	v_add_co_u32 v15, s3, v13, v15
	v_add_co_ci_u32_e64 v16, null, v14, v16, s3
	flat_load_ushort v8, v[15:16]
.LBB247_18:
	s_or_b32 exec_lo, exec_lo, s6
	s_nor_b32 s2, s1, s2
	s_and_saveexec_b32 s3, s2
	s_cbranch_execz .LBB247_20
; %bb.19:
	v_lshlrev_b64 v[15:16], 1, v[4:5]
	v_add_co_u32 v13, s2, v13, v15
	v_add_co_ci_u32_e64 v14, null, v14, v16, s2
	flat_load_ushort v7, v[13:14] offset:128
.LBB247_20:
	s_or_b32 exec_lo, exec_lo, s3
	v_lshlrev_b32_e32 v9, 3, v9
	v_lshlrev_b32_e32 v36, 3, v0
	;; [unrolled: 1-line block ×3, first 2 shown]
	s_load_dwordx2 s[6:7], s[22:23], 0x0
	s_mov_b32 s22, 0
	v_lshl_add_u32 v37, v34, 1, v9
	v_add_nc_u32_e32 v29, 0x800, v36
	s_cmp_lt_i32 s14, 9
	s_waitcnt vmcnt(0)
	ds_write_b16 v37, v11 offset:2048
	s_waitcnt lgkmcnt(0)
	ds_write_b16 v37, v10
	ds_write_b16 v37, v12 offset:512
	s_waitcnt lgkmcnt(0)
	s_barrier
	buffer_gl0_inv
	ds_read2_b64 v[9:12], v35 offset1:32
	ds_read2_b64 v[13:16], v29 offset0:48 offset1:56
	ds_read2_b64 v[17:20], v35 offset0:64 offset1:96
	ds_read2_b64 v[21:24], v29 offset1:8
	ds_read2_b64 v[25:28], v29 offset0:16 offset1:24
	ds_read2_b64 v[29:32], v29 offset0:32 offset1:40
	ds_write_b16 v37, v6 offset:2560
	ds_write_b16 v37, v8 offset:1024
	;; [unrolled: 1-line block ×3, first 2 shown]
	s_waitcnt lgkmcnt(0)
	s_barrier
	buffer_gl0_inv
	v_pk_max_f16 v9, v9, v9
	v_pk_max_f16 v15, v15, v15
	;; [unrolled: 1-line block ×6, first 2 shown]
	v_pk_min_f16 v33, v15, v9
	v_pk_max_f16 v21, v21, v21
	v_pk_max_f16 v19, v19, v19
	v_pk_max_f16 v23, v23, v23
	v_pk_max_f16 v25, v25, v25
	v_pk_min_f16 v38, v15, v11
	v_pk_max_f16 v27, v27, v27
	v_pk_max_f16 v29, v29, v29
	;; [unrolled: 1-line block ×5, first 2 shown]
	v_pk_add_f16 v33, v33, 0
	v_pk_min_f16 v50, v16, v10
	v_pk_min_f16 v39, v15, v17
	;; [unrolled: 1-line block ×21, first 2 shown]
	v_pk_max_f16 v18, v18, v18
	v_pk_max_f16 v20, v20, v20
	v_pk_min_f16 v29, v29, v19
	v_pk_max_f16 v22, v22, v22
	v_pk_min_f16 v56, v31, v9
	v_pk_min_f16 v59, v31, v11
	;; [unrolled: 1-line block ×9, first 2 shown]
	v_pk_add_f16 v68, v33, v50
	v_pk_add_f16 v19, v38, 0
	v_pk_min_f16 v33, v16, v12
	v_pk_max_f16 v24, v24, v24
	v_pk_add_f16 v40, v40, 0
	v_pk_min_f16 v57, v22, v10
	v_pk_min_f16 v61, v22, v12
	v_pk_add_f16 v42, v42, 0
	v_pk_min_f16 v62, v22, v18
	v_pk_add_f16 v58, v19, v33
	v_pk_add_f16 v19, v21, 0
	v_pk_min_f16 v22, v22, v20
	v_pk_add_f16 v71, v40, v57
	v_pk_add_f16 v57, v42, v62
	;; [unrolled: 1-line block ×5, first 2 shown]
	v_pk_min_f16 v19, v24, v10
	v_pk_add_f16 v38, v39, 0
	v_pk_min_f16 v39, v16, v18
	v_pk_add_f16 v33, v44, 0
	v_pk_add_f16 v41, v41, 0
	;; [unrolled: 1-line block ×3, first 2 shown]
	v_pk_min_f16 v19, v24, v12
	v_pk_add_f16 v50, v38, v39
	v_pk_add_f16 v38, v45, 0
	;; [unrolled: 1-line block ×5, first 2 shown]
	v_pk_min_f16 v19, v24, v18
	v_pk_add_f16 v23, v23, 0
	v_pk_add_f16 v25, v25, 0
	v_pk_min_f16 v24, v24, v20
	v_pk_add_f16 v66, v41, v61
	v_pk_add_f16 v56, v38, v19
	v_pk_max_f16 v19, v26, v26
	v_pk_max_f16 v26, v28, v28
	v_pk_add_f16 v40, v47, 0
	v_pk_add_f16 v41, v48, 0
	;; [unrolled: 1-line block ×3, first 2 shown]
	v_pk_min_f16 v28, v19, v10
	v_pk_min_f16 v33, v19, v12
	v_pk_min_f16 v38, v19, v18
	v_pk_min_f16 v19, v19, v20
	v_pk_add_f16 v44, v52, 0
	v_pk_add_f16 v22, v27, 0
	;; [unrolled: 1-line block ×3, first 2 shown]
	v_pk_min_f16 v23, v26, v12
	v_pk_add_f16 v47, v25, v19
	v_pk_min_f16 v19, v26, v10
	v_pk_min_f16 v24, v26, v18
	;; [unrolled: 1-line block ×3, first 2 shown]
	v_pk_max_f16 v26, v30, v30
	v_pk_add_f16 v39, v46, 0
	v_pk_add_f16 v27, v53, 0
	;; [unrolled: 1-line block ×9, first 2 shown]
	v_pk_min_f16 v19, v26, v10
	v_pk_min_f16 v22, v26, v12
	;; [unrolled: 1-line block ×4, first 2 shown]
	v_pk_max_f16 v25, v32, v32
	v_pk_max_f16 v14, v14, v14
	v_pk_add_f16 v52, v59, 0
	v_pk_add_f16 v59, v60, 0
	;; [unrolled: 1-line block ×13, first 2 shown]
	v_pk_min_f16 v19, v25, v10
	v_pk_min_f16 v21, v25, v12
	;; [unrolled: 1-line block ×9, first 2 shown]
	v_pk_add_f16 v64, v40, v33
	v_pk_add_f16 v38, v29, v19
	;; [unrolled: 1-line block ×10, first 2 shown]
	s_cbranch_scc1 .LBB247_35
; %bb.21:
	v_add_nc_u32_e32 v6, v35, v0
	v_lshlrev_b64 v[2:3], 1, v[2:3]
	v_or_b32_e32 v59, 0x800, v37
	v_or_b32_e32 v67, 0x800, v36
	v_add_nc_u32_e32 v72, 0xa00, v37
	v_lshrrev_b32_e32 v6, 6, v6
	v_or_b32_e32 v73, 0x400, v37
	v_add_co_u32 v74, s2, s8, v2
	v_add_co_ci_u32_e64 v75, null, s9, v3, s2
	v_add_nc_u32_e32 v8, 12, v6
	v_add_nc_u32_e32 v12, 8, v6
	v_lshlrev_b64 v[2:3], 1, v[4:5]
	v_lshl_add_u32 v76, v0, 3, 0xa00
	v_add_nc_u32_e32 v77, 0x400, v35
	v_mad_i64_i32 v[6:7], null, v8, s20, 0
	v_mad_i64_i32 v[8:9], null, v8, s18, 0
	;; [unrolled: 1-line block ×4, first 2 shown]
	v_add_co_u32 v78, s2, s16, v2
	v_lshlrev_b64 v[26:27], 1, v[6:7]
	v_lshlrev_b64 v[28:29], 1, v[8:9]
	v_lshlrev_b64 v[30:31], 1, v[10:11]
	v_add_co_ci_u32_e64 v79, null, s17, v3, s2
	v_lshlrev_b64 v[32:33], 1, v[12:13]
	s_add_i32 s23, s14, -8
	s_lshl_b64 s[8:9], s[20:21], 4
	s_lshl_b64 s[16:17], s[18:19], 4
	s_branch .LBB247_23
.LBB247_22:                             ;   in Loop: Header=BB247_23 Depth=1
	s_or_b32 exec_lo, exec_lo, s3
	v_pk_max_f16 v4, v4, v4
	v_pk_max_f16 v22, v22, v22
	;; [unrolled: 1-line block ×7, first 2 shown]
	v_pk_min_f16 v83, v4, v22
	v_pk_min_f16 v84, v4, v24
	;; [unrolled: 1-line block ×3, first 2 shown]
	v_pk_max_f16 v20, v20, v20
	v_pk_max_f16 v12, v12, v12
	v_pk_min_f16 v92, v10, v22
	v_pk_min_f16 v93, v10, v24
	;; [unrolled: 1-line block ×4, first 2 shown]
	v_pk_max_f16 v6, v6, v6
	v_pk_max_f16 v23, v23, v23
	;; [unrolled: 1-line block ×15, first 2 shown]
	v_pk_min_f16 v86, v18, v22
	v_pk_min_f16 v87, v18, v24
	;; [unrolled: 1-line block ×55, first 2 shown]
	v_pk_add_f16 v3, v68, v83
	v_pk_add_f16 v5, v58, v84
	;; [unrolled: 1-line block ×4, first 2 shown]
	v_pk_min_f16 v19, v19, v17
	v_pk_min_f16 v21, v21, v17
	v_pk_add_f16 v17, v71, v86
	v_pk_add_f16 v20, v48, v20
	;; [unrolled: 1-line block ×15, first 2 shown]
	ds_read2_b64 v[2:5], v67 offset0:48 offset1:56
	ds_read2_b64 v[6:9], v35 offset1:32
	v_pk_add_f16 v69, v10, v11
	ds_read2_b64 v[10:13], v35 offset0:64 offset1:96
	v_pk_add_f16 v58, v65, v90
	v_pk_add_f16 v65, v17, v16
	ds_read2_b64 v[14:17], v67 offset1:8
	v_pk_add_f16 v18, v49, v18
	v_pk_add_f16 v50, v66, v87
	;; [unrolled: 1-line block ×8, first 2 shown]
	ds_read2_b64 v[18:21], v67 offset0:16 offset1:24
	v_pk_add_f16 v50, v50, v104
	v_pk_add_f16 v57, v57, v105
	;; [unrolled: 1-line block ×4, first 2 shown]
	s_waitcnt lgkmcnt(4)
	v_pk_max_f16 v4, v4, v4
	s_waitcnt lgkmcnt(3)
	v_pk_max_f16 v6, v6, v6
	v_pk_max_f16 v8, v8, v8
	s_waitcnt lgkmcnt(2)
	v_pk_max_f16 v10, v10, v10
	v_pk_add_f16 v64, v64, v93
	v_pk_add_f16 v56, v56, v108
	v_pk_min_f16 v22, v4, v6
	v_pk_min_f16 v23, v4, v8
	;; [unrolled: 1-line block ×3, first 2 shown]
	s_waitcnt lgkmcnt(1)
	v_pk_max_f16 v14, v14, v14
	v_pk_max_f16 v16, v16, v16
	v_pk_add_f16 v51, v51, v22
	v_pk_add_f16 v60, v60, v23
	;; [unrolled: 1-line block ×3, first 2 shown]
	v_pk_min_f16 v22, v14, v6
	v_pk_min_f16 v23, v14, v8
	;; [unrolled: 1-line block ×3, first 2 shown]
	s_waitcnt lgkmcnt(0)
	v_pk_max_f16 v18, v18, v18
	v_pk_add_f16 v48, v48, v109
	v_pk_add_f16 v65, v65, v22
	v_pk_add_f16 v83, v50, v23
	v_pk_add_f16 v57, v57, v24
	ds_read2_b64 v[22:25], v67 offset0:32 offset1:40
	v_pk_min_f16 v50, v16, v6
	v_pk_min_f16 v84, v16, v10
	v_pk_max_f16 v20, v20, v20
	v_pk_add_f16 v39, v39, v98
	v_pk_add_f16 v64, v64, v110
	;; [unrolled: 1-line block ×3, first 2 shown]
	v_pk_min_f16 v49, v18, v6
	v_pk_add_f16 v47, v47, v113
	v_pk_max_f16 v12, v12, v12
	v_pk_add_f16 v56, v56, v84
	v_pk_min_f16 v50, v18, v8
	v_pk_add_f16 v84, v48, v49
	v_pk_min_f16 v49, v20, v8
	v_pk_add_f16 v41, v41, v95
	v_pk_add_f16 v62, v62, v99
	;; [unrolled: 1-line block ×4, first 2 shown]
	v_pk_min_f16 v14, v14, v12
	v_pk_add_f16 v64, v64, v50
	s_waitcnt lgkmcnt(0)
	v_pk_max_f16 v22, v22, v22
	v_pk_min_f16 v48, v20, v6
	v_pk_min_f16 v50, v20, v10
	;; [unrolled: 1-line block ×3, first 2 shown]
	v_pk_add_f16 v87, v47, v49
	v_pk_min_f16 v47, v22, v6
	v_pk_add_f16 v58, v58, v107
	v_pk_add_f16 v41, v41, v112
	;; [unrolled: 1-line block ×5, first 2 shown]
	v_pk_min_f16 v66, v16, v8
	v_pk_add_f16 v20, v46, v20
	v_pk_min_f16 v46, v22, v8
	v_pk_max_f16 v24, v24, v24
	v_pk_add_f16 v39, v39, v47
	v_pk_min_f16 v47, v22, v10
	v_pk_min_f16 v22, v22, v12
	v_pk_max_f16 v2, v2, v2
	v_pk_max_f16 v5, v5, v5
	;; [unrolled: 1-line block ×3, first 2 shown]
	v_pk_add_f16 v55, v55, v94
	v_pk_add_f16 v54, v54, v97
	v_pk_add_f16 v40, v40, v124
	v_pk_add_f16 v42, v42, v126
	v_pk_min_f16 v16, v16, v12
	v_pk_add_f16 v86, v58, v66
	v_pk_min_f16 v58, v18, v10
	v_pk_min_f16 v18, v18, v12
	v_pk_add_f16 v41, v41, v48
	v_pk_add_f16 v62, v62, v46
	v_pk_min_f16 v46, v24, v6
	v_pk_min_f16 v48, v24, v8
	v_pk_add_f16 v22, v45, v22
	v_pk_min_f16 v45, v24, v10
	v_pk_min_f16 v24, v24, v12
	;; [unrolled: 1-line block ×6, first 2 shown]
	v_pk_max_f16 v9, v9, v9
	v_pk_min_f16 v4, v4, v12
	v_pk_max_f16 v11, v11, v11
	v_pk_min_f16 v12, v5, v7
	v_pk_add_f16 v55, v55, v111
	v_pk_add_f16 v54, v54, v114
	v_pk_add_f16 v16, v68, v16
	v_pk_add_f16 v10, v40, v10
	v_pk_min_f16 v40, v5, v9
	v_pk_add_f16 v4, v42, v4
	v_pk_min_f16 v42, v5, v11
	v_pk_max_f16 v15, v15, v15
	v_pk_add_f16 v68, v51, v12
	v_pk_max_f16 v12, v13, v13
	v_pk_add_f16 v61, v61, v102
	v_pk_add_f16 v55, v55, v58
	v_pk_add_f16 v54, v54, v50
	v_pk_add_f16 v58, v60, v40
	v_pk_add_f16 v50, v63, v42
	v_pk_min_f16 v13, v15, v7
	v_pk_min_f16 v40, v15, v9
	;; [unrolled: 1-line block ×4, first 2 shown]
	v_pk_max_f16 v17, v17, v17
	v_pk_add_f16 v53, v53, v100
	v_pk_add_f16 v61, v61, v121
	;; [unrolled: 1-line block ×5, first 2 shown]
	v_pk_min_f16 v13, v17, v7
	v_pk_min_f16 v14, v17, v9
	;; [unrolled: 1-line block ×4, first 2 shown]
	v_pk_max_f16 v19, v19, v19
	v_pk_add_f16 v38, v38, v101
	v_pk_add_f16 v53, v53, v118
	;; [unrolled: 1-line block ×9, first 2 shown]
	v_pk_min_f16 v13, v19, v7
	v_pk_min_f16 v14, v19, v9
	;; [unrolled: 1-line block ×4, first 2 shown]
	v_pk_max_f16 v17, v21, v21
	v_pk_add_f16 v52, v52, v103
	v_pk_add_f16 v38, v38, v120
	;; [unrolled: 1-line block ×7, first 2 shown]
	v_pk_min_f16 v13, v17, v7
	v_pk_min_f16 v14, v17, v9
	;; [unrolled: 1-line block ×4, first 2 shown]
	v_pk_max_f16 v17, v23, v23
	v_pk_add_f16 v52, v52, v122
	v_pk_add_f16 v44, v44, v123
	v_pk_add_f16 v43, v43, v125
	v_pk_add_f16 v38, v38, v46
	v_pk_add_f16 v41, v41, v13
	v_pk_add_f16 v63, v87, v14
	v_pk_add_f16 v54, v54, v15
	v_pk_add_f16 v46, v20, v16
	v_pk_min_f16 v13, v17, v7
	v_pk_min_f16 v14, v17, v9
	;; [unrolled: 1-line block ×4, first 2 shown]
	v_pk_max_f16 v17, v25, v25
	v_pk_max_f16 v3, v3, v3
	v_pk_add_f16 v52, v52, v45
	v_pk_add_f16 v24, v44, v24
	;; [unrolled: 1-line block ×7, first 2 shown]
	v_pk_min_f16 v13, v17, v7
	v_pk_min_f16 v14, v17, v9
	v_pk_min_f16 v15, v17, v11
	v_pk_min_f16 v16, v17, v12
	v_pk_min_f16 v7, v3, v7
	v_pk_min_f16 v9, v3, v9
	v_pk_min_f16 v11, v3, v11
	v_pk_min_f16 v3, v3, v12
	v_pk_min_f16 v5, v5, v12
	v_add_co_u32 v78, s2, v78, s8
	v_add_co_ci_u32_e64 v79, null, s9, v79, s2
	v_add_co_u32 v74, s2, v74, s16
	v_pk_add_f16 v66, v83, v40
	v_pk_add_f16 v57, v57, v42
	v_pk_add_f16 v38, v38, v13
	v_pk_add_f16 v61, v61, v14
	v_pk_add_f16 v52, v52, v15
	v_pk_add_f16 v44, v24, v16
	v_pk_add_f16 v40, v6, v7
	v_pk_add_f16 v60, v8, v9
	v_pk_add_f16 v51, v10, v11
	v_pk_add_f16 v43, v2, v3
	v_pk_add_f16 v42, v4, v5
	v_add_co_ci_u32_e64 v75, null, s17, v75, s2
	s_add_i32 s22, s22, 8
	s_waitcnt vmcnt(0)
	ds_write_b16 v72, v80
	ds_write_b16 v73, v82
	ds_write_b16 v73, v81 offset:512
	s_cmp_ge_i32 s22, s23
	s_waitcnt lgkmcnt(0)
	s_barrier
	buffer_gl0_inv
	s_cbranch_scc1 .LBB247_35
.LBB247_23:                             ; =>This Inner Loop Header: Depth=1
	v_add_nc_u32_e32 v81, s22, v34
	v_mov_b32_e32 v82, 0
	v_mov_b32_e32 v83, 0
	v_add_nc_u32_e32 v2, 8, v81
	v_cmp_le_i32_e64 s2, s14, v2
	s_nor_b32 s3, vcc_lo, s2
	s_and_saveexec_b32 s18, s3
	s_cbranch_execz .LBB247_25
; %bb.24:                               ;   in Loop: Header=BB247_23 Depth=1
	v_add_co_u32 v2, s3, v74, v30
	v_add_co_ci_u32_e64 v3, null, v75, v31, s3
	flat_load_ushort v83, v[2:3]
.LBB247_25:                             ;   in Loop: Header=BB247_23 Depth=1
	s_or_b32 exec_lo, exec_lo, s18
	s_nor_b32 s3, s0, s2
	s_and_saveexec_b32 s18, s3
	s_cbranch_execz .LBB247_27
; %bb.26:                               ;   in Loop: Header=BB247_23 Depth=1
	v_add_co_u32 v2, s3, v78, v32
	v_add_co_ci_u32_e64 v3, null, v79, v33, s3
	flat_load_ushort v82, v[2:3]
.LBB247_27:                             ;   in Loop: Header=BB247_23 Depth=1
	s_or_b32 exec_lo, exec_lo, s18
	v_mov_b32_e32 v80, 0
	v_mov_b32_e32 v84, 0
	s_nor_b32 s2, s1, s2
	s_and_saveexec_b32 s3, s2
	s_cbranch_execz .LBB247_29
; %bb.28:                               ;   in Loop: Header=BB247_23 Depth=1
	v_add_co_u32 v2, s2, v78, v32
	v_add_co_ci_u32_e64 v3, null, v79, v33, s2
	flat_load_ushort v84, v[2:3] offset:128
.LBB247_29:                             ;   in Loop: Header=BB247_23 Depth=1
	s_or_b32 exec_lo, exec_lo, s3
	ds_read2_b64 v[2:5], v76 offset0:48 offset1:56
	ds_read2_b64 v[14:17], v77 offset0:64 offset1:96
	ds_read2_b64 v[22:25], v77 offset1:32
	ds_read2_b64 v[18:21], v76 offset1:8
	ds_read2_b64 v[10:13], v76 offset0:16 offset1:24
	ds_read2_b64 v[6:9], v76 offset0:32 offset1:40
	v_add_nc_u32_e32 v81, 12, v81
	s_waitcnt vmcnt(0) lgkmcnt(6)
	ds_write_b16 v59, v83
	ds_write_b16 v37, v82
	ds_write_b16 v37, v84 offset:512
	s_waitcnt lgkmcnt(0)
	s_barrier
	v_cmp_le_i32_e64 s2, s14, v81
	buffer_gl0_inv
	s_nor_b32 s3, vcc_lo, s2
	s_and_saveexec_b32 s18, s3
	s_xor_b32 s18, exec_lo, s18
	s_cbranch_execz .LBB247_31
; %bb.30:                               ;   in Loop: Header=BB247_23 Depth=1
	v_add_co_u32 v80, s3, v74, v28
	v_add_co_ci_u32_e64 v81, null, v75, v29, s3
	flat_load_ushort v80, v[80:81]
.LBB247_31:                             ;   in Loop: Header=BB247_23 Depth=1
	s_or_b32 exec_lo, exec_lo, s18
	v_mov_b32_e32 v81, 0
	v_mov_b32_e32 v82, 0
	s_nor_b32 s3, s0, s2
	s_and_saveexec_b32 s18, s3
	s_cbranch_execz .LBB247_33
; %bb.32:                               ;   in Loop: Header=BB247_23 Depth=1
	v_add_co_u32 v82, s3, v78, v26
	v_add_co_ci_u32_e64 v83, null, v79, v27, s3
	flat_load_ushort v82, v[82:83]
.LBB247_33:                             ;   in Loop: Header=BB247_23 Depth=1
	s_or_b32 exec_lo, exec_lo, s18
	s_nor_b32 s2, s1, s2
	s_and_saveexec_b32 s3, s2
	s_cbranch_execz .LBB247_22
; %bb.34:                               ;   in Loop: Header=BB247_23 Depth=1
	v_add_co_u32 v83, s2, v78, v26
	v_add_co_ci_u32_e64 v84, null, v79, v27, s2
	flat_load_ushort v81, v[83:84] offset:128
	s_branch .LBB247_22
.LBB247_35:
	s_clause 0x2
	s_load_dword s14, s[4:5], 0x50
	s_load_dword s9, s[4:5], 0x68
	s_load_dwordx2 s[2:3], s[4:5], 0x70
	v_add_nc_u32_e32 v67, s26, v1
	v_add_nc_u32_e32 v10, 0x800, v36
	ds_read2_b64 v[2:5], v35 offset0:192 offset1:224
	ds_read2_b64 v[22:25], v35 offset0:128 offset1:160
	v_add_nc_u32_e32 v0, s25, v0
	ds_read2_b64 v[6:9], v10 offset0:112 offset1:120
	ds_read2_b64 v[18:21], v10 offset0:64 offset1:72
	;; [unrolled: 1-line block ×4, first 2 shown]
	v_cmp_gt_i32_e64 s8, s13, v67
	v_cmp_gt_i32_e64 s0, s12, v0
	v_ashrrev_i32_e32 v1, 31, v0
	v_cndmask_b32_e64 v59, 0, 1, s24
	s_waitcnt lgkmcnt(0)
	v_mad_i64_i32 v[26:27], null, v67, s14, 0
	v_mad_i64_i32 v[28:29], null, v67, s9, 0
	s_lshl_b64 s[2:3], s[2:3], 1
	s_add_u32 s16, s6, s2
	s_addc_u32 s17, s7, s3
	v_lshlrev_b64 v[26:27], 1, v[26:27]
	s_and_b32 s1, s0, s8
	v_lshlrev_b64 v[28:29], 1, v[28:29]
	v_add_co_u32 v74, vcc_lo, s10, v26
	v_add_co_ci_u32_e64 v75, null, s11, v27, vcc_lo
	v_add_co_u32 v72, vcc_lo, s16, v28
	v_add_co_ci_u32_e64 v73, null, s17, v29, vcc_lo
	s_and_saveexec_b32 s2, s1
	s_xor_b32 s1, exec_lo, s2
	s_cbranch_execz .LBB247_40
; %bb.36:
	v_lshlrev_b64 v[26:27], 1, v[0:1]
	s_andn2_b32 vcc_lo, exec_lo, s24
	s_cbranch_vccnz .LBB247_38
; %bb.37:
	v_add_co_u32 v28, vcc_lo, v74, v26
	v_add_co_ci_u32_e64 v29, null, v75, v27, vcc_lo
	flat_load_ushort v28, v[28:29]
	s_waitcnt vmcnt(0) lgkmcnt(0)
	v_mul_f16_e32 v28, s15, v28
	s_branch .LBB247_39
.LBB247_38:
	v_mov_b32_e32 v28, 0
.LBB247_39:
	v_pk_max_f16 v29, v22, v22
	v_pk_max_f16 v30, v18, v18
	;; [unrolled: 1-line block ×4, first 2 shown]
	v_add_co_u32 v26, vcc_lo, v72, v26
	v_pk_min_f16 v29, v30, v29
	v_add_co_ci_u32_e64 v27, null, v73, v27, vcc_lo
	v_pk_min_f16 v30, v32, v31
	v_pk_add_f16 v29, v71, v29
	v_pk_add_f16 v29, v29, v30
	v_add_f16_sdwa v29, v29, v29 dst_sel:DWORD dst_unused:UNUSED_PAD src0_sel:DWORD src1_sel:WORD_1
	v_add_f16_e32 v28, v29, v28
	flat_store_short v[26:27], v28
.LBB247_40:
	s_or_b32 exec_lo, exec_lo, s1
	v_add_nc_u32_e32 v26, 8, v0
	v_cmp_gt_i32_e64 s1, s12, v26
	v_ashrrev_i32_e32 v27, 31, v26
	s_and_b32 s3, s1, s8
	s_and_saveexec_b32 s2, s3
	s_cbranch_execz .LBB247_45
; %bb.41:
	v_cmp_ne_u32_e32 vcc_lo, 1, v59
	v_lshlrev_b64 v[28:29], 1, v[26:27]
	s_cbranch_vccnz .LBB247_43
; %bb.42:
	v_add_co_u32 v30, vcc_lo, v74, v28
	v_add_co_ci_u32_e64 v31, null, v75, v29, vcc_lo
	flat_load_ushort v30, v[30:31]
	s_waitcnt vmcnt(0) lgkmcnt(0)
	v_mul_f16_e32 v30, s15, v30
	s_branch .LBB247_44
.LBB247_43:
	v_mov_b32_e32 v30, 0
.LBB247_44:
	v_pk_max_f16 v31, v22, v22
	v_pk_max_f16 v32, v20, v20
	v_pk_max_f16 v33, v23, v23
	v_pk_max_f16 v34, v21, v21
	v_add_co_u32 v28, vcc_lo, v72, v28
	v_pk_min_f16 v31, v32, v31
	v_add_co_ci_u32_e64 v29, null, v73, v29, vcc_lo
	v_pk_min_f16 v32, v34, v33
	v_pk_add_f16 v31, v70, v31
	v_pk_add_f16 v31, v31, v32
	v_add_f16_sdwa v31, v31, v31 dst_sel:DWORD dst_unused:UNUSED_PAD src0_sel:DWORD src1_sel:WORD_1
	v_add_f16_e32 v30, v31, v30
	flat_store_short v[28:29], v30
.LBB247_45:
	s_or_b32 exec_lo, exec_lo, s2
	v_add_nc_u32_e32 v28, 16, v0
	v_cmp_gt_i32_e64 s2, s12, v28
	v_ashrrev_i32_e32 v29, 31, v28
	s_and_b32 s4, s2, s8
	s_and_saveexec_b32 s3, s4
	s_cbranch_execz .LBB247_50
; %bb.46:
	v_cmp_ne_u32_e32 vcc_lo, 1, v59
	v_lshlrev_b64 v[30:31], 1, v[28:29]
	s_cbranch_vccnz .LBB247_48
; %bb.47:
	v_add_co_u32 v32, vcc_lo, v74, v30
	v_add_co_ci_u32_e64 v33, null, v75, v31, vcc_lo
	flat_load_ushort v32, v[32:33]
	s_waitcnt vmcnt(0) lgkmcnt(0)
	v_mul_f16_e32 v32, s15, v32
	s_branch .LBB247_49
.LBB247_48:
	v_mov_b32_e32 v32, 0
.LBB247_49:
	v_pk_max_f16 v33, v22, v22
	v_pk_max_f16 v34, v14, v14
	v_pk_max_f16 v35, v23, v23
	v_pk_max_f16 v36, v15, v15
	v_add_co_u32 v30, vcc_lo, v72, v30
	v_pk_min_f16 v33, v34, v33
	v_add_co_ci_u32_e64 v31, null, v73, v31, vcc_lo
	v_pk_min_f16 v34, v36, v35
	v_pk_add_f16 v33, v69, v33
	v_pk_add_f16 v33, v33, v34
	v_add_f16_sdwa v33, v33, v33 dst_sel:DWORD dst_unused:UNUSED_PAD src0_sel:DWORD src1_sel:WORD_1
	v_add_f16_e32 v32, v33, v32
	flat_store_short v[30:31], v32
.LBB247_50:
	;; [unrolled: 35-line block ×6, first 2 shown]
	s_or_b32 exec_lo, exec_lo, s7
	v_add_nc_u32_e32 v38, 56, v0
	v_cmp_gt_i32_e64 s7, s12, v38
	v_ashrrev_i32_e32 v39, 31, v38
	s_and_b32 s12, s7, s8
	s_and_saveexec_b32 s8, s12
	s_cbranch_execz .LBB247_75
; %bb.71:
	v_cmp_ne_u32_e32 vcc_lo, 1, v59
	v_lshlrev_b64 v[40:41], 1, v[38:39]
	s_cbranch_vccnz .LBB247_73
; %bb.72:
	v_add_co_u32 v69, vcc_lo, v74, v40
	v_add_co_ci_u32_e64 v70, null, v75, v41, vcc_lo
	flat_load_ushort v69, v[69:70]
	s_waitcnt vmcnt(0) lgkmcnt(0)
	v_mul_f16_e32 v69, s15, v69
	s_branch .LBB247_74
.LBB247_73:
	v_mov_b32_e32 v69, 0
.LBB247_74:
	v_pk_max_f16 v22, v22, v22
	v_pk_max_f16 v70, v8, v8
	;; [unrolled: 1-line block ×4, first 2 shown]
	v_pk_min_f16 v22, v70, v22
	v_pk_min_f16 v23, v71, v23
	v_pk_add_f16 v22, v68, v22
	v_pk_add_f16 v22, v22, v23
	v_add_f16_sdwa v22, v22, v22 dst_sel:DWORD dst_unused:UNUSED_PAD src0_sel:DWORD src1_sel:WORD_1
	v_add_f16_e32 v68, v22, v69
	v_add_co_u32 v22, vcc_lo, v72, v40
	v_add_co_ci_u32_e64 v23, null, v73, v41, vcc_lo
	flat_store_short v[22:23], v68
.LBB247_75:
	s_or_b32 exec_lo, exec_lo, s8
	v_add_nc_u32_e32 v68, 32, v67
	v_mad_i64_i32 v[22:23], null, v68, s14, 0
	v_mad_i64_i32 v[40:41], null, v68, s9, 0
	v_cmp_gt_i32_e64 s8, s13, v68
	v_lshlrev_b64 v[22:23], 1, v[22:23]
	s_and_b32 s18, s0, s8
	v_lshlrev_b64 v[40:41], 1, v[40:41]
	v_add_co_u32 v68, vcc_lo, s10, v22
	v_add_co_ci_u32_e64 v69, null, s11, v23, vcc_lo
	v_add_co_u32 v40, vcc_lo, s16, v40
	v_add_co_ci_u32_e64 v41, null, s17, v41, vcc_lo
	s_and_saveexec_b32 s12, s18
	s_cbranch_execnz .LBB247_83
; %bb.76:
	s_or_b32 exec_lo, exec_lo, s12
	s_and_b32 s18, s1, s8
	s_and_saveexec_b32 s12, s18
	s_cbranch_execnz .LBB247_87
.LBB247_77:
	s_or_b32 exec_lo, exec_lo, s12
	s_and_b32 s18, s2, s8
	s_and_saveexec_b32 s12, s18
	s_cbranch_execnz .LBB247_91
.LBB247_78:
	s_or_b32 exec_lo, exec_lo, s12
	s_and_b32 s18, s3, s8
	s_and_saveexec_b32 s12, s18
	s_cbranch_execnz .LBB247_95
.LBB247_79:
	s_or_b32 exec_lo, exec_lo, s12
	s_and_b32 s18, s4, s8
	s_and_saveexec_b32 s12, s18
	s_cbranch_execnz .LBB247_99
.LBB247_80:
	s_or_b32 exec_lo, exec_lo, s12
	s_and_b32 s18, s5, s8
	s_and_saveexec_b32 s12, s18
	s_cbranch_execnz .LBB247_103
.LBB247_81:
	s_or_b32 exec_lo, exec_lo, s12
	s_and_b32 s18, s6, s8
	s_and_saveexec_b32 s12, s18
	s_cbranch_execnz .LBB247_107
.LBB247_82:
	s_or_b32 exec_lo, exec_lo, s12
	s_and_b32 s12, s7, s8
	s_and_saveexec_b32 s8, s12
	s_cbranch_execnz .LBB247_111
	s_branch .LBB247_115
.LBB247_83:
	v_cmp_ne_u32_e32 vcc_lo, 1, v59
	v_lshlrev_b64 v[22:23], 1, v[0:1]
	s_cbranch_vccnz .LBB247_85
; %bb.84:
	v_add_co_u32 v70, vcc_lo, v68, v22
	v_add_co_ci_u32_e64 v71, null, v69, v23, vcc_lo
	flat_load_ushort v70, v[70:71]
	s_waitcnt vmcnt(0) lgkmcnt(0)
	v_mul_f16_e32 v70, s15, v70
	s_branch .LBB247_86
.LBB247_85:
	v_mov_b32_e32 v70, 0
.LBB247_86:
	v_pk_max_f16 v71, v24, v24
	v_pk_max_f16 v72, v18, v18
	;; [unrolled: 1-line block ×4, first 2 shown]
	v_add_co_u32 v22, vcc_lo, v40, v22
	v_pk_min_f16 v71, v72, v71
	v_add_co_ci_u32_e64 v23, null, v41, v23, vcc_lo
	v_pk_min_f16 v72, v74, v73
	v_pk_add_f16 v66, v66, v71
	v_pk_add_f16 v66, v66, v72
	v_add_f16_sdwa v66, v66, v66 dst_sel:DWORD dst_unused:UNUSED_PAD src0_sel:DWORD src1_sel:WORD_1
	v_add_f16_e32 v66, v66, v70
	flat_store_short v[22:23], v66
	s_or_b32 exec_lo, exec_lo, s12
	s_and_b32 s18, s1, s8
	s_and_saveexec_b32 s12, s18
	s_cbranch_execz .LBB247_77
.LBB247_87:
	v_cmp_ne_u32_e32 vcc_lo, 1, v59
	v_lshlrev_b64 v[22:23], 1, v[26:27]
	s_cbranch_vccnz .LBB247_89
; %bb.88:
	v_add_co_u32 v70, vcc_lo, v68, v22
	v_add_co_ci_u32_e64 v71, null, v69, v23, vcc_lo
	flat_load_ushort v66, v[70:71]
	s_waitcnt vmcnt(0) lgkmcnt(0)
	v_mul_f16_e32 v66, s15, v66
	s_branch .LBB247_90
.LBB247_89:
	v_mov_b32_e32 v66, 0
.LBB247_90:
	v_pk_max_f16 v70, v24, v24
	v_pk_max_f16 v71, v20, v20
	;; [unrolled: 1-line block ×4, first 2 shown]
	v_add_co_u32 v22, vcc_lo, v40, v22
	v_pk_min_f16 v70, v71, v70
	v_add_co_ci_u32_e64 v23, null, v41, v23, vcc_lo
	v_pk_min_f16 v71, v73, v72
	v_pk_add_f16 v65, v65, v70
	v_pk_add_f16 v65, v65, v71
	v_add_f16_sdwa v65, v65, v65 dst_sel:DWORD dst_unused:UNUSED_PAD src0_sel:DWORD src1_sel:WORD_1
	v_add_f16_e32 v65, v65, v66
	flat_store_short v[22:23], v65
	s_or_b32 exec_lo, exec_lo, s12
	s_and_b32 s18, s2, s8
	s_and_saveexec_b32 s12, s18
	s_cbranch_execz .LBB247_78
.LBB247_91:
	v_cmp_ne_u32_e32 vcc_lo, 1, v59
	v_lshlrev_b64 v[22:23], 1, v[28:29]
	s_cbranch_vccnz .LBB247_93
; %bb.92:
	v_add_co_u32 v65, vcc_lo, v68, v22
	v_add_co_ci_u32_e64 v66, null, v69, v23, vcc_lo
	flat_load_ushort v65, v[65:66]
	s_waitcnt vmcnt(0) lgkmcnt(0)
	v_mul_f16_e32 v65, s15, v65
	s_branch .LBB247_94
.LBB247_93:
	v_mov_b32_e32 v65, 0
.LBB247_94:
	v_pk_max_f16 v66, v24, v24
	v_pk_max_f16 v70, v14, v14
	;; [unrolled: 1-line block ×4, first 2 shown]
	v_add_co_u32 v22, vcc_lo, v40, v22
	v_pk_min_f16 v66, v70, v66
	v_add_co_ci_u32_e64 v23, null, v41, v23, vcc_lo
	v_pk_min_f16 v70, v72, v71
	v_pk_add_f16 v64, v64, v66
	v_pk_add_f16 v64, v64, v70
	v_add_f16_sdwa v64, v64, v64 dst_sel:DWORD dst_unused:UNUSED_PAD src0_sel:DWORD src1_sel:WORD_1
	v_add_f16_e32 v64, v64, v65
	flat_store_short v[22:23], v64
	s_or_b32 exec_lo, exec_lo, s12
	s_and_b32 s18, s3, s8
	s_and_saveexec_b32 s12, s18
	s_cbranch_execz .LBB247_79
.LBB247_95:
	v_cmp_ne_u32_e32 vcc_lo, 1, v59
	v_lshlrev_b64 v[22:23], 1, v[30:31]
	s_cbranch_vccnz .LBB247_97
; %bb.96:
	v_add_co_u32 v64, vcc_lo, v68, v22
	v_add_co_ci_u32_e64 v65, null, v69, v23, vcc_lo
	flat_load_ushort v64, v[64:65]
	s_waitcnt vmcnt(0) lgkmcnt(0)
	v_mul_f16_e32 v64, s15, v64
	s_branch .LBB247_98
.LBB247_97:
	v_mov_b32_e32 v64, 0
.LBB247_98:
	v_pk_max_f16 v65, v24, v24
	v_pk_max_f16 v66, v16, v16
	;; [unrolled: 1-line block ×4, first 2 shown]
	v_add_co_u32 v22, vcc_lo, v40, v22
	v_pk_min_f16 v65, v66, v65
	v_add_co_ci_u32_e64 v23, null, v41, v23, vcc_lo
	v_pk_min_f16 v66, v71, v70
	v_pk_add_f16 v63, v63, v65
	v_pk_add_f16 v63, v63, v66
	v_add_f16_sdwa v63, v63, v63 dst_sel:DWORD dst_unused:UNUSED_PAD src0_sel:DWORD src1_sel:WORD_1
	v_add_f16_e32 v63, v63, v64
	flat_store_short v[22:23], v63
	s_or_b32 exec_lo, exec_lo, s12
	s_and_b32 s18, s4, s8
	s_and_saveexec_b32 s12, s18
	s_cbranch_execz .LBB247_80
.LBB247_99:
	v_cmp_ne_u32_e32 vcc_lo, 1, v59
	v_lshlrev_b64 v[22:23], 1, v[32:33]
	s_cbranch_vccnz .LBB247_101
; %bb.100:
	v_add_co_u32 v63, vcc_lo, v68, v22
	v_add_co_ci_u32_e64 v64, null, v69, v23, vcc_lo
	flat_load_ushort v63, v[63:64]
	s_waitcnt vmcnt(0) lgkmcnt(0)
	v_mul_f16_e32 v63, s15, v63
	s_branch .LBB247_102
.LBB247_101:
	v_mov_b32_e32 v63, 0
.LBB247_102:
	v_pk_max_f16 v64, v24, v24
	v_pk_max_f16 v65, v10, v10
	;; [unrolled: 1-line block ×4, first 2 shown]
	v_add_co_u32 v22, vcc_lo, v40, v22
	v_pk_min_f16 v64, v65, v64
	v_add_co_ci_u32_e64 v23, null, v41, v23, vcc_lo
	v_pk_min_f16 v65, v70, v66
	v_pk_add_f16 v62, v62, v64
	v_pk_add_f16 v62, v62, v65
	v_add_f16_sdwa v62, v62, v62 dst_sel:DWORD dst_unused:UNUSED_PAD src0_sel:DWORD src1_sel:WORD_1
	v_add_f16_e32 v62, v62, v63
	flat_store_short v[22:23], v62
	s_or_b32 exec_lo, exec_lo, s12
	s_and_b32 s18, s5, s8
	s_and_saveexec_b32 s12, s18
	s_cbranch_execz .LBB247_81
.LBB247_103:
	v_cmp_ne_u32_e32 vcc_lo, 1, v59
	v_lshlrev_b64 v[22:23], 1, v[34:35]
	s_cbranch_vccnz .LBB247_105
; %bb.104:
	v_add_co_u32 v62, vcc_lo, v68, v22
	v_add_co_ci_u32_e64 v63, null, v69, v23, vcc_lo
	flat_load_ushort v62, v[62:63]
	s_waitcnt vmcnt(0) lgkmcnt(0)
	v_mul_f16_e32 v62, s15, v62
	s_branch .LBB247_106
.LBB247_105:
	v_mov_b32_e32 v62, 0
.LBB247_106:
	v_pk_max_f16 v63, v24, v24
	v_pk_max_f16 v64, v12, v12
	;; [unrolled: 1-line block ×4, first 2 shown]
	v_add_co_u32 v22, vcc_lo, v40, v22
	v_pk_min_f16 v63, v64, v63
	v_add_co_ci_u32_e64 v23, null, v41, v23, vcc_lo
	v_pk_min_f16 v64, v66, v65
	v_pk_add_f16 v61, v61, v63
	v_pk_add_f16 v61, v61, v64
	v_add_f16_sdwa v61, v61, v61 dst_sel:DWORD dst_unused:UNUSED_PAD src0_sel:DWORD src1_sel:WORD_1
	v_add_f16_e32 v61, v61, v62
	flat_store_short v[22:23], v61
	s_or_b32 exec_lo, exec_lo, s12
	s_and_b32 s18, s6, s8
	s_and_saveexec_b32 s12, s18
	s_cbranch_execz .LBB247_82
.LBB247_107:
	v_cmp_ne_u32_e32 vcc_lo, 1, v59
	v_lshlrev_b64 v[22:23], 1, v[36:37]
	s_cbranch_vccnz .LBB247_109
; %bb.108:
	v_add_co_u32 v61, vcc_lo, v68, v22
	v_add_co_ci_u32_e64 v62, null, v69, v23, vcc_lo
	flat_load_ushort v61, v[61:62]
	s_waitcnt vmcnt(0) lgkmcnt(0)
	v_mul_f16_e32 v61, s15, v61
	s_branch .LBB247_110
.LBB247_109:
	v_mov_b32_e32 v61, 0
.LBB247_110:
	v_pk_max_f16 v62, v24, v24
	v_pk_max_f16 v63, v6, v6
	;; [unrolled: 1-line block ×4, first 2 shown]
	v_add_co_u32 v22, vcc_lo, v40, v22
	v_pk_min_f16 v62, v63, v62
	v_add_co_ci_u32_e64 v23, null, v41, v23, vcc_lo
	v_pk_min_f16 v63, v65, v64
	v_pk_add_f16 v60, v60, v62
	v_pk_add_f16 v60, v60, v63
	v_add_f16_sdwa v60, v60, v60 dst_sel:DWORD dst_unused:UNUSED_PAD src0_sel:DWORD src1_sel:WORD_1
	v_add_f16_e32 v60, v60, v61
	flat_store_short v[22:23], v60
	s_or_b32 exec_lo, exec_lo, s12
	s_and_b32 s12, s7, s8
	s_and_saveexec_b32 s8, s12
	s_cbranch_execz .LBB247_115
.LBB247_111:
	v_cmp_ne_u32_e32 vcc_lo, 1, v59
	v_lshlrev_b64 v[22:23], 1, v[38:39]
	s_cbranch_vccnz .LBB247_113
; %bb.112:
	v_add_co_u32 v60, vcc_lo, v68, v22
	v_add_co_ci_u32_e64 v61, null, v69, v23, vcc_lo
	flat_load_ushort v60, v[60:61]
	s_waitcnt vmcnt(0) lgkmcnt(0)
	v_mul_f16_e32 v60, s15, v60
	s_branch .LBB247_114
.LBB247_113:
	v_mov_b32_e32 v60, 0
.LBB247_114:
	v_pk_max_f16 v24, v24, v24
	v_pk_max_f16 v61, v8, v8
	;; [unrolled: 1-line block ×4, first 2 shown]
	v_add_co_u32 v22, vcc_lo, v40, v22
	v_pk_min_f16 v24, v61, v24
	v_add_co_ci_u32_e64 v23, null, v41, v23, vcc_lo
	v_pk_min_f16 v25, v62, v25
	v_pk_add_f16 v24, v58, v24
	v_pk_add_f16 v24, v24, v25
	v_add_f16_sdwa v24, v24, v24 dst_sel:DWORD dst_unused:UNUSED_PAD src0_sel:DWORD src1_sel:WORD_1
	v_add_f16_e32 v24, v24, v60
	flat_store_short v[22:23], v24
.LBB247_115:
	s_or_b32 exec_lo, exec_lo, s8
	v_add_nc_u32_e32 v40, 64, v67
	v_mad_i64_i32 v[22:23], null, v40, s14, 0
	v_mad_i64_i32 v[24:25], null, v40, s9, 0
	v_cmp_gt_i32_e64 s8, s13, v40
	v_lshlrev_b64 v[22:23], 1, v[22:23]
	s_and_b32 s18, s0, s8
	v_lshlrev_b64 v[24:25], 1, v[24:25]
	v_add_co_u32 v40, vcc_lo, s10, v22
	v_add_co_ci_u32_e64 v41, null, s11, v23, vcc_lo
	v_add_co_u32 v24, vcc_lo, s16, v24
	v_add_co_ci_u32_e64 v25, null, s17, v25, vcc_lo
	s_and_saveexec_b32 s12, s18
	s_cbranch_execnz .LBB247_123
; %bb.116:
	s_or_b32 exec_lo, exec_lo, s12
	s_and_b32 s18, s1, s8
	s_and_saveexec_b32 s12, s18
	s_cbranch_execnz .LBB247_127
.LBB247_117:
	s_or_b32 exec_lo, exec_lo, s12
	s_and_b32 s18, s2, s8
	s_and_saveexec_b32 s12, s18
	s_cbranch_execnz .LBB247_131
.LBB247_118:
	s_or_b32 exec_lo, exec_lo, s12
	s_and_b32 s18, s3, s8
	s_and_saveexec_b32 s12, s18
	s_cbranch_execnz .LBB247_135
.LBB247_119:
	s_or_b32 exec_lo, exec_lo, s12
	s_and_b32 s18, s4, s8
	s_and_saveexec_b32 s12, s18
	s_cbranch_execnz .LBB247_139
.LBB247_120:
	s_or_b32 exec_lo, exec_lo, s12
	s_and_b32 s18, s5, s8
	s_and_saveexec_b32 s12, s18
	s_cbranch_execnz .LBB247_143
.LBB247_121:
	s_or_b32 exec_lo, exec_lo, s12
	s_and_b32 s18, s6, s8
	s_and_saveexec_b32 s12, s18
	s_cbranch_execnz .LBB247_147
.LBB247_122:
	s_or_b32 exec_lo, exec_lo, s12
	s_and_b32 s12, s7, s8
	s_and_saveexec_b32 s8, s12
	s_cbranch_execnz .LBB247_151
	s_branch .LBB247_155
.LBB247_123:
	v_cmp_ne_u32_e32 vcc_lo, 1, v59
	v_lshlrev_b64 v[22:23], 1, v[0:1]
	s_cbranch_vccnz .LBB247_125
; %bb.124:
	v_add_co_u32 v60, vcc_lo, v40, v22
	v_add_co_ci_u32_e64 v61, null, v41, v23, vcc_lo
	flat_load_ushort v58, v[60:61]
	s_waitcnt vmcnt(0) lgkmcnt(0)
	v_mul_f16_e32 v58, s15, v58
	s_branch .LBB247_126
.LBB247_125:
	v_mov_b32_e32 v58, 0
.LBB247_126:
	v_pk_max_f16 v60, v2, v2
	v_pk_max_f16 v61, v18, v18
	;; [unrolled: 1-line block ×4, first 2 shown]
	v_add_co_u32 v22, vcc_lo, v24, v22
	v_pk_min_f16 v60, v61, v60
	v_add_co_ci_u32_e64 v23, null, v25, v23, vcc_lo
	v_pk_min_f16 v61, v63, v62
	v_pk_add_f16 v57, v57, v60
	v_pk_add_f16 v57, v57, v61
	v_add_f16_sdwa v57, v57, v57 dst_sel:DWORD dst_unused:UNUSED_PAD src0_sel:DWORD src1_sel:WORD_1
	v_add_f16_e32 v57, v57, v58
	flat_store_short v[22:23], v57
	s_or_b32 exec_lo, exec_lo, s12
	s_and_b32 s18, s1, s8
	s_and_saveexec_b32 s12, s18
	s_cbranch_execz .LBB247_117
.LBB247_127:
	v_cmp_ne_u32_e32 vcc_lo, 1, v59
	v_lshlrev_b64 v[22:23], 1, v[26:27]
	s_cbranch_vccnz .LBB247_129
; %bb.128:
	v_add_co_u32 v57, vcc_lo, v40, v22
	v_add_co_ci_u32_e64 v58, null, v41, v23, vcc_lo
	flat_load_ushort v57, v[57:58]
	s_waitcnt vmcnt(0) lgkmcnt(0)
	v_mul_f16_e32 v57, s15, v57
	s_branch .LBB247_130
.LBB247_129:
	v_mov_b32_e32 v57, 0
.LBB247_130:
	v_pk_max_f16 v58, v2, v2
	v_pk_max_f16 v60, v20, v20
	;; [unrolled: 1-line block ×4, first 2 shown]
	v_add_co_u32 v22, vcc_lo, v24, v22
	v_pk_min_f16 v58, v60, v58
	v_add_co_ci_u32_e64 v23, null, v25, v23, vcc_lo
	v_pk_min_f16 v60, v62, v61
	v_pk_add_f16 v56, v56, v58
	v_pk_add_f16 v56, v56, v60
	v_add_f16_sdwa v56, v56, v56 dst_sel:DWORD dst_unused:UNUSED_PAD src0_sel:DWORD src1_sel:WORD_1
	v_add_f16_e32 v56, v56, v57
	flat_store_short v[22:23], v56
	s_or_b32 exec_lo, exec_lo, s12
	s_and_b32 s18, s2, s8
	s_and_saveexec_b32 s12, s18
	s_cbranch_execz .LBB247_118
.LBB247_131:
	v_cmp_ne_u32_e32 vcc_lo, 1, v59
	v_lshlrev_b64 v[22:23], 1, v[28:29]
	s_cbranch_vccnz .LBB247_133
; %bb.132:
	v_add_co_u32 v56, vcc_lo, v40, v22
	v_add_co_ci_u32_e64 v57, null, v41, v23, vcc_lo
	flat_load_ushort v56, v[56:57]
	s_waitcnt vmcnt(0) lgkmcnt(0)
	v_mul_f16_e32 v56, s15, v56
	s_branch .LBB247_134
.LBB247_133:
	v_mov_b32_e32 v56, 0
.LBB247_134:
	v_pk_max_f16 v57, v2, v2
	v_pk_max_f16 v58, v14, v14
	;; [unrolled: 1-line block ×4, first 2 shown]
	v_add_co_u32 v22, vcc_lo, v24, v22
	v_pk_min_f16 v57, v58, v57
	v_add_co_ci_u32_e64 v23, null, v25, v23, vcc_lo
	v_pk_min_f16 v58, v61, v60
	v_pk_add_f16 v55, v55, v57
	v_pk_add_f16 v55, v55, v58
	v_add_f16_sdwa v55, v55, v55 dst_sel:DWORD dst_unused:UNUSED_PAD src0_sel:DWORD src1_sel:WORD_1
	v_add_f16_e32 v55, v55, v56
	flat_store_short v[22:23], v55
	s_or_b32 exec_lo, exec_lo, s12
	s_and_b32 s18, s3, s8
	s_and_saveexec_b32 s12, s18
	s_cbranch_execz .LBB247_119
.LBB247_135:
	v_cmp_ne_u32_e32 vcc_lo, 1, v59
	v_lshlrev_b64 v[22:23], 1, v[30:31]
	s_cbranch_vccnz .LBB247_137
; %bb.136:
	v_add_co_u32 v55, vcc_lo, v40, v22
	v_add_co_ci_u32_e64 v56, null, v41, v23, vcc_lo
	flat_load_ushort v55, v[55:56]
	s_waitcnt vmcnt(0) lgkmcnt(0)
	v_mul_f16_e32 v55, s15, v55
	s_branch .LBB247_138
.LBB247_137:
	v_mov_b32_e32 v55, 0
.LBB247_138:
	v_pk_max_f16 v56, v2, v2
	v_pk_max_f16 v57, v16, v16
	;; [unrolled: 1-line block ×4, first 2 shown]
	v_add_co_u32 v22, vcc_lo, v24, v22
	v_pk_min_f16 v56, v57, v56
	v_add_co_ci_u32_e64 v23, null, v25, v23, vcc_lo
	v_pk_min_f16 v57, v60, v58
	v_pk_add_f16 v54, v54, v56
	v_pk_add_f16 v54, v54, v57
	v_add_f16_sdwa v54, v54, v54 dst_sel:DWORD dst_unused:UNUSED_PAD src0_sel:DWORD src1_sel:WORD_1
	v_add_f16_e32 v54, v54, v55
	flat_store_short v[22:23], v54
	s_or_b32 exec_lo, exec_lo, s12
	s_and_b32 s18, s4, s8
	s_and_saveexec_b32 s12, s18
	s_cbranch_execz .LBB247_120
.LBB247_139:
	v_cmp_ne_u32_e32 vcc_lo, 1, v59
	v_lshlrev_b64 v[22:23], 1, v[32:33]
	s_cbranch_vccnz .LBB247_141
; %bb.140:
	v_add_co_u32 v54, vcc_lo, v40, v22
	v_add_co_ci_u32_e64 v55, null, v41, v23, vcc_lo
	flat_load_ushort v54, v[54:55]
	s_waitcnt vmcnt(0) lgkmcnt(0)
	v_mul_f16_e32 v54, s15, v54
	s_branch .LBB247_142
.LBB247_141:
	v_mov_b32_e32 v54, 0
.LBB247_142:
	v_pk_max_f16 v55, v2, v2
	v_pk_max_f16 v56, v10, v10
	;; [unrolled: 1-line block ×4, first 2 shown]
	v_add_co_u32 v22, vcc_lo, v24, v22
	v_pk_min_f16 v55, v56, v55
	v_add_co_ci_u32_e64 v23, null, v25, v23, vcc_lo
	v_pk_min_f16 v56, v58, v57
	v_pk_add_f16 v53, v53, v55
	v_pk_add_f16 v53, v53, v56
	v_add_f16_sdwa v53, v53, v53 dst_sel:DWORD dst_unused:UNUSED_PAD src0_sel:DWORD src1_sel:WORD_1
	v_add_f16_e32 v53, v53, v54
	flat_store_short v[22:23], v53
	s_or_b32 exec_lo, exec_lo, s12
	s_and_b32 s18, s5, s8
	s_and_saveexec_b32 s12, s18
	s_cbranch_execz .LBB247_121
.LBB247_143:
	v_cmp_ne_u32_e32 vcc_lo, 1, v59
	v_lshlrev_b64 v[22:23], 1, v[34:35]
	s_cbranch_vccnz .LBB247_145
; %bb.144:
	v_add_co_u32 v53, vcc_lo, v40, v22
	v_add_co_ci_u32_e64 v54, null, v41, v23, vcc_lo
	flat_load_ushort v53, v[53:54]
	s_waitcnt vmcnt(0) lgkmcnt(0)
	v_mul_f16_e32 v53, s15, v53
	s_branch .LBB247_146
.LBB247_145:
	v_mov_b32_e32 v53, 0
.LBB247_146:
	v_pk_max_f16 v54, v2, v2
	v_pk_max_f16 v55, v12, v12
	;; [unrolled: 1-line block ×4, first 2 shown]
	v_add_co_u32 v22, vcc_lo, v24, v22
	v_pk_min_f16 v54, v55, v54
	v_add_co_ci_u32_e64 v23, null, v25, v23, vcc_lo
	v_pk_min_f16 v55, v57, v56
	v_pk_add_f16 v52, v52, v54
	v_pk_add_f16 v52, v52, v55
	v_add_f16_sdwa v52, v52, v52 dst_sel:DWORD dst_unused:UNUSED_PAD src0_sel:DWORD src1_sel:WORD_1
	v_add_f16_e32 v52, v52, v53
	flat_store_short v[22:23], v52
	s_or_b32 exec_lo, exec_lo, s12
	s_and_b32 s18, s6, s8
	s_and_saveexec_b32 s12, s18
	s_cbranch_execz .LBB247_122
.LBB247_147:
	v_cmp_ne_u32_e32 vcc_lo, 1, v59
	v_lshlrev_b64 v[22:23], 1, v[36:37]
	s_cbranch_vccnz .LBB247_149
; %bb.148:
	v_add_co_u32 v52, vcc_lo, v40, v22
	v_add_co_ci_u32_e64 v53, null, v41, v23, vcc_lo
	flat_load_ushort v52, v[52:53]
	s_waitcnt vmcnt(0) lgkmcnt(0)
	v_mul_f16_e32 v52, s15, v52
	s_branch .LBB247_150
.LBB247_149:
	v_mov_b32_e32 v52, 0
.LBB247_150:
	v_pk_max_f16 v53, v2, v2
	v_pk_max_f16 v54, v6, v6
	;; [unrolled: 1-line block ×4, first 2 shown]
	v_add_co_u32 v22, vcc_lo, v24, v22
	v_pk_min_f16 v53, v54, v53
	v_add_co_ci_u32_e64 v23, null, v25, v23, vcc_lo
	v_pk_min_f16 v54, v56, v55
	v_pk_add_f16 v51, v51, v53
	v_pk_add_f16 v51, v51, v54
	v_add_f16_sdwa v51, v51, v51 dst_sel:DWORD dst_unused:UNUSED_PAD src0_sel:DWORD src1_sel:WORD_1
	v_add_f16_e32 v51, v51, v52
	flat_store_short v[22:23], v51
	s_or_b32 exec_lo, exec_lo, s12
	s_and_b32 s12, s7, s8
	s_and_saveexec_b32 s8, s12
	s_cbranch_execz .LBB247_155
.LBB247_151:
	v_cmp_ne_u32_e32 vcc_lo, 1, v59
	v_lshlrev_b64 v[22:23], 1, v[38:39]
	s_cbranch_vccnz .LBB247_153
; %bb.152:
	v_add_co_u32 v40, vcc_lo, v40, v22
	v_add_co_ci_u32_e64 v41, null, v41, v23, vcc_lo
	flat_load_ushort v40, v[40:41]
	s_waitcnt vmcnt(0) lgkmcnt(0)
	v_mul_f16_e32 v40, s15, v40
	s_branch .LBB247_154
.LBB247_153:
	v_mov_b32_e32 v40, 0
.LBB247_154:
	v_pk_max_f16 v2, v2, v2
	v_pk_max_f16 v41, v8, v8
	;; [unrolled: 1-line block ×4, first 2 shown]
	v_pk_min_f16 v2, v41, v2
	v_pk_min_f16 v3, v51, v3
	v_pk_add_f16 v2, v50, v2
	v_pk_add_f16 v2, v2, v3
	v_add_f16_sdwa v2, v2, v2 dst_sel:DWORD dst_unused:UNUSED_PAD src0_sel:DWORD src1_sel:WORD_1
	v_add_f16_e32 v40, v2, v40
	v_add_co_u32 v2, vcc_lo, v24, v22
	v_add_co_ci_u32_e64 v3, null, v25, v23, vcc_lo
	flat_store_short v[2:3], v40
.LBB247_155:
	s_or_b32 exec_lo, exec_lo, s8
	v_add_nc_u32_e32 v24, 0x60, v67
	v_mad_i64_i32 v[2:3], null, v24, s14, 0
	v_mad_i64_i32 v[22:23], null, v24, s9, 0
	v_cmp_gt_i32_e64 s8, s13, v24
	v_lshlrev_b64 v[2:3], 1, v[2:3]
	s_and_b32 s9, s0, s8
	v_lshlrev_b64 v[24:25], 1, v[22:23]
	v_add_co_u32 v22, vcc_lo, s10, v2
	v_add_co_ci_u32_e64 v23, null, s11, v3, vcc_lo
	v_add_co_u32 v2, vcc_lo, s16, v24
	v_add_co_ci_u32_e64 v3, null, s17, v25, vcc_lo
	s_and_saveexec_b32 s0, s9
	s_cbranch_execnz .LBB247_164
; %bb.156:
	s_or_b32 exec_lo, exec_lo, s0
	s_and_b32 s1, s1, s8
	s_and_saveexec_b32 s0, s1
	s_cbranch_execnz .LBB247_168
.LBB247_157:
	s_or_b32 exec_lo, exec_lo, s0
	s_and_b32 s1, s2, s8
	s_and_saveexec_b32 s0, s1
	s_cbranch_execnz .LBB247_172
.LBB247_158:
	s_or_b32 exec_lo, exec_lo, s0
	s_and_b32 s1, s3, s8
	s_and_saveexec_b32 s0, s1
	s_cbranch_execnz .LBB247_176
.LBB247_159:
	s_or_b32 exec_lo, exec_lo, s0
	s_and_b32 s1, s4, s8
	s_and_saveexec_b32 s0, s1
	s_cbranch_execnz .LBB247_180
.LBB247_160:
	s_or_b32 exec_lo, exec_lo, s0
	s_and_b32 s1, s5, s8
	s_and_saveexec_b32 s0, s1
	s_cbranch_execnz .LBB247_184
.LBB247_161:
	s_or_b32 exec_lo, exec_lo, s0
	s_and_b32 s1, s6, s8
	s_and_saveexec_b32 s0, s1
	s_cbranch_execnz .LBB247_188
.LBB247_162:
	s_or_b32 exec_lo, exec_lo, s0
	s_and_b32 s0, s7, s8
	s_and_saveexec_b32 s1, s0
	s_cbranch_execnz .LBB247_192
.LBB247_163:
	s_endpgm
.LBB247_164:
	v_cmp_ne_u32_e32 vcc_lo, 1, v59
	v_lshlrev_b64 v[0:1], 1, v[0:1]
	s_cbranch_vccnz .LBB247_166
; %bb.165:
	v_add_co_u32 v24, vcc_lo, v22, v0
	v_add_co_ci_u32_e64 v25, null, v23, v1, vcc_lo
	flat_load_ushort v24, v[24:25]
	s_waitcnt vmcnt(0) lgkmcnt(0)
	v_mul_f16_e32 v24, s15, v24
	s_branch .LBB247_167
.LBB247_166:
	v_mov_b32_e32 v24, 0
.LBB247_167:
	v_pk_max_f16 v25, v4, v4
	v_pk_max_f16 v18, v18, v18
	;; [unrolled: 1-line block ×4, first 2 shown]
	v_add_co_u32 v0, vcc_lo, v2, v0
	v_pk_min_f16 v18, v18, v25
	v_add_co_ci_u32_e64 v1, null, v3, v1, vcc_lo
	v_pk_min_f16 v19, v19, v40
	v_pk_add_f16 v18, v49, v18
	v_pk_add_f16 v18, v18, v19
	v_add_f16_sdwa v18, v18, v18 dst_sel:DWORD dst_unused:UNUSED_PAD src0_sel:DWORD src1_sel:WORD_1
	v_add_f16_e32 v18, v18, v24
	flat_store_short v[0:1], v18
	s_or_b32 exec_lo, exec_lo, s0
	s_and_b32 s1, s1, s8
	s_and_saveexec_b32 s0, s1
	s_cbranch_execz .LBB247_157
.LBB247_168:
	v_cmp_ne_u32_e32 vcc_lo, 1, v59
	v_lshlrev_b64 v[0:1], 1, v[26:27]
	s_cbranch_vccnz .LBB247_170
; %bb.169:
	v_add_co_u32 v18, vcc_lo, v22, v0
	v_add_co_ci_u32_e64 v19, null, v23, v1, vcc_lo
	flat_load_ushort v18, v[18:19]
	s_waitcnt vmcnt(0) lgkmcnt(0)
	v_mul_f16_e32 v18, s15, v18
	s_branch .LBB247_171
.LBB247_170:
	v_mov_b32_e32 v18, 0
.LBB247_171:
	v_pk_max_f16 v19, v4, v4
	v_pk_max_f16 v20, v20, v20
	;; [unrolled: 1-line block ×4, first 2 shown]
	v_add_co_u32 v0, vcc_lo, v2, v0
	v_pk_min_f16 v19, v20, v19
	v_add_co_ci_u32_e64 v1, null, v3, v1, vcc_lo
	v_pk_min_f16 v20, v21, v24
	v_pk_add_f16 v19, v48, v19
	v_pk_add_f16 v19, v19, v20
	v_add_f16_sdwa v19, v19, v19 dst_sel:DWORD dst_unused:UNUSED_PAD src0_sel:DWORD src1_sel:WORD_1
	v_add_f16_e32 v18, v19, v18
	flat_store_short v[0:1], v18
	s_or_b32 exec_lo, exec_lo, s0
	s_and_b32 s1, s2, s8
	s_and_saveexec_b32 s0, s1
	s_cbranch_execz .LBB247_158
.LBB247_172:
	v_cmp_ne_u32_e32 vcc_lo, 1, v59
	v_lshlrev_b64 v[0:1], 1, v[28:29]
	s_cbranch_vccnz .LBB247_174
; %bb.173:
	v_add_co_u32 v18, vcc_lo, v22, v0
	v_add_co_ci_u32_e64 v19, null, v23, v1, vcc_lo
	flat_load_ushort v18, v[18:19]
	s_waitcnt vmcnt(0) lgkmcnt(0)
	v_mul_f16_e32 v18, s15, v18
	s_branch .LBB247_175
.LBB247_174:
	v_mov_b32_e32 v18, 0
.LBB247_175:
	v_pk_max_f16 v19, v4, v4
	v_pk_max_f16 v14, v14, v14
	;; [unrolled: 1-line block ×4, first 2 shown]
	v_add_co_u32 v0, vcc_lo, v2, v0
	v_pk_min_f16 v14, v14, v19
	v_add_co_ci_u32_e64 v1, null, v3, v1, vcc_lo
	v_pk_min_f16 v15, v15, v20
	v_pk_add_f16 v14, v47, v14
	v_pk_add_f16 v14, v14, v15
	v_add_f16_sdwa v14, v14, v14 dst_sel:DWORD dst_unused:UNUSED_PAD src0_sel:DWORD src1_sel:WORD_1
	v_add_f16_e32 v14, v14, v18
	flat_store_short v[0:1], v14
	s_or_b32 exec_lo, exec_lo, s0
	s_and_b32 s1, s3, s8
	s_and_saveexec_b32 s0, s1
	s_cbranch_execz .LBB247_159
.LBB247_176:
	v_cmp_ne_u32_e32 vcc_lo, 1, v59
	v_lshlrev_b64 v[0:1], 1, v[30:31]
	s_cbranch_vccnz .LBB247_178
; %bb.177:
	v_add_co_u32 v14, vcc_lo, v22, v0
	v_add_co_ci_u32_e64 v15, null, v23, v1, vcc_lo
	flat_load_ushort v14, v[14:15]
	s_waitcnt vmcnt(0) lgkmcnt(0)
	v_mul_f16_e32 v14, s15, v14
	s_branch .LBB247_179
.LBB247_178:
	v_mov_b32_e32 v14, 0
.LBB247_179:
	v_pk_max_f16 v15, v4, v4
	v_pk_max_f16 v16, v16, v16
	;; [unrolled: 1-line block ×4, first 2 shown]
	v_add_co_u32 v0, vcc_lo, v2, v0
	v_pk_min_f16 v15, v16, v15
	v_add_co_ci_u32_e64 v1, null, v3, v1, vcc_lo
	v_pk_min_f16 v16, v17, v18
	v_pk_add_f16 v15, v46, v15
	v_pk_add_f16 v15, v15, v16
	v_add_f16_sdwa v15, v15, v15 dst_sel:DWORD dst_unused:UNUSED_PAD src0_sel:DWORD src1_sel:WORD_1
	v_add_f16_e32 v14, v15, v14
	flat_store_short v[0:1], v14
	s_or_b32 exec_lo, exec_lo, s0
	s_and_b32 s1, s4, s8
	s_and_saveexec_b32 s0, s1
	s_cbranch_execz .LBB247_160
.LBB247_180:
	v_cmp_ne_u32_e32 vcc_lo, 1, v59
	v_lshlrev_b64 v[0:1], 1, v[32:33]
	s_cbranch_vccnz .LBB247_182
; %bb.181:
	v_add_co_u32 v14, vcc_lo, v22, v0
	v_add_co_ci_u32_e64 v15, null, v23, v1, vcc_lo
	flat_load_ushort v14, v[14:15]
	s_waitcnt vmcnt(0) lgkmcnt(0)
	v_mul_f16_e32 v14, s15, v14
	s_branch .LBB247_183
.LBB247_182:
	v_mov_b32_e32 v14, 0
.LBB247_183:
	v_pk_max_f16 v15, v4, v4
	v_pk_max_f16 v10, v10, v10
	;; [unrolled: 1-line block ×4, first 2 shown]
	v_add_co_u32 v0, vcc_lo, v2, v0
	v_pk_min_f16 v10, v10, v15
	v_add_co_ci_u32_e64 v1, null, v3, v1, vcc_lo
	v_pk_min_f16 v11, v11, v16
	v_pk_add_f16 v10, v45, v10
	v_pk_add_f16 v10, v10, v11
	v_add_f16_sdwa v10, v10, v10 dst_sel:DWORD dst_unused:UNUSED_PAD src0_sel:DWORD src1_sel:WORD_1
	v_add_f16_e32 v10, v10, v14
	flat_store_short v[0:1], v10
	s_or_b32 exec_lo, exec_lo, s0
	s_and_b32 s1, s5, s8
	s_and_saveexec_b32 s0, s1
	s_cbranch_execz .LBB247_161
.LBB247_184:
	v_cmp_ne_u32_e32 vcc_lo, 1, v59
	v_lshlrev_b64 v[0:1], 1, v[34:35]
	s_cbranch_vccnz .LBB247_186
; %bb.185:
	v_add_co_u32 v10, vcc_lo, v22, v0
	v_add_co_ci_u32_e64 v11, null, v23, v1, vcc_lo
	flat_load_ushort v10, v[10:11]
	s_waitcnt vmcnt(0) lgkmcnt(0)
	v_mul_f16_e32 v10, s15, v10
	s_branch .LBB247_187
.LBB247_186:
	v_mov_b32_e32 v10, 0
.LBB247_187:
	v_pk_max_f16 v11, v4, v4
	v_pk_max_f16 v12, v12, v12
	v_pk_max_f16 v14, v5, v5
	v_pk_max_f16 v13, v13, v13
	v_add_co_u32 v0, vcc_lo, v2, v0
	v_pk_min_f16 v11, v12, v11
	v_add_co_ci_u32_e64 v1, null, v3, v1, vcc_lo
	v_pk_min_f16 v12, v13, v14
	v_pk_add_f16 v11, v44, v11
	v_pk_add_f16 v11, v11, v12
	v_add_f16_sdwa v11, v11, v11 dst_sel:DWORD dst_unused:UNUSED_PAD src0_sel:DWORD src1_sel:WORD_1
	v_add_f16_e32 v10, v11, v10
	flat_store_short v[0:1], v10
	s_or_b32 exec_lo, exec_lo, s0
	s_and_b32 s1, s6, s8
	s_and_saveexec_b32 s0, s1
	s_cbranch_execz .LBB247_162
.LBB247_188:
	v_cmp_ne_u32_e32 vcc_lo, 1, v59
	v_lshlrev_b64 v[0:1], 1, v[36:37]
	s_cbranch_vccnz .LBB247_190
; %bb.189:
	v_add_co_u32 v10, vcc_lo, v22, v0
	v_add_co_ci_u32_e64 v11, null, v23, v1, vcc_lo
	flat_load_ushort v10, v[10:11]
	s_waitcnt vmcnt(0) lgkmcnt(0)
	v_mul_f16_e32 v10, s15, v10
	s_branch .LBB247_191
.LBB247_190:
	v_mov_b32_e32 v10, 0
.LBB247_191:
	v_pk_max_f16 v11, v4, v4
	v_pk_max_f16 v6, v6, v6
	;; [unrolled: 1-line block ×4, first 2 shown]
	v_add_co_u32 v0, vcc_lo, v2, v0
	v_pk_min_f16 v6, v6, v11
	v_add_co_ci_u32_e64 v1, null, v3, v1, vcc_lo
	v_pk_min_f16 v7, v7, v12
	v_pk_add_f16 v6, v43, v6
	v_pk_add_f16 v6, v6, v7
	v_add_f16_sdwa v6, v6, v6 dst_sel:DWORD dst_unused:UNUSED_PAD src0_sel:DWORD src1_sel:WORD_1
	v_add_f16_e32 v6, v6, v10
	flat_store_short v[0:1], v6
	s_or_b32 exec_lo, exec_lo, s0
	s_and_b32 s0, s7, s8
	s_and_saveexec_b32 s1, s0
	s_cbranch_execz .LBB247_163
.LBB247_192:
	v_cmp_ne_u32_e32 vcc_lo, 1, v59
	v_lshlrev_b64 v[0:1], 1, v[38:39]
	s_cbranch_vccnz .LBB247_194
; %bb.193:
	v_add_co_u32 v6, vcc_lo, v22, v0
	v_add_co_ci_u32_e64 v7, null, v23, v1, vcc_lo
	flat_load_ushort v6, v[6:7]
	s_waitcnt vmcnt(0) lgkmcnt(0)
	v_mul_f16_e32 v6, s15, v6
	s_branch .LBB247_195
.LBB247_194:
	v_mov_b32_e32 v6, 0
.LBB247_195:
	v_pk_max_f16 v4, v4, v4
	v_pk_max_f16 v7, v8, v8
	v_pk_max_f16 v5, v5, v5
	v_pk_max_f16 v8, v9, v9
	v_add_co_u32 v0, vcc_lo, v2, v0
	v_pk_min_f16 v4, v7, v4
	v_add_co_ci_u32_e64 v1, null, v3, v1, vcc_lo
	v_pk_min_f16 v5, v8, v5
	v_pk_add_f16 v4, v42, v4
	v_pk_add_f16 v4, v4, v5
	v_add_f16_sdwa v4, v4, v4 dst_sel:DWORD dst_unused:UNUSED_PAD src0_sel:DWORD src1_sel:WORD_1
	v_add_f16_e32 v4, v4, v6
	flat_store_short v[0:1], v4
	s_endpgm
	.section	.rodata,"a",@progbits
	.p2align	6, 0x0
	.amdhsa_kernel _ZN12_GLOBAL__N_120geam_min_plus_kernelIDF16_Dv2_DF16_S1_Li8ELi32ELi64ELi128ELi4ELi64ELi4ELi64ELi4ELc78ELc84ELb1ELb1ELb0EDF16_KPKDF16_KPDF16_EEviiiT16_PT17_ilS9_ilS7_S9_ilPT18_ili26rocblas_geam_ex_operation_
		.amdhsa_group_segment_fixed_size 3072
		.amdhsa_private_segment_fixed_size 0
		.amdhsa_kernarg_size 128
		.amdhsa_user_sgpr_count 6
		.amdhsa_user_sgpr_private_segment_buffer 1
		.amdhsa_user_sgpr_dispatch_ptr 0
		.amdhsa_user_sgpr_queue_ptr 0
		.amdhsa_user_sgpr_kernarg_segment_ptr 1
		.amdhsa_user_sgpr_dispatch_id 0
		.amdhsa_user_sgpr_flat_scratch_init 0
		.amdhsa_user_sgpr_private_segment_size 0
		.amdhsa_wavefront_size32 1
		.amdhsa_uses_dynamic_stack 0
		.amdhsa_system_sgpr_private_segment_wavefront_offset 0
		.amdhsa_system_sgpr_workgroup_id_x 1
		.amdhsa_system_sgpr_workgroup_id_y 0
		.amdhsa_system_sgpr_workgroup_id_z 1
		.amdhsa_system_sgpr_workgroup_info 0
		.amdhsa_system_vgpr_workitem_id 1
		.amdhsa_next_free_vgpr 127
		.amdhsa_next_free_sgpr 27
		.amdhsa_reserve_vcc 1
		.amdhsa_reserve_flat_scratch 0
		.amdhsa_float_round_mode_32 0
		.amdhsa_float_round_mode_16_64 0
		.amdhsa_float_denorm_mode_32 3
		.amdhsa_float_denorm_mode_16_64 3
		.amdhsa_dx10_clamp 1
		.amdhsa_ieee_mode 1
		.amdhsa_fp16_overflow 0
		.amdhsa_workgroup_processor_mode 1
		.amdhsa_memory_ordered 1
		.amdhsa_forward_progress 1
		.amdhsa_shared_vgpr_count 0
		.amdhsa_exception_fp_ieee_invalid_op 0
		.amdhsa_exception_fp_denorm_src 0
		.amdhsa_exception_fp_ieee_div_zero 0
		.amdhsa_exception_fp_ieee_overflow 0
		.amdhsa_exception_fp_ieee_underflow 0
		.amdhsa_exception_fp_ieee_inexact 0
		.amdhsa_exception_int_div_zero 0
	.end_amdhsa_kernel
	.section	.text._ZN12_GLOBAL__N_120geam_min_plus_kernelIDF16_Dv2_DF16_S1_Li8ELi32ELi64ELi128ELi4ELi64ELi4ELi64ELi4ELc78ELc84ELb1ELb1ELb0EDF16_KPKDF16_KPDF16_EEviiiT16_PT17_ilS9_ilS7_S9_ilPT18_ili26rocblas_geam_ex_operation_,"axG",@progbits,_ZN12_GLOBAL__N_120geam_min_plus_kernelIDF16_Dv2_DF16_S1_Li8ELi32ELi64ELi128ELi4ELi64ELi4ELi64ELi4ELc78ELc84ELb1ELb1ELb0EDF16_KPKDF16_KPDF16_EEviiiT16_PT17_ilS9_ilS7_S9_ilPT18_ili26rocblas_geam_ex_operation_,comdat
.Lfunc_end247:
	.size	_ZN12_GLOBAL__N_120geam_min_plus_kernelIDF16_Dv2_DF16_S1_Li8ELi32ELi64ELi128ELi4ELi64ELi4ELi64ELi4ELc78ELc84ELb1ELb1ELb0EDF16_KPKDF16_KPDF16_EEviiiT16_PT17_ilS9_ilS7_S9_ilPT18_ili26rocblas_geam_ex_operation_, .Lfunc_end247-_ZN12_GLOBAL__N_120geam_min_plus_kernelIDF16_Dv2_DF16_S1_Li8ELi32ELi64ELi128ELi4ELi64ELi4ELi64ELi4ELc78ELc84ELb1ELb1ELb0EDF16_KPKDF16_KPDF16_EEviiiT16_PT17_ilS9_ilS7_S9_ilPT18_ili26rocblas_geam_ex_operation_
                                        ; -- End function
	.set _ZN12_GLOBAL__N_120geam_min_plus_kernelIDF16_Dv2_DF16_S1_Li8ELi32ELi64ELi128ELi4ELi64ELi4ELi64ELi4ELc78ELc84ELb1ELb1ELb0EDF16_KPKDF16_KPDF16_EEviiiT16_PT17_ilS9_ilS7_S9_ilPT18_ili26rocblas_geam_ex_operation_.num_vgpr, 127
	.set _ZN12_GLOBAL__N_120geam_min_plus_kernelIDF16_Dv2_DF16_S1_Li8ELi32ELi64ELi128ELi4ELi64ELi4ELi64ELi4ELc78ELc84ELb1ELb1ELb0EDF16_KPKDF16_KPDF16_EEviiiT16_PT17_ilS9_ilS7_S9_ilPT18_ili26rocblas_geam_ex_operation_.num_agpr, 0
	.set _ZN12_GLOBAL__N_120geam_min_plus_kernelIDF16_Dv2_DF16_S1_Li8ELi32ELi64ELi128ELi4ELi64ELi4ELi64ELi4ELc78ELc84ELb1ELb1ELb0EDF16_KPKDF16_KPDF16_EEviiiT16_PT17_ilS9_ilS7_S9_ilPT18_ili26rocblas_geam_ex_operation_.numbered_sgpr, 27
	.set _ZN12_GLOBAL__N_120geam_min_plus_kernelIDF16_Dv2_DF16_S1_Li8ELi32ELi64ELi128ELi4ELi64ELi4ELi64ELi4ELc78ELc84ELb1ELb1ELb0EDF16_KPKDF16_KPDF16_EEviiiT16_PT17_ilS9_ilS7_S9_ilPT18_ili26rocblas_geam_ex_operation_.num_named_barrier, 0
	.set _ZN12_GLOBAL__N_120geam_min_plus_kernelIDF16_Dv2_DF16_S1_Li8ELi32ELi64ELi128ELi4ELi64ELi4ELi64ELi4ELc78ELc84ELb1ELb1ELb0EDF16_KPKDF16_KPDF16_EEviiiT16_PT17_ilS9_ilS7_S9_ilPT18_ili26rocblas_geam_ex_operation_.private_seg_size, 0
	.set _ZN12_GLOBAL__N_120geam_min_plus_kernelIDF16_Dv2_DF16_S1_Li8ELi32ELi64ELi128ELi4ELi64ELi4ELi64ELi4ELc78ELc84ELb1ELb1ELb0EDF16_KPKDF16_KPDF16_EEviiiT16_PT17_ilS9_ilS7_S9_ilPT18_ili26rocblas_geam_ex_operation_.uses_vcc, 1
	.set _ZN12_GLOBAL__N_120geam_min_plus_kernelIDF16_Dv2_DF16_S1_Li8ELi32ELi64ELi128ELi4ELi64ELi4ELi64ELi4ELc78ELc84ELb1ELb1ELb0EDF16_KPKDF16_KPDF16_EEviiiT16_PT17_ilS9_ilS7_S9_ilPT18_ili26rocblas_geam_ex_operation_.uses_flat_scratch, 0
	.set _ZN12_GLOBAL__N_120geam_min_plus_kernelIDF16_Dv2_DF16_S1_Li8ELi32ELi64ELi128ELi4ELi64ELi4ELi64ELi4ELc78ELc84ELb1ELb1ELb0EDF16_KPKDF16_KPDF16_EEviiiT16_PT17_ilS9_ilS7_S9_ilPT18_ili26rocblas_geam_ex_operation_.has_dyn_sized_stack, 0
	.set _ZN12_GLOBAL__N_120geam_min_plus_kernelIDF16_Dv2_DF16_S1_Li8ELi32ELi64ELi128ELi4ELi64ELi4ELi64ELi4ELc78ELc84ELb1ELb1ELb0EDF16_KPKDF16_KPDF16_EEviiiT16_PT17_ilS9_ilS7_S9_ilPT18_ili26rocblas_geam_ex_operation_.has_recursion, 0
	.set _ZN12_GLOBAL__N_120geam_min_plus_kernelIDF16_Dv2_DF16_S1_Li8ELi32ELi64ELi128ELi4ELi64ELi4ELi64ELi4ELc78ELc84ELb1ELb1ELb0EDF16_KPKDF16_KPDF16_EEviiiT16_PT17_ilS9_ilS7_S9_ilPT18_ili26rocblas_geam_ex_operation_.has_indirect_call, 0
	.section	.AMDGPU.csdata,"",@progbits
; Kernel info:
; codeLenInByte = 11992
; TotalNumSgprs: 29
; NumVgprs: 127
; ScratchSize: 0
; MemoryBound: 0
; FloatMode: 240
; IeeeMode: 1
; LDSByteSize: 3072 bytes/workgroup (compile time only)
; SGPRBlocks: 0
; VGPRBlocks: 15
; NumSGPRsForWavesPerEU: 29
; NumVGPRsForWavesPerEU: 127
; Occupancy: 8
; WaveLimiterHint : 1
; COMPUTE_PGM_RSRC2:SCRATCH_EN: 0
; COMPUTE_PGM_RSRC2:USER_SGPR: 6
; COMPUTE_PGM_RSRC2:TRAP_HANDLER: 0
; COMPUTE_PGM_RSRC2:TGID_X_EN: 1
; COMPUTE_PGM_RSRC2:TGID_Y_EN: 0
; COMPUTE_PGM_RSRC2:TGID_Z_EN: 1
; COMPUTE_PGM_RSRC2:TIDIG_COMP_CNT: 1
	.section	.text._ZN12_GLOBAL__N_120geam_min_plus_kernelIDF16_Dv2_DF16_S1_Li8ELi32ELi64ELi128ELi4ELi64ELi4ELi64ELi4ELc78ELc84ELb0ELb1ELb0EDF16_KPKDF16_KPDF16_EEviiiT16_PT17_ilS9_ilS7_S9_ilPT18_ili26rocblas_geam_ex_operation_,"axG",@progbits,_ZN12_GLOBAL__N_120geam_min_plus_kernelIDF16_Dv2_DF16_S1_Li8ELi32ELi64ELi128ELi4ELi64ELi4ELi64ELi4ELc78ELc84ELb0ELb1ELb0EDF16_KPKDF16_KPDF16_EEviiiT16_PT17_ilS9_ilS7_S9_ilPT18_ili26rocblas_geam_ex_operation_,comdat
	.globl	_ZN12_GLOBAL__N_120geam_min_plus_kernelIDF16_Dv2_DF16_S1_Li8ELi32ELi64ELi128ELi4ELi64ELi4ELi64ELi4ELc78ELc84ELb0ELb1ELb0EDF16_KPKDF16_KPDF16_EEviiiT16_PT17_ilS9_ilS7_S9_ilPT18_ili26rocblas_geam_ex_operation_ ; -- Begin function _ZN12_GLOBAL__N_120geam_min_plus_kernelIDF16_Dv2_DF16_S1_Li8ELi32ELi64ELi128ELi4ELi64ELi4ELi64ELi4ELc78ELc84ELb0ELb1ELb0EDF16_KPKDF16_KPDF16_EEviiiT16_PT17_ilS9_ilS7_S9_ilPT18_ili26rocblas_geam_ex_operation_
	.p2align	8
	.type	_ZN12_GLOBAL__N_120geam_min_plus_kernelIDF16_Dv2_DF16_S1_Li8ELi32ELi64ELi128ELi4ELi64ELi4ELi64ELi4ELc78ELc84ELb0ELb1ELb0EDF16_KPKDF16_KPDF16_EEviiiT16_PT17_ilS9_ilS7_S9_ilPT18_ili26rocblas_geam_ex_operation_,@function
_ZN12_GLOBAL__N_120geam_min_plus_kernelIDF16_Dv2_DF16_S1_Li8ELi32ELi64ELi128ELi4ELi64ELi4ELi64ELi4ELc78ELc84ELb0ELb1ELb0EDF16_KPKDF16_KPDF16_EEviiiT16_PT17_ilS9_ilS7_S9_ilPT18_ili26rocblas_geam_ex_operation_: ; @_ZN12_GLOBAL__N_120geam_min_plus_kernelIDF16_Dv2_DF16_S1_Li8ELi32ELi64ELi128ELi4ELi64ELi4ELi64ELi4ELc78ELc84ELb0ELb1ELb0EDF16_KPKDF16_KPDF16_EEviiiT16_PT17_ilS9_ilS7_S9_ilPT18_ili26rocblas_geam_ex_operation_
; %bb.0:
	s_clause 0x1
	s_load_dwordx4 s[12:15], s[4:5], 0x0
	s_load_dwordx4 s[0:3], s[4:5], 0x20
	s_mov_b32 s18, s7
	s_mov_b32 s19, 0
	s_waitcnt lgkmcnt(0)
	v_cmp_eq_f16_e64 s7, s15, 0
	v_cmp_neq_f16_e64 s24, s15, 0
	s_and_b32 vcc_lo, exec_lo, s7
	s_cbranch_vccnz .LBB248_3
; %bb.1:
	s_load_dwordx2 s[8:9], s[4:5], 0x10
	s_lshl_b64 s[10:11], s[18:19], 3
	s_waitcnt lgkmcnt(0)
	s_add_u32 s8, s8, s10
	s_addc_u32 s9, s9, s11
	s_lshl_b64 s[0:1], s[0:1], 1
	s_load_dwordx2 s[8:9], s[8:9], 0x0
	s_waitcnt lgkmcnt(0)
	s_add_u32 s16, s8, s0
	s_addc_u32 s17, s9, s1
	s_andn2_b32 vcc_lo, exec_lo, s7
	s_cbranch_vccnz .LBB248_4
.LBB248_2:
	s_mov_b32 s21, 0
	s_mov_b32 s20, s18
	;; [unrolled: 1-line block ×3, first 2 shown]
	s_mov_b64 s[10:11], 0
	s_andn2_b32 vcc_lo, exec_lo, s0
	s_mov_b64 s[8:9], 0
	s_cbranch_vccz .LBB248_5
	s_branch .LBB248_6
.LBB248_3:
	s_mov_b64 s[16:17], 0
	s_andn2_b32 vcc_lo, exec_lo, s7
	s_cbranch_vccz .LBB248_2
.LBB248_4:
	s_mov_b64 s[20:21], s[18:19]
	s_mov_b64 s[10:11], 0
	;; [unrolled: 1-line block ×3, first 2 shown]
.LBB248_5:
	s_lshl_b64 s[0:1], s[18:19], 3
	s_load_dwordx2 s[8:9], s[4:5], 0x38
	s_add_u32 s0, s2, s0
	s_addc_u32 s1, s3, s1
	s_load_dwordx2 s[0:1], s[0:1], 0x0
	s_waitcnt lgkmcnt(0)
	s_lshl_b64 s[2:3], s[8:9], 1
	s_add_u32 s8, s0, s2
	s_addc_u32 s9, s1, s3
.LBB248_6:
	s_clause 0x1
	s_load_dword s22, s[4:5], 0x40
	s_load_dwordx4 s[0:3], s[4:5], 0x58
	s_waitcnt lgkmcnt(0)
	v_cmp_eq_f16_e64 s7, s22, 0
	v_cmp_neq_f16_e64 s23, s22, 0
	s_and_b32 vcc_lo, exec_lo, s7
	s_cbranch_vccnz .LBB248_8
; %bb.7:
	s_load_dwordx2 s[10:11], s[4:5], 0x48
	s_lshl_b64 s[18:19], s[20:21], 3
	s_waitcnt lgkmcnt(0)
	s_add_u32 s10, s10, s18
	s_addc_u32 s11, s11, s19
	s_lshl_b64 s[0:1], s[0:1], 1
	s_load_dwordx2 s[10:11], s[10:11], 0x0
	s_waitcnt lgkmcnt(0)
	s_add_u32 s10, s10, s0
	s_addc_u32 s11, s11, s1
.LBB248_8:
	s_load_dword s18, s[4:5], 0x18
	s_lshl_b64 s[0:1], s[20:21], 3
	v_lshl_add_u32 v3, v1, 3, v0
	v_mov_b32_e32 v10, 0
	v_mov_b32_e32 v11, 0
	v_and_b32_e32 v9, 63, v3
	v_lshrrev_b32_e32 v32, 6, v3
	s_waitcnt lgkmcnt(0)
	s_ashr_i32 s19, s18, 31
	s_add_u32 s20, s2, s0
	s_addc_u32 s21, s3, s1
	s_add_i32 s0, s12, -1
	s_ashr_i32 s1, s0, 31
	s_lshr_b32 s1, s1, 26
	s_add_i32 s0, s0, s1
	s_ashr_i32 s0, s0, 6
	s_add_i32 s2, s0, 1
	s_not_b32 s0, s0
	v_cvt_f32_u32_e32 v2, s2
	v_rcp_iflag_f32_e32 v2, v2
	v_mul_f32_e32 v2, 0x4f7ffffe, v2
	v_cvt_u32_f32_e32 v2, v2
	v_readfirstlane_b32 s1, v2
	s_mul_i32 s0, s0, s1
	s_mul_hi_u32 s0, s1, s0
	s_add_i32 s1, s1, s0
	s_mul_hi_u32 s0, s6, s1
	s_mul_i32 s1, s0, s2
	s_add_i32 s3, s0, 1
	s_sub_i32 s1, s6, s1
	s_sub_i32 s7, s1, s2
	s_cmp_ge_u32 s1, s2
	s_cselect_b32 s0, s3, s0
	s_cselect_b32 s1, s7, s1
	s_add_i32 s3, s0, 1
	s_cmp_ge_u32 s1, s2
	s_cselect_b32 s1, s3, s0
	s_mul_i32 s0, s1, s2
	s_sub_i32 s0, s6, s0
	s_lshl_b32 s25, s0, 6
	v_cmp_gt_i32_e64 s0, s14, v32
	v_or_b32_e32 v2, s25, v9
	v_cmp_gt_i32_e32 vcc_lo, s12, v2
	v_ashrrev_i32_e32 v3, 31, v2
	s_and_b32 s0, s0, vcc_lo
	s_and_b32 s0, s24, s0
	s_and_saveexec_b32 s2, s0
	s_cbranch_execz .LBB248_10
; %bb.9:
	v_mad_i64_i32 v[4:5], null, s18, v32, 0
	v_lshlrev_b64 v[6:7], 1, v[2:3]
	v_lshlrev_b64 v[4:5], 1, v[4:5]
	v_add_co_u32 v4, s0, s16, v4
	v_add_co_ci_u32_e64 v5, null, s17, v5, s0
	v_add_co_u32 v4, s0, v4, v6
	v_add_co_ci_u32_e64 v5, null, v5, v7, s0
	flat_load_ushort v4, v[4:5]
	s_waitcnt vmcnt(0) lgkmcnt(0)
	v_mul_f16_e32 v11, s15, v4
.LBB248_10:
	s_or_b32 exec_lo, exec_lo, s2
	s_load_dword s27, s[4:5], 0x30
	s_add_i32 s28, s14, -1
	s_lshl_b32 s26, s1, 7
	v_min_i32_e32 v4, s28, v32
	v_cmp_le_i32_e64 s2, s14, v32
	s_xor_b32 s29, s24, -1
	s_waitcnt lgkmcnt(0)
	v_mad_i64_i32 v[5:6], null, s27, v4, 0
	v_or_b32_e32 v4, s26, v9
	v_cmp_le_i32_e64 s0, s13, v4
	v_lshlrev_b64 v[5:6], 1, v[5:6]
	s_or_b32 s3, s2, s0
	v_add_co_u32 v7, s1, s8, v5
	v_add_co_ci_u32_e64 v8, null, s9, v6, s1
	v_ashrrev_i32_e32 v5, 31, v4
	s_nor_b32 s1, s3, s29
	s_and_saveexec_b32 s3, s1
	s_cbranch_execz .LBB248_12
; %bb.11:
	v_lshlrev_b64 v[12:13], 1, v[4:5]
	v_add_co_u32 v12, s1, v7, v12
	v_add_co_ci_u32_e64 v13, null, v8, v13, s1
	flat_load_ushort v6, v[12:13]
	s_waitcnt vmcnt(0) lgkmcnt(0)
	v_mul_f16_e32 v10, s15, v6
.LBB248_12:
	s_or_b32 exec_lo, exec_lo, s3
	v_or_b32_e32 v6, 64, v4
	v_mov_b32_e32 v12, 0
	v_cmp_le_i32_e64 s1, s13, v6
	v_mov_b32_e32 v6, 0
	s_or_b32 s2, s2, s1
	s_nor_b32 s2, s2, s29
	s_and_saveexec_b32 s3, s2
	s_cbranch_execz .LBB248_14
; %bb.13:
	v_lshlrev_b64 v[12:13], 1, v[4:5]
	v_add_co_u32 v7, s2, v7, v12
	v_add_co_ci_u32_e64 v8, null, v8, v13, s2
	flat_load_ushort v7, v[7:8] offset:128
	s_waitcnt vmcnt(0) lgkmcnt(0)
	v_mul_f16_e32 v12, s15, v7
.LBB248_14:
	s_or_b32 exec_lo, exec_lo, s3
	v_add_nc_u32_e32 v7, 4, v32
	v_cmp_gt_i32_e64 s2, s14, v7
	s_and_b32 s2, vcc_lo, s2
	s_and_b32 s2, s24, s2
	s_and_saveexec_b32 s3, s2
	s_cbranch_execz .LBB248_16
; %bb.15:
	v_mad_u64_u32 v[13:14], null, s18, v7, 0
	v_mov_b32_e32 v6, v14
	v_mad_u64_u32 v[14:15], null, s19, v7, v[6:7]
	v_lshlrev_b64 v[15:16], 1, v[2:3]
	v_lshlrev_b64 v[13:14], 1, v[13:14]
	v_add_co_u32 v6, s2, s16, v13
	v_add_co_ci_u32_e64 v8, null, s17, v14, s2
	v_add_co_u32 v13, s2, v6, v15
	v_add_co_ci_u32_e64 v14, null, v8, v16, s2
	flat_load_ushort v6, v[13:14]
	s_waitcnt vmcnt(0) lgkmcnt(0)
	v_mul_f16_e32 v6, s15, v6
.LBB248_16:
	s_or_b32 exec_lo, exec_lo, s3
	v_min_i32_e32 v8, s28, v7
	v_cmp_le_i32_e64 s2, s14, v7
	v_mov_b32_e32 v7, 0
	v_mad_i64_i32 v[13:14], null, s27, v8, 0
	v_mov_b32_e32 v8, 0
	v_lshlrev_b64 v[13:14], 1, v[13:14]
	v_add_co_u32 v13, s3, s8, v13
	v_add_co_ci_u32_e64 v14, null, s9, v14, s3
	s_or_b32 s3, s0, s2
	s_nor_b32 s3, s3, s29
	s_and_saveexec_b32 s6, s3
	s_cbranch_execz .LBB248_18
; %bb.17:
	v_lshlrev_b64 v[15:16], 1, v[4:5]
	v_add_co_u32 v15, s3, v13, v15
	v_add_co_ci_u32_e64 v16, null, v14, v16, s3
	flat_load_ushort v8, v[15:16]
	s_waitcnt vmcnt(0) lgkmcnt(0)
	v_mul_f16_e32 v8, s15, v8
.LBB248_18:
	s_or_b32 exec_lo, exec_lo, s6
	s_or_b32 s2, s1, s2
	s_nor_b32 s2, s2, s29
	s_and_saveexec_b32 s3, s2
	s_cbranch_execz .LBB248_20
; %bb.19:
	v_lshlrev_b64 v[15:16], 1, v[4:5]
	v_add_co_u32 v13, s2, v13, v15
	v_add_co_ci_u32_e64 v14, null, v14, v16, s2
	flat_load_ushort v7, v[13:14] offset:128
	s_waitcnt vmcnt(0) lgkmcnt(0)
	v_mul_f16_e32 v7, s15, v7
.LBB248_20:
	s_or_b32 exec_lo, exec_lo, s3
	v_lshlrev_b32_e32 v9, 3, v9
	v_lshlrev_b32_e32 v34, 3, v0
	;; [unrolled: 1-line block ×3, first 2 shown]
	s_load_dwordx2 s[6:7], s[20:21], 0x0
	s_mov_b32 s20, 0
	v_lshl_add_u32 v35, v32, 1, v9
	v_add_nc_u32_e32 v29, 0x800, v34
	s_cmp_lt_i32 s14, 9
	ds_write_b16 v35, v11 offset:2048
	ds_write_b16 v35, v10
	ds_write_b16 v35, v12 offset:512
	s_waitcnt lgkmcnt(0)
	s_barrier
	buffer_gl0_inv
	ds_read2_b64 v[9:12], v33 offset1:32
	ds_read2_b64 v[13:16], v29 offset0:48 offset1:56
	ds_read2_b64 v[17:20], v33 offset0:64 offset1:96
	ds_read2_b64 v[21:24], v29 offset1:8
	ds_read2_b64 v[25:28], v29 offset0:16 offset1:24
	ds_read2_b64 v[37:40], v29 offset0:32 offset1:40
	ds_write_b16 v35, v6 offset:2560
	ds_write_b16 v35, v8 offset:1024
	;; [unrolled: 1-line block ×3, first 2 shown]
	s_waitcnt lgkmcnt(0)
	s_barrier
	buffer_gl0_inv
	v_pk_max_f16 v9, v9, v9
	v_pk_max_f16 v15, v15, v15
	;; [unrolled: 1-line block ×6, first 2 shown]
	v_pk_min_f16 v29, v15, v9
	v_pk_max_f16 v21, v21, v21
	v_pk_max_f16 v19, v19, v19
	v_pk_max_f16 v23, v23, v23
	v_pk_max_f16 v25, v25, v25
	v_pk_min_f16 v30, v15, v11
	v_pk_max_f16 v27, v27, v27
	v_pk_max_f16 v37, v37, v37
	;; [unrolled: 1-line block ×5, first 2 shown]
	v_pk_add_f16 v29, v29, 0
	v_pk_min_f16 v50, v16, v10
	v_pk_min_f16 v31, v15, v17
	v_pk_min_f16 v36, v21, v9
	v_pk_min_f16 v41, v21, v11
	v_pk_min_f16 v42, v21, v17
	v_pk_min_f16 v21, v21, v19
	v_pk_min_f16 v43, v23, v9
	v_pk_min_f16 v44, v23, v11
	v_pk_min_f16 v45, v23, v17
	v_pk_min_f16 v23, v23, v19
	v_pk_min_f16 v46, v25, v9
	v_pk_min_f16 v47, v25, v11
	v_pk_min_f16 v48, v25, v17
	v_pk_min_f16 v25, v25, v19
	v_pk_min_f16 v49, v27, v9
	v_pk_min_f16 v51, v27, v11
	v_pk_min_f16 v52, v27, v17
	v_pk_min_f16 v27, v27, v19
	v_pk_min_f16 v53, v37, v9
	v_pk_min_f16 v54, v37, v11
	v_pk_min_f16 v55, v37, v17
	v_pk_max_f16 v18, v18, v18
	v_pk_max_f16 v20, v20, v20
	v_pk_min_f16 v37, v37, v19
	v_pk_max_f16 v22, v22, v22
	v_pk_min_f16 v56, v39, v9
	v_pk_min_f16 v59, v39, v11
	;; [unrolled: 1-line block ×9, first 2 shown]
	v_pk_add_f16 v68, v29, v50
	v_pk_add_f16 v19, v30, 0
	v_pk_min_f16 v29, v16, v12
	v_pk_max_f16 v24, v24, v24
	v_pk_min_f16 v57, v22, v10
	v_pk_min_f16 v61, v22, v12
	;; [unrolled: 1-line block ×3, first 2 shown]
	v_pk_add_f16 v58, v19, v29
	v_pk_add_f16 v19, v21, 0
	v_pk_min_f16 v22, v22, v20
	v_pk_add_f16 v41, v41, 0
	v_pk_add_f16 v21, v43, 0
	;; [unrolled: 1-line block ×5, first 2 shown]
	v_pk_min_f16 v19, v24, v10
	v_pk_min_f16 v31, v16, v18
	v_pk_add_f16 v66, v41, v61
	v_pk_add_f16 v29, v44, 0
	;; [unrolled: 1-line block ×4, first 2 shown]
	v_pk_min_f16 v19, v24, v12
	v_pk_add_f16 v50, v30, v31
	v_pk_add_f16 v30, v45, 0
	;; [unrolled: 1-line block ×5, first 2 shown]
	v_pk_min_f16 v19, v24, v18
	v_pk_add_f16 v23, v23, 0
	v_pk_add_f16 v25, v25, 0
	;; [unrolled: 1-line block ×3, first 2 shown]
	v_pk_min_f16 v24, v24, v20
	v_pk_add_f16 v56, v30, v19
	v_pk_max_f16 v19, v26, v26
	v_pk_max_f16 v26, v28, v28
	v_pk_add_f16 v69, v36, v57
	v_pk_add_f16 v57, v42, v62
	;; [unrolled: 1-line block ×3, first 2 shown]
	v_pk_min_f16 v28, v19, v10
	v_pk_min_f16 v30, v19, v12
	;; [unrolled: 1-line block ×4, first 2 shown]
	v_pk_add_f16 v42, v48, 0
	v_pk_add_f16 v44, v51, 0
	;; [unrolled: 1-line block ×6, first 2 shown]
	v_pk_min_f16 v19, v26, v10
	v_pk_min_f16 v23, v26, v12
	;; [unrolled: 1-line block ×4, first 2 shown]
	v_pk_max_f16 v26, v38, v38
	v_pk_add_f16 v31, v46, 0
	v_pk_add_f16 v27, v53, 0
	;; [unrolled: 1-line block ×9, first 2 shown]
	v_pk_min_f16 v19, v26, v10
	v_pk_min_f16 v22, v26, v12
	v_pk_min_f16 v23, v26, v18
	v_pk_min_f16 v24, v26, v20
	v_pk_max_f16 v25, v40, v40
	v_pk_max_f16 v14, v14, v14
	v_pk_add_f16 v59, v59, 0
	v_pk_add_f16 v60, v60, 0
	;; [unrolled: 1-line block ×13, first 2 shown]
	v_pk_min_f16 v19, v25, v10
	v_pk_min_f16 v21, v25, v12
	;; [unrolled: 1-line block ×9, first 2 shown]
	v_pk_add_f16 v39, v31, v28
	v_pk_add_f16 v38, v61, v19
	v_pk_add_f16 v61, v59, v21
	v_pk_add_f16 v52, v60, v22
	v_pk_add_f16 v44, v29, v23
	v_pk_add_f16 v40, v9, v10
	v_pk_add_f16 v60, v11, v12
	v_pk_add_f16 v51, v17, v18
	v_pk_add_f16 v43, v13, v14
	v_pk_add_f16 v42, v15, v16
	s_cbranch_scc1 .LBB248_35
; %bb.21:
	v_add_nc_u32_e32 v6, v33, v0
	v_lshlrev_b64 v[2:3], 1, v[2:3]
	v_lshlrev_b64 v[30:31], 1, v[4:5]
	v_or_b32_e32 v59, 0x800, v35
	v_or_b32_e32 v67, 0x800, v34
	v_lshrrev_b32_e32 v6, 6, v6
	v_add_nc_u32_e32 v70, 0xa00, v35
	v_add_co_u32 v73, s2, s16, v2
	v_or_b32_e32 v71, 0x400, v35
	v_add_nc_u32_e32 v7, 12, v6
	v_add_nc_u32_e32 v8, 8, v6
	v_lshl_add_u32 v72, v0, 3, 0xa00
	v_add_co_ci_u32_e64 v74, null, s17, v3, s2
	v_mad_i64_i32 v[6:7], null, v7, s18, 0
	v_mad_i64_i32 v[8:9], null, v8, s18, 0
	v_add_nc_u32_e32 v75, 0x400, v33
	s_add_i32 s21, s14, -8
	s_lshl_b64 s[16:17], s[18:19], 4
	v_lshlrev_b64 v[26:27], 1, v[6:7]
	v_lshlrev_b64 v[28:29], 1, v[8:9]
	s_branch .LBB248_23
.LBB248_22:                             ;   in Loop: Header=BB248_23 Depth=1
	s_or_b32 exec_lo, exec_lo, s3
	v_pk_max_f16 v4, v4, v4
	v_pk_max_f16 v22, v22, v22
	;; [unrolled: 1-line block ×7, first 2 shown]
	v_pk_min_f16 v79, v4, v22
	v_pk_min_f16 v80, v4, v24
	;; [unrolled: 1-line block ×3, first 2 shown]
	v_pk_max_f16 v16, v16, v16
	v_pk_min_f16 v88, v10, v22
	v_pk_max_f16 v12, v12, v12
	v_pk_min_f16 v89, v10, v24
	v_pk_min_f16 v90, v10, v18
	;; [unrolled: 1-line block ×3, first 2 shown]
	v_pk_max_f16 v6, v6, v6
	v_pk_max_f16 v23, v23, v23
	;; [unrolled: 1-line block ×15, first 2 shown]
	v_pk_min_f16 v82, v14, v22
	v_pk_min_f16 v83, v14, v24
	;; [unrolled: 1-line block ×57, first 2 shown]
	v_pk_add_f16 v3, v68, v79
	v_pk_add_f16 v5, v58, v80
	;; [unrolled: 1-line block ×17, first 2 shown]
	ds_read2_b64 v[2:5], v67 offset0:48 offset1:56
	ds_read2_b64 v[6:9], v33 offset1:32
	v_pk_add_f16 v65, v10, v11
	ds_read2_b64 v[10:13], v33 offset0:64 offset1:96
	v_pk_add_f16 v48, v64, v89
	v_pk_add_f16 v47, v63, v92
	;; [unrolled: 1-line block ×4, first 2 shown]
	ds_read2_b64 v[14:17], v67 offset1:8
	v_pk_add_f16 v58, v69, v82
	v_pk_add_f16 v66, v66, v83
	;; [unrolled: 1-line block ×10, first 2 shown]
	ds_read2_b64 v[18:21], v67 offset0:16 offset1:24
	s_waitcnt lgkmcnt(4)
	v_pk_max_f16 v4, v4, v4
	s_waitcnt lgkmcnt(3)
	v_pk_max_f16 v6, v6, v6
	v_pk_max_f16 v8, v8, v8
	s_waitcnt lgkmcnt(2)
	v_pk_max_f16 v10, v10, v10
	v_pk_add_f16 v57, v57, v101
	v_pk_max_f16 v12, v12, v12
	v_pk_min_f16 v22, v4, v6
	v_pk_min_f16 v23, v4, v8
	;; [unrolled: 1-line block ×3, first 2 shown]
	s_waitcnt lgkmcnt(1)
	v_pk_max_f16 v14, v14, v14
	v_pk_max_f16 v16, v16, v16
	v_pk_add_f16 v43, v43, v22
	v_pk_add_f16 v51, v51, v23
	;; [unrolled: 1-line block ×3, first 2 shown]
	v_pk_min_f16 v22, v14, v6
	v_pk_min_f16 v23, v14, v8
	;; [unrolled: 1-line block ×4, first 2 shown]
	v_pk_add_f16 v41, v41, v85
	v_pk_add_f16 v79, v58, v22
	;; [unrolled: 1-line block ×4, first 2 shown]
	ds_read2_b64 v[22:25], v67 offset0:32 offset1:40
	v_pk_add_f16 v39, v39, v88
	v_pk_add_f16 v49, v49, v103
	;; [unrolled: 1-line block ×3, first 2 shown]
	v_pk_min_f16 v63, v16, v8
	s_waitcnt lgkmcnt(1)
	v_pk_max_f16 v18, v18, v18
	v_pk_add_f16 v56, v56, v87
	v_pk_add_f16 v41, v41, v102
	;; [unrolled: 1-line block ×3, first 2 shown]
	v_pk_min_f16 v58, v16, v6
	v_pk_add_f16 v63, v49, v63
	v_pk_min_f16 v49, v18, v6
	v_pk_max_f16 v20, v20, v20
	v_pk_add_f16 v36, v36, v94
	v_pk_add_f16 v56, v56, v104
	;; [unrolled: 1-line block ×4, first 2 shown]
	v_pk_min_f16 v80, v16, v10
	v_pk_add_f16 v41, v41, v58
	v_pk_min_f16 v58, v18, v8
	v_pk_add_f16 v39, v39, v49
	v_pk_min_f16 v49, v20, v8
	s_waitcnt lgkmcnt(0)
	v_pk_max_f16 v22, v22, v22
	v_pk_add_f16 v37, v37, v91
	v_pk_add_f16 v62, v62, v95
	;; [unrolled: 1-line block ×6, first 2 shown]
	v_pk_min_f16 v48, v20, v6
	v_pk_min_f16 v58, v20, v10
	;; [unrolled: 1-line block ×3, first 2 shown]
	v_pk_add_f16 v81, v47, v49
	v_pk_min_f16 v47, v22, v6
	v_pk_add_f16 v37, v37, v108
	v_pk_add_f16 v62, v62, v113
	;; [unrolled: 1-line block ×3, first 2 shown]
	v_pk_min_f16 v16, v16, v12
	v_pk_add_f16 v20, v46, v20
	v_pk_min_f16 v46, v22, v8
	v_pk_max_f16 v24, v24, v24
	v_pk_add_f16 v36, v36, v47
	v_pk_min_f16 v47, v22, v10
	v_pk_min_f16 v22, v22, v12
	v_pk_max_f16 v2, v2, v2
	v_pk_max_f16 v5, v5, v5
	;; [unrolled: 1-line block ×3, first 2 shown]
	v_pk_add_f16 v54, v54, v93
	v_pk_add_f16 v40, v40, v120
	;; [unrolled: 1-line block ×3, first 2 shown]
	v_pk_min_f16 v64, v18, v10
	v_pk_min_f16 v18, v18, v12
	v_pk_add_f16 v37, v37, v48
	v_pk_add_f16 v62, v62, v46
	v_pk_min_f16 v46, v24, v6
	v_pk_min_f16 v48, v24, v8
	v_pk_add_f16 v22, v45, v22
	v_pk_min_f16 v45, v24, v10
	v_pk_min_f16 v24, v24, v12
	;; [unrolled: 1-line block ×6, first 2 shown]
	v_pk_max_f16 v9, v9, v9
	v_pk_min_f16 v4, v4, v12
	v_pk_max_f16 v11, v11, v11
	v_pk_min_f16 v12, v5, v7
	v_pk_add_f16 v54, v54, v110
	v_pk_add_f16 v8, v68, v8
	;; [unrolled: 1-line block ×3, first 2 shown]
	v_pk_min_f16 v40, v5, v9
	v_pk_add_f16 v4, v42, v4
	v_pk_min_f16 v42, v5, v11
	v_pk_max_f16 v15, v15, v15
	v_pk_add_f16 v68, v43, v12
	v_pk_max_f16 v12, v13, v13
	v_pk_add_f16 v55, v55, v90
	v_pk_add_f16 v61, v61, v98
	;; [unrolled: 1-line block ×5, first 2 shown]
	v_pk_min_f16 v13, v15, v7
	v_pk_min_f16 v40, v15, v9
	;; [unrolled: 1-line block ×4, first 2 shown]
	v_pk_max_f16 v17, v17, v17
	v_pk_add_f16 v53, v53, v96
	v_pk_add_f16 v55, v55, v107
	;; [unrolled: 1-line block ×6, first 2 shown]
	v_pk_min_f16 v13, v17, v7
	v_pk_min_f16 v14, v17, v9
	;; [unrolled: 1-line block ×4, first 2 shown]
	v_pk_max_f16 v19, v19, v19
	v_pk_add_f16 v38, v38, v97
	v_pk_add_f16 v53, v53, v114
	;; [unrolled: 1-line block ×9, first 2 shown]
	v_pk_min_f16 v13, v19, v7
	v_pk_min_f16 v14, v19, v9
	;; [unrolled: 1-line block ×4, first 2 shown]
	v_pk_max_f16 v17, v21, v21
	v_pk_add_f16 v52, v52, v99
	v_pk_add_f16 v38, v38, v116
	;; [unrolled: 1-line block ×7, first 2 shown]
	v_pk_min_f16 v13, v17, v7
	v_pk_min_f16 v14, v17, v9
	;; [unrolled: 1-line block ×4, first 2 shown]
	v_pk_max_f16 v17, v23, v23
	v_pk_add_f16 v52, v52, v118
	v_pk_add_f16 v44, v44, v119
	;; [unrolled: 1-line block ×7, first 2 shown]
	v_pk_min_f16 v13, v17, v7
	v_pk_min_f16 v14, v17, v9
	;; [unrolled: 1-line block ×4, first 2 shown]
	v_pk_max_f16 v17, v25, v25
	v_pk_max_f16 v3, v3, v3
	v_pk_add_f16 v52, v52, v45
	v_pk_add_f16 v24, v44, v24
	v_pk_add_f16 v6, v66, v6
	v_pk_add_f16 v36, v36, v13
	v_pk_add_f16 v62, v62, v14
	v_pk_add_f16 v53, v53, v15
	v_pk_add_f16 v45, v22, v16
	v_pk_min_f16 v13, v17, v7
	v_pk_min_f16 v14, v17, v9
	;; [unrolled: 1-line block ×9, first 2 shown]
	v_add_co_u32 v73, s2, v73, s16
	v_pk_add_f16 v66, v60, v40
	v_pk_add_f16 v57, v57, v42
	;; [unrolled: 1-line block ×11, first 2 shown]
	v_add_co_ci_u32_e64 v74, null, s17, v74, s2
	s_add_i32 s20, s20, 8
	ds_write_b16 v70, v76
	ds_write_b16 v71, v78
	ds_write_b16 v71, v77 offset:512
	s_cmp_ge_i32 s20, s21
	s_waitcnt lgkmcnt(0)
	s_barrier
	buffer_gl0_inv
	s_cbranch_scc1 .LBB248_35
.LBB248_23:                             ; =>This Inner Loop Header: Depth=1
	v_add_nc_u32_e32 v77, s20, v32
	v_mov_b32_e32 v78, 0
	v_mov_b32_e32 v79, 0
	v_add_nc_u32_e32 v2, 8, v77
	v_cmp_gt_i32_e64 s2, s14, v2
	s_and_b32 s2, vcc_lo, s2
	s_and_b32 s2, s24, s2
	s_and_saveexec_b32 s3, s2
	s_cbranch_execz .LBB248_25
; %bb.24:                               ;   in Loop: Header=BB248_23 Depth=1
	v_add_co_u32 v3, s2, v73, v28
	v_add_co_ci_u32_e64 v4, null, v74, v29, s2
	flat_load_ushort v3, v[3:4]
	s_waitcnt vmcnt(0) lgkmcnt(0)
	v_mul_f16_e32 v79, s15, v3
.LBB248_25:                             ;   in Loop: Header=BB248_23 Depth=1
	s_or_b32 exec_lo, exec_lo, s3
	v_min_i32_e32 v3, s28, v2
	v_cmp_le_i32_e64 s2, s14, v2
	v_mad_i64_i32 v[3:4], null, v3, s27, 0
	v_lshlrev_b64 v[3:4], 1, v[3:4]
	v_add_co_u32 v2, s3, s8, v3
	v_add_co_ci_u32_e64 v3, null, s9, v4, s3
	s_or_b32 s3, s0, s2
	s_nor_b32 s3, s3, s29
	s_and_saveexec_b32 s18, s3
	s_cbranch_execz .LBB248_27
; %bb.26:                               ;   in Loop: Header=BB248_23 Depth=1
	v_add_co_u32 v4, s3, v2, v30
	v_add_co_ci_u32_e64 v5, null, v3, v31, s3
	flat_load_ushort v4, v[4:5]
	s_waitcnt vmcnt(0) lgkmcnt(0)
	v_mul_f16_e32 v78, s15, v4
.LBB248_27:                             ;   in Loop: Header=BB248_23 Depth=1
	s_or_b32 exec_lo, exec_lo, s18
	v_mov_b32_e32 v76, 0
	v_mov_b32_e32 v80, 0
	s_or_b32 s2, s1, s2
	s_nor_b32 s2, s2, s29
	s_and_saveexec_b32 s3, s2
	s_cbranch_execz .LBB248_29
; %bb.28:                               ;   in Loop: Header=BB248_23 Depth=1
	v_add_co_u32 v2, s2, v2, v30
	v_add_co_ci_u32_e64 v3, null, v3, v31, s2
	flat_load_ushort v2, v[2:3] offset:128
	s_waitcnt vmcnt(0) lgkmcnt(0)
	v_mul_f16_e32 v80, s15, v2
.LBB248_29:                             ;   in Loop: Header=BB248_23 Depth=1
	s_or_b32 exec_lo, exec_lo, s3
	ds_read2_b64 v[2:5], v72 offset0:48 offset1:56
	ds_read2_b64 v[18:21], v75 offset0:64 offset1:96
	ds_read2_b64 v[22:25], v75 offset1:32
	ds_read2_b64 v[14:17], v72 offset1:8
	ds_read2_b64 v[10:13], v72 offset0:16 offset1:24
	ds_read2_b64 v[6:9], v72 offset0:32 offset1:40
	v_add_nc_u32_e32 v77, 12, v77
	ds_write_b16 v59, v79
	ds_write_b16 v35, v78
	ds_write_b16 v35, v80 offset:512
	s_waitcnt lgkmcnt(0)
	s_barrier
	buffer_gl0_inv
	v_cmp_gt_i32_e64 s2, s14, v77
	s_and_b32 s2, vcc_lo, s2
	s_and_b32 s2, s24, s2
	s_and_saveexec_b32 s3, s2
	s_xor_b32 s3, exec_lo, s3
	s_cbranch_execz .LBB248_31
; %bb.30:                               ;   in Loop: Header=BB248_23 Depth=1
	v_add_co_u32 v78, s2, v73, v26
	v_add_co_ci_u32_e64 v79, null, v74, v27, s2
	flat_load_ushort v76, v[78:79]
	s_waitcnt vmcnt(0) lgkmcnt(0)
	v_mul_f16_e32 v76, s15, v76
.LBB248_31:                             ;   in Loop: Header=BB248_23 Depth=1
	s_or_b32 exec_lo, exec_lo, s3
	v_min_i32_e32 v78, s28, v77
	v_cmp_le_i32_e64 s2, s14, v77
	v_mov_b32_e32 v77, 0
	v_mad_i64_i32 v[78:79], null, v78, s27, 0
	v_lshlrev_b64 v[79:80], 1, v[78:79]
	v_mov_b32_e32 v78, 0
	v_add_co_u32 v79, s3, s8, v79
	v_add_co_ci_u32_e64 v80, null, s9, v80, s3
	s_or_b32 s3, s0, s2
	s_nor_b32 s3, s3, s29
	s_and_saveexec_b32 s18, s3
	s_cbranch_execz .LBB248_33
; %bb.32:                               ;   in Loop: Header=BB248_23 Depth=1
	v_add_co_u32 v81, s3, v79, v30
	v_add_co_ci_u32_e64 v82, null, v80, v31, s3
	flat_load_ushort v78, v[81:82]
	s_waitcnt vmcnt(0) lgkmcnt(0)
	v_mul_f16_e32 v78, s15, v78
.LBB248_33:                             ;   in Loop: Header=BB248_23 Depth=1
	s_or_b32 exec_lo, exec_lo, s18
	s_or_b32 s2, s1, s2
	s_nor_b32 s2, s2, s29
	s_and_saveexec_b32 s3, s2
	s_cbranch_execz .LBB248_22
; %bb.34:                               ;   in Loop: Header=BB248_23 Depth=1
	v_add_co_u32 v79, s2, v79, v30
	v_add_co_ci_u32_e64 v80, null, v80, v31, s2
	flat_load_ushort v77, v[79:80] offset:128
	s_waitcnt vmcnt(0) lgkmcnt(0)
	v_mul_f16_e32 v77, s15, v77
	s_branch .LBB248_22
.LBB248_35:
	s_clause 0x2
	s_load_dword s14, s[4:5], 0x50
	s_load_dword s9, s[4:5], 0x68
	s_load_dwordx2 s[2:3], s[4:5], 0x70
	v_add_nc_u32_e32 v67, s26, v1
	v_add_nc_u32_e32 v10, 0x800, v34
	ds_read2_b64 v[2:5], v33 offset0:192 offset1:224
	ds_read2_b64 v[22:25], v33 offset0:128 offset1:160
	v_add_nc_u32_e32 v0, s25, v0
	ds_read2_b64 v[6:9], v10 offset0:112 offset1:120
	ds_read2_b64 v[18:21], v10 offset0:64 offset1:72
	;; [unrolled: 1-line block ×4, first 2 shown]
	v_cmp_gt_i32_e64 s8, s13, v67
	v_cmp_gt_i32_e64 s0, s12, v0
	v_ashrrev_i32_e32 v1, 31, v0
	v_cndmask_b32_e64 v59, 0, 1, s23
	s_waitcnt lgkmcnt(0)
	v_mad_i64_i32 v[26:27], null, v67, s14, 0
	v_mad_i64_i32 v[28:29], null, v67, s9, 0
	s_lshl_b64 s[2:3], s[2:3], 1
	s_add_u32 s15, s6, s2
	s_addc_u32 s16, s7, s3
	v_lshlrev_b64 v[26:27], 1, v[26:27]
	s_and_b32 s1, s0, s8
	v_lshlrev_b64 v[28:29], 1, v[28:29]
	v_add_co_u32 v72, vcc_lo, s10, v26
	v_add_co_ci_u32_e64 v73, null, s11, v27, vcc_lo
	v_add_co_u32 v70, vcc_lo, s15, v28
	v_add_co_ci_u32_e64 v71, null, s16, v29, vcc_lo
	s_and_saveexec_b32 s2, s1
	s_xor_b32 s1, exec_lo, s2
	s_cbranch_execz .LBB248_40
; %bb.36:
	v_lshlrev_b64 v[26:27], 1, v[0:1]
	s_andn2_b32 vcc_lo, exec_lo, s23
	s_cbranch_vccnz .LBB248_38
; %bb.37:
	v_add_co_u32 v28, vcc_lo, v72, v26
	v_add_co_ci_u32_e64 v29, null, v73, v27, vcc_lo
	flat_load_ushort v28, v[28:29]
	s_waitcnt vmcnt(0) lgkmcnt(0)
	v_mul_f16_e32 v28, s22, v28
	s_branch .LBB248_39
.LBB248_38:
	v_mov_b32_e32 v28, 0
.LBB248_39:
	v_pk_max_f16 v29, v22, v22
	v_pk_max_f16 v30, v18, v18
	;; [unrolled: 1-line block ×4, first 2 shown]
	v_add_co_u32 v26, vcc_lo, v70, v26
	v_pk_min_f16 v29, v30, v29
	v_add_co_ci_u32_e64 v27, null, v71, v27, vcc_lo
	v_pk_min_f16 v30, v32, v31
	v_pk_add_f16 v29, v69, v29
	v_pk_add_f16 v29, v29, v30
	v_add_f16_sdwa v29, v29, v29 dst_sel:DWORD dst_unused:UNUSED_PAD src0_sel:DWORD src1_sel:WORD_1
	v_add_f16_e32 v28, v29, v28
	flat_store_short v[26:27], v28
.LBB248_40:
	s_or_b32 exec_lo, exec_lo, s1
	v_add_nc_u32_e32 v26, 8, v0
	v_cmp_gt_i32_e64 s1, s12, v26
	v_ashrrev_i32_e32 v27, 31, v26
	s_and_b32 s3, s1, s8
	s_and_saveexec_b32 s2, s3
	s_cbranch_execz .LBB248_45
; %bb.41:
	v_cmp_ne_u32_e32 vcc_lo, 1, v59
	v_lshlrev_b64 v[28:29], 1, v[26:27]
	s_cbranch_vccnz .LBB248_43
; %bb.42:
	v_add_co_u32 v30, vcc_lo, v72, v28
	v_add_co_ci_u32_e64 v31, null, v73, v29, vcc_lo
	flat_load_ushort v30, v[30:31]
	s_waitcnt vmcnt(0) lgkmcnt(0)
	v_mul_f16_e32 v30, s22, v30
	s_branch .LBB248_44
.LBB248_43:
	v_mov_b32_e32 v30, 0
.LBB248_44:
	v_pk_max_f16 v31, v22, v22
	v_pk_max_f16 v32, v20, v20
	v_pk_max_f16 v33, v23, v23
	v_pk_max_f16 v34, v21, v21
	v_add_co_u32 v28, vcc_lo, v70, v28
	v_pk_min_f16 v31, v32, v31
	v_add_co_ci_u32_e64 v29, null, v71, v29, vcc_lo
	v_pk_min_f16 v32, v34, v33
	v_pk_add_f16 v31, v41, v31
	v_pk_add_f16 v31, v31, v32
	v_add_f16_sdwa v31, v31, v31 dst_sel:DWORD dst_unused:UNUSED_PAD src0_sel:DWORD src1_sel:WORD_1
	v_add_f16_e32 v30, v31, v30
	flat_store_short v[28:29], v30
.LBB248_45:
	s_or_b32 exec_lo, exec_lo, s2
	v_add_nc_u32_e32 v28, 16, v0
	v_cmp_gt_i32_e64 s2, s12, v28
	v_ashrrev_i32_e32 v29, 31, v28
	s_and_b32 s4, s2, s8
	s_and_saveexec_b32 s3, s4
	s_cbranch_execz .LBB248_50
; %bb.46:
	v_cmp_ne_u32_e32 vcc_lo, 1, v59
	v_lshlrev_b64 v[30:31], 1, v[28:29]
	s_cbranch_vccnz .LBB248_48
; %bb.47:
	v_add_co_u32 v32, vcc_lo, v72, v30
	v_add_co_ci_u32_e64 v33, null, v73, v31, vcc_lo
	flat_load_ushort v32, v[32:33]
	s_waitcnt vmcnt(0) lgkmcnt(0)
	v_mul_f16_e32 v32, s22, v32
	s_branch .LBB248_49
.LBB248_48:
	v_mov_b32_e32 v32, 0
.LBB248_49:
	v_pk_max_f16 v33, v22, v22
	v_pk_max_f16 v34, v14, v14
	v_pk_max_f16 v35, v23, v23
	v_pk_max_f16 v41, v15, v15
	v_add_co_u32 v30, vcc_lo, v70, v30
	v_pk_min_f16 v33, v34, v33
	v_add_co_ci_u32_e64 v31, null, v71, v31, vcc_lo
	v_pk_min_f16 v34, v41, v35
	v_pk_add_f16 v33, v39, v33
	v_pk_add_f16 v33, v33, v34
	v_add_f16_sdwa v33, v33, v33 dst_sel:DWORD dst_unused:UNUSED_PAD src0_sel:DWORD src1_sel:WORD_1
	v_add_f16_e32 v32, v33, v32
	flat_store_short v[30:31], v32
.LBB248_50:
	;; [unrolled: 35-line block ×6, first 2 shown]
	s_or_b32 exec_lo, exec_lo, s7
	v_add_nc_u32_e32 v38, 56, v0
	v_cmp_gt_i32_e64 s7, s12, v38
	v_ashrrev_i32_e32 v39, 31, v38
	s_and_b32 s12, s7, s8
	s_and_saveexec_b32 s8, s12
	s_cbranch_execz .LBB248_75
; %bb.71:
	v_cmp_ne_u32_e32 vcc_lo, 1, v59
	v_lshlrev_b64 v[40:41], 1, v[38:39]
	s_cbranch_vccnz .LBB248_73
; %bb.72:
	v_add_co_u32 v72, vcc_lo, v72, v40
	v_add_co_ci_u32_e64 v73, null, v73, v41, vcc_lo
	flat_load_ushort v69, v[72:73]
	s_waitcnt vmcnt(0) lgkmcnt(0)
	v_mul_f16_e32 v69, s22, v69
	s_branch .LBB248_74
.LBB248_73:
	v_mov_b32_e32 v69, 0
.LBB248_74:
	v_pk_max_f16 v22, v22, v22
	v_pk_max_f16 v72, v8, v8
	;; [unrolled: 1-line block ×4, first 2 shown]
	v_pk_min_f16 v22, v72, v22
	v_pk_min_f16 v23, v73, v23
	v_pk_add_f16 v22, v68, v22
	v_pk_add_f16 v22, v22, v23
	v_add_f16_sdwa v22, v22, v22 dst_sel:DWORD dst_unused:UNUSED_PAD src0_sel:DWORD src1_sel:WORD_1
	v_add_f16_e32 v68, v22, v69
	v_add_co_u32 v22, vcc_lo, v70, v40
	v_add_co_ci_u32_e64 v23, null, v71, v41, vcc_lo
	flat_store_short v[22:23], v68
.LBB248_75:
	s_or_b32 exec_lo, exec_lo, s8
	v_add_nc_u32_e32 v68, 32, v67
	v_mad_i64_i32 v[22:23], null, v68, s14, 0
	v_mad_i64_i32 v[40:41], null, v68, s9, 0
	v_cmp_gt_i32_e64 s8, s13, v68
	v_lshlrev_b64 v[22:23], 1, v[22:23]
	s_and_b32 s17, s0, s8
	v_lshlrev_b64 v[40:41], 1, v[40:41]
	v_add_co_u32 v68, vcc_lo, s10, v22
	v_add_co_ci_u32_e64 v69, null, s11, v23, vcc_lo
	v_add_co_u32 v40, vcc_lo, s15, v40
	v_add_co_ci_u32_e64 v41, null, s16, v41, vcc_lo
	s_and_saveexec_b32 s12, s17
	s_cbranch_execnz .LBB248_83
; %bb.76:
	s_or_b32 exec_lo, exec_lo, s12
	s_and_b32 s17, s1, s8
	s_and_saveexec_b32 s12, s17
	s_cbranch_execnz .LBB248_87
.LBB248_77:
	s_or_b32 exec_lo, exec_lo, s12
	s_and_b32 s17, s2, s8
	s_and_saveexec_b32 s12, s17
	s_cbranch_execnz .LBB248_91
.LBB248_78:
	s_or_b32 exec_lo, exec_lo, s12
	s_and_b32 s17, s3, s8
	s_and_saveexec_b32 s12, s17
	s_cbranch_execnz .LBB248_95
.LBB248_79:
	s_or_b32 exec_lo, exec_lo, s12
	s_and_b32 s17, s4, s8
	s_and_saveexec_b32 s12, s17
	s_cbranch_execnz .LBB248_99
.LBB248_80:
	s_or_b32 exec_lo, exec_lo, s12
	s_and_b32 s17, s5, s8
	s_and_saveexec_b32 s12, s17
	s_cbranch_execnz .LBB248_103
.LBB248_81:
	s_or_b32 exec_lo, exec_lo, s12
	s_and_b32 s17, s6, s8
	s_and_saveexec_b32 s12, s17
	s_cbranch_execnz .LBB248_107
.LBB248_82:
	s_or_b32 exec_lo, exec_lo, s12
	s_and_b32 s12, s7, s8
	s_and_saveexec_b32 s8, s12
	s_cbranch_execnz .LBB248_111
	s_branch .LBB248_115
.LBB248_83:
	v_cmp_ne_u32_e32 vcc_lo, 1, v59
	v_lshlrev_b64 v[22:23], 1, v[0:1]
	s_cbranch_vccnz .LBB248_85
; %bb.84:
	v_add_co_u32 v70, vcc_lo, v68, v22
	v_add_co_ci_u32_e64 v71, null, v69, v23, vcc_lo
	flat_load_ushort v70, v[70:71]
	s_waitcnt vmcnt(0) lgkmcnt(0)
	v_mul_f16_e32 v70, s22, v70
	s_branch .LBB248_86
.LBB248_85:
	v_mov_b32_e32 v70, 0
.LBB248_86:
	v_pk_max_f16 v71, v24, v24
	v_pk_max_f16 v72, v18, v18
	;; [unrolled: 1-line block ×4, first 2 shown]
	v_add_co_u32 v22, vcc_lo, v40, v22
	v_pk_min_f16 v71, v72, v71
	v_add_co_ci_u32_e64 v23, null, v41, v23, vcc_lo
	v_pk_min_f16 v72, v74, v73
	v_pk_add_f16 v66, v66, v71
	v_pk_add_f16 v66, v66, v72
	v_add_f16_sdwa v66, v66, v66 dst_sel:DWORD dst_unused:UNUSED_PAD src0_sel:DWORD src1_sel:WORD_1
	v_add_f16_e32 v66, v66, v70
	flat_store_short v[22:23], v66
	s_or_b32 exec_lo, exec_lo, s12
	s_and_b32 s17, s1, s8
	s_and_saveexec_b32 s12, s17
	s_cbranch_execz .LBB248_77
.LBB248_87:
	v_cmp_ne_u32_e32 vcc_lo, 1, v59
	v_lshlrev_b64 v[22:23], 1, v[26:27]
	s_cbranch_vccnz .LBB248_89
; %bb.88:
	v_add_co_u32 v70, vcc_lo, v68, v22
	v_add_co_ci_u32_e64 v71, null, v69, v23, vcc_lo
	flat_load_ushort v66, v[70:71]
	s_waitcnt vmcnt(0) lgkmcnt(0)
	v_mul_f16_e32 v66, s22, v66
	s_branch .LBB248_90
.LBB248_89:
	v_mov_b32_e32 v66, 0
.LBB248_90:
	v_pk_max_f16 v70, v24, v24
	v_pk_max_f16 v71, v20, v20
	v_pk_max_f16 v72, v25, v25
	v_pk_max_f16 v73, v21, v21
	v_add_co_u32 v22, vcc_lo, v40, v22
	v_pk_min_f16 v70, v71, v70
	v_add_co_ci_u32_e64 v23, null, v41, v23, vcc_lo
	v_pk_min_f16 v71, v73, v72
	v_pk_add_f16 v65, v65, v70
	v_pk_add_f16 v65, v65, v71
	v_add_f16_sdwa v65, v65, v65 dst_sel:DWORD dst_unused:UNUSED_PAD src0_sel:DWORD src1_sel:WORD_1
	v_add_f16_e32 v65, v65, v66
	flat_store_short v[22:23], v65
	s_or_b32 exec_lo, exec_lo, s12
	s_and_b32 s17, s2, s8
	s_and_saveexec_b32 s12, s17
	s_cbranch_execz .LBB248_78
.LBB248_91:
	v_cmp_ne_u32_e32 vcc_lo, 1, v59
	v_lshlrev_b64 v[22:23], 1, v[28:29]
	s_cbranch_vccnz .LBB248_93
; %bb.92:
	v_add_co_u32 v65, vcc_lo, v68, v22
	v_add_co_ci_u32_e64 v66, null, v69, v23, vcc_lo
	flat_load_ushort v65, v[65:66]
	s_waitcnt vmcnt(0) lgkmcnt(0)
	v_mul_f16_e32 v65, s22, v65
	s_branch .LBB248_94
.LBB248_93:
	v_mov_b32_e32 v65, 0
.LBB248_94:
	v_pk_max_f16 v66, v24, v24
	v_pk_max_f16 v70, v14, v14
	v_pk_max_f16 v71, v25, v25
	v_pk_max_f16 v72, v15, v15
	v_add_co_u32 v22, vcc_lo, v40, v22
	v_pk_min_f16 v66, v70, v66
	v_add_co_ci_u32_e64 v23, null, v41, v23, vcc_lo
	v_pk_min_f16 v70, v72, v71
	v_pk_add_f16 v64, v64, v66
	v_pk_add_f16 v64, v64, v70
	v_add_f16_sdwa v64, v64, v64 dst_sel:DWORD dst_unused:UNUSED_PAD src0_sel:DWORD src1_sel:WORD_1
	v_add_f16_e32 v64, v64, v65
	flat_store_short v[22:23], v64
	s_or_b32 exec_lo, exec_lo, s12
	s_and_b32 s17, s3, s8
	s_and_saveexec_b32 s12, s17
	s_cbranch_execz .LBB248_79
.LBB248_95:
	v_cmp_ne_u32_e32 vcc_lo, 1, v59
	v_lshlrev_b64 v[22:23], 1, v[30:31]
	s_cbranch_vccnz .LBB248_97
; %bb.96:
	v_add_co_u32 v64, vcc_lo, v68, v22
	v_add_co_ci_u32_e64 v65, null, v69, v23, vcc_lo
	flat_load_ushort v64, v[64:65]
	s_waitcnt vmcnt(0) lgkmcnt(0)
	v_mul_f16_e32 v64, s22, v64
	s_branch .LBB248_98
.LBB248_97:
	v_mov_b32_e32 v64, 0
.LBB248_98:
	v_pk_max_f16 v65, v24, v24
	v_pk_max_f16 v66, v16, v16
	;; [unrolled: 1-line block ×4, first 2 shown]
	v_add_co_u32 v22, vcc_lo, v40, v22
	v_pk_min_f16 v65, v66, v65
	v_add_co_ci_u32_e64 v23, null, v41, v23, vcc_lo
	v_pk_min_f16 v66, v71, v70
	v_pk_add_f16 v63, v63, v65
	v_pk_add_f16 v63, v63, v66
	v_add_f16_sdwa v63, v63, v63 dst_sel:DWORD dst_unused:UNUSED_PAD src0_sel:DWORD src1_sel:WORD_1
	v_add_f16_e32 v63, v63, v64
	flat_store_short v[22:23], v63
	s_or_b32 exec_lo, exec_lo, s12
	s_and_b32 s17, s4, s8
	s_and_saveexec_b32 s12, s17
	s_cbranch_execz .LBB248_80
.LBB248_99:
	v_cmp_ne_u32_e32 vcc_lo, 1, v59
	v_lshlrev_b64 v[22:23], 1, v[32:33]
	s_cbranch_vccnz .LBB248_101
; %bb.100:
	v_add_co_u32 v63, vcc_lo, v68, v22
	v_add_co_ci_u32_e64 v64, null, v69, v23, vcc_lo
	flat_load_ushort v63, v[63:64]
	s_waitcnt vmcnt(0) lgkmcnt(0)
	v_mul_f16_e32 v63, s22, v63
	s_branch .LBB248_102
.LBB248_101:
	v_mov_b32_e32 v63, 0
.LBB248_102:
	v_pk_max_f16 v64, v24, v24
	v_pk_max_f16 v65, v10, v10
	;; [unrolled: 1-line block ×4, first 2 shown]
	v_add_co_u32 v22, vcc_lo, v40, v22
	v_pk_min_f16 v64, v65, v64
	v_add_co_ci_u32_e64 v23, null, v41, v23, vcc_lo
	v_pk_min_f16 v65, v70, v66
	v_pk_add_f16 v62, v62, v64
	v_pk_add_f16 v62, v62, v65
	v_add_f16_sdwa v62, v62, v62 dst_sel:DWORD dst_unused:UNUSED_PAD src0_sel:DWORD src1_sel:WORD_1
	v_add_f16_e32 v62, v62, v63
	flat_store_short v[22:23], v62
	s_or_b32 exec_lo, exec_lo, s12
	s_and_b32 s17, s5, s8
	s_and_saveexec_b32 s12, s17
	s_cbranch_execz .LBB248_81
.LBB248_103:
	v_cmp_ne_u32_e32 vcc_lo, 1, v59
	v_lshlrev_b64 v[22:23], 1, v[34:35]
	s_cbranch_vccnz .LBB248_105
; %bb.104:
	v_add_co_u32 v62, vcc_lo, v68, v22
	v_add_co_ci_u32_e64 v63, null, v69, v23, vcc_lo
	flat_load_ushort v62, v[62:63]
	s_waitcnt vmcnt(0) lgkmcnt(0)
	v_mul_f16_e32 v62, s22, v62
	s_branch .LBB248_106
.LBB248_105:
	v_mov_b32_e32 v62, 0
.LBB248_106:
	v_pk_max_f16 v63, v24, v24
	v_pk_max_f16 v64, v12, v12
	;; [unrolled: 1-line block ×4, first 2 shown]
	v_add_co_u32 v22, vcc_lo, v40, v22
	v_pk_min_f16 v63, v64, v63
	v_add_co_ci_u32_e64 v23, null, v41, v23, vcc_lo
	v_pk_min_f16 v64, v66, v65
	v_pk_add_f16 v61, v61, v63
	v_pk_add_f16 v61, v61, v64
	v_add_f16_sdwa v61, v61, v61 dst_sel:DWORD dst_unused:UNUSED_PAD src0_sel:DWORD src1_sel:WORD_1
	v_add_f16_e32 v61, v61, v62
	flat_store_short v[22:23], v61
	s_or_b32 exec_lo, exec_lo, s12
	s_and_b32 s17, s6, s8
	s_and_saveexec_b32 s12, s17
	s_cbranch_execz .LBB248_82
.LBB248_107:
	v_cmp_ne_u32_e32 vcc_lo, 1, v59
	v_lshlrev_b64 v[22:23], 1, v[36:37]
	s_cbranch_vccnz .LBB248_109
; %bb.108:
	v_add_co_u32 v61, vcc_lo, v68, v22
	v_add_co_ci_u32_e64 v62, null, v69, v23, vcc_lo
	flat_load_ushort v61, v[61:62]
	s_waitcnt vmcnt(0) lgkmcnt(0)
	v_mul_f16_e32 v61, s22, v61
	s_branch .LBB248_110
.LBB248_109:
	v_mov_b32_e32 v61, 0
.LBB248_110:
	v_pk_max_f16 v62, v24, v24
	v_pk_max_f16 v63, v6, v6
	;; [unrolled: 1-line block ×4, first 2 shown]
	v_add_co_u32 v22, vcc_lo, v40, v22
	v_pk_min_f16 v62, v63, v62
	v_add_co_ci_u32_e64 v23, null, v41, v23, vcc_lo
	v_pk_min_f16 v63, v65, v64
	v_pk_add_f16 v60, v60, v62
	v_pk_add_f16 v60, v60, v63
	v_add_f16_sdwa v60, v60, v60 dst_sel:DWORD dst_unused:UNUSED_PAD src0_sel:DWORD src1_sel:WORD_1
	v_add_f16_e32 v60, v60, v61
	flat_store_short v[22:23], v60
	s_or_b32 exec_lo, exec_lo, s12
	s_and_b32 s12, s7, s8
	s_and_saveexec_b32 s8, s12
	s_cbranch_execz .LBB248_115
.LBB248_111:
	v_cmp_ne_u32_e32 vcc_lo, 1, v59
	v_lshlrev_b64 v[22:23], 1, v[38:39]
	s_cbranch_vccnz .LBB248_113
; %bb.112:
	v_add_co_u32 v60, vcc_lo, v68, v22
	v_add_co_ci_u32_e64 v61, null, v69, v23, vcc_lo
	flat_load_ushort v60, v[60:61]
	s_waitcnt vmcnt(0) lgkmcnt(0)
	v_mul_f16_e32 v60, s22, v60
	s_branch .LBB248_114
.LBB248_113:
	v_mov_b32_e32 v60, 0
.LBB248_114:
	v_pk_max_f16 v24, v24, v24
	v_pk_max_f16 v61, v8, v8
	;; [unrolled: 1-line block ×4, first 2 shown]
	v_add_co_u32 v22, vcc_lo, v40, v22
	v_pk_min_f16 v24, v61, v24
	v_add_co_ci_u32_e64 v23, null, v41, v23, vcc_lo
	v_pk_min_f16 v25, v62, v25
	v_pk_add_f16 v24, v58, v24
	v_pk_add_f16 v24, v24, v25
	v_add_f16_sdwa v24, v24, v24 dst_sel:DWORD dst_unused:UNUSED_PAD src0_sel:DWORD src1_sel:WORD_1
	v_add_f16_e32 v24, v24, v60
	flat_store_short v[22:23], v24
.LBB248_115:
	s_or_b32 exec_lo, exec_lo, s8
	v_add_nc_u32_e32 v40, 64, v67
	v_mad_i64_i32 v[22:23], null, v40, s14, 0
	v_mad_i64_i32 v[24:25], null, v40, s9, 0
	v_cmp_gt_i32_e64 s8, s13, v40
	v_lshlrev_b64 v[22:23], 1, v[22:23]
	s_and_b32 s17, s0, s8
	v_lshlrev_b64 v[24:25], 1, v[24:25]
	v_add_co_u32 v40, vcc_lo, s10, v22
	v_add_co_ci_u32_e64 v41, null, s11, v23, vcc_lo
	v_add_co_u32 v24, vcc_lo, s15, v24
	v_add_co_ci_u32_e64 v25, null, s16, v25, vcc_lo
	s_and_saveexec_b32 s12, s17
	s_cbranch_execnz .LBB248_123
; %bb.116:
	s_or_b32 exec_lo, exec_lo, s12
	s_and_b32 s17, s1, s8
	s_and_saveexec_b32 s12, s17
	s_cbranch_execnz .LBB248_127
.LBB248_117:
	s_or_b32 exec_lo, exec_lo, s12
	s_and_b32 s17, s2, s8
	s_and_saveexec_b32 s12, s17
	s_cbranch_execnz .LBB248_131
.LBB248_118:
	s_or_b32 exec_lo, exec_lo, s12
	s_and_b32 s17, s3, s8
	s_and_saveexec_b32 s12, s17
	s_cbranch_execnz .LBB248_135
.LBB248_119:
	s_or_b32 exec_lo, exec_lo, s12
	s_and_b32 s17, s4, s8
	s_and_saveexec_b32 s12, s17
	s_cbranch_execnz .LBB248_139
.LBB248_120:
	s_or_b32 exec_lo, exec_lo, s12
	s_and_b32 s17, s5, s8
	s_and_saveexec_b32 s12, s17
	s_cbranch_execnz .LBB248_143
.LBB248_121:
	s_or_b32 exec_lo, exec_lo, s12
	s_and_b32 s17, s6, s8
	s_and_saveexec_b32 s12, s17
	s_cbranch_execnz .LBB248_147
.LBB248_122:
	s_or_b32 exec_lo, exec_lo, s12
	s_and_b32 s12, s7, s8
	s_and_saveexec_b32 s8, s12
	s_cbranch_execnz .LBB248_151
	s_branch .LBB248_155
.LBB248_123:
	v_cmp_ne_u32_e32 vcc_lo, 1, v59
	v_lshlrev_b64 v[22:23], 1, v[0:1]
	s_cbranch_vccnz .LBB248_125
; %bb.124:
	v_add_co_u32 v60, vcc_lo, v40, v22
	v_add_co_ci_u32_e64 v61, null, v41, v23, vcc_lo
	flat_load_ushort v58, v[60:61]
	s_waitcnt vmcnt(0) lgkmcnt(0)
	v_mul_f16_e32 v58, s22, v58
	s_branch .LBB248_126
.LBB248_125:
	v_mov_b32_e32 v58, 0
.LBB248_126:
	v_pk_max_f16 v60, v2, v2
	v_pk_max_f16 v61, v18, v18
	;; [unrolled: 1-line block ×4, first 2 shown]
	v_add_co_u32 v22, vcc_lo, v24, v22
	v_pk_min_f16 v60, v61, v60
	v_add_co_ci_u32_e64 v23, null, v25, v23, vcc_lo
	v_pk_min_f16 v61, v63, v62
	v_pk_add_f16 v57, v57, v60
	v_pk_add_f16 v57, v57, v61
	v_add_f16_sdwa v57, v57, v57 dst_sel:DWORD dst_unused:UNUSED_PAD src0_sel:DWORD src1_sel:WORD_1
	v_add_f16_e32 v57, v57, v58
	flat_store_short v[22:23], v57
	s_or_b32 exec_lo, exec_lo, s12
	s_and_b32 s17, s1, s8
	s_and_saveexec_b32 s12, s17
	s_cbranch_execz .LBB248_117
.LBB248_127:
	v_cmp_ne_u32_e32 vcc_lo, 1, v59
	v_lshlrev_b64 v[22:23], 1, v[26:27]
	s_cbranch_vccnz .LBB248_129
; %bb.128:
	v_add_co_u32 v57, vcc_lo, v40, v22
	v_add_co_ci_u32_e64 v58, null, v41, v23, vcc_lo
	flat_load_ushort v57, v[57:58]
	s_waitcnt vmcnt(0) lgkmcnt(0)
	v_mul_f16_e32 v57, s22, v57
	s_branch .LBB248_130
.LBB248_129:
	v_mov_b32_e32 v57, 0
.LBB248_130:
	v_pk_max_f16 v58, v2, v2
	v_pk_max_f16 v60, v20, v20
	;; [unrolled: 1-line block ×4, first 2 shown]
	v_add_co_u32 v22, vcc_lo, v24, v22
	v_pk_min_f16 v58, v60, v58
	v_add_co_ci_u32_e64 v23, null, v25, v23, vcc_lo
	v_pk_min_f16 v60, v62, v61
	v_pk_add_f16 v56, v56, v58
	v_pk_add_f16 v56, v56, v60
	v_add_f16_sdwa v56, v56, v56 dst_sel:DWORD dst_unused:UNUSED_PAD src0_sel:DWORD src1_sel:WORD_1
	v_add_f16_e32 v56, v56, v57
	flat_store_short v[22:23], v56
	s_or_b32 exec_lo, exec_lo, s12
	s_and_b32 s17, s2, s8
	s_and_saveexec_b32 s12, s17
	s_cbranch_execz .LBB248_118
.LBB248_131:
	v_cmp_ne_u32_e32 vcc_lo, 1, v59
	v_lshlrev_b64 v[22:23], 1, v[28:29]
	s_cbranch_vccnz .LBB248_133
; %bb.132:
	v_add_co_u32 v56, vcc_lo, v40, v22
	v_add_co_ci_u32_e64 v57, null, v41, v23, vcc_lo
	flat_load_ushort v56, v[56:57]
	s_waitcnt vmcnt(0) lgkmcnt(0)
	v_mul_f16_e32 v56, s22, v56
	s_branch .LBB248_134
.LBB248_133:
	v_mov_b32_e32 v56, 0
.LBB248_134:
	v_pk_max_f16 v57, v2, v2
	v_pk_max_f16 v58, v14, v14
	;; [unrolled: 1-line block ×4, first 2 shown]
	v_add_co_u32 v22, vcc_lo, v24, v22
	v_pk_min_f16 v57, v58, v57
	v_add_co_ci_u32_e64 v23, null, v25, v23, vcc_lo
	v_pk_min_f16 v58, v61, v60
	v_pk_add_f16 v55, v55, v57
	v_pk_add_f16 v55, v55, v58
	v_add_f16_sdwa v55, v55, v55 dst_sel:DWORD dst_unused:UNUSED_PAD src0_sel:DWORD src1_sel:WORD_1
	v_add_f16_e32 v55, v55, v56
	flat_store_short v[22:23], v55
	s_or_b32 exec_lo, exec_lo, s12
	s_and_b32 s17, s3, s8
	s_and_saveexec_b32 s12, s17
	s_cbranch_execz .LBB248_119
.LBB248_135:
	v_cmp_ne_u32_e32 vcc_lo, 1, v59
	v_lshlrev_b64 v[22:23], 1, v[30:31]
	s_cbranch_vccnz .LBB248_137
; %bb.136:
	v_add_co_u32 v55, vcc_lo, v40, v22
	v_add_co_ci_u32_e64 v56, null, v41, v23, vcc_lo
	flat_load_ushort v55, v[55:56]
	s_waitcnt vmcnt(0) lgkmcnt(0)
	v_mul_f16_e32 v55, s22, v55
	s_branch .LBB248_138
.LBB248_137:
	v_mov_b32_e32 v55, 0
.LBB248_138:
	v_pk_max_f16 v56, v2, v2
	v_pk_max_f16 v57, v16, v16
	;; [unrolled: 1-line block ×4, first 2 shown]
	v_add_co_u32 v22, vcc_lo, v24, v22
	v_pk_min_f16 v56, v57, v56
	v_add_co_ci_u32_e64 v23, null, v25, v23, vcc_lo
	v_pk_min_f16 v57, v60, v58
	v_pk_add_f16 v54, v54, v56
	v_pk_add_f16 v54, v54, v57
	v_add_f16_sdwa v54, v54, v54 dst_sel:DWORD dst_unused:UNUSED_PAD src0_sel:DWORD src1_sel:WORD_1
	v_add_f16_e32 v54, v54, v55
	flat_store_short v[22:23], v54
	s_or_b32 exec_lo, exec_lo, s12
	s_and_b32 s17, s4, s8
	s_and_saveexec_b32 s12, s17
	s_cbranch_execz .LBB248_120
.LBB248_139:
	v_cmp_ne_u32_e32 vcc_lo, 1, v59
	v_lshlrev_b64 v[22:23], 1, v[32:33]
	s_cbranch_vccnz .LBB248_141
; %bb.140:
	v_add_co_u32 v54, vcc_lo, v40, v22
	v_add_co_ci_u32_e64 v55, null, v41, v23, vcc_lo
	flat_load_ushort v54, v[54:55]
	s_waitcnt vmcnt(0) lgkmcnt(0)
	v_mul_f16_e32 v54, s22, v54
	s_branch .LBB248_142
.LBB248_141:
	v_mov_b32_e32 v54, 0
.LBB248_142:
	v_pk_max_f16 v55, v2, v2
	v_pk_max_f16 v56, v10, v10
	;; [unrolled: 1-line block ×4, first 2 shown]
	v_add_co_u32 v22, vcc_lo, v24, v22
	v_pk_min_f16 v55, v56, v55
	v_add_co_ci_u32_e64 v23, null, v25, v23, vcc_lo
	v_pk_min_f16 v56, v58, v57
	v_pk_add_f16 v53, v53, v55
	v_pk_add_f16 v53, v53, v56
	v_add_f16_sdwa v53, v53, v53 dst_sel:DWORD dst_unused:UNUSED_PAD src0_sel:DWORD src1_sel:WORD_1
	v_add_f16_e32 v53, v53, v54
	flat_store_short v[22:23], v53
	s_or_b32 exec_lo, exec_lo, s12
	s_and_b32 s17, s5, s8
	s_and_saveexec_b32 s12, s17
	s_cbranch_execz .LBB248_121
.LBB248_143:
	v_cmp_ne_u32_e32 vcc_lo, 1, v59
	v_lshlrev_b64 v[22:23], 1, v[34:35]
	s_cbranch_vccnz .LBB248_145
; %bb.144:
	v_add_co_u32 v53, vcc_lo, v40, v22
	v_add_co_ci_u32_e64 v54, null, v41, v23, vcc_lo
	flat_load_ushort v53, v[53:54]
	s_waitcnt vmcnt(0) lgkmcnt(0)
	v_mul_f16_e32 v53, s22, v53
	s_branch .LBB248_146
.LBB248_145:
	v_mov_b32_e32 v53, 0
.LBB248_146:
	v_pk_max_f16 v54, v2, v2
	v_pk_max_f16 v55, v12, v12
	;; [unrolled: 1-line block ×4, first 2 shown]
	v_add_co_u32 v22, vcc_lo, v24, v22
	v_pk_min_f16 v54, v55, v54
	v_add_co_ci_u32_e64 v23, null, v25, v23, vcc_lo
	v_pk_min_f16 v55, v57, v56
	v_pk_add_f16 v52, v52, v54
	v_pk_add_f16 v52, v52, v55
	v_add_f16_sdwa v52, v52, v52 dst_sel:DWORD dst_unused:UNUSED_PAD src0_sel:DWORD src1_sel:WORD_1
	v_add_f16_e32 v52, v52, v53
	flat_store_short v[22:23], v52
	s_or_b32 exec_lo, exec_lo, s12
	s_and_b32 s17, s6, s8
	s_and_saveexec_b32 s12, s17
	s_cbranch_execz .LBB248_122
.LBB248_147:
	v_cmp_ne_u32_e32 vcc_lo, 1, v59
	v_lshlrev_b64 v[22:23], 1, v[36:37]
	s_cbranch_vccnz .LBB248_149
; %bb.148:
	v_add_co_u32 v52, vcc_lo, v40, v22
	v_add_co_ci_u32_e64 v53, null, v41, v23, vcc_lo
	flat_load_ushort v52, v[52:53]
	s_waitcnt vmcnt(0) lgkmcnt(0)
	v_mul_f16_e32 v52, s22, v52
	s_branch .LBB248_150
.LBB248_149:
	v_mov_b32_e32 v52, 0
.LBB248_150:
	v_pk_max_f16 v53, v2, v2
	v_pk_max_f16 v54, v6, v6
	v_pk_max_f16 v55, v3, v3
	v_pk_max_f16 v56, v7, v7
	v_add_co_u32 v22, vcc_lo, v24, v22
	v_pk_min_f16 v53, v54, v53
	v_add_co_ci_u32_e64 v23, null, v25, v23, vcc_lo
	v_pk_min_f16 v54, v56, v55
	v_pk_add_f16 v51, v51, v53
	v_pk_add_f16 v51, v51, v54
	v_add_f16_sdwa v51, v51, v51 dst_sel:DWORD dst_unused:UNUSED_PAD src0_sel:DWORD src1_sel:WORD_1
	v_add_f16_e32 v51, v51, v52
	flat_store_short v[22:23], v51
	s_or_b32 exec_lo, exec_lo, s12
	s_and_b32 s12, s7, s8
	s_and_saveexec_b32 s8, s12
	s_cbranch_execz .LBB248_155
.LBB248_151:
	v_cmp_ne_u32_e32 vcc_lo, 1, v59
	v_lshlrev_b64 v[22:23], 1, v[38:39]
	s_cbranch_vccnz .LBB248_153
; %bb.152:
	v_add_co_u32 v40, vcc_lo, v40, v22
	v_add_co_ci_u32_e64 v41, null, v41, v23, vcc_lo
	flat_load_ushort v40, v[40:41]
	s_waitcnt vmcnt(0) lgkmcnt(0)
	v_mul_f16_e32 v40, s22, v40
	s_branch .LBB248_154
.LBB248_153:
	v_mov_b32_e32 v40, 0
.LBB248_154:
	v_pk_max_f16 v2, v2, v2
	v_pk_max_f16 v41, v8, v8
	;; [unrolled: 1-line block ×4, first 2 shown]
	v_pk_min_f16 v2, v41, v2
	v_pk_min_f16 v3, v51, v3
	v_pk_add_f16 v2, v50, v2
	v_pk_add_f16 v2, v2, v3
	v_add_f16_sdwa v2, v2, v2 dst_sel:DWORD dst_unused:UNUSED_PAD src0_sel:DWORD src1_sel:WORD_1
	v_add_f16_e32 v40, v2, v40
	v_add_co_u32 v2, vcc_lo, v24, v22
	v_add_co_ci_u32_e64 v3, null, v25, v23, vcc_lo
	flat_store_short v[2:3], v40
.LBB248_155:
	s_or_b32 exec_lo, exec_lo, s8
	v_add_nc_u32_e32 v24, 0x60, v67
	v_mad_i64_i32 v[2:3], null, v24, s14, 0
	v_mad_i64_i32 v[22:23], null, v24, s9, 0
	v_cmp_gt_i32_e64 s8, s13, v24
	v_lshlrev_b64 v[2:3], 1, v[2:3]
	s_and_b32 s9, s0, s8
	v_lshlrev_b64 v[24:25], 1, v[22:23]
	v_add_co_u32 v22, vcc_lo, s10, v2
	v_add_co_ci_u32_e64 v23, null, s11, v3, vcc_lo
	v_add_co_u32 v2, vcc_lo, s15, v24
	v_add_co_ci_u32_e64 v3, null, s16, v25, vcc_lo
	s_and_saveexec_b32 s0, s9
	s_cbranch_execnz .LBB248_164
; %bb.156:
	s_or_b32 exec_lo, exec_lo, s0
	s_and_b32 s1, s1, s8
	s_and_saveexec_b32 s0, s1
	s_cbranch_execnz .LBB248_168
.LBB248_157:
	s_or_b32 exec_lo, exec_lo, s0
	s_and_b32 s1, s2, s8
	s_and_saveexec_b32 s0, s1
	s_cbranch_execnz .LBB248_172
.LBB248_158:
	s_or_b32 exec_lo, exec_lo, s0
	s_and_b32 s1, s3, s8
	s_and_saveexec_b32 s0, s1
	s_cbranch_execnz .LBB248_176
.LBB248_159:
	s_or_b32 exec_lo, exec_lo, s0
	s_and_b32 s1, s4, s8
	s_and_saveexec_b32 s0, s1
	s_cbranch_execnz .LBB248_180
.LBB248_160:
	s_or_b32 exec_lo, exec_lo, s0
	s_and_b32 s1, s5, s8
	s_and_saveexec_b32 s0, s1
	s_cbranch_execnz .LBB248_184
.LBB248_161:
	s_or_b32 exec_lo, exec_lo, s0
	s_and_b32 s1, s6, s8
	s_and_saveexec_b32 s0, s1
	s_cbranch_execnz .LBB248_188
.LBB248_162:
	s_or_b32 exec_lo, exec_lo, s0
	s_and_b32 s0, s7, s8
	s_and_saveexec_b32 s1, s0
	s_cbranch_execnz .LBB248_192
.LBB248_163:
	s_endpgm
.LBB248_164:
	v_cmp_ne_u32_e32 vcc_lo, 1, v59
	v_lshlrev_b64 v[0:1], 1, v[0:1]
	s_cbranch_vccnz .LBB248_166
; %bb.165:
	v_add_co_u32 v24, vcc_lo, v22, v0
	v_add_co_ci_u32_e64 v25, null, v23, v1, vcc_lo
	flat_load_ushort v24, v[24:25]
	s_waitcnt vmcnt(0) lgkmcnt(0)
	v_mul_f16_e32 v24, s22, v24
	s_branch .LBB248_167
.LBB248_166:
	v_mov_b32_e32 v24, 0
.LBB248_167:
	v_pk_max_f16 v25, v4, v4
	v_pk_max_f16 v18, v18, v18
	;; [unrolled: 1-line block ×4, first 2 shown]
	v_add_co_u32 v0, vcc_lo, v2, v0
	v_pk_min_f16 v18, v18, v25
	v_add_co_ci_u32_e64 v1, null, v3, v1, vcc_lo
	v_pk_min_f16 v19, v19, v40
	v_pk_add_f16 v18, v49, v18
	v_pk_add_f16 v18, v18, v19
	v_add_f16_sdwa v18, v18, v18 dst_sel:DWORD dst_unused:UNUSED_PAD src0_sel:DWORD src1_sel:WORD_1
	v_add_f16_e32 v18, v18, v24
	flat_store_short v[0:1], v18
	s_or_b32 exec_lo, exec_lo, s0
	s_and_b32 s1, s1, s8
	s_and_saveexec_b32 s0, s1
	s_cbranch_execz .LBB248_157
.LBB248_168:
	v_cmp_ne_u32_e32 vcc_lo, 1, v59
	v_lshlrev_b64 v[0:1], 1, v[26:27]
	s_cbranch_vccnz .LBB248_170
; %bb.169:
	v_add_co_u32 v18, vcc_lo, v22, v0
	v_add_co_ci_u32_e64 v19, null, v23, v1, vcc_lo
	flat_load_ushort v18, v[18:19]
	s_waitcnt vmcnt(0) lgkmcnt(0)
	v_mul_f16_e32 v18, s22, v18
	s_branch .LBB248_171
.LBB248_170:
	v_mov_b32_e32 v18, 0
.LBB248_171:
	v_pk_max_f16 v19, v4, v4
	v_pk_max_f16 v20, v20, v20
	;; [unrolled: 1-line block ×4, first 2 shown]
	v_add_co_u32 v0, vcc_lo, v2, v0
	v_pk_min_f16 v19, v20, v19
	v_add_co_ci_u32_e64 v1, null, v3, v1, vcc_lo
	v_pk_min_f16 v20, v21, v24
	v_pk_add_f16 v19, v48, v19
	v_pk_add_f16 v19, v19, v20
	v_add_f16_sdwa v19, v19, v19 dst_sel:DWORD dst_unused:UNUSED_PAD src0_sel:DWORD src1_sel:WORD_1
	v_add_f16_e32 v18, v19, v18
	flat_store_short v[0:1], v18
	s_or_b32 exec_lo, exec_lo, s0
	s_and_b32 s1, s2, s8
	s_and_saveexec_b32 s0, s1
	s_cbranch_execz .LBB248_158
.LBB248_172:
	v_cmp_ne_u32_e32 vcc_lo, 1, v59
	v_lshlrev_b64 v[0:1], 1, v[28:29]
	s_cbranch_vccnz .LBB248_174
; %bb.173:
	v_add_co_u32 v18, vcc_lo, v22, v0
	v_add_co_ci_u32_e64 v19, null, v23, v1, vcc_lo
	flat_load_ushort v18, v[18:19]
	s_waitcnt vmcnt(0) lgkmcnt(0)
	v_mul_f16_e32 v18, s22, v18
	s_branch .LBB248_175
.LBB248_174:
	v_mov_b32_e32 v18, 0
.LBB248_175:
	v_pk_max_f16 v19, v4, v4
	v_pk_max_f16 v14, v14, v14
	;; [unrolled: 1-line block ×4, first 2 shown]
	v_add_co_u32 v0, vcc_lo, v2, v0
	v_pk_min_f16 v14, v14, v19
	v_add_co_ci_u32_e64 v1, null, v3, v1, vcc_lo
	v_pk_min_f16 v15, v15, v20
	v_pk_add_f16 v14, v47, v14
	v_pk_add_f16 v14, v14, v15
	v_add_f16_sdwa v14, v14, v14 dst_sel:DWORD dst_unused:UNUSED_PAD src0_sel:DWORD src1_sel:WORD_1
	v_add_f16_e32 v14, v14, v18
	flat_store_short v[0:1], v14
	s_or_b32 exec_lo, exec_lo, s0
	s_and_b32 s1, s3, s8
	s_and_saveexec_b32 s0, s1
	s_cbranch_execz .LBB248_159
.LBB248_176:
	v_cmp_ne_u32_e32 vcc_lo, 1, v59
	v_lshlrev_b64 v[0:1], 1, v[30:31]
	s_cbranch_vccnz .LBB248_178
; %bb.177:
	v_add_co_u32 v14, vcc_lo, v22, v0
	v_add_co_ci_u32_e64 v15, null, v23, v1, vcc_lo
	flat_load_ushort v14, v[14:15]
	s_waitcnt vmcnt(0) lgkmcnt(0)
	v_mul_f16_e32 v14, s22, v14
	s_branch .LBB248_179
.LBB248_178:
	v_mov_b32_e32 v14, 0
.LBB248_179:
	v_pk_max_f16 v15, v4, v4
	v_pk_max_f16 v16, v16, v16
	;; [unrolled: 1-line block ×4, first 2 shown]
	v_add_co_u32 v0, vcc_lo, v2, v0
	v_pk_min_f16 v15, v16, v15
	v_add_co_ci_u32_e64 v1, null, v3, v1, vcc_lo
	v_pk_min_f16 v16, v17, v18
	v_pk_add_f16 v15, v46, v15
	v_pk_add_f16 v15, v15, v16
	v_add_f16_sdwa v15, v15, v15 dst_sel:DWORD dst_unused:UNUSED_PAD src0_sel:DWORD src1_sel:WORD_1
	v_add_f16_e32 v14, v15, v14
	flat_store_short v[0:1], v14
	s_or_b32 exec_lo, exec_lo, s0
	s_and_b32 s1, s4, s8
	s_and_saveexec_b32 s0, s1
	s_cbranch_execz .LBB248_160
.LBB248_180:
	v_cmp_ne_u32_e32 vcc_lo, 1, v59
	v_lshlrev_b64 v[0:1], 1, v[32:33]
	s_cbranch_vccnz .LBB248_182
; %bb.181:
	v_add_co_u32 v14, vcc_lo, v22, v0
	v_add_co_ci_u32_e64 v15, null, v23, v1, vcc_lo
	flat_load_ushort v14, v[14:15]
	s_waitcnt vmcnt(0) lgkmcnt(0)
	v_mul_f16_e32 v14, s22, v14
	s_branch .LBB248_183
.LBB248_182:
	v_mov_b32_e32 v14, 0
.LBB248_183:
	v_pk_max_f16 v15, v4, v4
	v_pk_max_f16 v10, v10, v10
	;; [unrolled: 1-line block ×4, first 2 shown]
	v_add_co_u32 v0, vcc_lo, v2, v0
	v_pk_min_f16 v10, v10, v15
	v_add_co_ci_u32_e64 v1, null, v3, v1, vcc_lo
	v_pk_min_f16 v11, v11, v16
	v_pk_add_f16 v10, v45, v10
	v_pk_add_f16 v10, v10, v11
	v_add_f16_sdwa v10, v10, v10 dst_sel:DWORD dst_unused:UNUSED_PAD src0_sel:DWORD src1_sel:WORD_1
	v_add_f16_e32 v10, v10, v14
	flat_store_short v[0:1], v10
	s_or_b32 exec_lo, exec_lo, s0
	s_and_b32 s1, s5, s8
	s_and_saveexec_b32 s0, s1
	s_cbranch_execz .LBB248_161
.LBB248_184:
	v_cmp_ne_u32_e32 vcc_lo, 1, v59
	v_lshlrev_b64 v[0:1], 1, v[34:35]
	s_cbranch_vccnz .LBB248_186
; %bb.185:
	v_add_co_u32 v10, vcc_lo, v22, v0
	v_add_co_ci_u32_e64 v11, null, v23, v1, vcc_lo
	flat_load_ushort v10, v[10:11]
	s_waitcnt vmcnt(0) lgkmcnt(0)
	v_mul_f16_e32 v10, s22, v10
	s_branch .LBB248_187
.LBB248_186:
	v_mov_b32_e32 v10, 0
.LBB248_187:
	v_pk_max_f16 v11, v4, v4
	v_pk_max_f16 v12, v12, v12
	;; [unrolled: 1-line block ×4, first 2 shown]
	v_add_co_u32 v0, vcc_lo, v2, v0
	v_pk_min_f16 v11, v12, v11
	v_add_co_ci_u32_e64 v1, null, v3, v1, vcc_lo
	v_pk_min_f16 v12, v13, v14
	v_pk_add_f16 v11, v44, v11
	v_pk_add_f16 v11, v11, v12
	v_add_f16_sdwa v11, v11, v11 dst_sel:DWORD dst_unused:UNUSED_PAD src0_sel:DWORD src1_sel:WORD_1
	v_add_f16_e32 v10, v11, v10
	flat_store_short v[0:1], v10
	s_or_b32 exec_lo, exec_lo, s0
	s_and_b32 s1, s6, s8
	s_and_saveexec_b32 s0, s1
	s_cbranch_execz .LBB248_162
.LBB248_188:
	v_cmp_ne_u32_e32 vcc_lo, 1, v59
	v_lshlrev_b64 v[0:1], 1, v[36:37]
	s_cbranch_vccnz .LBB248_190
; %bb.189:
	v_add_co_u32 v10, vcc_lo, v22, v0
	v_add_co_ci_u32_e64 v11, null, v23, v1, vcc_lo
	flat_load_ushort v10, v[10:11]
	s_waitcnt vmcnt(0) lgkmcnt(0)
	v_mul_f16_e32 v10, s22, v10
	s_branch .LBB248_191
.LBB248_190:
	v_mov_b32_e32 v10, 0
.LBB248_191:
	v_pk_max_f16 v11, v4, v4
	v_pk_max_f16 v6, v6, v6
	;; [unrolled: 1-line block ×4, first 2 shown]
	v_add_co_u32 v0, vcc_lo, v2, v0
	v_pk_min_f16 v6, v6, v11
	v_add_co_ci_u32_e64 v1, null, v3, v1, vcc_lo
	v_pk_min_f16 v7, v7, v12
	v_pk_add_f16 v6, v43, v6
	v_pk_add_f16 v6, v6, v7
	v_add_f16_sdwa v6, v6, v6 dst_sel:DWORD dst_unused:UNUSED_PAD src0_sel:DWORD src1_sel:WORD_1
	v_add_f16_e32 v6, v6, v10
	flat_store_short v[0:1], v6
	s_or_b32 exec_lo, exec_lo, s0
	s_and_b32 s0, s7, s8
	s_and_saveexec_b32 s1, s0
	s_cbranch_execz .LBB248_163
.LBB248_192:
	v_cmp_ne_u32_e32 vcc_lo, 1, v59
	v_lshlrev_b64 v[0:1], 1, v[38:39]
	s_cbranch_vccnz .LBB248_194
; %bb.193:
	v_add_co_u32 v6, vcc_lo, v22, v0
	v_add_co_ci_u32_e64 v7, null, v23, v1, vcc_lo
	flat_load_ushort v6, v[6:7]
	s_waitcnt vmcnt(0) lgkmcnt(0)
	v_mul_f16_e32 v6, s22, v6
	s_branch .LBB248_195
.LBB248_194:
	v_mov_b32_e32 v6, 0
.LBB248_195:
	v_pk_max_f16 v4, v4, v4
	v_pk_max_f16 v7, v8, v8
	;; [unrolled: 1-line block ×4, first 2 shown]
	v_add_co_u32 v0, vcc_lo, v2, v0
	v_pk_min_f16 v4, v7, v4
	v_add_co_ci_u32_e64 v1, null, v3, v1, vcc_lo
	v_pk_min_f16 v5, v8, v5
	v_pk_add_f16 v4, v42, v4
	v_pk_add_f16 v4, v4, v5
	v_add_f16_sdwa v4, v4, v4 dst_sel:DWORD dst_unused:UNUSED_PAD src0_sel:DWORD src1_sel:WORD_1
	v_add_f16_e32 v4, v4, v6
	flat_store_short v[0:1], v4
	s_endpgm
	.section	.rodata,"a",@progbits
	.p2align	6, 0x0
	.amdhsa_kernel _ZN12_GLOBAL__N_120geam_min_plus_kernelIDF16_Dv2_DF16_S1_Li8ELi32ELi64ELi128ELi4ELi64ELi4ELi64ELi4ELc78ELc84ELb0ELb1ELb0EDF16_KPKDF16_KPDF16_EEviiiT16_PT17_ilS9_ilS7_S9_ilPT18_ili26rocblas_geam_ex_operation_
		.amdhsa_group_segment_fixed_size 3072
		.amdhsa_private_segment_fixed_size 0
		.amdhsa_kernarg_size 128
		.amdhsa_user_sgpr_count 6
		.amdhsa_user_sgpr_private_segment_buffer 1
		.amdhsa_user_sgpr_dispatch_ptr 0
		.amdhsa_user_sgpr_queue_ptr 0
		.amdhsa_user_sgpr_kernarg_segment_ptr 1
		.amdhsa_user_sgpr_dispatch_id 0
		.amdhsa_user_sgpr_flat_scratch_init 0
		.amdhsa_user_sgpr_private_segment_size 0
		.amdhsa_wavefront_size32 1
		.amdhsa_uses_dynamic_stack 0
		.amdhsa_system_sgpr_private_segment_wavefront_offset 0
		.amdhsa_system_sgpr_workgroup_id_x 1
		.amdhsa_system_sgpr_workgroup_id_y 0
		.amdhsa_system_sgpr_workgroup_id_z 1
		.amdhsa_system_sgpr_workgroup_info 0
		.amdhsa_system_vgpr_workitem_id 1
		.amdhsa_next_free_vgpr 121
		.amdhsa_next_free_sgpr 30
		.amdhsa_reserve_vcc 1
		.amdhsa_reserve_flat_scratch 0
		.amdhsa_float_round_mode_32 0
		.amdhsa_float_round_mode_16_64 0
		.amdhsa_float_denorm_mode_32 3
		.amdhsa_float_denorm_mode_16_64 3
		.amdhsa_dx10_clamp 1
		.amdhsa_ieee_mode 1
		.amdhsa_fp16_overflow 0
		.amdhsa_workgroup_processor_mode 1
		.amdhsa_memory_ordered 1
		.amdhsa_forward_progress 1
		.amdhsa_shared_vgpr_count 0
		.amdhsa_exception_fp_ieee_invalid_op 0
		.amdhsa_exception_fp_denorm_src 0
		.amdhsa_exception_fp_ieee_div_zero 0
		.amdhsa_exception_fp_ieee_overflow 0
		.amdhsa_exception_fp_ieee_underflow 0
		.amdhsa_exception_fp_ieee_inexact 0
		.amdhsa_exception_int_div_zero 0
	.end_amdhsa_kernel
	.section	.text._ZN12_GLOBAL__N_120geam_min_plus_kernelIDF16_Dv2_DF16_S1_Li8ELi32ELi64ELi128ELi4ELi64ELi4ELi64ELi4ELc78ELc84ELb0ELb1ELb0EDF16_KPKDF16_KPDF16_EEviiiT16_PT17_ilS9_ilS7_S9_ilPT18_ili26rocblas_geam_ex_operation_,"axG",@progbits,_ZN12_GLOBAL__N_120geam_min_plus_kernelIDF16_Dv2_DF16_S1_Li8ELi32ELi64ELi128ELi4ELi64ELi4ELi64ELi4ELc78ELc84ELb0ELb1ELb0EDF16_KPKDF16_KPDF16_EEviiiT16_PT17_ilS9_ilS7_S9_ilPT18_ili26rocblas_geam_ex_operation_,comdat
.Lfunc_end248:
	.size	_ZN12_GLOBAL__N_120geam_min_plus_kernelIDF16_Dv2_DF16_S1_Li8ELi32ELi64ELi128ELi4ELi64ELi4ELi64ELi4ELc78ELc84ELb0ELb1ELb0EDF16_KPKDF16_KPDF16_EEviiiT16_PT17_ilS9_ilS7_S9_ilPT18_ili26rocblas_geam_ex_operation_, .Lfunc_end248-_ZN12_GLOBAL__N_120geam_min_plus_kernelIDF16_Dv2_DF16_S1_Li8ELi32ELi64ELi128ELi4ELi64ELi4ELi64ELi4ELc78ELc84ELb0ELb1ELb0EDF16_KPKDF16_KPDF16_EEviiiT16_PT17_ilS9_ilS7_S9_ilPT18_ili26rocblas_geam_ex_operation_
                                        ; -- End function
	.set _ZN12_GLOBAL__N_120geam_min_plus_kernelIDF16_Dv2_DF16_S1_Li8ELi32ELi64ELi128ELi4ELi64ELi4ELi64ELi4ELc78ELc84ELb0ELb1ELb0EDF16_KPKDF16_KPDF16_EEviiiT16_PT17_ilS9_ilS7_S9_ilPT18_ili26rocblas_geam_ex_operation_.num_vgpr, 121
	.set _ZN12_GLOBAL__N_120geam_min_plus_kernelIDF16_Dv2_DF16_S1_Li8ELi32ELi64ELi128ELi4ELi64ELi4ELi64ELi4ELc78ELc84ELb0ELb1ELb0EDF16_KPKDF16_KPDF16_EEviiiT16_PT17_ilS9_ilS7_S9_ilPT18_ili26rocblas_geam_ex_operation_.num_agpr, 0
	.set _ZN12_GLOBAL__N_120geam_min_plus_kernelIDF16_Dv2_DF16_S1_Li8ELi32ELi64ELi128ELi4ELi64ELi4ELi64ELi4ELc78ELc84ELb0ELb1ELb0EDF16_KPKDF16_KPDF16_EEviiiT16_PT17_ilS9_ilS7_S9_ilPT18_ili26rocblas_geam_ex_operation_.numbered_sgpr, 30
	.set _ZN12_GLOBAL__N_120geam_min_plus_kernelIDF16_Dv2_DF16_S1_Li8ELi32ELi64ELi128ELi4ELi64ELi4ELi64ELi4ELc78ELc84ELb0ELb1ELb0EDF16_KPKDF16_KPDF16_EEviiiT16_PT17_ilS9_ilS7_S9_ilPT18_ili26rocblas_geam_ex_operation_.num_named_barrier, 0
	.set _ZN12_GLOBAL__N_120geam_min_plus_kernelIDF16_Dv2_DF16_S1_Li8ELi32ELi64ELi128ELi4ELi64ELi4ELi64ELi4ELc78ELc84ELb0ELb1ELb0EDF16_KPKDF16_KPDF16_EEviiiT16_PT17_ilS9_ilS7_S9_ilPT18_ili26rocblas_geam_ex_operation_.private_seg_size, 0
	.set _ZN12_GLOBAL__N_120geam_min_plus_kernelIDF16_Dv2_DF16_S1_Li8ELi32ELi64ELi128ELi4ELi64ELi4ELi64ELi4ELc78ELc84ELb0ELb1ELb0EDF16_KPKDF16_KPDF16_EEviiiT16_PT17_ilS9_ilS7_S9_ilPT18_ili26rocblas_geam_ex_operation_.uses_vcc, 1
	.set _ZN12_GLOBAL__N_120geam_min_plus_kernelIDF16_Dv2_DF16_S1_Li8ELi32ELi64ELi128ELi4ELi64ELi4ELi64ELi4ELc78ELc84ELb0ELb1ELb0EDF16_KPKDF16_KPDF16_EEviiiT16_PT17_ilS9_ilS7_S9_ilPT18_ili26rocblas_geam_ex_operation_.uses_flat_scratch, 0
	.set _ZN12_GLOBAL__N_120geam_min_plus_kernelIDF16_Dv2_DF16_S1_Li8ELi32ELi64ELi128ELi4ELi64ELi4ELi64ELi4ELc78ELc84ELb0ELb1ELb0EDF16_KPKDF16_KPDF16_EEviiiT16_PT17_ilS9_ilS7_S9_ilPT18_ili26rocblas_geam_ex_operation_.has_dyn_sized_stack, 0
	.set _ZN12_GLOBAL__N_120geam_min_plus_kernelIDF16_Dv2_DF16_S1_Li8ELi32ELi64ELi128ELi4ELi64ELi4ELi64ELi4ELc78ELc84ELb0ELb1ELb0EDF16_KPKDF16_KPDF16_EEviiiT16_PT17_ilS9_ilS7_S9_ilPT18_ili26rocblas_geam_ex_operation_.has_recursion, 0
	.set _ZN12_GLOBAL__N_120geam_min_plus_kernelIDF16_Dv2_DF16_S1_Li8ELi32ELi64ELi128ELi4ELi64ELi4ELi64ELi4ELc78ELc84ELb0ELb1ELb0EDF16_KPKDF16_KPDF16_EEviiiT16_PT17_ilS9_ilS7_S9_ilPT18_ili26rocblas_geam_ex_operation_.has_indirect_call, 0
	.section	.AMDGPU.csdata,"",@progbits
; Kernel info:
; codeLenInByte = 12160
; TotalNumSgprs: 32
; NumVgprs: 121
; ScratchSize: 0
; MemoryBound: 0
; FloatMode: 240
; IeeeMode: 1
; LDSByteSize: 3072 bytes/workgroup (compile time only)
; SGPRBlocks: 0
; VGPRBlocks: 15
; NumSGPRsForWavesPerEU: 32
; NumVGPRsForWavesPerEU: 121
; Occupancy: 8
; WaveLimiterHint : 1
; COMPUTE_PGM_RSRC2:SCRATCH_EN: 0
; COMPUTE_PGM_RSRC2:USER_SGPR: 6
; COMPUTE_PGM_RSRC2:TRAP_HANDLER: 0
; COMPUTE_PGM_RSRC2:TGID_X_EN: 1
; COMPUTE_PGM_RSRC2:TGID_Y_EN: 0
; COMPUTE_PGM_RSRC2:TGID_Z_EN: 1
; COMPUTE_PGM_RSRC2:TIDIG_COMP_CNT: 1
	.section	.text._ZN12_GLOBAL__N_120geam_min_plus_kernelIDF16_Dv2_DF16_S1_Li8ELi32ELi64ELi128ELi4ELi4ELi64ELi64ELi4ELc84ELc84ELb0ELb0ELb0EPKDF16_KS3_KPDF16_EEviiiT16_PT17_ilS9_ilS7_S9_ilPT18_ili26rocblas_geam_ex_operation_,"axG",@progbits,_ZN12_GLOBAL__N_120geam_min_plus_kernelIDF16_Dv2_DF16_S1_Li8ELi32ELi64ELi128ELi4ELi4ELi64ELi64ELi4ELc84ELc84ELb0ELb0ELb0EPKDF16_KS3_KPDF16_EEviiiT16_PT17_ilS9_ilS7_S9_ilPT18_ili26rocblas_geam_ex_operation_,comdat
	.globl	_ZN12_GLOBAL__N_120geam_min_plus_kernelIDF16_Dv2_DF16_S1_Li8ELi32ELi64ELi128ELi4ELi4ELi64ELi64ELi4ELc84ELc84ELb0ELb0ELb0EPKDF16_KS3_KPDF16_EEviiiT16_PT17_ilS9_ilS7_S9_ilPT18_ili26rocblas_geam_ex_operation_ ; -- Begin function _ZN12_GLOBAL__N_120geam_min_plus_kernelIDF16_Dv2_DF16_S1_Li8ELi32ELi64ELi128ELi4ELi4ELi64ELi64ELi4ELc84ELc84ELb0ELb0ELb0EPKDF16_KS3_KPDF16_EEviiiT16_PT17_ilS9_ilS7_S9_ilPT18_ili26rocblas_geam_ex_operation_
	.p2align	8
	.type	_ZN12_GLOBAL__N_120geam_min_plus_kernelIDF16_Dv2_DF16_S1_Li8ELi32ELi64ELi128ELi4ELi4ELi64ELi64ELi4ELc84ELc84ELb0ELb0ELb0EPKDF16_KS3_KPDF16_EEviiiT16_PT17_ilS9_ilS7_S9_ilPT18_ili26rocblas_geam_ex_operation_,@function
_ZN12_GLOBAL__N_120geam_min_plus_kernelIDF16_Dv2_DF16_S1_Li8ELi32ELi64ELi128ELi4ELi4ELi64ELi64ELi4ELc84ELc84ELb0ELb0ELb0EPKDF16_KS3_KPDF16_EEviiiT16_PT17_ilS9_ilS7_S9_ilPT18_ili26rocblas_geam_ex_operation_: ; @_ZN12_GLOBAL__N_120geam_min_plus_kernelIDF16_Dv2_DF16_S1_Li8ELi32ELi64ELi128ELi4ELi4ELi64ELi64ELi4ELc84ELc84ELb0ELb0ELb0EPKDF16_KS3_KPDF16_EEviiiT16_PT17_ilS9_ilS7_S9_ilPT18_ili26rocblas_geam_ex_operation_
; %bb.0:
	s_clause 0x1
	s_load_dwordx4 s[16:19], s[4:5], 0x10
	s_load_dwordx4 s[8:11], s[4:5], 0x28
	s_mov_b32 s20, s7
	s_mov_b32 s21, 0
	v_mov_b32_e32 v2, 0
	s_lshl_b64 s[0:1], s[20:21], 1
	s_waitcnt lgkmcnt(0)
	s_add_u32 s2, s16, s0
	s_addc_u32 s3, s17, s1
	s_mov_b64 s[16:17], 0
	global_load_ushort v33, v2, s[2:3]
	s_clause 0x1
	s_load_dwordx4 s[12:15], s[4:5], 0x40
	s_load_dwordx2 s[22:23], s[4:5], 0x50
	s_waitcnt lgkmcnt(0)
	s_add_u32 s24, s14, s0
	s_addc_u32 s25, s15, s1
	s_mov_b64 s[14:15], 0
	s_waitcnt vmcnt(0)
	v_cmp_eq_f16_e32 vcc_lo, 0, v33
	v_cmp_neq_f16_e64 s2, 0, v33
	s_and_b32 s0, exec_lo, vcc_lo
	s_mov_b32 vcc_lo, s0
	s_cbranch_vccnz .LBB249_2
; %bb.1:
	s_lshl_b64 s[16:17], s[20:21], 3
	s_add_u32 s16, s18, s16
	s_addc_u32 s17, s19, s17
	s_lshl_b64 s[8:9], s[8:9], 1
	s_load_dwordx2 s[16:17], s[16:17], 0x0
	s_waitcnt lgkmcnt(0)
	s_add_u32 s16, s16, s8
	s_addc_u32 s17, s17, s9
.LBB249_2:
	global_load_ushort v32, v2, s[24:25]
	v_cndmask_b32_e64 v2, 0, 1, s2
	s_andn2_b32 vcc_lo, exec_lo, s2
	v_cmp_ne_u32_e64 s1, 1, v2
	s_cbranch_vccnz .LBB249_4
; %bb.3:
	s_lshl_b64 s[2:3], s[20:21], 3
	s_add_u32 s2, s10, s2
	s_addc_u32 s3, s11, s3
	s_lshl_b64 s[8:9], s[12:13], 1
	s_load_dwordx2 s[2:3], s[2:3], 0x0
	s_waitcnt lgkmcnt(0)
	s_add_u32 s14, s2, s8
	s_addc_u32 s15, s3, s9
.LBB249_4:
	s_load_dwordx4 s[8:11], s[4:5], 0x60
	s_waitcnt vmcnt(0)
	v_cmp_eq_f16_e32 vcc_lo, 0, v32
	s_cbranch_vccnz .LBB249_6
; %bb.5:
	s_lshl_b64 s[2:3], s[20:21], 3
	s_add_u32 s2, s22, s2
	s_addc_u32 s3, s23, s3
	s_waitcnt lgkmcnt(0)
	s_lshl_b64 s[8:9], s[8:9], 1
	s_load_dwordx2 s[2:3], s[2:3], 0x0
	s_waitcnt lgkmcnt(0)
	s_add_u32 s8, s2, s8
	s_addc_u32 s9, s3, s9
	s_branch .LBB249_7
.LBB249_6:
	s_waitcnt lgkmcnt(0)
	s_mov_b64 s[8:9], 0
.LBB249_7:
	s_clause 0x2
	s_load_dword s12, s[4:5], 0x38
	s_load_dword s18, s[4:5], 0x0
	;; [unrolled: 1-line block ×3, first 2 shown]
	s_lshl_b64 s[2:3], s[20:21], 3
	v_lshl_add_u32 v3, v1, 3, v0
	v_and_b32_e32 v5, 3, v0
	v_mov_b32_e32 v10, 0
	v_and_b32_e32 v6, 63, v3
	v_lshrrev_b32_e32 v12, 2, v3
	v_lshrrev_b32_e32 v4, 6, v3
	v_lshlrev_b32_e32 v5, 1, v5
	s_waitcnt lgkmcnt(0)
	s_ashr_i32 s13, s12, 31
	s_add_u32 s2, s10, s2
	s_addc_u32 s3, s11, s3
	s_add_i32 s10, s18, -1
	s_ashr_i32 s11, s10, 31
	s_lshr_b32 s11, s11, 26
	s_add_i32 s10, s10, s11
	s_ashr_i32 s10, s10, 6
	s_add_i32 s11, s10, 1
	s_not_b32 s10, s10
	v_cvt_f32_u32_e32 v2, s11
	v_rcp_iflag_f32_e32 v2, v2
	v_mul_f32_e32 v2, 0x4f7ffffe, v2
	v_cvt_u32_f32_e32 v2, v2
	v_readfirstlane_b32 s18, v2
	s_mul_i32 s10, s10, s18
	s_mul_hi_u32 s10, s18, s10
	s_add_i32 s18, s18, s10
	s_mul_hi_u32 s10, s6, s18
	s_mul_i32 s18, s10, s11
	s_add_i32 s19, s10, 1
	s_sub_i32 s18, s6, s18
	s_sub_i32 s20, s18, s11
	s_cmp_ge_u32 s18, s11
	s_cselect_b32 s10, s19, s10
	s_cselect_b32 s18, s20, s18
	s_add_i32 s19, s10, 1
	s_cmp_ge_u32 s18, s11
	s_cselect_b32 s10, s19, s10
	s_and_b32 vcc_lo, exec_lo, s1
	s_mul_i32 s11, s10, s11
	s_lshl_b32 s10, s10, 7
	s_sub_i32 s6, s6, s11
	v_or_b32_e32 v2, s10, v6
	s_lshl_b32 s11, s6, 6
	v_add_nc_u32_e32 v7, s11, v12
	v_ashrrev_i32_e32 v3, 31, v2
	s_cbranch_vccnz .LBB249_10
; %bb.8:
	v_mad_i64_i32 v[8:9], null, s12, v4, 0
	v_mad_i64_i32 v[13:14], null, v7, s7, 0
	v_lshlrev_b64 v[15:16], 1, v[2:3]
	v_lshlrev_b64 v[8:9], 1, v[8:9]
	;; [unrolled: 1-line block ×3, first 2 shown]
	v_add_co_u32 v8, vcc_lo, s14, v8
	v_add_co_ci_u32_e64 v9, null, s15, v9, vcc_lo
	v_add_co_u32 v11, vcc_lo, s16, v13
	v_add_co_ci_u32_e64 v14, null, s17, v14, vcc_lo
	;; [unrolled: 2-line block ×4, first 2 shown]
	flat_load_ushort v11, v[8:9]
	flat_load_ushort v13, v[13:14]
	flat_load_ushort v9, v[8:9] offset:128
	s_waitcnt vmcnt(2) lgkmcnt(2)
	v_mul_f16_e32 v8, v33, v11
	s_waitcnt vmcnt(1) lgkmcnt(1)
	v_mul_f16_e32 v13, v33, v13
	;; [unrolled: 2-line block ×3, first 2 shown]
	v_pack_b32_f16 v8, v8, 0
	s_and_b32 vcc_lo, exec_lo, s1
	s_cbranch_vccnz .LBB249_11
.LBB249_9:
	v_add_nc_u32_e32 v10, 4, v4
	v_mad_i64_i32 v[14:15], null, v7, s7, 0
	v_lshlrev_b64 v[2:3], 1, v[2:3]
	v_mad_i64_i32 v[10:11], null, s12, v10, 0
	v_lshlrev_b64 v[14:15], 1, v[14:15]
	v_lshlrev_b64 v[10:11], 1, v[10:11]
	v_add_co_u32 v10, vcc_lo, s14, v10
	v_add_co_ci_u32_e64 v11, null, s15, v11, vcc_lo
	v_add_co_u32 v14, vcc_lo, s16, v14
	v_add_co_ci_u32_e64 v15, null, s17, v15, vcc_lo
	;; [unrolled: 2-line block ×4, first 2 shown]
	flat_load_ushort v14, v[2:3]
	flat_load_ushort v10, v[10:11] offset:8
	flat_load_ushort v2, v[2:3] offset:128
	s_waitcnt vmcnt(2) lgkmcnt(2)
	v_mul_f16_e32 v3, v33, v14
	s_waitcnt vmcnt(1) lgkmcnt(1)
	v_mul_f16_e32 v10, v33, v10
	;; [unrolled: 2-line block ×3, first 2 shown]
	v_pack_b32_f16 v3, v3, 0
	s_branch .LBB249_12
.LBB249_10:
	v_mov_b32_e32 v8, 0
	v_mov_b32_e32 v13, 0
	;; [unrolled: 1-line block ×3, first 2 shown]
	s_and_b32 vcc_lo, exec_lo, s1
	s_cbranch_vccz .LBB249_9
.LBB249_11:
	v_mov_b32_e32 v3, 0
	v_mov_b32_e32 v11, 0
.LBB249_12:
	v_lshlrev_b32_e32 v14, 3, v6
	v_lshlrev_b32_e32 v35, 3, v0
	v_lshl_or_b32 v2, v12, 3, v5
	v_lshlrev_b32_e32 v34, 3, v1
	s_load_dwordx2 s[2:3], s[2:3], 0x0
	v_lshl_add_u32 v36, v4, 1, v14
	v_add_nc_u32_e32 v37, 0x800, v35
	ds_write_b16 v2, v13 offset:2048
	s_load_dword s1, s[4:5], 0x8
	ds_write_b16 v36, v8
	ds_write_b16 v36, v9 offset:512
	s_waitcnt lgkmcnt(0)
	s_barrier
	buffer_gl0_inv
	ds_read2_b64 v[12:15], v34 offset1:32
	ds_read2_b64 v[16:19], v37 offset0:48 offset1:56
	ds_read2_b64 v[20:23], v34 offset0:64 offset1:96
	ds_read2_b64 v[24:27], v37 offset1:8
	ds_read2_b64 v[28:31], v37 offset0:16 offset1:24
	ds_read2_b64 v[54:57], v37 offset0:32 offset1:40
	ds_write_b16 v2, v10 offset:2560
	ds_write_b16 v36, v3 offset:1024
	;; [unrolled: 1-line block ×3, first 2 shown]
	s_waitcnt lgkmcnt(0)
	s_barrier
	buffer_gl0_inv
	s_cmp_lt_i32 s1, 9
	v_pk_max_f16 v12, v12, v12
	v_pk_max_f16 v18, v18, v18
	;; [unrolled: 1-line block ×10, first 2 shown]
	v_pk_min_f16 v58, v37, v12
	v_pk_min_f16 v59, v37, v14
	;; [unrolled: 1-line block ×10, first 2 shown]
	v_pk_max_f16 v19, v19, v19
	v_pk_max_f16 v26, v26, v26
	v_pk_max_f16 v28, v28, v28
	v_pk_max_f16 v30, v30, v30
	v_pk_min_f16 v40, v24, v12
	v_pk_min_f16 v41, v24, v14
	;; [unrolled: 1-line block ×4, first 2 shown]
	v_pk_max_f16 v21, v21, v21
	v_pk_max_f16 v23, v23, v23
	;; [unrolled: 1-line block ×4, first 2 shown]
	v_pk_min_f16 v39, v18, v20
	v_pk_add_f16 v37, v37, 0
	v_pk_min_f16 v44, v19, v13
	v_pk_add_f16 v38, v38, 0
	v_pk_min_f16 v49, v19, v15
	v_pk_min_f16 v43, v26, v12
	;; [unrolled: 1-line block ×13, first 2 shown]
	v_pk_max_f16 v27, v27, v27
	v_pk_min_f16 v12, v16, v12
	v_pk_min_f16 v14, v16, v14
	;; [unrolled: 1-line block ×3, first 2 shown]
	v_pk_add_f16 v39, v39, 0
	v_pk_min_f16 v54, v19, v21
	v_pk_min_f16 v16, v16, v22
	;; [unrolled: 1-line block ×3, first 2 shown]
	v_pk_add_f16 v37, v37, v44
	v_pk_add_f16 v38, v38, v49
	v_pk_add_f16 v22, v40, 0
	v_pk_min_f16 v40, v25, v13
	v_pk_min_f16 v44, v25, v15
	;; [unrolled: 1-line block ×3, first 2 shown]
	v_pk_add_f16 v24, v24, 0
	v_pk_min_f16 v25, v25, v23
	v_pk_max_f16 v29, v29, v29
	v_pk_max_f16 v31, v31, v31
	v_pk_add_f16 v39, v39, v54
	v_pk_add_f16 v41, v41, 0
	;; [unrolled: 1-line block ×4, first 2 shown]
	v_pk_min_f16 v65, v27, v13
	v_pk_add_f16 v40, v22, v40
	v_pk_add_f16 v43, v24, v25
	;; [unrolled: 1-line block ×3, first 2 shown]
	v_pk_min_f16 v24, v27, v15
	v_pk_add_f16 v25, v46, 0
	v_pk_min_f16 v46, v27, v21
	v_pk_add_f16 v26, v26, 0
	;; [unrolled: 2-line block ×3, first 2 shown]
	v_pk_add_f16 v42, v42, v49
	v_pk_add_f16 v44, v54, v65
	;; [unrolled: 1-line block ×3, first 2 shown]
	v_pk_min_f16 v54, v29, v13
	v_pk_min_f16 v66, v29, v15
	v_pk_add_f16 v45, v22, v24
	v_pk_add_f16 v47, v26, v27
	;; [unrolled: 1-line block ×3, first 2 shown]
	v_pk_min_f16 v24, v29, v21
	v_pk_min_f16 v26, v29, v23
	v_pk_add_f16 v29, v52, 0
	v_pk_min_f16 v52, v31, v15
	v_pk_add_f16 v65, v48, 0
	v_pk_add_f16 v46, v25, v46
	;; [unrolled: 1-line block ×7, first 2 shown]
	v_pk_min_f16 v29, v31, v23
	v_pk_add_f16 v27, v51, 0
	v_pk_min_f16 v28, v31, v13
	v_pk_add_f16 v51, v25, v26
	v_pk_add_f16 v26, v56, 0
	;; [unrolled: 1-line block ×3, first 2 shown]
	v_pk_max_f16 v22, v55, v55
	v_pk_add_f16 v49, v65, v66
	v_pk_add_f16 v65, v53, 0
	;; [unrolled: 1-line block ×6, first 2 shown]
	v_pk_max_f16 v29, v57, v57
	v_pk_min_f16 v55, v22, v13
	v_pk_min_f16 v57, v22, v15
	;; [unrolled: 1-line block ×4, first 2 shown]
	v_pk_max_f16 v17, v17, v17
	v_pk_min_f16 v66, v31, v21
	v_pk_add_f16 v28, v61, 0
	v_pk_add_f16 v30, v62, 0
	;; [unrolled: 1-line block ×13, first 2 shown]
	v_pk_min_f16 v22, v29, v13
	v_pk_min_f16 v24, v29, v15
	;; [unrolled: 1-line block ×9, first 2 shown]
	v_pk_add_f16 v52, v65, v66
	v_pk_add_f16 v68, v28, v22
	;; [unrolled: 1-line block ×10, first 2 shown]
	s_cbranch_scc1 .LBB249_23
; %bb.13:
	v_mad_i64_i32 v[12:13], null, s7, v7, 0
	v_add_nc_u32_e32 v6, s10, v6
	v_add_nc_u32_e32 v55, 0x800, v2
	;; [unrolled: 1-line block ×4, first 2 shown]
	v_perm_b32 v82, v11, v3, 0x5040100
	v_ashrrev_i32_e32 v7, 31, v6
	v_add_nc_u32_e32 v3, 8, v4
	v_or_b32_e32 v57, 0x800, v35
	v_mad_i64_i32 v[14:15], null, v2, s12, 0
	v_perm_b32 v2, v9, v8, 0x5040100
	v_lshlrev_b64 v[8:9], 1, v[12:13]
	v_lshlrev_b64 v[6:7], 1, v[6:7]
	v_mad_i64_i32 v[3:4], null, v3, s12, 0
	v_or_b32_e32 v67, 0x400, v36
	v_lshlrev_b64 v[26:27], 1, v[14:15]
	v_add_co_u32 v5, vcc_lo, v8, v5
	v_add_co_ci_u32_e64 v8, null, 0, v9, vcc_lo
	v_add_co_u32 v75, vcc_lo, s14, v6
	v_add_co_ci_u32_e64 v76, null, s15, v7, vcc_lo
	;; [unrolled: 2-line block ×3, first 2 shown]
	v_lshlrev_b64 v[28:29], 1, v[3:4]
	v_add_co_u32 v30, vcc_lo, v5, 16
	v_lshl_add_u32 v70, v0, 3, 0xa00
	v_lshl_add_u32 v71, v1, 3, 0x400
	v_add_co_ci_u32_e64 v31, null, 0, v6, vcc_lo
	s_add_i32 s1, s1, -8
	s_lshl_b64 s[6:7], s[12:13], 4
	s_mov_b32 s12, 0
	s_branch .LBB249_15
.LBB249_14:                             ;   in Loop: Header=BB249_15 Depth=1
	v_pk_max_f16 v4, v4, v4
	v_pk_max_f16 v22, v22, v22
	;; [unrolled: 1-line block ×7, first 2 shown]
	v_pk_min_f16 v82, v4, v22
	v_pk_min_f16 v83, v4, v24
	v_pk_max_f16 v16, v16, v16
	v_pk_max_f16 v12, v12, v12
	v_pk_min_f16 v91, v10, v22
	v_pk_min_f16 v92, v10, v24
	;; [unrolled: 1-line block ×4, first 2 shown]
	v_pk_max_f16 v23, v23, v23
	v_pk_max_f16 v25, v25, v25
	;; [unrolled: 1-line block ×15, first 2 shown]
	v_pk_min_f16 v84, v4, v18
	v_pk_min_f16 v85, v14, v22
	;; [unrolled: 1-line block ×58, first 2 shown]
	v_pk_add_f16 v3, v37, v82
	v_pk_add_f16 v5, v38, v83
	;; [unrolled: 1-line block ×26, first 2 shown]
	ds_read2_b64 v[3:6], v57 offset0:48 offset1:56
	ds_read2_b64 v[7:10], v34 offset1:32
	v_pk_add_f16 v43, v46, v90
	v_pk_add_f16 v46, v50, v93
	;; [unrolled: 1-line block ×10, first 2 shown]
	ds_read2_b64 v[11:14], v34 offset0:64 offset1:96
	ds_read2_b64 v[15:18], v57 offset1:8
	v_pk_add_f16 v22, v72, v22
	v_pk_add_f16 v24, v73, v24
	;; [unrolled: 1-line block ×6, first 2 shown]
	s_waitcnt lgkmcnt(3)
	v_pk_max_f16 v5, v5, v5
	s_waitcnt lgkmcnt(2)
	v_pk_max_f16 v7, v7, v7
	v_pk_max_f16 v9, v9, v9
	v_pk_add_f16 v24, v24, v25
	v_pk_add_f16 v25, v62, v19
	v_pk_add_f16 v63, v63, v21
	v_pk_min_f16 v59, v5, v7
	v_pk_min_f16 v60, v5, v9
	ds_read2_b64 v[19:22], v57 offset0:16 offset1:24
	v_pk_add_f16 v39, v39, v103
	v_pk_add_f16 v40, v40, v104
	v_pk_add_f16 v74, v61, v122
	s_waitcnt lgkmcnt(2)
	v_pk_max_f16 v11, v11, v11
	s_waitcnt lgkmcnt(1)
	v_pk_max_f16 v15, v15, v15
	v_pk_add_f16 v64, v64, v59
	v_pk_add_f16 v65, v65, v60
	;; [unrolled: 1-line block ×3, first 2 shown]
	v_pk_min_f16 v61, v5, v11
	v_pk_min_f16 v59, v15, v9
	v_pk_min_f16 v60, v15, v11
	v_perm_b32 v2, v81, v80, 0x5040100
	v_pk_max_f16 v13, v13, v13
	v_pk_add_f16 v80, v37, v61
	v_pk_add_f16 v83, v39, v59
	v_pk_add_f16 v84, v40, v60
	ds_read2_b64 v[59:62], v57 offset0:32 offset1:40
	v_pk_min_f16 v37, v15, v7
	v_pk_max_f16 v17, v17, v17
	v_pk_add_f16 v41, v41, v105
	v_pk_add_f16 v42, v42, v106
	;; [unrolled: 1-line block ×3, first 2 shown]
	v_pk_min_f16 v15, v15, v13
	v_pk_add_f16 v81, v38, v37
	v_pk_min_f16 v37, v17, v7
	v_pk_min_f16 v38, v17, v9
	;; [unrolled: 1-line block ×3, first 2 shown]
	s_waitcnt lgkmcnt(1)
	v_pk_max_f16 v19, v19, v19
	v_pk_add_f16 v44, v44, v108
	v_pk_add_f16 v45, v45, v109
	;; [unrolled: 1-line block ×4, first 2 shown]
	v_pk_min_f16 v17, v17, v13
	v_pk_add_f16 v66, v41, v37
	v_pk_add_f16 v85, v42, v38
	;; [unrolled: 1-line block ×3, first 2 shown]
	v_pk_min_f16 v37, v19, v7
	v_pk_min_f16 v38, v19, v9
	;; [unrolled: 1-line block ×3, first 2 shown]
	v_pk_max_f16 v21, v21, v21
	v_pk_add_f16 v47, v47, v111
	v_pk_add_f16 v48, v48, v112
	;; [unrolled: 1-line block ×4, first 2 shown]
	v_pk_min_f16 v19, v19, v13
	v_pk_add_f16 v68, v44, v37
	v_pk_add_f16 v87, v45, v38
	;; [unrolled: 1-line block ×3, first 2 shown]
	v_pk_min_f16 v37, v21, v7
	v_pk_min_f16 v38, v21, v9
	s_waitcnt lgkmcnt(0)
	v_pk_max_f16 v39, v59, v59
	v_pk_min_f16 v40, v21, v11
	v_pk_add_f16 v51, v51, v115
	v_pk_add_f16 v52, v52, v116
	;; [unrolled: 1-line block ×5, first 2 shown]
	v_pk_min_f16 v37, v39, v7
	v_pk_add_f16 v89, v49, v40
	v_pk_min_f16 v38, v39, v9
	v_pk_max_f16 v40, v61, v61
	v_pk_add_f16 v53, v53, v117
	v_pk_add_f16 v56, v56, v119
	;; [unrolled: 1-line block ×3, first 2 shown]
	v_pk_min_f16 v37, v39, v11
	v_pk_add_f16 v90, v52, v38
	v_pk_min_f16 v38, v40, v7
	v_pk_max_f16 v3, v3, v3
	v_pk_max_f16 v6, v6, v6
	;; [unrolled: 1-line block ×3, first 2 shown]
	v_pk_min_f16 v21, v21, v13
	v_pk_min_f16 v39, v39, v13
	;; [unrolled: 1-line block ×3, first 2 shown]
	v_pk_add_f16 v91, v53, v37
	v_pk_add_f16 v93, v56, v38
	v_pk_min_f16 v37, v40, v11
	v_pk_min_f16 v38, v40, v13
	;; [unrolled: 1-line block ×6, first 2 shown]
	v_pk_max_f16 v10, v10, v10
	v_pk_min_f16 v5, v5, v13
	v_pk_max_f16 v12, v12, v12
	v_pk_min_f16 v13, v6, v8
	v_pk_add_f16 v54, v54, v118
	v_pk_add_f16 v73, v73, v37
	;; [unrolled: 1-line block ×4, first 2 shown]
	v_pk_min_f16 v23, v6, v10
	v_pk_min_f16 v24, v6, v12
	v_pk_max_f16 v16, v16, v16
	v_pk_add_f16 v37, v64, v13
	v_pk_max_f16 v13, v14, v14
	v_pk_add_f16 v92, v54, v39
	v_pk_add_f16 v74, v74, v38
	;; [unrolled: 1-line block ×4, first 2 shown]
	v_pk_min_f16 v14, v16, v8
	v_pk_min_f16 v23, v16, v10
	;; [unrolled: 1-line block ×4, first 2 shown]
	v_pk_max_f16 v18, v18, v18
	v_pk_add_f16 v40, v81, v14
	v_pk_max_f16 v20, v20, v20
	v_pk_add_f16 v50, v50, v114
	v_pk_add_f16 v43, v15, v16
	v_pk_min_f16 v14, v18, v8
	v_pk_min_f16 v15, v18, v10
	;; [unrolled: 1-line block ×4, first 2 shown]
	v_pk_add_f16 v21, v50, v21
	v_pk_add_f16 v44, v66, v14
	v_pk_add_f16 v45, v85, v15
	v_pk_add_f16 v46, v86, v16
	v_pk_add_f16 v47, v17, v18
	v_pk_min_f16 v14, v20, v8
	v_pk_min_f16 v15, v20, v10
	;; [unrolled: 1-line block ×4, first 2 shown]
	v_pk_max_f16 v18, v22, v22
	v_pk_add_f16 v48, v68, v14
	v_pk_add_f16 v49, v87, v15
	;; [unrolled: 1-line block ×4, first 2 shown]
	v_pk_min_f16 v14, v18, v8
	v_pk_min_f16 v15, v18, v10
	;; [unrolled: 1-line block ×4, first 2 shown]
	v_pk_max_f16 v18, v60, v60
	v_pk_add_f16 v53, v59, v14
	v_pk_add_f16 v54, v69, v15
	v_pk_add_f16 v52, v89, v16
	v_pk_add_f16 v56, v21, v17
	v_pk_min_f16 v14, v18, v8
	v_pk_min_f16 v15, v18, v10
	;; [unrolled: 1-line block ×4, first 2 shown]
	v_pk_max_f16 v18, v62, v62
	v_pk_max_f16 v4, v4, v4
	v_pk_add_f16 v72, v72, v41
	v_pk_add_f16 v11, v25, v11
	;; [unrolled: 1-line block ×8, first 2 shown]
	v_pk_min_f16 v14, v18, v8
	v_pk_min_f16 v15, v18, v10
	;; [unrolled: 1-line block ×9, first 2 shown]
	v_add_co_u32 v75, vcc_lo, v75, s6
	v_add_co_ci_u32_e64 v76, null, s7, v76, vcc_lo
	v_add_co_u32 v30, vcc_lo, v30, 16
	v_pk_add_f16 v41, v83, v23
	v_pk_add_f16 v42, v84, v24
	;; [unrolled: 1-line block ×11, first 2 shown]
	v_perm_b32 v82, v79, v77, 0x5040100
	v_add_co_ci_u32_e64 v31, null, 0, v31, vcc_lo
	s_add_i32 s12, s12, 8
	ds_write_b16 v58, v78
	ds_write_b16 v67, v77
	ds_write_b16 v67, v79 offset:512
	s_cmp_ge_i32 s12, s1
	s_waitcnt lgkmcnt(0)
	s_barrier
	buffer_gl0_inv
	s_cbranch_scc1 .LBB249_23
.LBB249_15:                             ; =>This Inner Loop Header: Depth=1
	s_mov_b32 s13, -1
	s_mov_b32 vcc_lo, s0
                                        ; implicit-def: $vgpr80
	s_cbranch_vccz .LBB249_17
; %bb.16:                               ;   in Loop: Header=BB249_15 Depth=1
	v_and_b32_e32 v80, 0xffff0000, v2
	s_mov_b32 s13, 0
.LBB249_17:                             ;   in Loop: Header=BB249_15 Depth=1
	v_mov_b32_e32 v77, 0
	v_mov_b32_e32 v81, 0
	s_andn2_b32 vcc_lo, exec_lo, s13
	s_cbranch_vccnz .LBB249_19
; %bb.18:                               ;   in Loop: Header=BB249_15 Depth=1
	v_add_co_u32 v3, vcc_lo, v75, v28
	v_add_co_ci_u32_e64 v4, null, v76, v29, vcc_lo
	flat_load_ushort v5, v[3:4]
	flat_load_ushort v6, v[30:31]
	flat_load_ushort v3, v[3:4] offset:128
	s_waitcnt vmcnt(2) lgkmcnt(2)
	v_mul_f16_e32 v4, v33, v5
	s_waitcnt vmcnt(1) lgkmcnt(1)
	v_mul_f16_e32 v77, v33, v6
	;; [unrolled: 2-line block ×3, first 2 shown]
	v_bfi_b32 v80, 0xffff, v4, v2
.LBB249_19:                             ;   in Loop: Header=BB249_15 Depth=1
	ds_read2_b64 v[2:5], v70 offset0:48 offset1:56
	ds_read2_b64 v[18:21], v71 offset0:64 offset1:96
	ds_read2_b64 v[22:25], v71 offset1:32
	ds_read2_b64 v[14:17], v70 offset1:8
	ds_read2_b64 v[10:13], v70 offset0:16 offset1:24
	ds_read2_b64 v[6:9], v70 offset0:32 offset1:40
	s_mov_b32 s13, -1
	s_mov_b32 vcc_lo, s0
	ds_write_b16 v55, v77
	ds_write_b16 v36, v80
	ds_write_b16 v36, v81 offset:512
	s_waitcnt lgkmcnt(0)
	s_barrier
	buffer_gl0_inv
                                        ; implicit-def: $vgpr77
	s_cbranch_vccz .LBB249_21
; %bb.20:                               ;   in Loop: Header=BB249_15 Depth=1
	v_and_b32_e32 v77, 0xffff0000, v82
	s_mov_b32 s13, 0
.LBB249_21:                             ;   in Loop: Header=BB249_15 Depth=1
	v_mov_b32_e32 v78, 0
	v_mov_b32_e32 v79, 0
	s_andn2_b32 vcc_lo, exec_lo, s13
	s_cbranch_vccnz .LBB249_14
; %bb.22:                               ;   in Loop: Header=BB249_15 Depth=1
	v_add_co_u32 v77, vcc_lo, v75, v26
	v_add_co_ci_u32_e64 v78, null, v76, v27, vcc_lo
	flat_load_ushort v79, v[77:78]
	flat_load_ushort v83, v[30:31] offset:8
	flat_load_ushort v84, v[77:78] offset:128
	s_waitcnt vmcnt(2) lgkmcnt(2)
	v_mul_f16_e32 v77, v33, v79
	s_waitcnt vmcnt(1) lgkmcnt(1)
	v_mul_f16_e32 v78, v33, v83
	;; [unrolled: 2-line block ×3, first 2 shown]
	v_bfi_b32 v77, 0xffff, v77, v82
	s_branch .LBB249_14
.LBB249_23:
	v_add_nc_u32_e32 v18, 0x800, v35
	s_load_dwordx2 s[12:13], s[4:5], 0x78
	v_cmp_neq_f16_e64 s0, 0, v32
	v_add_nc_u32_e32 v1, s10, v1
	ds_read2_b64 v[2:5], v34 offset0:128 offset1:160
	ds_read2_b64 v[6:9], v18 offset0:112 offset1:120
	;; [unrolled: 1-line block ×4, first 2 shown]
	s_clause 0x1
	s_load_dword s6, s[4:5], 0x58
	s_load_dword s7, s[4:5], 0x70
	ds_read2_b64 v[26:29], v18 offset0:80 offset1:88
	ds_read2_b64 v[75:78], v18 offset0:96 offset1:104
	s_waitcnt lgkmcnt(0)
	s_lshl_b64 s[4:5], s[12:13], 1
	v_pk_max_f16 v2, v2, v2
	v_pk_max_f16 v4, v4, v4
	;; [unrolled: 1-line block ×7, first 2 shown]
	v_pk_min_f16 v24, v16, v2
	v_pk_min_f16 v25, v16, v4
	v_pk_min_f16 v18, v8, v2
	v_pk_max_f16 v28, v28, v28
	v_pk_min_f16 v34, v26, v10
	v_pk_add_f16 v31, v44, v24
	v_pk_add_f16 v33, v45, v25
	v_pk_min_f16 v24, v26, v2
	v_pk_min_f16 v25, v26, v4
	;; [unrolled: 1-line block ×3, first 2 shown]
	v_pk_max_f16 v14, v14, v14
	v_pk_min_f16 v19, v8, v4
	v_pk_min_f16 v20, v8, v10
	v_pk_add_f16 v18, v37, v18
	v_pk_add_f16 v35, v48, v24
	;; [unrolled: 1-line block ×3, first 2 shown]
	v_pk_min_f16 v24, v28, v2
	v_pk_max_f16 v26, v75, v75
	v_pk_min_f16 v21, v14, v2
	v_pk_min_f16 v22, v14, v4
	;; [unrolled: 1-line block ×3, first 2 shown]
	v_pk_add_f16 v19, v38, v19
	v_pk_add_f16 v20, v39, v20
	v_pk_add_f16 v36, v49, v25
	v_pk_min_f16 v25, v28, v4
	v_pk_min_f16 v38, v28, v10
	;; [unrolled: 1-line block ×3, first 2 shown]
	v_pk_add_f16 v39, v53, v24
	v_pk_min_f16 v24, v26, v2
	v_pk_min_f16 v14, v14, v12
	v_pk_add_f16 v21, v40, v21
	v_pk_add_f16 v22, v41, v22
	;; [unrolled: 1-line block ×5, first 2 shown]
	v_pk_min_f16 v25, v26, v4
	v_pk_max_f16 v28, v77, v77
	v_pk_add_f16 v42, v62, v24
	v_pk_min_f16 v24, v26, v10
	v_pk_max_f16 v6, v6, v6
	v_pk_min_f16 v30, v16, v10
	v_pk_min_f16 v16, v16, v12
	v_pk_add_f16 v14, v43, v14
	v_pk_add_f16 v43, v61, v25
	v_pk_min_f16 v25, v28, v2
	v_pk_min_f16 v44, v28, v4
	v_pk_add_f16 v45, v59, v24
	v_pk_min_f16 v24, v28, v10
	v_pk_min_f16 v2, v6, v2
	;; [unrolled: 1-line block ×5, first 2 shown]
	v_pk_max_f16 v3, v3, v3
	v_pk_max_f16 v9, v9, v9
	v_pk_add_f16 v16, v47, v16
	v_pk_min_f16 v26, v26, v12
	v_pk_add_f16 v47, v68, v25
	v_pk_min_f16 v25, v28, v12
	v_pk_max_f16 v5, v5, v5
	v_pk_min_f16 v8, v8, v12
	v_pk_max_f16 v11, v11, v11
	v_pk_add_f16 v12, v66, v6
	v_pk_min_f16 v6, v9, v3
	v_pk_add_f16 v48, v63, v24
	v_pk_add_f16 v49, v64, v25
	v_pk_min_f16 v24, v9, v5
	v_pk_min_f16 v25, v9, v11
	v_pk_max_f16 v15, v15, v15
	v_pk_add_f16 v18, v18, v6
	v_pk_max_f16 v6, v13, v13
	v_pk_add_f16 v19, v19, v24
	v_pk_add_f16 v20, v20, v25
	v_pk_min_f16 v13, v15, v3
	v_pk_min_f16 v24, v15, v5
	;; [unrolled: 1-line block ×4, first 2 shown]
	v_pk_max_f16 v17, v17, v17
	v_pk_add_f16 v30, v46, v30
	v_pk_add_f16 v34, v50, v34
	;; [unrolled: 1-line block ×5, first 2 shown]
	v_pk_min_f16 v13, v17, v3
	v_pk_min_f16 v14, v17, v5
	;; [unrolled: 1-line block ×4, first 2 shown]
	v_pk_max_f16 v50, v27, v27
	v_pk_add_f16 v46, v60, v26
	v_pk_add_f16 v23, v23, v25
	v_pk_add_f16 v25, v31, v13
	v_pk_add_f16 v26, v33, v14
	v_pk_add_f16 v27, v30, v15
	v_pk_add_f16 v28, v16, v17
	v_pk_min_f16 v13, v50, v3
	v_pk_min_f16 v14, v50, v5
	v_pk_min_f16 v15, v50, v11
	v_pk_min_f16 v16, v50, v6
	v_pk_max_f16 v17, v29, v29
	v_pk_add_f16 v29, v35, v13
	v_pk_add_f16 v30, v36, v14
	;; [unrolled: 1-line block ×4, first 2 shown]
	v_pk_min_f16 v13, v17, v3
	v_pk_min_f16 v14, v17, v5
	;; [unrolled: 1-line block ×4, first 2 shown]
	v_pk_max_f16 v17, v76, v76
	v_pk_add_f16 v38, v52, v38
	v_pk_add_f16 v34, v39, v13
	;; [unrolled: 1-line block ×4, first 2 shown]
	v_pk_min_f16 v13, v17, v3
	v_pk_min_f16 v14, v17, v5
	v_pk_max_f16 v16, v78, v78
	v_pk_max_f16 v7, v7, v7
	v_pk_add_f16 v2, v72, v2
	v_pk_add_f16 v4, v73, v4
	;; [unrolled: 1-line block ×3, first 2 shown]
	v_pk_min_f16 v15, v17, v11
	v_pk_min_f16 v17, v17, v6
	v_pk_add_f16 v38, v42, v13
	v_pk_add_f16 v39, v43, v14
	v_pk_min_f16 v13, v16, v3
	v_pk_min_f16 v14, v16, v5
	;; [unrolled: 1-line block ×4, first 2 shown]
	v_pk_add_f16 v44, v69, v44
	v_pk_add_f16 v10, v74, v10
	;; [unrolled: 1-line block ×5, first 2 shown]
	v_pk_min_f16 v15, v16, v11
	v_pk_add_f16 v42, v47, v13
	v_pk_min_f16 v13, v16, v6
	v_pk_add_f16 v46, v2, v3
	v_pk_min_f16 v3, v7, v11
	v_add_nc_u32_e32 v2, s11, v0
	v_pk_add_f16 v0, v4, v5
	v_pk_min_f16 v5, v7, v6
	v_pk_min_f16 v7, v9, v6
	v_pk_add_f16 v43, v44, v14
	v_pk_add_f16 v44, v48, v15
	;; [unrolled: 1-line block ×4, first 2 shown]
	v_add_nc_u32_e32 v4, 8, v2
	v_add_nc_u32_e32 v6, 16, v2
	v_pk_add_f16 v48, v12, v5
	v_pk_add_f16 v49, v8, v7
	v_add_nc_u32_e32 v8, 24, v2
	v_add_nc_u32_e32 v10, 32, v2
	;; [unrolled: 1-line block ×5, first 2 shown]
	v_ashrrev_i32_e32 v3, 31, v2
	v_ashrrev_i32_e32 v5, 31, v4
	;; [unrolled: 1-line block ×8, first 2 shown]
	v_lshlrev_b64 v[2:3], 1, v[2:3]
	v_lshlrev_b64 v[4:5], 1, v[4:5]
	;; [unrolled: 1-line block ×8, first 2 shown]
	s_add_u32 s10, s2, s4
	s_addc_u32 s3, s3, s5
	s_mov_b64 s[4:5], 15
	s_branch .LBB249_25
.LBB249_24:                             ;   in Loop: Header=BB249_25 Depth=1
	s_add_i32 s1, s4, -1
	v_add_nc_u32_e32 v1, 32, v1
	s_cmp_eq_u32 s1, 1
	s_cselect_b32 vcc_lo, -1, 0
	s_cmp_eq_u32 s1, 2
	v_cndmask_b32_e32 v82, v21, v50, vcc_lo
	s_cselect_b32 vcc_lo, -1, 0
	s_cmp_eq_u32 s1, 3
	v_cndmask_b32_e32 v82, v82, v25, vcc_lo
	;; [unrolled: 3-line block ×62, first 2 shown]
	s_cselect_b32 vcc_lo, -1, 0
	s_cmp_eq_u32 s4, 1
	s_cselect_b32 s1, -1, 0
	s_cmp_eq_u32 s4, 2
	v_cndmask_b32_e64 v50, v21, v50, s1
	s_cselect_b32 s1, -1, 0
	s_cmp_eq_u32 s4, 3
	v_cndmask_b32_e64 v50, v50, v25, s1
	;; [unrolled: 3-line block ×3, first 2 shown]
	s_cselect_b32 s1, -1, 0
	s_cmp_eq_u32 s4, 5
	v_cndmask_b32_e32 v51, v82, v81, vcc_lo
	v_cndmask_b32_e64 v50, v50, v29, s1
	s_cselect_b32 s1, -1, 0
	s_cmp_eq_u32 s4, 6
	v_cndmask_b32_e64 v50, v50, v52, s1
	s_cselect_b32 s1, -1, 0
	s_cmp_eq_u32 s4, 7
	;; [unrolled: 3-line block ×58, first 2 shown]
	s_cselect_b32 vcc_lo, -1, 0
	v_cndmask_b32_e64 v50, v50, v49, s1
	s_add_u32 s4, s4, 16
	s_addc_u32 s5, s5, 0
	s_cmpk_lg_i32 s4, 0x4f
	v_cndmask_b32_e32 v50, v50, v81, vcc_lo
	v_add_f16_e32 v52, v51, v50
	v_add_co_u32 v50, vcc_lo, v84, v16
	v_add_co_ci_u32_e64 v51, null, v85, v17, vcc_lo
	v_add_f16_e32 v52, v52, v86
	flat_store_short v[50:51], v52
	s_cbranch_scc0 .LBB249_41
.LBB249_25:                             ; =>This Inner Loop Header: Depth=1
	v_mad_i64_i32 v[50:51], null, v1, s6, 0
	v_cndmask_b32_e64 v52, 0, 1, s0
	v_mov_b32_e32 v86, 0
	v_mov_b32_e32 v87, 0
	v_cmp_ne_u32_e64 s1, 1, v52
	v_lshlrev_b64 v[50:51], 1, v[50:51]
	v_add_co_u32 v82, vcc_lo, s8, v50
	v_add_co_ci_u32_e64 v83, null, s9, v51, vcc_lo
	s_andn2_b32 vcc_lo, exec_lo, s0
	s_cbranch_vccnz .LBB249_27
; %bb.26:                               ;   in Loop: Header=BB249_25 Depth=1
	v_add_co_u32 v50, vcc_lo, v82, v2
	v_add_co_ci_u32_e64 v51, null, v83, v3, vcc_lo
	flat_load_ushort v50, v[50:51]
	s_waitcnt vmcnt(0) lgkmcnt(0)
	v_mul_f16_e32 v87, v32, v50
.LBB249_27:                             ;   in Loop: Header=BB249_25 Depth=1
	s_add_i32 s2, s4, -15
	v_lshrrev_b32_e32 v50, 16, v21
	s_cmp_eq_u32 s2, 1
	v_lshrrev_b32_e32 v51, 16, v25
	s_cselect_b32 vcc_lo, -1, 0
	s_cmp_eq_u32 s2, 2
	v_cndmask_b32_e32 v52, v21, v50, vcc_lo
	s_cselect_b32 vcc_lo, -1, 0
	s_cmp_eq_u32 s2, 3
	v_cndmask_b32_e32 v52, v52, v25, vcc_lo
	;; [unrolled: 3-line block ×3, first 2 shown]
	s_cselect_b32 vcc_lo, -1, 0
	v_lshrrev_b32_e32 v52, 16, v29
	s_cmp_eq_u32 s2, 5
	v_cndmask_b32_e32 v53, v53, v29, vcc_lo
	s_cselect_b32 vcc_lo, -1, 0
	s_cmp_eq_u32 s2, 6
	v_cndmask_b32_e32 v54, v53, v52, vcc_lo
	s_cselect_b32 vcc_lo, -1, 0
	v_lshrrev_b32_e32 v53, 16, v34
	s_cmp_eq_u32 s2, 7
	v_cndmask_b32_e32 v54, v54, v34, vcc_lo
	s_cselect_b32 vcc_lo, -1, 0
	s_cmp_eq_u32 s2, 8
	v_cndmask_b32_e32 v55, v54, v53, vcc_lo
	;; [unrolled: 7-line block ×29, first 2 shown]
	s_cselect_b32 vcc_lo, -1, 0
	s_cmp_eq_u32 s2, 63
	v_lshrrev_b32_e32 v81, 16, v49
	v_cndmask_b32_e32 v88, v84, v49, vcc_lo
	s_cselect_b32 vcc_lo, -1, 0
	s_add_i32 s11, s4, -14
	s_cmp_eq_u32 s11, 1
	v_cndmask_b32_e32 v88, v88, v81, vcc_lo
	s_cselect_b32 s2, -1, 0
	s_cmp_eq_u32 s11, 2
	v_cndmask_b32_e64 v84, v21, v50, s2
	s_cselect_b32 s2, -1, 0
	s_cmp_eq_u32 s11, 3
	v_cndmask_b32_e64 v84, v84, v25, s2
	;; [unrolled: 3-line block ×61, first 2 shown]
	v_mad_i64_i32 v[84:85], null, v1, s7, 0
	s_cselect_b32 s2, -1, 0
	s_cmp_eq_u32 s11, 63
	v_cndmask_b32_e64 v89, v89, v49, s2
	s_cselect_b32 vcc_lo, -1, 0
	v_lshlrev_b64 v[84:85], 1, v[84:85]
	v_cndmask_b32_e32 v89, v89, v81, vcc_lo
	v_add_co_u32 v84, vcc_lo, s10, v84
	v_add_f16_e32 v88, v88, v89
	v_add_co_ci_u32_e64 v85, null, s3, v85, vcc_lo
	v_add_f16_e32 v89, v88, v87
	v_add_co_u32 v87, vcc_lo, v84, v2
	v_add_co_ci_u32_e64 v88, null, v85, v3, vcc_lo
	s_and_b32 vcc_lo, exec_lo, s1
	flat_store_short v[87:88], v89
	s_cbranch_vccnz .LBB249_29
; %bb.28:                               ;   in Loop: Header=BB249_25 Depth=1
	v_add_co_u32 v86, vcc_lo, v82, v4
	v_add_co_ci_u32_e64 v87, null, v83, v5, vcc_lo
	flat_load_ushort v86, v[86:87]
	s_waitcnt vmcnt(0) lgkmcnt(0)
	v_mul_f16_e32 v86, v32, v86
.LBB249_29:                             ;   in Loop: Header=BB249_25 Depth=1
	s_add_i32 s2, s4, -13
	s_cmp_eq_u32 s2, 1
	s_cselect_b32 vcc_lo, -1, 0
	s_cmp_eq_u32 s2, 2
	v_cndmask_b32_e32 v87, v21, v50, vcc_lo
	s_cselect_b32 vcc_lo, -1, 0
	s_cmp_eq_u32 s2, 3
	v_cndmask_b32_e32 v87, v87, v25, vcc_lo
	;; [unrolled: 3-line block ×62, first 2 shown]
	s_cselect_b32 vcc_lo, -1, 0
	s_add_i32 s11, s4, -12
	s_cmp_eq_u32 s11, 1
	v_cndmask_b32_e32 v87, v87, v81, vcc_lo
	s_cselect_b32 s2, -1, 0
	s_cmp_eq_u32 s11, 2
	v_cndmask_b32_e64 v88, v21, v50, s2
	s_cselect_b32 s2, -1, 0
	s_cmp_eq_u32 s11, 3
	v_cndmask_b32_e64 v88, v88, v25, s2
	;; [unrolled: 3-line block ×61, first 2 shown]
	s_cselect_b32 s2, -1, 0
	s_cmp_eq_u32 s11, 63
	s_cselect_b32 vcc_lo, -1, 0
	v_cndmask_b32_e64 v88, v88, v49, s2
	v_cndmask_b32_e32 v88, v88, v81, vcc_lo
	v_add_f16_e32 v87, v87, v88
	v_add_co_u32 v88, vcc_lo, v84, v4
	v_add_co_ci_u32_e64 v89, null, v85, v5, vcc_lo
	v_add_f16_e32 v90, v87, v86
	v_mov_b32_e32 v86, 0
	v_mov_b32_e32 v87, 0
	s_and_b32 vcc_lo, exec_lo, s1
	flat_store_short v[88:89], v90
	s_cbranch_vccnz .LBB249_31
; %bb.30:                               ;   in Loop: Header=BB249_25 Depth=1
	v_add_co_u32 v87, vcc_lo, v82, v6
	v_add_co_ci_u32_e64 v88, null, v83, v7, vcc_lo
	flat_load_ushort v87, v[87:88]
	s_waitcnt vmcnt(0) lgkmcnt(0)
	v_mul_f16_e32 v87, v32, v87
.LBB249_31:                             ;   in Loop: Header=BB249_25 Depth=1
	s_add_i32 s2, s4, -11
	s_cmp_eq_u32 s2, 1
	s_cselect_b32 vcc_lo, -1, 0
	s_cmp_eq_u32 s2, 2
	v_cndmask_b32_e32 v88, v21, v50, vcc_lo
	s_cselect_b32 vcc_lo, -1, 0
	s_cmp_eq_u32 s2, 3
	v_cndmask_b32_e32 v88, v88, v25, vcc_lo
	;; [unrolled: 3-line block ×62, first 2 shown]
	s_cselect_b32 vcc_lo, -1, 0
	s_add_i32 s11, s4, -10
	s_cmp_eq_u32 s11, 1
	v_cndmask_b32_e32 v88, v88, v81, vcc_lo
	s_cselect_b32 s2, -1, 0
	s_cmp_eq_u32 s11, 2
	v_cndmask_b32_e64 v89, v21, v50, s2
	s_cselect_b32 s2, -1, 0
	s_cmp_eq_u32 s11, 3
	v_cndmask_b32_e64 v89, v89, v25, s2
	;; [unrolled: 3-line block ×61, first 2 shown]
	s_cselect_b32 s2, -1, 0
	s_cmp_eq_u32 s11, 63
	s_cselect_b32 vcc_lo, -1, 0
	v_cndmask_b32_e64 v89, v89, v49, s2
	v_cndmask_b32_e32 v89, v89, v81, vcc_lo
	v_add_f16_e32 v88, v88, v89
	v_add_f16_e32 v89, v88, v87
	v_add_co_u32 v87, vcc_lo, v84, v6
	v_add_co_ci_u32_e64 v88, null, v85, v7, vcc_lo
	s_and_b32 vcc_lo, exec_lo, s1
	flat_store_short v[87:88], v89
	s_cbranch_vccnz .LBB249_33
; %bb.32:                               ;   in Loop: Header=BB249_25 Depth=1
	v_add_co_u32 v86, vcc_lo, v82, v8
	v_add_co_ci_u32_e64 v87, null, v83, v9, vcc_lo
	flat_load_ushort v86, v[86:87]
	s_waitcnt vmcnt(0) lgkmcnt(0)
	v_mul_f16_e32 v86, v32, v86
.LBB249_33:                             ;   in Loop: Header=BB249_25 Depth=1
	s_add_i32 s2, s4, -9
	s_cmp_eq_u32 s2, 1
	s_cselect_b32 vcc_lo, -1, 0
	s_cmp_eq_u32 s2, 2
	v_cndmask_b32_e32 v87, v21, v50, vcc_lo
	s_cselect_b32 vcc_lo, -1, 0
	s_cmp_eq_u32 s2, 3
	v_cndmask_b32_e32 v87, v87, v25, vcc_lo
	;; [unrolled: 3-line block ×62, first 2 shown]
	s_cselect_b32 vcc_lo, -1, 0
	s_add_i32 s11, s4, -8
	s_cmp_eq_u32 s11, 1
	v_cndmask_b32_e32 v87, v87, v81, vcc_lo
	s_cselect_b32 s2, -1, 0
	s_cmp_eq_u32 s11, 2
	v_cndmask_b32_e64 v88, v21, v50, s2
	s_cselect_b32 s2, -1, 0
	s_cmp_eq_u32 s11, 3
	v_cndmask_b32_e64 v88, v88, v25, s2
	;; [unrolled: 3-line block ×61, first 2 shown]
	s_cselect_b32 s2, -1, 0
	s_cmp_eq_u32 s11, 63
	s_cselect_b32 vcc_lo, -1, 0
	v_cndmask_b32_e64 v88, v88, v49, s2
	v_cndmask_b32_e32 v88, v88, v81, vcc_lo
	v_add_f16_e32 v87, v87, v88
	v_add_co_u32 v88, vcc_lo, v84, v8
	v_add_co_ci_u32_e64 v89, null, v85, v9, vcc_lo
	v_add_f16_e32 v90, v87, v86
	v_mov_b32_e32 v86, 0
	v_mov_b32_e32 v87, 0
	s_and_b32 vcc_lo, exec_lo, s1
	flat_store_short v[88:89], v90
	s_cbranch_vccnz .LBB249_35
; %bb.34:                               ;   in Loop: Header=BB249_25 Depth=1
	v_add_co_u32 v87, vcc_lo, v82, v10
	v_add_co_ci_u32_e64 v88, null, v83, v11, vcc_lo
	flat_load_ushort v87, v[87:88]
	s_waitcnt vmcnt(0) lgkmcnt(0)
	v_mul_f16_e32 v87, v32, v87
.LBB249_35:                             ;   in Loop: Header=BB249_25 Depth=1
	s_add_i32 s2, s4, -7
	s_cmp_eq_u32 s2, 1
	s_cselect_b32 vcc_lo, -1, 0
	s_cmp_eq_u32 s2, 2
	v_cndmask_b32_e32 v88, v21, v50, vcc_lo
	s_cselect_b32 vcc_lo, -1, 0
	s_cmp_eq_u32 s2, 3
	v_cndmask_b32_e32 v88, v88, v25, vcc_lo
	;; [unrolled: 3-line block ×62, first 2 shown]
	s_cselect_b32 vcc_lo, -1, 0
	s_add_i32 s11, s4, -6
	s_cmp_eq_u32 s11, 1
	v_cndmask_b32_e32 v88, v88, v81, vcc_lo
	s_cselect_b32 s2, -1, 0
	s_cmp_eq_u32 s11, 2
	v_cndmask_b32_e64 v89, v21, v50, s2
	s_cselect_b32 s2, -1, 0
	s_cmp_eq_u32 s11, 3
	v_cndmask_b32_e64 v89, v89, v25, s2
	;; [unrolled: 3-line block ×61, first 2 shown]
	s_cselect_b32 s2, -1, 0
	s_cmp_eq_u32 s11, 63
	s_cselect_b32 vcc_lo, -1, 0
	v_cndmask_b32_e64 v89, v89, v49, s2
	v_cndmask_b32_e32 v89, v89, v81, vcc_lo
	v_add_f16_e32 v88, v88, v89
	v_add_f16_e32 v89, v88, v87
	v_add_co_u32 v87, vcc_lo, v84, v10
	v_add_co_ci_u32_e64 v88, null, v85, v11, vcc_lo
	s_and_b32 vcc_lo, exec_lo, s1
	flat_store_short v[87:88], v89
	s_cbranch_vccnz .LBB249_37
; %bb.36:                               ;   in Loop: Header=BB249_25 Depth=1
	v_add_co_u32 v86, vcc_lo, v82, v12
	v_add_co_ci_u32_e64 v87, null, v83, v13, vcc_lo
	flat_load_ushort v86, v[86:87]
	s_waitcnt vmcnt(0) lgkmcnt(0)
	v_mul_f16_e32 v86, v32, v86
.LBB249_37:                             ;   in Loop: Header=BB249_25 Depth=1
	s_add_i32 s2, s4, -5
	s_cmp_eq_u32 s2, 1
	s_cselect_b32 vcc_lo, -1, 0
	s_cmp_eq_u32 s2, 2
	v_cndmask_b32_e32 v87, v21, v50, vcc_lo
	s_cselect_b32 vcc_lo, -1, 0
	s_cmp_eq_u32 s2, 3
	v_cndmask_b32_e32 v87, v87, v25, vcc_lo
	s_cselect_b32 vcc_lo, -1, 0
	s_cmp_eq_u32 s2, 4
	v_cndmask_b32_e32 v87, v87, v51, vcc_lo
	s_cselect_b32 vcc_lo, -1, 0
	s_cmp_eq_u32 s2, 5
	v_cndmask_b32_e32 v87, v87, v29, vcc_lo
	s_cselect_b32 vcc_lo, -1, 0
	s_cmp_eq_u32 s2, 6
	v_cndmask_b32_e32 v87, v87, v52, vcc_lo
	s_cselect_b32 vcc_lo, -1, 0
	s_cmp_eq_u32 s2, 7
	v_cndmask_b32_e32 v87, v87, v34, vcc_lo
	s_cselect_b32 vcc_lo, -1, 0
	s_cmp_eq_u32 s2, 8
	v_cndmask_b32_e32 v87, v87, v53, vcc_lo
	s_cselect_b32 vcc_lo, -1, 0
	s_cmp_eq_u32 s2, 9
	v_cndmask_b32_e32 v87, v87, v38, vcc_lo
	s_cselect_b32 vcc_lo, -1, 0
	s_cmp_eq_u32 s2, 10
	v_cndmask_b32_e32 v87, v87, v54, vcc_lo
	s_cselect_b32 vcc_lo, -1, 0
	s_cmp_eq_u32 s2, 11
	v_cndmask_b32_e32 v87, v87, v42, vcc_lo
	s_cselect_b32 vcc_lo, -1, 0
	s_cmp_eq_u32 s2, 12
	v_cndmask_b32_e32 v87, v87, v55, vcc_lo
	s_cselect_b32 vcc_lo, -1, 0
	s_cmp_eq_u32 s2, 13
	v_cndmask_b32_e32 v87, v87, v46, vcc_lo
	s_cselect_b32 vcc_lo, -1, 0
	s_cmp_eq_u32 s2, 14
	v_cndmask_b32_e32 v87, v87, v56, vcc_lo
	s_cselect_b32 vcc_lo, -1, 0
	s_cmp_eq_u32 s2, 15
	v_cndmask_b32_e32 v87, v87, v18, vcc_lo
	s_cselect_b32 vcc_lo, -1, 0
	s_cmp_eq_u32 s2, 16
	v_cndmask_b32_e32 v87, v87, v57, vcc_lo
	s_cselect_b32 vcc_lo, -1, 0
	s_cmp_eq_u32 s2, 17
	v_cndmask_b32_e32 v87, v87, v22, vcc_lo
	s_cselect_b32 vcc_lo, -1, 0
	s_cmp_eq_u32 s2, 18
	v_cndmask_b32_e32 v87, v87, v58, vcc_lo
	s_cselect_b32 vcc_lo, -1, 0
	s_cmp_eq_u32 s2, 19
	v_cndmask_b32_e32 v87, v87, v26, vcc_lo
	s_cselect_b32 vcc_lo, -1, 0
	s_cmp_eq_u32 s2, 20
	v_cndmask_b32_e32 v87, v87, v59, vcc_lo
	s_cselect_b32 vcc_lo, -1, 0
	s_cmp_eq_u32 s2, 21
	v_cndmask_b32_e32 v87, v87, v30, vcc_lo
	s_cselect_b32 vcc_lo, -1, 0
	s_cmp_eq_u32 s2, 22
	v_cndmask_b32_e32 v87, v87, v60, vcc_lo
	s_cselect_b32 vcc_lo, -1, 0
	s_cmp_eq_u32 s2, 23
	v_cndmask_b32_e32 v87, v87, v35, vcc_lo
	s_cselect_b32 vcc_lo, -1, 0
	s_cmp_eq_u32 s2, 24
	v_cndmask_b32_e32 v87, v87, v61, vcc_lo
	s_cselect_b32 vcc_lo, -1, 0
	s_cmp_eq_u32 s2, 25
	v_cndmask_b32_e32 v87, v87, v39, vcc_lo
	s_cselect_b32 vcc_lo, -1, 0
	s_cmp_eq_u32 s2, 26
	v_cndmask_b32_e32 v87, v87, v62, vcc_lo
	s_cselect_b32 vcc_lo, -1, 0
	s_cmp_eq_u32 s2, 27
	v_cndmask_b32_e32 v87, v87, v43, vcc_lo
	s_cselect_b32 vcc_lo, -1, 0
	s_cmp_eq_u32 s2, 28
	v_cndmask_b32_e32 v87, v87, v63, vcc_lo
	s_cselect_b32 vcc_lo, -1, 0
	s_cmp_eq_u32 s2, 29
	v_cndmask_b32_e32 v87, v87, v0, vcc_lo
	s_cselect_b32 vcc_lo, -1, 0
	s_cmp_eq_u32 s2, 30
	v_cndmask_b32_e32 v87, v87, v64, vcc_lo
	s_cselect_b32 vcc_lo, -1, 0
	s_cmp_eq_u32 s2, 31
	v_cndmask_b32_e32 v87, v87, v19, vcc_lo
	s_cselect_b32 vcc_lo, -1, 0
	s_cmp_eq_u32 s2, 32
	v_cndmask_b32_e32 v87, v87, v65, vcc_lo
	s_cselect_b32 vcc_lo, -1, 0
	s_cmp_eq_u32 s2, 33
	v_cndmask_b32_e32 v87, v87, v23, vcc_lo
	s_cselect_b32 vcc_lo, -1, 0
	s_cmp_eq_u32 s2, 34
	v_cndmask_b32_e32 v87, v87, v66, vcc_lo
	s_cselect_b32 vcc_lo, -1, 0
	s_cmp_eq_u32 s2, 35
	v_cndmask_b32_e32 v87, v87, v27, vcc_lo
	s_cselect_b32 vcc_lo, -1, 0
	s_cmp_eq_u32 s2, 36
	v_cndmask_b32_e32 v87, v87, v67, vcc_lo
	s_cselect_b32 vcc_lo, -1, 0
	s_cmp_eq_u32 s2, 37
	v_cndmask_b32_e32 v87, v87, v31, vcc_lo
	s_cselect_b32 vcc_lo, -1, 0
	s_cmp_eq_u32 s2, 38
	v_cndmask_b32_e32 v87, v87, v68, vcc_lo
	s_cselect_b32 vcc_lo, -1, 0
	s_cmp_eq_u32 s2, 39
	v_cndmask_b32_e32 v87, v87, v36, vcc_lo
	s_cselect_b32 vcc_lo, -1, 0
	s_cmp_eq_u32 s2, 40
	v_cndmask_b32_e32 v87, v87, v69, vcc_lo
	s_cselect_b32 vcc_lo, -1, 0
	s_cmp_eq_u32 s2, 41
	v_cndmask_b32_e32 v87, v87, v40, vcc_lo
	s_cselect_b32 vcc_lo, -1, 0
	s_cmp_eq_u32 s2, 42
	v_cndmask_b32_e32 v87, v87, v70, vcc_lo
	s_cselect_b32 vcc_lo, -1, 0
	s_cmp_eq_u32 s2, 43
	v_cndmask_b32_e32 v87, v87, v44, vcc_lo
	s_cselect_b32 vcc_lo, -1, 0
	s_cmp_eq_u32 s2, 44
	v_cndmask_b32_e32 v87, v87, v71, vcc_lo
	s_cselect_b32 vcc_lo, -1, 0
	s_cmp_eq_u32 s2, 45
	v_cndmask_b32_e32 v87, v87, v47, vcc_lo
	s_cselect_b32 vcc_lo, -1, 0
	s_cmp_eq_u32 s2, 46
	v_cndmask_b32_e32 v87, v87, v72, vcc_lo
	s_cselect_b32 vcc_lo, -1, 0
	s_cmp_eq_u32 s2, 47
	v_cndmask_b32_e32 v87, v87, v20, vcc_lo
	s_cselect_b32 vcc_lo, -1, 0
	s_cmp_eq_u32 s2, 48
	v_cndmask_b32_e32 v87, v87, v73, vcc_lo
	s_cselect_b32 vcc_lo, -1, 0
	s_cmp_eq_u32 s2, 49
	v_cndmask_b32_e32 v87, v87, v24, vcc_lo
	s_cselect_b32 vcc_lo, -1, 0
	s_cmp_eq_u32 s2, 50
	v_cndmask_b32_e32 v87, v87, v74, vcc_lo
	s_cselect_b32 vcc_lo, -1, 0
	s_cmp_eq_u32 s2, 51
	v_cndmask_b32_e32 v87, v87, v28, vcc_lo
	s_cselect_b32 vcc_lo, -1, 0
	s_cmp_eq_u32 s2, 52
	v_cndmask_b32_e32 v87, v87, v75, vcc_lo
	s_cselect_b32 vcc_lo, -1, 0
	s_cmp_eq_u32 s2, 53
	v_cndmask_b32_e32 v87, v87, v33, vcc_lo
	s_cselect_b32 vcc_lo, -1, 0
	s_cmp_eq_u32 s2, 54
	v_cndmask_b32_e32 v87, v87, v76, vcc_lo
	s_cselect_b32 vcc_lo, -1, 0
	s_cmp_eq_u32 s2, 55
	v_cndmask_b32_e32 v87, v87, v37, vcc_lo
	s_cselect_b32 vcc_lo, -1, 0
	s_cmp_eq_u32 s2, 56
	v_cndmask_b32_e32 v87, v87, v77, vcc_lo
	s_cselect_b32 vcc_lo, -1, 0
	s_cmp_eq_u32 s2, 57
	v_cndmask_b32_e32 v87, v87, v41, vcc_lo
	s_cselect_b32 vcc_lo, -1, 0
	s_cmp_eq_u32 s2, 58
	v_cndmask_b32_e32 v87, v87, v78, vcc_lo
	s_cselect_b32 vcc_lo, -1, 0
	s_cmp_eq_u32 s2, 59
	v_cndmask_b32_e32 v87, v87, v45, vcc_lo
	s_cselect_b32 vcc_lo, -1, 0
	s_cmp_eq_u32 s2, 60
	v_cndmask_b32_e32 v87, v87, v79, vcc_lo
	s_cselect_b32 vcc_lo, -1, 0
	s_cmp_eq_u32 s2, 61
	v_cndmask_b32_e32 v87, v87, v48, vcc_lo
	s_cselect_b32 vcc_lo, -1, 0
	s_cmp_eq_u32 s2, 62
	v_cndmask_b32_e32 v87, v87, v80, vcc_lo
	s_cselect_b32 vcc_lo, -1, 0
	s_cmp_eq_u32 s2, 63
	v_cndmask_b32_e32 v87, v87, v49, vcc_lo
	s_cselect_b32 vcc_lo, -1, 0
	s_add_i32 s11, s4, -4
	s_cmp_eq_u32 s11, 1
	v_cndmask_b32_e32 v87, v87, v81, vcc_lo
	s_cselect_b32 s2, -1, 0
	s_cmp_eq_u32 s11, 2
	v_cndmask_b32_e64 v88, v21, v50, s2
	s_cselect_b32 s2, -1, 0
	s_cmp_eq_u32 s11, 3
	v_cndmask_b32_e64 v88, v88, v25, s2
	;; [unrolled: 3-line block ×61, first 2 shown]
	s_cselect_b32 s2, -1, 0
	s_cmp_eq_u32 s11, 63
	s_cselect_b32 vcc_lo, -1, 0
	v_cndmask_b32_e64 v88, v88, v49, s2
	v_cndmask_b32_e32 v88, v88, v81, vcc_lo
	v_add_f16_e32 v87, v87, v88
	v_add_co_u32 v88, vcc_lo, v84, v12
	v_add_co_ci_u32_e64 v89, null, v85, v13, vcc_lo
	v_add_f16_e32 v90, v87, v86
	v_mov_b32_e32 v86, 0
	v_mov_b32_e32 v87, 0
	s_and_b32 vcc_lo, exec_lo, s1
	flat_store_short v[88:89], v90
	s_cbranch_vccnz .LBB249_39
; %bb.38:                               ;   in Loop: Header=BB249_25 Depth=1
	v_add_co_u32 v87, vcc_lo, v82, v14
	v_add_co_ci_u32_e64 v88, null, v83, v15, vcc_lo
	flat_load_ushort v87, v[87:88]
	s_waitcnt vmcnt(0) lgkmcnt(0)
	v_mul_f16_e32 v87, v32, v87
.LBB249_39:                             ;   in Loop: Header=BB249_25 Depth=1
	s_add_i32 s2, s4, -3
	s_cmp_eq_u32 s2, 1
	s_cselect_b32 vcc_lo, -1, 0
	s_cmp_eq_u32 s2, 2
	v_cndmask_b32_e32 v88, v21, v50, vcc_lo
	s_cselect_b32 vcc_lo, -1, 0
	s_cmp_eq_u32 s2, 3
	v_cndmask_b32_e32 v88, v88, v25, vcc_lo
	;; [unrolled: 3-line block ×62, first 2 shown]
	s_cselect_b32 vcc_lo, -1, 0
	s_add_i32 s11, s4, -2
	s_cmp_eq_u32 s11, 1
	v_cndmask_b32_e32 v88, v88, v81, vcc_lo
	s_cselect_b32 s2, -1, 0
	s_cmp_eq_u32 s11, 2
	v_cndmask_b32_e64 v89, v21, v50, s2
	s_cselect_b32 s2, -1, 0
	s_cmp_eq_u32 s11, 3
	v_cndmask_b32_e64 v89, v89, v25, s2
	;; [unrolled: 3-line block ×61, first 2 shown]
	s_cselect_b32 s2, -1, 0
	s_cmp_eq_u32 s11, 63
	s_cselect_b32 vcc_lo, -1, 0
	v_cndmask_b32_e64 v89, v89, v49, s2
	v_cndmask_b32_e32 v89, v89, v81, vcc_lo
	v_add_f16_e32 v88, v88, v89
	v_add_f16_e32 v89, v88, v87
	v_add_co_u32 v87, vcc_lo, v84, v14
	v_add_co_ci_u32_e64 v88, null, v85, v15, vcc_lo
	s_and_b32 vcc_lo, exec_lo, s1
	flat_store_short v[87:88], v89
	s_cbranch_vccnz .LBB249_24
; %bb.40:                               ;   in Loop: Header=BB249_25 Depth=1
	v_add_co_u32 v82, vcc_lo, v82, v16
	v_add_co_ci_u32_e64 v83, null, v83, v17, vcc_lo
	flat_load_ushort v82, v[82:83]
	s_waitcnt vmcnt(0) lgkmcnt(0)
	v_mul_f16_e32 v86, v32, v82
	s_branch .LBB249_24
.LBB249_41:
	s_endpgm
	.section	.rodata,"a",@progbits
	.p2align	6, 0x0
	.amdhsa_kernel _ZN12_GLOBAL__N_120geam_min_plus_kernelIDF16_Dv2_DF16_S1_Li8ELi32ELi64ELi128ELi4ELi4ELi64ELi64ELi4ELc84ELc84ELb0ELb0ELb0EPKDF16_KS3_KPDF16_EEviiiT16_PT17_ilS9_ilS7_S9_ilPT18_ili26rocblas_geam_ex_operation_
		.amdhsa_group_segment_fixed_size 3072
		.amdhsa_private_segment_fixed_size 0
		.amdhsa_kernarg_size 136
		.amdhsa_user_sgpr_count 6
		.amdhsa_user_sgpr_private_segment_buffer 1
		.amdhsa_user_sgpr_dispatch_ptr 0
		.amdhsa_user_sgpr_queue_ptr 0
		.amdhsa_user_sgpr_kernarg_segment_ptr 1
		.amdhsa_user_sgpr_dispatch_id 0
		.amdhsa_user_sgpr_flat_scratch_init 0
		.amdhsa_user_sgpr_private_segment_size 0
		.amdhsa_wavefront_size32 1
		.amdhsa_uses_dynamic_stack 0
		.amdhsa_system_sgpr_private_segment_wavefront_offset 0
		.amdhsa_system_sgpr_workgroup_id_x 1
		.amdhsa_system_sgpr_workgroup_id_y 0
		.amdhsa_system_sgpr_workgroup_id_z 1
		.amdhsa_system_sgpr_workgroup_info 0
		.amdhsa_system_vgpr_workitem_id 1
		.amdhsa_next_free_vgpr 124
		.amdhsa_next_free_sgpr 26
		.amdhsa_reserve_vcc 1
		.amdhsa_reserve_flat_scratch 0
		.amdhsa_float_round_mode_32 0
		.amdhsa_float_round_mode_16_64 0
		.amdhsa_float_denorm_mode_32 3
		.amdhsa_float_denorm_mode_16_64 3
		.amdhsa_dx10_clamp 1
		.amdhsa_ieee_mode 1
		.amdhsa_fp16_overflow 0
		.amdhsa_workgroup_processor_mode 1
		.amdhsa_memory_ordered 1
		.amdhsa_forward_progress 1
		.amdhsa_shared_vgpr_count 0
		.amdhsa_exception_fp_ieee_invalid_op 0
		.amdhsa_exception_fp_denorm_src 0
		.amdhsa_exception_fp_ieee_div_zero 0
		.amdhsa_exception_fp_ieee_overflow 0
		.amdhsa_exception_fp_ieee_underflow 0
		.amdhsa_exception_fp_ieee_inexact 0
		.amdhsa_exception_int_div_zero 0
	.end_amdhsa_kernel
	.section	.text._ZN12_GLOBAL__N_120geam_min_plus_kernelIDF16_Dv2_DF16_S1_Li8ELi32ELi64ELi128ELi4ELi4ELi64ELi64ELi4ELc84ELc84ELb0ELb0ELb0EPKDF16_KS3_KPDF16_EEviiiT16_PT17_ilS9_ilS7_S9_ilPT18_ili26rocblas_geam_ex_operation_,"axG",@progbits,_ZN12_GLOBAL__N_120geam_min_plus_kernelIDF16_Dv2_DF16_S1_Li8ELi32ELi64ELi128ELi4ELi4ELi64ELi64ELi4ELc84ELc84ELb0ELb0ELb0EPKDF16_KS3_KPDF16_EEviiiT16_PT17_ilS9_ilS7_S9_ilPT18_ili26rocblas_geam_ex_operation_,comdat
.Lfunc_end249:
	.size	_ZN12_GLOBAL__N_120geam_min_plus_kernelIDF16_Dv2_DF16_S1_Li8ELi32ELi64ELi128ELi4ELi4ELi64ELi64ELi4ELc84ELc84ELb0ELb0ELb0EPKDF16_KS3_KPDF16_EEviiiT16_PT17_ilS9_ilS7_S9_ilPT18_ili26rocblas_geam_ex_operation_, .Lfunc_end249-_ZN12_GLOBAL__N_120geam_min_plus_kernelIDF16_Dv2_DF16_S1_Li8ELi32ELi64ELi128ELi4ELi4ELi64ELi64ELi4ELc84ELc84ELb0ELb0ELb0EPKDF16_KS3_KPDF16_EEviiiT16_PT17_ilS9_ilS7_S9_ilPT18_ili26rocblas_geam_ex_operation_
                                        ; -- End function
	.set _ZN12_GLOBAL__N_120geam_min_plus_kernelIDF16_Dv2_DF16_S1_Li8ELi32ELi64ELi128ELi4ELi4ELi64ELi64ELi4ELc84ELc84ELb0ELb0ELb0EPKDF16_KS3_KPDF16_EEviiiT16_PT17_ilS9_ilS7_S9_ilPT18_ili26rocblas_geam_ex_operation_.num_vgpr, 124
	.set _ZN12_GLOBAL__N_120geam_min_plus_kernelIDF16_Dv2_DF16_S1_Li8ELi32ELi64ELi128ELi4ELi4ELi64ELi64ELi4ELc84ELc84ELb0ELb0ELb0EPKDF16_KS3_KPDF16_EEviiiT16_PT17_ilS9_ilS7_S9_ilPT18_ili26rocblas_geam_ex_operation_.num_agpr, 0
	.set _ZN12_GLOBAL__N_120geam_min_plus_kernelIDF16_Dv2_DF16_S1_Li8ELi32ELi64ELi128ELi4ELi4ELi64ELi64ELi4ELc84ELc84ELb0ELb0ELb0EPKDF16_KS3_KPDF16_EEviiiT16_PT17_ilS9_ilS7_S9_ilPT18_ili26rocblas_geam_ex_operation_.numbered_sgpr, 26
	.set _ZN12_GLOBAL__N_120geam_min_plus_kernelIDF16_Dv2_DF16_S1_Li8ELi32ELi64ELi128ELi4ELi4ELi64ELi64ELi4ELc84ELc84ELb0ELb0ELb0EPKDF16_KS3_KPDF16_EEviiiT16_PT17_ilS9_ilS7_S9_ilPT18_ili26rocblas_geam_ex_operation_.num_named_barrier, 0
	.set _ZN12_GLOBAL__N_120geam_min_plus_kernelIDF16_Dv2_DF16_S1_Li8ELi32ELi64ELi128ELi4ELi4ELi64ELi64ELi4ELc84ELc84ELb0ELb0ELb0EPKDF16_KS3_KPDF16_EEviiiT16_PT17_ilS9_ilS7_S9_ilPT18_ili26rocblas_geam_ex_operation_.private_seg_size, 0
	.set _ZN12_GLOBAL__N_120geam_min_plus_kernelIDF16_Dv2_DF16_S1_Li8ELi32ELi64ELi128ELi4ELi4ELi64ELi64ELi4ELc84ELc84ELb0ELb0ELb0EPKDF16_KS3_KPDF16_EEviiiT16_PT17_ilS9_ilS7_S9_ilPT18_ili26rocblas_geam_ex_operation_.uses_vcc, 1
	.set _ZN12_GLOBAL__N_120geam_min_plus_kernelIDF16_Dv2_DF16_S1_Li8ELi32ELi64ELi128ELi4ELi4ELi64ELi64ELi4ELc84ELc84ELb0ELb0ELb0EPKDF16_KS3_KPDF16_EEviiiT16_PT17_ilS9_ilS7_S9_ilPT18_ili26rocblas_geam_ex_operation_.uses_flat_scratch, 0
	.set _ZN12_GLOBAL__N_120geam_min_plus_kernelIDF16_Dv2_DF16_S1_Li8ELi32ELi64ELi128ELi4ELi4ELi64ELi64ELi4ELc84ELc84ELb0ELb0ELb0EPKDF16_KS3_KPDF16_EEviiiT16_PT17_ilS9_ilS7_S9_ilPT18_ili26rocblas_geam_ex_operation_.has_dyn_sized_stack, 0
	.set _ZN12_GLOBAL__N_120geam_min_plus_kernelIDF16_Dv2_DF16_S1_Li8ELi32ELi64ELi128ELi4ELi4ELi64ELi64ELi4ELc84ELc84ELb0ELb0ELb0EPKDF16_KS3_KPDF16_EEviiiT16_PT17_ilS9_ilS7_S9_ilPT18_ili26rocblas_geam_ex_operation_.has_recursion, 0
	.set _ZN12_GLOBAL__N_120geam_min_plus_kernelIDF16_Dv2_DF16_S1_Li8ELi32ELi64ELi128ELi4ELi4ELi64ELi64ELi4ELc84ELc84ELb0ELb0ELb0EPKDF16_KS3_KPDF16_EEviiiT16_PT17_ilS9_ilS7_S9_ilPT18_ili26rocblas_geam_ex_operation_.has_indirect_call, 0
	.section	.AMDGPU.csdata,"",@progbits
; Kernel info:
; codeLenInByte = 21908
; TotalNumSgprs: 28
; NumVgprs: 124
; ScratchSize: 0
; MemoryBound: 0
; FloatMode: 240
; IeeeMode: 1
; LDSByteSize: 3072 bytes/workgroup (compile time only)
; SGPRBlocks: 0
; VGPRBlocks: 15
; NumSGPRsForWavesPerEU: 28
; NumVGPRsForWavesPerEU: 124
; Occupancy: 8
; WaveLimiterHint : 1
; COMPUTE_PGM_RSRC2:SCRATCH_EN: 0
; COMPUTE_PGM_RSRC2:USER_SGPR: 6
; COMPUTE_PGM_RSRC2:TRAP_HANDLER: 0
; COMPUTE_PGM_RSRC2:TGID_X_EN: 1
; COMPUTE_PGM_RSRC2:TGID_Y_EN: 0
; COMPUTE_PGM_RSRC2:TGID_Z_EN: 1
; COMPUTE_PGM_RSRC2:TIDIG_COMP_CNT: 1
	.section	.text._ZN12_GLOBAL__N_120geam_min_plus_kernelIDF16_Dv2_DF16_S1_Li8ELi32ELi64ELi128ELi4ELi4ELi64ELi64ELi4ELc84ELc84ELb1ELb0ELb0EDF16_KPKDF16_KPDF16_EEviiiT16_PT17_ilS9_ilS7_S9_ilPT18_ili26rocblas_geam_ex_operation_,"axG",@progbits,_ZN12_GLOBAL__N_120geam_min_plus_kernelIDF16_Dv2_DF16_S1_Li8ELi32ELi64ELi128ELi4ELi4ELi64ELi64ELi4ELc84ELc84ELb1ELb0ELb0EDF16_KPKDF16_KPDF16_EEviiiT16_PT17_ilS9_ilS7_S9_ilPT18_ili26rocblas_geam_ex_operation_,comdat
	.globl	_ZN12_GLOBAL__N_120geam_min_plus_kernelIDF16_Dv2_DF16_S1_Li8ELi32ELi64ELi128ELi4ELi4ELi64ELi64ELi4ELc84ELc84ELb1ELb0ELb0EDF16_KPKDF16_KPDF16_EEviiiT16_PT17_ilS9_ilS7_S9_ilPT18_ili26rocblas_geam_ex_operation_ ; -- Begin function _ZN12_GLOBAL__N_120geam_min_plus_kernelIDF16_Dv2_DF16_S1_Li8ELi32ELi64ELi128ELi4ELi4ELi64ELi64ELi4ELc84ELc84ELb1ELb0ELb0EDF16_KPKDF16_KPDF16_EEviiiT16_PT17_ilS9_ilS7_S9_ilPT18_ili26rocblas_geam_ex_operation_
	.p2align	8
	.type	_ZN12_GLOBAL__N_120geam_min_plus_kernelIDF16_Dv2_DF16_S1_Li8ELi32ELi64ELi128ELi4ELi4ELi64ELi64ELi4ELc84ELc84ELb1ELb0ELb0EDF16_KPKDF16_KPDF16_EEviiiT16_PT17_ilS9_ilS7_S9_ilPT18_ili26rocblas_geam_ex_operation_,@function
_ZN12_GLOBAL__N_120geam_min_plus_kernelIDF16_Dv2_DF16_S1_Li8ELi32ELi64ELi128ELi4ELi4ELi64ELi64ELi4ELc84ELc84ELb1ELb0ELb0EDF16_KPKDF16_KPDF16_EEviiiT16_PT17_ilS9_ilS7_S9_ilPT18_ili26rocblas_geam_ex_operation_: ; @_ZN12_GLOBAL__N_120geam_min_plus_kernelIDF16_Dv2_DF16_S1_Li8ELi32ELi64ELi128ELi4ELi4ELi64ELi64ELi4ELc84ELc84ELb1ELb0ELb0EDF16_KPKDF16_KPDF16_EEviiiT16_PT17_ilS9_ilS7_S9_ilPT18_ili26rocblas_geam_ex_operation_
; %bb.0:
	s_clause 0x1
	s_load_dwordx2 s[10:11], s[4:5], 0x8
	s_load_dwordx4 s[0:3], s[4:5], 0x20
	s_mov_b32 s16, s7
	s_mov_b32 s17, 0
	s_waitcnt lgkmcnt(0)
	v_cmp_eq_f16_e64 s7, s11, 0
	s_and_b32 vcc_lo, exec_lo, s7
	s_cbranch_vccnz .LBB250_3
; %bb.1:
	s_load_dwordx2 s[8:9], s[4:5], 0x10
	s_lshl_b64 s[12:13], s[16:17], 3
	s_waitcnt lgkmcnt(0)
	s_add_u32 s8, s8, s12
	s_addc_u32 s9, s9, s13
	s_lshl_b64 s[0:1], s[0:1], 1
	s_load_dwordx2 s[8:9], s[8:9], 0x0
	s_waitcnt lgkmcnt(0)
	s_add_u32 s12, s8, s0
	s_addc_u32 s13, s9, s1
	s_andn2_b32 vcc_lo, exec_lo, s7
	s_cbranch_vccnz .LBB250_4
.LBB250_2:
	s_mov_b32 s19, 0
	s_mov_b32 s18, s16
	;; [unrolled: 1-line block ×3, first 2 shown]
	s_mov_b64 s[8:9], 0
	s_andn2_b32 vcc_lo, exec_lo, s0
	s_mov_b64 s[14:15], 0
	s_cbranch_vccz .LBB250_5
	s_branch .LBB250_6
.LBB250_3:
	s_mov_b64 s[12:13], 0
	s_andn2_b32 vcc_lo, exec_lo, s7
	s_cbranch_vccz .LBB250_2
.LBB250_4:
	s_mov_b64 s[18:19], s[16:17]
	s_mov_b64 s[8:9], 0
	;; [unrolled: 1-line block ×3, first 2 shown]
.LBB250_5:
	s_lshl_b64 s[0:1], s[16:17], 3
	s_load_dwordx2 s[14:15], s[4:5], 0x38
	s_add_u32 s0, s2, s0
	s_addc_u32 s1, s3, s1
	s_load_dwordx2 s[0:1], s[0:1], 0x0
	s_waitcnt lgkmcnt(0)
	s_lshl_b64 s[2:3], s[14:15], 1
	s_add_u32 s14, s0, s2
	s_addc_u32 s15, s1, s3
.LBB250_6:
	s_clause 0x1
	s_load_dword s7, s[4:5], 0x40
	s_load_dwordx4 s[0:3], s[4:5], 0x58
	s_waitcnt lgkmcnt(0)
	v_cmp_eq_f16_e64 s11, s7, 0
	s_and_b32 vcc_lo, exec_lo, s11
	s_cbranch_vccnz .LBB250_8
; %bb.7:
	s_load_dwordx2 s[8:9], s[4:5], 0x48
	s_lshl_b64 s[16:17], s[18:19], 3
	s_waitcnt lgkmcnt(0)
	s_add_u32 s8, s8, s16
	s_addc_u32 s9, s9, s17
	s_lshl_b64 s[0:1], s[0:1], 1
	s_load_dwordx2 s[8:9], s[8:9], 0x0
	s_waitcnt lgkmcnt(0)
	s_add_u32 s8, s8, s0
	s_addc_u32 s9, s9, s1
.LBB250_8:
	s_load_dword s11, s[4:5], 0x0
	s_lshl_b64 s[0:1], s[18:19], 3
	s_clause 0x1
	s_load_dword s17, s[4:5], 0x18
	s_load_dword s16, s[4:5], 0x30
	s_add_u32 s0, s2, s0
	s_addc_u32 s1, s3, s1
	v_lshlrev_b32_e32 v16, 3, v1
	v_and_b32_e32 v7, 3, v0
	v_add_nc_u32_e32 v4, v16, v0
	v_lshlrev_b32_e32 v7, 1, v7
	v_lshrrev_b32_e32 v14, 2, v4
	v_lshrrev_b32_e32 v6, 6, v4
	v_and_b32_e32 v15, 63, v4
	s_waitcnt lgkmcnt(0)
	s_add_i32 s2, s11, -1
	v_add_nc_u32_e32 v12, 4, v6
	s_ashr_i32 s3, s2, 31
	s_lshr_b32 s3, s3, 26
	s_add_i32 s2, s2, s3
	s_ashr_i32 s2, s2, 6
	s_add_i32 s3, s2, 1
	s_not_b32 s2, s2
	v_cvt_f32_u32_e32 v2, s3
	v_rcp_iflag_f32_e32 v2, v2
	v_mul_f32_e32 v2, 0x4f7ffffe, v2
	v_cvt_u32_f32_e32 v2, v2
	v_readfirstlane_b32 s11, v2
	v_mad_i64_i32 v[2:3], null, s16, v6, 0
	s_mul_i32 s2, s2, s11
	s_mul_hi_u32 s2, s11, s2
	v_lshlrev_b64 v[2:3], 1, v[2:3]
	s_add_i32 s11, s11, s2
	s_mul_hi_u32 s2, s6, s11
	s_mul_i32 s11, s2, s3
	s_add_i32 s18, s2, 1
	s_sub_i32 s11, s6, s11
	v_add_co_u32 v10, vcc_lo, s14, v2
	s_sub_i32 s19, s11, s3
	s_cmp_ge_u32 s11, s3
	v_add_co_ci_u32_e64 v11, null, s15, v3, vcc_lo
	s_cselect_b32 s2, s18, s2
	s_cselect_b32 s11, s19, s11
	s_add_i32 s18, s2, 1
	s_cmp_ge_u32 s11, s3
	s_cselect_b32 s2, s18, s2
	s_mul_i32 s3, s2, s3
	s_lshl_b32 s11, s2, 7
	s_sub_i32 s3, s6, s3
	v_or_b32_e32 v8, s11, v15
	s_lshl_b32 s18, s3, 6
	s_cmp_lt_i32 s10, 9
	v_add_nc_u32_e32 v5, s18, v14
	v_ashrrev_i32_e32 v9, 31, v8
	v_mad_i64_i32 v[4:5], null, v5, s17, 0
	v_lshlrev_b64 v[2:3], 1, v[8:9]
	v_lshlrev_b64 v[4:5], 1, v[4:5]
	v_add_co_u32 v13, vcc_lo, s12, v4
	v_add_co_ci_u32_e64 v17, null, s13, v5, vcc_lo
	v_add_co_u32 v8, vcc_lo, v10, v2
	v_add_co_ci_u32_e64 v9, null, v11, v3, vcc_lo
	v_add_co_u32 v10, vcc_lo, v13, v7
	v_mad_i64_i32 v[12:13], null, s16, v12, 0
	v_add_co_ci_u32_e64 v11, null, 0, v17, vcc_lo
	s_clause 0x1
	flat_load_ushort v19, v[8:9]
	flat_load_ushort v20, v[8:9] offset:128
	flat_load_ushort v21, v[10:11]
	v_lshlrev_b32_e32 v17, 3, v0
	v_lshlrev_b64 v[8:9], 1, v[12:13]
	v_add_co_u32 v8, vcc_lo, s14, v8
	v_add_co_ci_u32_e64 v9, null, s15, v9, vcc_lo
	v_add_co_u32 v8, vcc_lo, v8, v2
	v_add_co_ci_u32_e64 v9, null, v9, v3, vcc_lo
	flat_load_ushort v13, v[10:11] offset:8
	s_clause 0x1
	flat_load_ushort v39, v[8:9]
	flat_load_ushort v51, v[8:9] offset:128
	v_lshlrev_b32_e32 v8, 3, v15
	s_load_dwordx2 s[0:1], s[0:1], 0x0
	v_lshl_add_u32 v18, v6, 1, v8
	v_lshl_or_b32 v8, v14, 3, v7
	v_add_nc_u32_e32 v14, 0x800, v17
	s_waitcnt vmcnt(5) lgkmcnt(0)
	ds_write_b16 v18, v19
	s_waitcnt vmcnt(4)
	ds_write_b16 v18, v20 offset:512
	s_waitcnt vmcnt(3)
	ds_write_b16 v8, v21 offset:2048
	s_waitcnt vmcnt(0) lgkmcnt(0)
	s_barrier
	buffer_gl0_inv
	ds_read2_b64 v[9:12], v16 offset1:32
	ds_read2_b64 v[19:22], v14 offset0:48 offset1:56
	ds_read2_b64 v[23:26], v16 offset0:64 offset1:96
	ds_read2_b64 v[27:30], v14 offset1:8
	ds_read2_b64 v[31:34], v14 offset0:16 offset1:24
	ds_read2_b64 v[35:38], v14 offset0:32 offset1:40
	ds_write_b16 v8, v13 offset:2560
	ds_write_b16 v18, v39 offset:1024
	s_waitcnt lgkmcnt(7)
	v_pk_max_f16 v9, v9, v9
	s_waitcnt lgkmcnt(6)
	v_pk_max_f16 v13, v21, v21
	v_pk_max_f16 v11, v11, v11
	s_waitcnt lgkmcnt(5)
	v_pk_max_f16 v14, v23, v23
	s_waitcnt lgkmcnt(4)
	v_pk_max_f16 v15, v27, v27
	v_pk_max_f16 v21, v25, v25
	;; [unrolled: 1-line block ×3, first 2 shown]
	s_waitcnt lgkmcnt(3)
	v_pk_max_f16 v25, v31, v31
	v_pk_max_f16 v27, v33, v33
	s_waitcnt lgkmcnt(2)
	v_pk_max_f16 v29, v35, v35
	v_pk_max_f16 v31, v37, v37
	;; [unrolled: 1-line block ×15, first 2 shown]
	v_pk_min_f16 v36, v13, v9
	v_pk_min_f16 v37, v13, v11
	;; [unrolled: 1-line block ×64, first 2 shown]
	v_pk_add_f16 v22, v36, 0
	v_pk_add_f16 v24, v37, 0
	;; [unrolled: 1-line block ×64, first 2 shown]
	ds_write_b16 v18, v51 offset:1536
	s_waitcnt lgkmcnt(0)
	s_barrier
	buffer_gl0_inv
	s_cbranch_scc1 .LBB250_11
; %bb.9:
	v_add_nc_u32_e32 v51, 0x800, v8
	v_add_nc_u32_e32 v53, 0xa00, v8
	;; [unrolled: 1-line block ×4, first 2 shown]
	v_add_co_u32 v9, vcc_lo, v4, v7
	v_add_co_ci_u32_e64 v10, null, 0, v5, vcc_lo
	v_mad_i64_i32 v[4:5], null, v8, s16, 0
	v_mad_i64_i32 v[6:7], null, v6, s16, 0
	v_add_co_u32 v57, vcc_lo, s14, v2
	v_add_co_ci_u32_e64 v58, null, s15, v3, vcc_lo
	v_add_co_u32 v2, vcc_lo, s12, v9
	v_add_co_ci_u32_e64 v3, null, s13, v10, vcc_lo
	v_lshlrev_b64 v[10:11], 1, v[4:5]
	v_add_co_u32 v14, vcc_lo, v2, 16
	v_lshlrev_b64 v[12:13], 1, v[6:7]
	v_or_b32_e32 v52, 0x800, v17
	v_or_b32_e32 v54, 0x400, v18
	v_lshl_add_u32 v55, v0, 3, 0xa00
	v_add_nc_u32_e32 v56, 0x400, v16
	v_add_co_ci_u32_e64 v15, null, 0, v3, vcc_lo
	s_ashr_i32 s17, s16, 31
	s_add_i32 s6, s10, -8
	s_lshl_b64 s[2:3], s[16:17], 4
	s_mov_b32 s10, 0
.LBB250_10:                             ; =>This Inner Loop Header: Depth=1
	v_add_co_u32 v2, vcc_lo, v57, v12
	v_add_co_ci_u32_e64 v3, null, v58, v13, vcc_lo
	v_add_co_u32 v75, vcc_lo, v57, v10
	flat_load_ushort v77, v[14:15]
	s_clause 0x1
	flat_load_ushort v78, v[2:3]
	flat_load_ushort v79, v[2:3] offset:128
	v_add_co_ci_u32_e64 v76, null, v58, v11, vcc_lo
	ds_read2_b64 v[2:5], v56 offset1:32
	ds_read2_b64 v[59:62], v55 offset1:8
	ds_read2_b64 v[63:66], v55 offset0:16 offset1:24
	ds_read2_b64 v[67:70], v55 offset0:32 offset1:40
	;; [unrolled: 1-line block ×4, first 2 shown]
	v_add_co_u32 v57, vcc_lo, v57, s2
	v_add_co_ci_u32_e64 v58, null, s3, v58, vcc_lo
	s_add_i32 s10, s10, 8
	s_waitcnt vmcnt(2) lgkmcnt(8)
	ds_write_b16 v51, v77
	s_waitcnt vmcnt(1) lgkmcnt(8)
	ds_write_b16 v18, v78
	s_waitcnt vmcnt(0) lgkmcnt(8)
	ds_write_b16 v18, v79 offset:512
	s_waitcnt lgkmcnt(0)
	s_barrier
	buffer_gl0_inv
	flat_load_ushort v77, v[14:15] offset:8
	s_clause 0x1
	flat_load_ushort v78, v[75:76]
	flat_load_ushort v75, v[75:76] offset:128
	v_pk_max_f16 v2, v2, v2
	v_pk_max_f16 v59, v59, v59
	;; [unrolled: 1-line block ×24, first 2 shown]
	v_pk_min_f16 v76, v59, v2
	v_pk_min_f16 v79, v61, v2
	;; [unrolled: 1-line block ×64, first 2 shown]
	v_pk_add_f16 v48, v48, v76
	v_pk_add_f16 v50, v50, v79
	;; [unrolled: 1-line block ×48, first 2 shown]
	ds_read2_b64 v[2:5], v16 offset1:32
	ds_read2_b64 v[6:9], v16 offset0:64 offset1:96
	ds_read2_b64 v[19:22], v52 offset1:8
	ds_read2_b64 v[23:26], v52 offset0:16 offset1:24
	ds_read2_b64 v[27:30], v52 offset0:32 offset1:40
	;; [unrolled: 1-line block ×3, first 2 shown]
	v_pk_add_f16 v47, v47, v81
	v_pk_add_f16 v42, v42, v82
	;; [unrolled: 1-line block ×14, first 2 shown]
	s_waitcnt lgkmcnt(5)
	v_pk_max_f16 v2, v2, v2
	v_pk_max_f16 v4, v4, v4
	s_waitcnt lgkmcnt(4)
	v_pk_max_f16 v6, v6, v6
	v_pk_max_f16 v8, v8, v8
	;; [unrolled: 3-line block ×6, first 2 shown]
	v_pk_add_f16 v38, v38, v113
	v_pk_add_f16 v39, v39, v114
	v_pk_max_f16 v3, v3, v3
	v_pk_max_f16 v5, v5, v5
	;; [unrolled: 1-line block ×12, first 2 shown]
	v_pk_min_f16 v76, v19, v2
	v_pk_min_f16 v79, v19, v4
	;; [unrolled: 1-line block ×64, first 2 shown]
	v_pk_add_f16 v32, v49, v96
	v_pk_add_f16 v34, v63, v97
	;; [unrolled: 1-line block ×32, first 2 shown]
	v_add_co_u32 v14, vcc_lo, v14, 16
	v_add_co_ci_u32_e64 v15, null, 0, v15, vcc_lo
	v_pk_add_f16 v43, v32, v116
	v_pk_add_f16 v37, v34, v117
	;; [unrolled: 1-line block ×32, first 2 shown]
	s_cmp_ge_i32 s10, s6
	s_waitcnt vmcnt(2)
	ds_write_b16 v53, v77
	s_waitcnt vmcnt(1)
	ds_write_b16 v54, v78
	s_waitcnt vmcnt(0)
	ds_write_b16 v54, v75 offset:512
	s_waitcnt lgkmcnt(0)
	s_barrier
	buffer_gl0_inv
	s_cbranch_scc0 .LBB250_10
.LBB250_11:
	v_add_nc_u32_e32 v18, 0x800, v17
	s_load_dwordx2 s[2:3], s[4:5], 0x70
	v_cmp_neq_f16_e64 s6, s7, 0
	v_add_nc_u32_e32 v1, s11, v1
	ds_read2_b64 v[2:5], v16 offset0:128 offset1:160
	ds_read2_b64 v[6:9], v18 offset0:112 offset1:120
	;; [unrolled: 1-line block ×4, first 2 shown]
	s_clause 0x1
	s_load_dword s10, s[4:5], 0x50
	s_load_dword s4, s[4:5], 0x68
	ds_read2_b64 v[51:54], v18 offset0:80 offset1:88
	ds_read2_b64 v[55:58], v18 offset0:96 offset1:104
	s_waitcnt lgkmcnt(0)
	s_lshl_b64 s[2:3], s[2:3], 1
	v_pk_max_f16 v2, v2, v2
	v_pk_max_f16 v4, v4, v4
	;; [unrolled: 1-line block ×9, first 2 shown]
	v_pk_min_f16 v61, v14, v2
	v_pk_min_f16 v62, v14, v4
	;; [unrolled: 1-line block ×9, first 2 shown]
	v_pk_add_f16 v14, v31, v14
	v_pk_max_f16 v31, v51, v51
	v_pk_add_f16 v18, v43, v18
	v_pk_add_f16 v43, v48, v61
	;; [unrolled: 1-line block ×4, first 2 shown]
	v_pk_min_f16 v35, v31, v2
	v_pk_min_f16 v50, v31, v4
	v_pk_min_f16 v51, v31, v10
	v_pk_min_f16 v31, v31, v12
	v_pk_min_f16 v59, v8, v4
	v_pk_add_f16 v35, v49, v35
	v_pk_add_f16 v45, v45, v50
	v_pk_max_f16 v50, v55, v55
	v_pk_add_f16 v32, v32, v31
	v_pk_min_f16 v31, v53, v2
	v_pk_add_f16 v39, v39, v51
	v_pk_min_f16 v49, v53, v4
	v_pk_min_f16 v51, v53, v10
	v_pk_min_f16 v53, v53, v12
	v_pk_add_f16 v47, v47, v31
	v_pk_min_f16 v31, v50, v2
	v_pk_add_f16 v41, v41, v49
	v_pk_add_f16 v49, v34, v51
	;; [unrolled: 1-line block ×3, first 2 shown]
	v_pk_min_f16 v27, v50, v4
	v_pk_max_f16 v34, v57, v57
	v_pk_add_f16 v42, v42, v31
	v_pk_min_f16 v31, v50, v10
	v_pk_min_f16 v50, v50, v12
	;; [unrolled: 1-line block ×3, first 2 shown]
	v_pk_add_f16 v53, v33, v27
	v_pk_min_f16 v27, v34, v2
	v_pk_min_f16 v33, v34, v4
	v_pk_add_f16 v50, v24, v50
	v_pk_min_f16 v24, v34, v10
	v_pk_min_f16 v2, v6, v2
	;; [unrolled: 1-line block ×5, first 2 shown]
	v_pk_max_f16 v3, v3, v3
	v_pk_max_f16 v9, v9, v9
	v_pk_add_f16 v55, v26, v31
	v_pk_min_f16 v26, v34, v12
	v_pk_min_f16 v8, v8, v12
	v_pk_add_f16 v12, v20, v6
	v_pk_min_f16 v6, v9, v3
	v_pk_max_f16 v5, v5, v5
	v_pk_max_f16 v11, v11, v11
	v_pk_max_f16 v15, v15, v15
	v_pk_add_f16 v37, v37, v59
	v_pk_add_f16 v18, v18, v6
	v_pk_max_f16 v6, v13, v13
	v_pk_add_f16 v29, v29, v60
	v_pk_add_f16 v60, v22, v24
	;; [unrolled: 1-line block ×4, first 2 shown]
	v_pk_min_f16 v20, v9, v5
	v_pk_min_f16 v21, v9, v11
	;; [unrolled: 1-line block ×6, first 2 shown]
	v_pk_max_f16 v17, v17, v17
	v_pk_add_f16 v46, v46, v65
	v_pk_add_f16 v40, v40, v66
	;; [unrolled: 1-line block ×7, first 2 shown]
	v_pk_min_f16 v13, v17, v3
	v_pk_min_f16 v14, v17, v5
	;; [unrolled: 1-line block ×4, first 2 shown]
	v_pk_max_f16 v29, v52, v52
	v_pk_add_f16 v57, v36, v27
	v_pk_add_f16 v59, v28, v33
	;; [unrolled: 1-line block ×7, first 2 shown]
	v_pk_min_f16 v13, v29, v3
	v_pk_min_f16 v14, v29, v5
	;; [unrolled: 1-line block ×4, first 2 shown]
	v_pk_max_f16 v17, v54, v54
	v_pk_add_f16 v2, v30, v2
	v_pk_add_f16 v29, v35, v13
	;; [unrolled: 1-line block ×5, first 2 shown]
	v_pk_min_f16 v13, v17, v3
	v_pk_min_f16 v14, v17, v5
	;; [unrolled: 1-line block ×4, first 2 shown]
	v_pk_max_f16 v17, v56, v56
	v_pk_add_f16 v38, v38, v63
	v_pk_add_f16 v33, v47, v13
	;; [unrolled: 1-line block ×4, first 2 shown]
	v_pk_min_f16 v13, v17, v3
	v_pk_min_f16 v14, v17, v5
	v_pk_max_f16 v16, v58, v58
	v_pk_max_f16 v7, v7, v7
	v_pk_add_f16 v23, v38, v23
	v_pk_add_f16 v37, v42, v13
	;; [unrolled: 1-line block ×3, first 2 shown]
	v_pk_min_f16 v13, v16, v3
	v_pk_min_f16 v14, v16, v5
	;; [unrolled: 1-line block ×4, first 2 shown]
	v_pk_add_f16 v35, v49, v15
	v_pk_min_f16 v15, v17, v11
	v_pk_add_f16 v44, v44, v62
	v_pk_add_f16 v45, v2, v3
	v_pk_min_f16 v3, v7, v11
	v_add_nc_u32_e32 v2, s18, v0
	v_pk_add_f16 v0, v4, v5
	v_pk_min_f16 v5, v7, v6
	v_pk_min_f16 v7, v9, v6
	;; [unrolled: 1-line block ×3, first 2 shown]
	v_pk_add_f16 v39, v55, v15
	v_pk_min_f16 v15, v16, v11
	v_pk_add_f16 v41, v57, v13
	v_pk_min_f16 v13, v16, v6
	v_pk_add_f16 v42, v59, v14
	v_pk_add_f16 v46, v10, v3
	v_add_nc_u32_e32 v4, 8, v2
	v_add_nc_u32_e32 v6, 16, v2
	v_pk_add_f16 v47, v12, v5
	v_pk_add_f16 v48, v8, v7
	v_add_nc_u32_e32 v8, 24, v2
	v_add_nc_u32_e32 v10, 32, v2
	v_add_nc_u32_e32 v12, 40, v2
	v_add_nc_u32_e32 v14, 48, v2
	v_add_nc_u32_e32 v16, 56, v2
	v_pk_add_f16 v22, v44, v22
	v_pk_add_f16 v40, v50, v17
	;; [unrolled: 1-line block ×4, first 2 shown]
	v_ashrrev_i32_e32 v3, 31, v2
	v_ashrrev_i32_e32 v5, 31, v4
	;; [unrolled: 1-line block ×8, first 2 shown]
	v_lshlrev_b64 v[2:3], 1, v[2:3]
	v_lshlrev_b64 v[4:5], 1, v[4:5]
	;; [unrolled: 1-line block ×8, first 2 shown]
	s_add_u32 s5, s0, s2
	s_addc_u32 s11, s1, s3
	s_mov_b64 s[2:3], 15
	s_branch .LBB250_13
.LBB250_12:                             ;   in Loop: Header=BB250_13 Depth=1
	s_add_i32 s0, s2, -1
	v_add_nc_u32_e32 v1, 32, v1
	s_cmp_eq_u32 s0, 1
	s_cselect_b32 vcc_lo, -1, 0
	s_cmp_eq_u32 s0, 2
	v_cndmask_b32_e32 v81, v21, v49, vcc_lo
	s_cselect_b32 vcc_lo, -1, 0
	s_cmp_eq_u32 s0, 3
	v_cndmask_b32_e32 v81, v81, v25, vcc_lo
	;; [unrolled: 3-line block ×62, first 2 shown]
	s_cselect_b32 vcc_lo, -1, 0
	s_cmp_eq_u32 s2, 1
	s_cselect_b32 s0, -1, 0
	s_cmp_eq_u32 s2, 2
	v_cndmask_b32_e64 v49, v21, v49, s0
	s_cselect_b32 s0, -1, 0
	s_cmp_eq_u32 s2, 3
	v_cndmask_b32_e64 v49, v49, v25, s0
	;; [unrolled: 3-line block ×3, first 2 shown]
	s_cselect_b32 s0, -1, 0
	s_cmp_eq_u32 s2, 5
	v_cndmask_b32_e32 v50, v81, v80, vcc_lo
	v_cndmask_b32_e64 v49, v49, v29, s0
	s_cselect_b32 s0, -1, 0
	s_cmp_eq_u32 s2, 6
	v_cndmask_b32_e64 v49, v49, v51, s0
	s_cselect_b32 s0, -1, 0
	s_cmp_eq_u32 s2, 7
	;; [unrolled: 3-line block ×58, first 2 shown]
	s_cselect_b32 vcc_lo, -1, 0
	v_cndmask_b32_e64 v49, v49, v48, s0
	s_add_u32 s2, s2, 16
	s_addc_u32 s3, s3, 0
	s_cmpk_lg_i32 s2, 0x4f
	v_cndmask_b32_e32 v49, v49, v80, vcc_lo
	v_add_f16_e32 v51, v50, v49
	v_add_co_u32 v49, vcc_lo, v83, v16
	v_add_co_ci_u32_e64 v50, null, v84, v17, vcc_lo
	v_add_f16_e32 v51, v51, v85
	flat_store_short v[49:50], v51
	s_cbranch_scc0 .LBB250_29
.LBB250_13:                             ; =>This Inner Loop Header: Depth=1
	v_mad_i64_i32 v[49:50], null, v1, s10, 0
	v_cndmask_b32_e64 v51, 0, 1, s6
	v_mov_b32_e32 v85, 0
	v_mov_b32_e32 v86, 0
	v_cmp_ne_u32_e64 s0, 1, v51
	v_lshlrev_b64 v[49:50], 1, v[49:50]
	v_add_co_u32 v81, vcc_lo, s8, v49
	v_add_co_ci_u32_e64 v82, null, s9, v50, vcc_lo
	s_andn2_b32 vcc_lo, exec_lo, s6
	s_cbranch_vccnz .LBB250_15
; %bb.14:                               ;   in Loop: Header=BB250_13 Depth=1
	v_add_co_u32 v49, vcc_lo, v81, v2
	v_add_co_ci_u32_e64 v50, null, v82, v3, vcc_lo
	flat_load_ushort v49, v[49:50]
	s_waitcnt vmcnt(0) lgkmcnt(0)
	v_mul_f16_e32 v86, s7, v49
.LBB250_15:                             ;   in Loop: Header=BB250_13 Depth=1
	s_add_i32 s1, s2, -15
	v_lshrrev_b32_e32 v49, 16, v21
	s_cmp_eq_u32 s1, 1
	v_lshrrev_b32_e32 v50, 16, v25
	s_cselect_b32 vcc_lo, -1, 0
	s_cmp_eq_u32 s1, 2
	v_cndmask_b32_e32 v51, v21, v49, vcc_lo
	s_cselect_b32 vcc_lo, -1, 0
	s_cmp_eq_u32 s1, 3
	v_cndmask_b32_e32 v51, v51, v25, vcc_lo
	s_cselect_b32 vcc_lo, -1, 0
	s_cmp_eq_u32 s1, 4
	v_cndmask_b32_e32 v52, v51, v50, vcc_lo
	s_cselect_b32 vcc_lo, -1, 0
	v_lshrrev_b32_e32 v51, 16, v29
	s_cmp_eq_u32 s1, 5
	v_cndmask_b32_e32 v52, v52, v29, vcc_lo
	s_cselect_b32 vcc_lo, -1, 0
	s_cmp_eq_u32 s1, 6
	v_cndmask_b32_e32 v53, v52, v51, vcc_lo
	s_cselect_b32 vcc_lo, -1, 0
	v_lshrrev_b32_e32 v52, 16, v33
	s_cmp_eq_u32 s1, 7
	v_cndmask_b32_e32 v53, v53, v33, vcc_lo
	s_cselect_b32 vcc_lo, -1, 0
	s_cmp_eq_u32 s1, 8
	v_cndmask_b32_e32 v54, v53, v52, vcc_lo
	;; [unrolled: 7-line block ×29, first 2 shown]
	s_cselect_b32 vcc_lo, -1, 0
	s_cmp_eq_u32 s1, 63
	v_lshrrev_b32_e32 v80, 16, v48
	v_cndmask_b32_e32 v87, v83, v48, vcc_lo
	s_cselect_b32 vcc_lo, -1, 0
	s_add_i32 s12, s2, -14
	s_cmp_eq_u32 s12, 1
	v_cndmask_b32_e32 v87, v87, v80, vcc_lo
	s_cselect_b32 s1, -1, 0
	s_cmp_eq_u32 s12, 2
	v_cndmask_b32_e64 v83, v21, v49, s1
	s_cselect_b32 s1, -1, 0
	s_cmp_eq_u32 s12, 3
	v_cndmask_b32_e64 v83, v83, v25, s1
	;; [unrolled: 3-line block ×61, first 2 shown]
	v_mad_i64_i32 v[83:84], null, v1, s4, 0
	s_cselect_b32 s1, -1, 0
	s_cmp_eq_u32 s12, 63
	v_cndmask_b32_e64 v88, v88, v48, s1
	s_cselect_b32 vcc_lo, -1, 0
	v_lshlrev_b64 v[83:84], 1, v[83:84]
	v_cndmask_b32_e32 v88, v88, v80, vcc_lo
	v_add_co_u32 v83, vcc_lo, s5, v83
	v_add_f16_e32 v87, v87, v88
	v_add_co_ci_u32_e64 v84, null, s11, v84, vcc_lo
	v_add_f16_e32 v88, v87, v86
	v_add_co_u32 v86, vcc_lo, v83, v2
	v_add_co_ci_u32_e64 v87, null, v84, v3, vcc_lo
	s_and_b32 vcc_lo, exec_lo, s0
	flat_store_short v[86:87], v88
	s_cbranch_vccnz .LBB250_17
; %bb.16:                               ;   in Loop: Header=BB250_13 Depth=1
	v_add_co_u32 v85, vcc_lo, v81, v4
	v_add_co_ci_u32_e64 v86, null, v82, v5, vcc_lo
	flat_load_ushort v85, v[85:86]
	s_waitcnt vmcnt(0) lgkmcnt(0)
	v_mul_f16_e32 v85, s7, v85
.LBB250_17:                             ;   in Loop: Header=BB250_13 Depth=1
	s_add_i32 s1, s2, -13
	s_cmp_eq_u32 s1, 1
	s_cselect_b32 vcc_lo, -1, 0
	s_cmp_eq_u32 s1, 2
	v_cndmask_b32_e32 v86, v21, v49, vcc_lo
	s_cselect_b32 vcc_lo, -1, 0
	s_cmp_eq_u32 s1, 3
	v_cndmask_b32_e32 v86, v86, v25, vcc_lo
	s_cselect_b32 vcc_lo, -1, 0
	s_cmp_eq_u32 s1, 4
	v_cndmask_b32_e32 v86, v86, v50, vcc_lo
	s_cselect_b32 vcc_lo, -1, 0
	s_cmp_eq_u32 s1, 5
	v_cndmask_b32_e32 v86, v86, v29, vcc_lo
	s_cselect_b32 vcc_lo, -1, 0
	s_cmp_eq_u32 s1, 6
	v_cndmask_b32_e32 v86, v86, v51, vcc_lo
	s_cselect_b32 vcc_lo, -1, 0
	s_cmp_eq_u32 s1, 7
	v_cndmask_b32_e32 v86, v86, v33, vcc_lo
	s_cselect_b32 vcc_lo, -1, 0
	s_cmp_eq_u32 s1, 8
	v_cndmask_b32_e32 v86, v86, v52, vcc_lo
	s_cselect_b32 vcc_lo, -1, 0
	s_cmp_eq_u32 s1, 9
	v_cndmask_b32_e32 v86, v86, v37, vcc_lo
	s_cselect_b32 vcc_lo, -1, 0
	s_cmp_eq_u32 s1, 10
	v_cndmask_b32_e32 v86, v86, v53, vcc_lo
	s_cselect_b32 vcc_lo, -1, 0
	s_cmp_eq_u32 s1, 11
	v_cndmask_b32_e32 v86, v86, v41, vcc_lo
	s_cselect_b32 vcc_lo, -1, 0
	s_cmp_eq_u32 s1, 12
	v_cndmask_b32_e32 v86, v86, v54, vcc_lo
	s_cselect_b32 vcc_lo, -1, 0
	s_cmp_eq_u32 s1, 13
	v_cndmask_b32_e32 v86, v86, v45, vcc_lo
	s_cselect_b32 vcc_lo, -1, 0
	s_cmp_eq_u32 s1, 14
	v_cndmask_b32_e32 v86, v86, v55, vcc_lo
	s_cselect_b32 vcc_lo, -1, 0
	s_cmp_eq_u32 s1, 15
	v_cndmask_b32_e32 v86, v86, v18, vcc_lo
	s_cselect_b32 vcc_lo, -1, 0
	s_cmp_eq_u32 s1, 16
	v_cndmask_b32_e32 v86, v86, v56, vcc_lo
	s_cselect_b32 vcc_lo, -1, 0
	s_cmp_eq_u32 s1, 17
	v_cndmask_b32_e32 v86, v86, v22, vcc_lo
	s_cselect_b32 vcc_lo, -1, 0
	s_cmp_eq_u32 s1, 18
	v_cndmask_b32_e32 v86, v86, v57, vcc_lo
	s_cselect_b32 vcc_lo, -1, 0
	s_cmp_eq_u32 s1, 19
	v_cndmask_b32_e32 v86, v86, v26, vcc_lo
	s_cselect_b32 vcc_lo, -1, 0
	s_cmp_eq_u32 s1, 20
	v_cndmask_b32_e32 v86, v86, v58, vcc_lo
	s_cselect_b32 vcc_lo, -1, 0
	s_cmp_eq_u32 s1, 21
	v_cndmask_b32_e32 v86, v86, v30, vcc_lo
	s_cselect_b32 vcc_lo, -1, 0
	s_cmp_eq_u32 s1, 22
	v_cndmask_b32_e32 v86, v86, v59, vcc_lo
	s_cselect_b32 vcc_lo, -1, 0
	s_cmp_eq_u32 s1, 23
	v_cndmask_b32_e32 v86, v86, v34, vcc_lo
	s_cselect_b32 vcc_lo, -1, 0
	s_cmp_eq_u32 s1, 24
	v_cndmask_b32_e32 v86, v86, v60, vcc_lo
	s_cselect_b32 vcc_lo, -1, 0
	s_cmp_eq_u32 s1, 25
	v_cndmask_b32_e32 v86, v86, v38, vcc_lo
	s_cselect_b32 vcc_lo, -1, 0
	s_cmp_eq_u32 s1, 26
	v_cndmask_b32_e32 v86, v86, v61, vcc_lo
	s_cselect_b32 vcc_lo, -1, 0
	s_cmp_eq_u32 s1, 27
	v_cndmask_b32_e32 v86, v86, v42, vcc_lo
	s_cselect_b32 vcc_lo, -1, 0
	s_cmp_eq_u32 s1, 28
	v_cndmask_b32_e32 v86, v86, v62, vcc_lo
	s_cselect_b32 vcc_lo, -1, 0
	s_cmp_eq_u32 s1, 29
	v_cndmask_b32_e32 v86, v86, v0, vcc_lo
	s_cselect_b32 vcc_lo, -1, 0
	s_cmp_eq_u32 s1, 30
	v_cndmask_b32_e32 v86, v86, v63, vcc_lo
	s_cselect_b32 vcc_lo, -1, 0
	s_cmp_eq_u32 s1, 31
	v_cndmask_b32_e32 v86, v86, v19, vcc_lo
	s_cselect_b32 vcc_lo, -1, 0
	s_cmp_eq_u32 s1, 32
	v_cndmask_b32_e32 v86, v86, v64, vcc_lo
	s_cselect_b32 vcc_lo, -1, 0
	s_cmp_eq_u32 s1, 33
	v_cndmask_b32_e32 v86, v86, v23, vcc_lo
	s_cselect_b32 vcc_lo, -1, 0
	s_cmp_eq_u32 s1, 34
	v_cndmask_b32_e32 v86, v86, v65, vcc_lo
	s_cselect_b32 vcc_lo, -1, 0
	s_cmp_eq_u32 s1, 35
	v_cndmask_b32_e32 v86, v86, v27, vcc_lo
	s_cselect_b32 vcc_lo, -1, 0
	s_cmp_eq_u32 s1, 36
	v_cndmask_b32_e32 v86, v86, v66, vcc_lo
	s_cselect_b32 vcc_lo, -1, 0
	s_cmp_eq_u32 s1, 37
	v_cndmask_b32_e32 v86, v86, v31, vcc_lo
	s_cselect_b32 vcc_lo, -1, 0
	s_cmp_eq_u32 s1, 38
	v_cndmask_b32_e32 v86, v86, v67, vcc_lo
	s_cselect_b32 vcc_lo, -1, 0
	s_cmp_eq_u32 s1, 39
	v_cndmask_b32_e32 v86, v86, v35, vcc_lo
	s_cselect_b32 vcc_lo, -1, 0
	s_cmp_eq_u32 s1, 40
	v_cndmask_b32_e32 v86, v86, v68, vcc_lo
	s_cselect_b32 vcc_lo, -1, 0
	s_cmp_eq_u32 s1, 41
	v_cndmask_b32_e32 v86, v86, v39, vcc_lo
	s_cselect_b32 vcc_lo, -1, 0
	s_cmp_eq_u32 s1, 42
	v_cndmask_b32_e32 v86, v86, v69, vcc_lo
	s_cselect_b32 vcc_lo, -1, 0
	s_cmp_eq_u32 s1, 43
	v_cndmask_b32_e32 v86, v86, v43, vcc_lo
	s_cselect_b32 vcc_lo, -1, 0
	s_cmp_eq_u32 s1, 44
	v_cndmask_b32_e32 v86, v86, v70, vcc_lo
	s_cselect_b32 vcc_lo, -1, 0
	s_cmp_eq_u32 s1, 45
	v_cndmask_b32_e32 v86, v86, v46, vcc_lo
	s_cselect_b32 vcc_lo, -1, 0
	s_cmp_eq_u32 s1, 46
	v_cndmask_b32_e32 v86, v86, v71, vcc_lo
	s_cselect_b32 vcc_lo, -1, 0
	s_cmp_eq_u32 s1, 47
	v_cndmask_b32_e32 v86, v86, v20, vcc_lo
	s_cselect_b32 vcc_lo, -1, 0
	s_cmp_eq_u32 s1, 48
	v_cndmask_b32_e32 v86, v86, v72, vcc_lo
	s_cselect_b32 vcc_lo, -1, 0
	s_cmp_eq_u32 s1, 49
	v_cndmask_b32_e32 v86, v86, v24, vcc_lo
	s_cselect_b32 vcc_lo, -1, 0
	s_cmp_eq_u32 s1, 50
	v_cndmask_b32_e32 v86, v86, v73, vcc_lo
	s_cselect_b32 vcc_lo, -1, 0
	s_cmp_eq_u32 s1, 51
	v_cndmask_b32_e32 v86, v86, v28, vcc_lo
	s_cselect_b32 vcc_lo, -1, 0
	s_cmp_eq_u32 s1, 52
	v_cndmask_b32_e32 v86, v86, v74, vcc_lo
	s_cselect_b32 vcc_lo, -1, 0
	s_cmp_eq_u32 s1, 53
	v_cndmask_b32_e32 v86, v86, v32, vcc_lo
	s_cselect_b32 vcc_lo, -1, 0
	s_cmp_eq_u32 s1, 54
	v_cndmask_b32_e32 v86, v86, v75, vcc_lo
	s_cselect_b32 vcc_lo, -1, 0
	s_cmp_eq_u32 s1, 55
	v_cndmask_b32_e32 v86, v86, v36, vcc_lo
	s_cselect_b32 vcc_lo, -1, 0
	s_cmp_eq_u32 s1, 56
	v_cndmask_b32_e32 v86, v86, v76, vcc_lo
	s_cselect_b32 vcc_lo, -1, 0
	s_cmp_eq_u32 s1, 57
	v_cndmask_b32_e32 v86, v86, v40, vcc_lo
	s_cselect_b32 vcc_lo, -1, 0
	s_cmp_eq_u32 s1, 58
	v_cndmask_b32_e32 v86, v86, v77, vcc_lo
	s_cselect_b32 vcc_lo, -1, 0
	s_cmp_eq_u32 s1, 59
	v_cndmask_b32_e32 v86, v86, v44, vcc_lo
	s_cselect_b32 vcc_lo, -1, 0
	s_cmp_eq_u32 s1, 60
	v_cndmask_b32_e32 v86, v86, v78, vcc_lo
	s_cselect_b32 vcc_lo, -1, 0
	s_cmp_eq_u32 s1, 61
	v_cndmask_b32_e32 v86, v86, v47, vcc_lo
	s_cselect_b32 vcc_lo, -1, 0
	s_cmp_eq_u32 s1, 62
	v_cndmask_b32_e32 v86, v86, v79, vcc_lo
	s_cselect_b32 vcc_lo, -1, 0
	s_cmp_eq_u32 s1, 63
	v_cndmask_b32_e32 v86, v86, v48, vcc_lo
	s_cselect_b32 vcc_lo, -1, 0
	s_add_i32 s12, s2, -12
	s_cmp_eq_u32 s12, 1
	v_cndmask_b32_e32 v86, v86, v80, vcc_lo
	s_cselect_b32 s1, -1, 0
	s_cmp_eq_u32 s12, 2
	v_cndmask_b32_e64 v87, v21, v49, s1
	s_cselect_b32 s1, -1, 0
	s_cmp_eq_u32 s12, 3
	v_cndmask_b32_e64 v87, v87, v25, s1
	;; [unrolled: 3-line block ×61, first 2 shown]
	s_cselect_b32 s1, -1, 0
	s_cmp_eq_u32 s12, 63
	s_cselect_b32 vcc_lo, -1, 0
	v_cndmask_b32_e64 v87, v87, v48, s1
	v_cndmask_b32_e32 v87, v87, v80, vcc_lo
	v_add_f16_e32 v86, v86, v87
	v_add_co_u32 v87, vcc_lo, v83, v4
	v_add_co_ci_u32_e64 v88, null, v84, v5, vcc_lo
	v_add_f16_e32 v89, v86, v85
	v_mov_b32_e32 v85, 0
	v_mov_b32_e32 v86, 0
	s_and_b32 vcc_lo, exec_lo, s0
	flat_store_short v[87:88], v89
	s_cbranch_vccnz .LBB250_19
; %bb.18:                               ;   in Loop: Header=BB250_13 Depth=1
	v_add_co_u32 v86, vcc_lo, v81, v6
	v_add_co_ci_u32_e64 v87, null, v82, v7, vcc_lo
	flat_load_ushort v86, v[86:87]
	s_waitcnt vmcnt(0) lgkmcnt(0)
	v_mul_f16_e32 v86, s7, v86
.LBB250_19:                             ;   in Loop: Header=BB250_13 Depth=1
	s_add_i32 s1, s2, -11
	s_cmp_eq_u32 s1, 1
	s_cselect_b32 vcc_lo, -1, 0
	s_cmp_eq_u32 s1, 2
	v_cndmask_b32_e32 v87, v21, v49, vcc_lo
	s_cselect_b32 vcc_lo, -1, 0
	s_cmp_eq_u32 s1, 3
	v_cndmask_b32_e32 v87, v87, v25, vcc_lo
	;; [unrolled: 3-line block ×62, first 2 shown]
	s_cselect_b32 vcc_lo, -1, 0
	s_add_i32 s12, s2, -10
	s_cmp_eq_u32 s12, 1
	v_cndmask_b32_e32 v87, v87, v80, vcc_lo
	s_cselect_b32 s1, -1, 0
	s_cmp_eq_u32 s12, 2
	v_cndmask_b32_e64 v88, v21, v49, s1
	s_cselect_b32 s1, -1, 0
	s_cmp_eq_u32 s12, 3
	v_cndmask_b32_e64 v88, v88, v25, s1
	;; [unrolled: 3-line block ×61, first 2 shown]
	s_cselect_b32 s1, -1, 0
	s_cmp_eq_u32 s12, 63
	s_cselect_b32 vcc_lo, -1, 0
	v_cndmask_b32_e64 v88, v88, v48, s1
	v_cndmask_b32_e32 v88, v88, v80, vcc_lo
	v_add_f16_e32 v87, v87, v88
	v_add_f16_e32 v88, v87, v86
	v_add_co_u32 v86, vcc_lo, v83, v6
	v_add_co_ci_u32_e64 v87, null, v84, v7, vcc_lo
	s_and_b32 vcc_lo, exec_lo, s0
	flat_store_short v[86:87], v88
	s_cbranch_vccnz .LBB250_21
; %bb.20:                               ;   in Loop: Header=BB250_13 Depth=1
	v_add_co_u32 v85, vcc_lo, v81, v8
	v_add_co_ci_u32_e64 v86, null, v82, v9, vcc_lo
	flat_load_ushort v85, v[85:86]
	s_waitcnt vmcnt(0) lgkmcnt(0)
	v_mul_f16_e32 v85, s7, v85
.LBB250_21:                             ;   in Loop: Header=BB250_13 Depth=1
	s_add_i32 s1, s2, -9
	s_cmp_eq_u32 s1, 1
	s_cselect_b32 vcc_lo, -1, 0
	s_cmp_eq_u32 s1, 2
	v_cndmask_b32_e32 v86, v21, v49, vcc_lo
	s_cselect_b32 vcc_lo, -1, 0
	s_cmp_eq_u32 s1, 3
	v_cndmask_b32_e32 v86, v86, v25, vcc_lo
	s_cselect_b32 vcc_lo, -1, 0
	s_cmp_eq_u32 s1, 4
	v_cndmask_b32_e32 v86, v86, v50, vcc_lo
	s_cselect_b32 vcc_lo, -1, 0
	s_cmp_eq_u32 s1, 5
	v_cndmask_b32_e32 v86, v86, v29, vcc_lo
	s_cselect_b32 vcc_lo, -1, 0
	s_cmp_eq_u32 s1, 6
	v_cndmask_b32_e32 v86, v86, v51, vcc_lo
	s_cselect_b32 vcc_lo, -1, 0
	s_cmp_eq_u32 s1, 7
	v_cndmask_b32_e32 v86, v86, v33, vcc_lo
	s_cselect_b32 vcc_lo, -1, 0
	s_cmp_eq_u32 s1, 8
	v_cndmask_b32_e32 v86, v86, v52, vcc_lo
	s_cselect_b32 vcc_lo, -1, 0
	s_cmp_eq_u32 s1, 9
	v_cndmask_b32_e32 v86, v86, v37, vcc_lo
	s_cselect_b32 vcc_lo, -1, 0
	s_cmp_eq_u32 s1, 10
	v_cndmask_b32_e32 v86, v86, v53, vcc_lo
	s_cselect_b32 vcc_lo, -1, 0
	s_cmp_eq_u32 s1, 11
	v_cndmask_b32_e32 v86, v86, v41, vcc_lo
	s_cselect_b32 vcc_lo, -1, 0
	s_cmp_eq_u32 s1, 12
	v_cndmask_b32_e32 v86, v86, v54, vcc_lo
	s_cselect_b32 vcc_lo, -1, 0
	s_cmp_eq_u32 s1, 13
	v_cndmask_b32_e32 v86, v86, v45, vcc_lo
	s_cselect_b32 vcc_lo, -1, 0
	s_cmp_eq_u32 s1, 14
	v_cndmask_b32_e32 v86, v86, v55, vcc_lo
	s_cselect_b32 vcc_lo, -1, 0
	s_cmp_eq_u32 s1, 15
	v_cndmask_b32_e32 v86, v86, v18, vcc_lo
	s_cselect_b32 vcc_lo, -1, 0
	s_cmp_eq_u32 s1, 16
	v_cndmask_b32_e32 v86, v86, v56, vcc_lo
	s_cselect_b32 vcc_lo, -1, 0
	s_cmp_eq_u32 s1, 17
	v_cndmask_b32_e32 v86, v86, v22, vcc_lo
	s_cselect_b32 vcc_lo, -1, 0
	s_cmp_eq_u32 s1, 18
	v_cndmask_b32_e32 v86, v86, v57, vcc_lo
	s_cselect_b32 vcc_lo, -1, 0
	s_cmp_eq_u32 s1, 19
	v_cndmask_b32_e32 v86, v86, v26, vcc_lo
	s_cselect_b32 vcc_lo, -1, 0
	s_cmp_eq_u32 s1, 20
	v_cndmask_b32_e32 v86, v86, v58, vcc_lo
	s_cselect_b32 vcc_lo, -1, 0
	s_cmp_eq_u32 s1, 21
	v_cndmask_b32_e32 v86, v86, v30, vcc_lo
	s_cselect_b32 vcc_lo, -1, 0
	s_cmp_eq_u32 s1, 22
	v_cndmask_b32_e32 v86, v86, v59, vcc_lo
	s_cselect_b32 vcc_lo, -1, 0
	s_cmp_eq_u32 s1, 23
	v_cndmask_b32_e32 v86, v86, v34, vcc_lo
	s_cselect_b32 vcc_lo, -1, 0
	s_cmp_eq_u32 s1, 24
	v_cndmask_b32_e32 v86, v86, v60, vcc_lo
	s_cselect_b32 vcc_lo, -1, 0
	s_cmp_eq_u32 s1, 25
	v_cndmask_b32_e32 v86, v86, v38, vcc_lo
	s_cselect_b32 vcc_lo, -1, 0
	s_cmp_eq_u32 s1, 26
	v_cndmask_b32_e32 v86, v86, v61, vcc_lo
	s_cselect_b32 vcc_lo, -1, 0
	s_cmp_eq_u32 s1, 27
	v_cndmask_b32_e32 v86, v86, v42, vcc_lo
	s_cselect_b32 vcc_lo, -1, 0
	s_cmp_eq_u32 s1, 28
	v_cndmask_b32_e32 v86, v86, v62, vcc_lo
	s_cselect_b32 vcc_lo, -1, 0
	s_cmp_eq_u32 s1, 29
	v_cndmask_b32_e32 v86, v86, v0, vcc_lo
	s_cselect_b32 vcc_lo, -1, 0
	s_cmp_eq_u32 s1, 30
	v_cndmask_b32_e32 v86, v86, v63, vcc_lo
	s_cselect_b32 vcc_lo, -1, 0
	s_cmp_eq_u32 s1, 31
	v_cndmask_b32_e32 v86, v86, v19, vcc_lo
	s_cselect_b32 vcc_lo, -1, 0
	s_cmp_eq_u32 s1, 32
	v_cndmask_b32_e32 v86, v86, v64, vcc_lo
	s_cselect_b32 vcc_lo, -1, 0
	s_cmp_eq_u32 s1, 33
	v_cndmask_b32_e32 v86, v86, v23, vcc_lo
	s_cselect_b32 vcc_lo, -1, 0
	s_cmp_eq_u32 s1, 34
	v_cndmask_b32_e32 v86, v86, v65, vcc_lo
	s_cselect_b32 vcc_lo, -1, 0
	s_cmp_eq_u32 s1, 35
	v_cndmask_b32_e32 v86, v86, v27, vcc_lo
	s_cselect_b32 vcc_lo, -1, 0
	s_cmp_eq_u32 s1, 36
	v_cndmask_b32_e32 v86, v86, v66, vcc_lo
	s_cselect_b32 vcc_lo, -1, 0
	s_cmp_eq_u32 s1, 37
	v_cndmask_b32_e32 v86, v86, v31, vcc_lo
	s_cselect_b32 vcc_lo, -1, 0
	s_cmp_eq_u32 s1, 38
	v_cndmask_b32_e32 v86, v86, v67, vcc_lo
	s_cselect_b32 vcc_lo, -1, 0
	s_cmp_eq_u32 s1, 39
	v_cndmask_b32_e32 v86, v86, v35, vcc_lo
	s_cselect_b32 vcc_lo, -1, 0
	s_cmp_eq_u32 s1, 40
	v_cndmask_b32_e32 v86, v86, v68, vcc_lo
	s_cselect_b32 vcc_lo, -1, 0
	s_cmp_eq_u32 s1, 41
	v_cndmask_b32_e32 v86, v86, v39, vcc_lo
	s_cselect_b32 vcc_lo, -1, 0
	s_cmp_eq_u32 s1, 42
	v_cndmask_b32_e32 v86, v86, v69, vcc_lo
	s_cselect_b32 vcc_lo, -1, 0
	s_cmp_eq_u32 s1, 43
	v_cndmask_b32_e32 v86, v86, v43, vcc_lo
	s_cselect_b32 vcc_lo, -1, 0
	s_cmp_eq_u32 s1, 44
	v_cndmask_b32_e32 v86, v86, v70, vcc_lo
	s_cselect_b32 vcc_lo, -1, 0
	s_cmp_eq_u32 s1, 45
	v_cndmask_b32_e32 v86, v86, v46, vcc_lo
	s_cselect_b32 vcc_lo, -1, 0
	s_cmp_eq_u32 s1, 46
	v_cndmask_b32_e32 v86, v86, v71, vcc_lo
	s_cselect_b32 vcc_lo, -1, 0
	s_cmp_eq_u32 s1, 47
	v_cndmask_b32_e32 v86, v86, v20, vcc_lo
	s_cselect_b32 vcc_lo, -1, 0
	s_cmp_eq_u32 s1, 48
	v_cndmask_b32_e32 v86, v86, v72, vcc_lo
	s_cselect_b32 vcc_lo, -1, 0
	s_cmp_eq_u32 s1, 49
	v_cndmask_b32_e32 v86, v86, v24, vcc_lo
	s_cselect_b32 vcc_lo, -1, 0
	s_cmp_eq_u32 s1, 50
	v_cndmask_b32_e32 v86, v86, v73, vcc_lo
	s_cselect_b32 vcc_lo, -1, 0
	s_cmp_eq_u32 s1, 51
	v_cndmask_b32_e32 v86, v86, v28, vcc_lo
	s_cselect_b32 vcc_lo, -1, 0
	s_cmp_eq_u32 s1, 52
	v_cndmask_b32_e32 v86, v86, v74, vcc_lo
	s_cselect_b32 vcc_lo, -1, 0
	s_cmp_eq_u32 s1, 53
	v_cndmask_b32_e32 v86, v86, v32, vcc_lo
	s_cselect_b32 vcc_lo, -1, 0
	s_cmp_eq_u32 s1, 54
	v_cndmask_b32_e32 v86, v86, v75, vcc_lo
	s_cselect_b32 vcc_lo, -1, 0
	s_cmp_eq_u32 s1, 55
	v_cndmask_b32_e32 v86, v86, v36, vcc_lo
	s_cselect_b32 vcc_lo, -1, 0
	s_cmp_eq_u32 s1, 56
	v_cndmask_b32_e32 v86, v86, v76, vcc_lo
	s_cselect_b32 vcc_lo, -1, 0
	s_cmp_eq_u32 s1, 57
	v_cndmask_b32_e32 v86, v86, v40, vcc_lo
	s_cselect_b32 vcc_lo, -1, 0
	s_cmp_eq_u32 s1, 58
	v_cndmask_b32_e32 v86, v86, v77, vcc_lo
	s_cselect_b32 vcc_lo, -1, 0
	s_cmp_eq_u32 s1, 59
	v_cndmask_b32_e32 v86, v86, v44, vcc_lo
	s_cselect_b32 vcc_lo, -1, 0
	s_cmp_eq_u32 s1, 60
	v_cndmask_b32_e32 v86, v86, v78, vcc_lo
	s_cselect_b32 vcc_lo, -1, 0
	s_cmp_eq_u32 s1, 61
	v_cndmask_b32_e32 v86, v86, v47, vcc_lo
	s_cselect_b32 vcc_lo, -1, 0
	s_cmp_eq_u32 s1, 62
	v_cndmask_b32_e32 v86, v86, v79, vcc_lo
	s_cselect_b32 vcc_lo, -1, 0
	s_cmp_eq_u32 s1, 63
	v_cndmask_b32_e32 v86, v86, v48, vcc_lo
	s_cselect_b32 vcc_lo, -1, 0
	s_add_i32 s12, s2, -8
	s_cmp_eq_u32 s12, 1
	v_cndmask_b32_e32 v86, v86, v80, vcc_lo
	s_cselect_b32 s1, -1, 0
	s_cmp_eq_u32 s12, 2
	v_cndmask_b32_e64 v87, v21, v49, s1
	s_cselect_b32 s1, -1, 0
	s_cmp_eq_u32 s12, 3
	v_cndmask_b32_e64 v87, v87, v25, s1
	;; [unrolled: 3-line block ×61, first 2 shown]
	s_cselect_b32 s1, -1, 0
	s_cmp_eq_u32 s12, 63
	s_cselect_b32 vcc_lo, -1, 0
	v_cndmask_b32_e64 v87, v87, v48, s1
	v_cndmask_b32_e32 v87, v87, v80, vcc_lo
	v_add_f16_e32 v86, v86, v87
	v_add_co_u32 v87, vcc_lo, v83, v8
	v_add_co_ci_u32_e64 v88, null, v84, v9, vcc_lo
	v_add_f16_e32 v89, v86, v85
	v_mov_b32_e32 v85, 0
	v_mov_b32_e32 v86, 0
	s_and_b32 vcc_lo, exec_lo, s0
	flat_store_short v[87:88], v89
	s_cbranch_vccnz .LBB250_23
; %bb.22:                               ;   in Loop: Header=BB250_13 Depth=1
	v_add_co_u32 v86, vcc_lo, v81, v10
	v_add_co_ci_u32_e64 v87, null, v82, v11, vcc_lo
	flat_load_ushort v86, v[86:87]
	s_waitcnt vmcnt(0) lgkmcnt(0)
	v_mul_f16_e32 v86, s7, v86
.LBB250_23:                             ;   in Loop: Header=BB250_13 Depth=1
	s_add_i32 s1, s2, -7
	s_cmp_eq_u32 s1, 1
	s_cselect_b32 vcc_lo, -1, 0
	s_cmp_eq_u32 s1, 2
	v_cndmask_b32_e32 v87, v21, v49, vcc_lo
	s_cselect_b32 vcc_lo, -1, 0
	s_cmp_eq_u32 s1, 3
	v_cndmask_b32_e32 v87, v87, v25, vcc_lo
	;; [unrolled: 3-line block ×62, first 2 shown]
	s_cselect_b32 vcc_lo, -1, 0
	s_add_i32 s12, s2, -6
	s_cmp_eq_u32 s12, 1
	v_cndmask_b32_e32 v87, v87, v80, vcc_lo
	s_cselect_b32 s1, -1, 0
	s_cmp_eq_u32 s12, 2
	v_cndmask_b32_e64 v88, v21, v49, s1
	s_cselect_b32 s1, -1, 0
	s_cmp_eq_u32 s12, 3
	v_cndmask_b32_e64 v88, v88, v25, s1
	;; [unrolled: 3-line block ×61, first 2 shown]
	s_cselect_b32 s1, -1, 0
	s_cmp_eq_u32 s12, 63
	s_cselect_b32 vcc_lo, -1, 0
	v_cndmask_b32_e64 v88, v88, v48, s1
	v_cndmask_b32_e32 v88, v88, v80, vcc_lo
	v_add_f16_e32 v87, v87, v88
	v_add_f16_e32 v88, v87, v86
	v_add_co_u32 v86, vcc_lo, v83, v10
	v_add_co_ci_u32_e64 v87, null, v84, v11, vcc_lo
	s_and_b32 vcc_lo, exec_lo, s0
	flat_store_short v[86:87], v88
	s_cbranch_vccnz .LBB250_25
; %bb.24:                               ;   in Loop: Header=BB250_13 Depth=1
	v_add_co_u32 v85, vcc_lo, v81, v12
	v_add_co_ci_u32_e64 v86, null, v82, v13, vcc_lo
	flat_load_ushort v85, v[85:86]
	s_waitcnt vmcnt(0) lgkmcnt(0)
	v_mul_f16_e32 v85, s7, v85
.LBB250_25:                             ;   in Loop: Header=BB250_13 Depth=1
	s_add_i32 s1, s2, -5
	s_cmp_eq_u32 s1, 1
	s_cselect_b32 vcc_lo, -1, 0
	s_cmp_eq_u32 s1, 2
	v_cndmask_b32_e32 v86, v21, v49, vcc_lo
	s_cselect_b32 vcc_lo, -1, 0
	s_cmp_eq_u32 s1, 3
	v_cndmask_b32_e32 v86, v86, v25, vcc_lo
	s_cselect_b32 vcc_lo, -1, 0
	s_cmp_eq_u32 s1, 4
	v_cndmask_b32_e32 v86, v86, v50, vcc_lo
	s_cselect_b32 vcc_lo, -1, 0
	s_cmp_eq_u32 s1, 5
	v_cndmask_b32_e32 v86, v86, v29, vcc_lo
	s_cselect_b32 vcc_lo, -1, 0
	s_cmp_eq_u32 s1, 6
	v_cndmask_b32_e32 v86, v86, v51, vcc_lo
	s_cselect_b32 vcc_lo, -1, 0
	s_cmp_eq_u32 s1, 7
	v_cndmask_b32_e32 v86, v86, v33, vcc_lo
	s_cselect_b32 vcc_lo, -1, 0
	s_cmp_eq_u32 s1, 8
	v_cndmask_b32_e32 v86, v86, v52, vcc_lo
	s_cselect_b32 vcc_lo, -1, 0
	s_cmp_eq_u32 s1, 9
	v_cndmask_b32_e32 v86, v86, v37, vcc_lo
	s_cselect_b32 vcc_lo, -1, 0
	s_cmp_eq_u32 s1, 10
	v_cndmask_b32_e32 v86, v86, v53, vcc_lo
	s_cselect_b32 vcc_lo, -1, 0
	s_cmp_eq_u32 s1, 11
	v_cndmask_b32_e32 v86, v86, v41, vcc_lo
	s_cselect_b32 vcc_lo, -1, 0
	s_cmp_eq_u32 s1, 12
	v_cndmask_b32_e32 v86, v86, v54, vcc_lo
	s_cselect_b32 vcc_lo, -1, 0
	s_cmp_eq_u32 s1, 13
	v_cndmask_b32_e32 v86, v86, v45, vcc_lo
	s_cselect_b32 vcc_lo, -1, 0
	s_cmp_eq_u32 s1, 14
	v_cndmask_b32_e32 v86, v86, v55, vcc_lo
	s_cselect_b32 vcc_lo, -1, 0
	s_cmp_eq_u32 s1, 15
	v_cndmask_b32_e32 v86, v86, v18, vcc_lo
	s_cselect_b32 vcc_lo, -1, 0
	s_cmp_eq_u32 s1, 16
	v_cndmask_b32_e32 v86, v86, v56, vcc_lo
	s_cselect_b32 vcc_lo, -1, 0
	s_cmp_eq_u32 s1, 17
	v_cndmask_b32_e32 v86, v86, v22, vcc_lo
	s_cselect_b32 vcc_lo, -1, 0
	s_cmp_eq_u32 s1, 18
	v_cndmask_b32_e32 v86, v86, v57, vcc_lo
	s_cselect_b32 vcc_lo, -1, 0
	s_cmp_eq_u32 s1, 19
	v_cndmask_b32_e32 v86, v86, v26, vcc_lo
	s_cselect_b32 vcc_lo, -1, 0
	s_cmp_eq_u32 s1, 20
	v_cndmask_b32_e32 v86, v86, v58, vcc_lo
	s_cselect_b32 vcc_lo, -1, 0
	s_cmp_eq_u32 s1, 21
	v_cndmask_b32_e32 v86, v86, v30, vcc_lo
	s_cselect_b32 vcc_lo, -1, 0
	s_cmp_eq_u32 s1, 22
	v_cndmask_b32_e32 v86, v86, v59, vcc_lo
	s_cselect_b32 vcc_lo, -1, 0
	s_cmp_eq_u32 s1, 23
	v_cndmask_b32_e32 v86, v86, v34, vcc_lo
	s_cselect_b32 vcc_lo, -1, 0
	s_cmp_eq_u32 s1, 24
	v_cndmask_b32_e32 v86, v86, v60, vcc_lo
	s_cselect_b32 vcc_lo, -1, 0
	s_cmp_eq_u32 s1, 25
	v_cndmask_b32_e32 v86, v86, v38, vcc_lo
	s_cselect_b32 vcc_lo, -1, 0
	s_cmp_eq_u32 s1, 26
	v_cndmask_b32_e32 v86, v86, v61, vcc_lo
	s_cselect_b32 vcc_lo, -1, 0
	s_cmp_eq_u32 s1, 27
	v_cndmask_b32_e32 v86, v86, v42, vcc_lo
	s_cselect_b32 vcc_lo, -1, 0
	s_cmp_eq_u32 s1, 28
	v_cndmask_b32_e32 v86, v86, v62, vcc_lo
	s_cselect_b32 vcc_lo, -1, 0
	s_cmp_eq_u32 s1, 29
	v_cndmask_b32_e32 v86, v86, v0, vcc_lo
	s_cselect_b32 vcc_lo, -1, 0
	s_cmp_eq_u32 s1, 30
	v_cndmask_b32_e32 v86, v86, v63, vcc_lo
	s_cselect_b32 vcc_lo, -1, 0
	s_cmp_eq_u32 s1, 31
	v_cndmask_b32_e32 v86, v86, v19, vcc_lo
	s_cselect_b32 vcc_lo, -1, 0
	s_cmp_eq_u32 s1, 32
	v_cndmask_b32_e32 v86, v86, v64, vcc_lo
	s_cselect_b32 vcc_lo, -1, 0
	s_cmp_eq_u32 s1, 33
	v_cndmask_b32_e32 v86, v86, v23, vcc_lo
	s_cselect_b32 vcc_lo, -1, 0
	s_cmp_eq_u32 s1, 34
	v_cndmask_b32_e32 v86, v86, v65, vcc_lo
	s_cselect_b32 vcc_lo, -1, 0
	s_cmp_eq_u32 s1, 35
	v_cndmask_b32_e32 v86, v86, v27, vcc_lo
	s_cselect_b32 vcc_lo, -1, 0
	s_cmp_eq_u32 s1, 36
	v_cndmask_b32_e32 v86, v86, v66, vcc_lo
	s_cselect_b32 vcc_lo, -1, 0
	s_cmp_eq_u32 s1, 37
	v_cndmask_b32_e32 v86, v86, v31, vcc_lo
	s_cselect_b32 vcc_lo, -1, 0
	s_cmp_eq_u32 s1, 38
	v_cndmask_b32_e32 v86, v86, v67, vcc_lo
	s_cselect_b32 vcc_lo, -1, 0
	s_cmp_eq_u32 s1, 39
	v_cndmask_b32_e32 v86, v86, v35, vcc_lo
	s_cselect_b32 vcc_lo, -1, 0
	s_cmp_eq_u32 s1, 40
	v_cndmask_b32_e32 v86, v86, v68, vcc_lo
	s_cselect_b32 vcc_lo, -1, 0
	s_cmp_eq_u32 s1, 41
	v_cndmask_b32_e32 v86, v86, v39, vcc_lo
	s_cselect_b32 vcc_lo, -1, 0
	s_cmp_eq_u32 s1, 42
	v_cndmask_b32_e32 v86, v86, v69, vcc_lo
	s_cselect_b32 vcc_lo, -1, 0
	s_cmp_eq_u32 s1, 43
	v_cndmask_b32_e32 v86, v86, v43, vcc_lo
	s_cselect_b32 vcc_lo, -1, 0
	s_cmp_eq_u32 s1, 44
	v_cndmask_b32_e32 v86, v86, v70, vcc_lo
	s_cselect_b32 vcc_lo, -1, 0
	s_cmp_eq_u32 s1, 45
	v_cndmask_b32_e32 v86, v86, v46, vcc_lo
	s_cselect_b32 vcc_lo, -1, 0
	s_cmp_eq_u32 s1, 46
	v_cndmask_b32_e32 v86, v86, v71, vcc_lo
	s_cselect_b32 vcc_lo, -1, 0
	s_cmp_eq_u32 s1, 47
	v_cndmask_b32_e32 v86, v86, v20, vcc_lo
	s_cselect_b32 vcc_lo, -1, 0
	s_cmp_eq_u32 s1, 48
	v_cndmask_b32_e32 v86, v86, v72, vcc_lo
	s_cselect_b32 vcc_lo, -1, 0
	s_cmp_eq_u32 s1, 49
	v_cndmask_b32_e32 v86, v86, v24, vcc_lo
	s_cselect_b32 vcc_lo, -1, 0
	s_cmp_eq_u32 s1, 50
	v_cndmask_b32_e32 v86, v86, v73, vcc_lo
	s_cselect_b32 vcc_lo, -1, 0
	s_cmp_eq_u32 s1, 51
	v_cndmask_b32_e32 v86, v86, v28, vcc_lo
	s_cselect_b32 vcc_lo, -1, 0
	s_cmp_eq_u32 s1, 52
	v_cndmask_b32_e32 v86, v86, v74, vcc_lo
	s_cselect_b32 vcc_lo, -1, 0
	s_cmp_eq_u32 s1, 53
	v_cndmask_b32_e32 v86, v86, v32, vcc_lo
	s_cselect_b32 vcc_lo, -1, 0
	s_cmp_eq_u32 s1, 54
	v_cndmask_b32_e32 v86, v86, v75, vcc_lo
	s_cselect_b32 vcc_lo, -1, 0
	s_cmp_eq_u32 s1, 55
	v_cndmask_b32_e32 v86, v86, v36, vcc_lo
	s_cselect_b32 vcc_lo, -1, 0
	s_cmp_eq_u32 s1, 56
	v_cndmask_b32_e32 v86, v86, v76, vcc_lo
	s_cselect_b32 vcc_lo, -1, 0
	s_cmp_eq_u32 s1, 57
	v_cndmask_b32_e32 v86, v86, v40, vcc_lo
	s_cselect_b32 vcc_lo, -1, 0
	s_cmp_eq_u32 s1, 58
	v_cndmask_b32_e32 v86, v86, v77, vcc_lo
	s_cselect_b32 vcc_lo, -1, 0
	s_cmp_eq_u32 s1, 59
	v_cndmask_b32_e32 v86, v86, v44, vcc_lo
	s_cselect_b32 vcc_lo, -1, 0
	s_cmp_eq_u32 s1, 60
	v_cndmask_b32_e32 v86, v86, v78, vcc_lo
	s_cselect_b32 vcc_lo, -1, 0
	s_cmp_eq_u32 s1, 61
	v_cndmask_b32_e32 v86, v86, v47, vcc_lo
	s_cselect_b32 vcc_lo, -1, 0
	s_cmp_eq_u32 s1, 62
	v_cndmask_b32_e32 v86, v86, v79, vcc_lo
	s_cselect_b32 vcc_lo, -1, 0
	s_cmp_eq_u32 s1, 63
	v_cndmask_b32_e32 v86, v86, v48, vcc_lo
	s_cselect_b32 vcc_lo, -1, 0
	s_add_i32 s12, s2, -4
	s_cmp_eq_u32 s12, 1
	v_cndmask_b32_e32 v86, v86, v80, vcc_lo
	s_cselect_b32 s1, -1, 0
	s_cmp_eq_u32 s12, 2
	v_cndmask_b32_e64 v87, v21, v49, s1
	s_cselect_b32 s1, -1, 0
	s_cmp_eq_u32 s12, 3
	v_cndmask_b32_e64 v87, v87, v25, s1
	;; [unrolled: 3-line block ×61, first 2 shown]
	s_cselect_b32 s1, -1, 0
	s_cmp_eq_u32 s12, 63
	s_cselect_b32 vcc_lo, -1, 0
	v_cndmask_b32_e64 v87, v87, v48, s1
	v_cndmask_b32_e32 v87, v87, v80, vcc_lo
	v_add_f16_e32 v86, v86, v87
	v_add_co_u32 v87, vcc_lo, v83, v12
	v_add_co_ci_u32_e64 v88, null, v84, v13, vcc_lo
	v_add_f16_e32 v89, v86, v85
	v_mov_b32_e32 v85, 0
	v_mov_b32_e32 v86, 0
	s_and_b32 vcc_lo, exec_lo, s0
	flat_store_short v[87:88], v89
	s_cbranch_vccnz .LBB250_27
; %bb.26:                               ;   in Loop: Header=BB250_13 Depth=1
	v_add_co_u32 v86, vcc_lo, v81, v14
	v_add_co_ci_u32_e64 v87, null, v82, v15, vcc_lo
	flat_load_ushort v86, v[86:87]
	s_waitcnt vmcnt(0) lgkmcnt(0)
	v_mul_f16_e32 v86, s7, v86
.LBB250_27:                             ;   in Loop: Header=BB250_13 Depth=1
	s_add_i32 s1, s2, -3
	s_cmp_eq_u32 s1, 1
	s_cselect_b32 vcc_lo, -1, 0
	s_cmp_eq_u32 s1, 2
	v_cndmask_b32_e32 v87, v21, v49, vcc_lo
	s_cselect_b32 vcc_lo, -1, 0
	s_cmp_eq_u32 s1, 3
	v_cndmask_b32_e32 v87, v87, v25, vcc_lo
	;; [unrolled: 3-line block ×62, first 2 shown]
	s_cselect_b32 vcc_lo, -1, 0
	s_add_i32 s12, s2, -2
	s_cmp_eq_u32 s12, 1
	v_cndmask_b32_e32 v87, v87, v80, vcc_lo
	s_cselect_b32 s1, -1, 0
	s_cmp_eq_u32 s12, 2
	v_cndmask_b32_e64 v88, v21, v49, s1
	s_cselect_b32 s1, -1, 0
	s_cmp_eq_u32 s12, 3
	v_cndmask_b32_e64 v88, v88, v25, s1
	;; [unrolled: 3-line block ×61, first 2 shown]
	s_cselect_b32 s1, -1, 0
	s_cmp_eq_u32 s12, 63
	s_cselect_b32 vcc_lo, -1, 0
	v_cndmask_b32_e64 v88, v88, v48, s1
	v_cndmask_b32_e32 v88, v88, v80, vcc_lo
	v_add_f16_e32 v87, v87, v88
	v_add_f16_e32 v88, v87, v86
	v_add_co_u32 v86, vcc_lo, v83, v14
	v_add_co_ci_u32_e64 v87, null, v84, v15, vcc_lo
	s_and_b32 vcc_lo, exec_lo, s0
	flat_store_short v[86:87], v88
	s_cbranch_vccnz .LBB250_12
; %bb.28:                               ;   in Loop: Header=BB250_13 Depth=1
	v_add_co_u32 v81, vcc_lo, v81, v16
	v_add_co_ci_u32_e64 v82, null, v82, v17, vcc_lo
	flat_load_ushort v81, v[81:82]
	s_waitcnt vmcnt(0) lgkmcnt(0)
	v_mul_f16_e32 v85, s7, v81
	s_branch .LBB250_12
.LBB250_29:
	s_endpgm
	.section	.rodata,"a",@progbits
	.p2align	6, 0x0
	.amdhsa_kernel _ZN12_GLOBAL__N_120geam_min_plus_kernelIDF16_Dv2_DF16_S1_Li8ELi32ELi64ELi128ELi4ELi4ELi64ELi64ELi4ELc84ELc84ELb1ELb0ELb0EDF16_KPKDF16_KPDF16_EEviiiT16_PT17_ilS9_ilS7_S9_ilPT18_ili26rocblas_geam_ex_operation_
		.amdhsa_group_segment_fixed_size 3072
		.amdhsa_private_segment_fixed_size 0
		.amdhsa_kernarg_size 128
		.amdhsa_user_sgpr_count 6
		.amdhsa_user_sgpr_private_segment_buffer 1
		.amdhsa_user_sgpr_dispatch_ptr 0
		.amdhsa_user_sgpr_queue_ptr 0
		.amdhsa_user_sgpr_kernarg_segment_ptr 1
		.amdhsa_user_sgpr_dispatch_id 0
		.amdhsa_user_sgpr_flat_scratch_init 0
		.amdhsa_user_sgpr_private_segment_size 0
		.amdhsa_wavefront_size32 1
		.amdhsa_uses_dynamic_stack 0
		.amdhsa_system_sgpr_private_segment_wavefront_offset 0
		.amdhsa_system_sgpr_workgroup_id_x 1
		.amdhsa_system_sgpr_workgroup_id_y 0
		.amdhsa_system_sgpr_workgroup_id_z 1
		.amdhsa_system_sgpr_workgroup_info 0
		.amdhsa_system_vgpr_workitem_id 1
		.amdhsa_next_free_vgpr 120
		.amdhsa_next_free_sgpr 20
		.amdhsa_reserve_vcc 1
		.amdhsa_reserve_flat_scratch 1
		.amdhsa_float_round_mode_32 0
		.amdhsa_float_round_mode_16_64 0
		.amdhsa_float_denorm_mode_32 3
		.amdhsa_float_denorm_mode_16_64 3
		.amdhsa_dx10_clamp 1
		.amdhsa_ieee_mode 1
		.amdhsa_fp16_overflow 0
		.amdhsa_workgroup_processor_mode 1
		.amdhsa_memory_ordered 1
		.amdhsa_forward_progress 1
		.amdhsa_shared_vgpr_count 0
		.amdhsa_exception_fp_ieee_invalid_op 0
		.amdhsa_exception_fp_denorm_src 0
		.amdhsa_exception_fp_ieee_div_zero 0
		.amdhsa_exception_fp_ieee_overflow 0
		.amdhsa_exception_fp_ieee_underflow 0
		.amdhsa_exception_fp_ieee_inexact 0
		.amdhsa_exception_int_div_zero 0
	.end_amdhsa_kernel
	.section	.text._ZN12_GLOBAL__N_120geam_min_plus_kernelIDF16_Dv2_DF16_S1_Li8ELi32ELi64ELi128ELi4ELi4ELi64ELi64ELi4ELc84ELc84ELb1ELb0ELb0EDF16_KPKDF16_KPDF16_EEviiiT16_PT17_ilS9_ilS7_S9_ilPT18_ili26rocblas_geam_ex_operation_,"axG",@progbits,_ZN12_GLOBAL__N_120geam_min_plus_kernelIDF16_Dv2_DF16_S1_Li8ELi32ELi64ELi128ELi4ELi4ELi64ELi64ELi4ELc84ELc84ELb1ELb0ELb0EDF16_KPKDF16_KPDF16_EEviiiT16_PT17_ilS9_ilS7_S9_ilPT18_ili26rocblas_geam_ex_operation_,comdat
.Lfunc_end250:
	.size	_ZN12_GLOBAL__N_120geam_min_plus_kernelIDF16_Dv2_DF16_S1_Li8ELi32ELi64ELi128ELi4ELi4ELi64ELi64ELi4ELc84ELc84ELb1ELb0ELb0EDF16_KPKDF16_KPDF16_EEviiiT16_PT17_ilS9_ilS7_S9_ilPT18_ili26rocblas_geam_ex_operation_, .Lfunc_end250-_ZN12_GLOBAL__N_120geam_min_plus_kernelIDF16_Dv2_DF16_S1_Li8ELi32ELi64ELi128ELi4ELi4ELi64ELi64ELi4ELc84ELc84ELb1ELb0ELb0EDF16_KPKDF16_KPDF16_EEviiiT16_PT17_ilS9_ilS7_S9_ilPT18_ili26rocblas_geam_ex_operation_
                                        ; -- End function
	.set _ZN12_GLOBAL__N_120geam_min_plus_kernelIDF16_Dv2_DF16_S1_Li8ELi32ELi64ELi128ELi4ELi4ELi64ELi64ELi4ELc84ELc84ELb1ELb0ELb0EDF16_KPKDF16_KPDF16_EEviiiT16_PT17_ilS9_ilS7_S9_ilPT18_ili26rocblas_geam_ex_operation_.num_vgpr, 120
	.set _ZN12_GLOBAL__N_120geam_min_plus_kernelIDF16_Dv2_DF16_S1_Li8ELi32ELi64ELi128ELi4ELi4ELi64ELi64ELi4ELc84ELc84ELb1ELb0ELb0EDF16_KPKDF16_KPDF16_EEviiiT16_PT17_ilS9_ilS7_S9_ilPT18_ili26rocblas_geam_ex_operation_.num_agpr, 0
	.set _ZN12_GLOBAL__N_120geam_min_plus_kernelIDF16_Dv2_DF16_S1_Li8ELi32ELi64ELi128ELi4ELi4ELi64ELi64ELi4ELc84ELc84ELb1ELb0ELb0EDF16_KPKDF16_KPDF16_EEviiiT16_PT17_ilS9_ilS7_S9_ilPT18_ili26rocblas_geam_ex_operation_.numbered_sgpr, 20
	.set _ZN12_GLOBAL__N_120geam_min_plus_kernelIDF16_Dv2_DF16_S1_Li8ELi32ELi64ELi128ELi4ELi4ELi64ELi64ELi4ELc84ELc84ELb1ELb0ELb0EDF16_KPKDF16_KPDF16_EEviiiT16_PT17_ilS9_ilS7_S9_ilPT18_ili26rocblas_geam_ex_operation_.num_named_barrier, 0
	.set _ZN12_GLOBAL__N_120geam_min_plus_kernelIDF16_Dv2_DF16_S1_Li8ELi32ELi64ELi128ELi4ELi4ELi64ELi64ELi4ELc84ELc84ELb1ELb0ELb0EDF16_KPKDF16_KPDF16_EEviiiT16_PT17_ilS9_ilS7_S9_ilPT18_ili26rocblas_geam_ex_operation_.private_seg_size, 0
	.set _ZN12_GLOBAL__N_120geam_min_plus_kernelIDF16_Dv2_DF16_S1_Li8ELi32ELi64ELi128ELi4ELi4ELi64ELi64ELi4ELc84ELc84ELb1ELb0ELb0EDF16_KPKDF16_KPDF16_EEviiiT16_PT17_ilS9_ilS7_S9_ilPT18_ili26rocblas_geam_ex_operation_.uses_vcc, 1
	.set _ZN12_GLOBAL__N_120geam_min_plus_kernelIDF16_Dv2_DF16_S1_Li8ELi32ELi64ELi128ELi4ELi4ELi64ELi64ELi4ELc84ELc84ELb1ELb0ELb0EDF16_KPKDF16_KPDF16_EEviiiT16_PT17_ilS9_ilS7_S9_ilPT18_ili26rocblas_geam_ex_operation_.uses_flat_scratch, 1
	.set _ZN12_GLOBAL__N_120geam_min_plus_kernelIDF16_Dv2_DF16_S1_Li8ELi32ELi64ELi128ELi4ELi4ELi64ELi64ELi4ELc84ELc84ELb1ELb0ELb0EDF16_KPKDF16_KPDF16_EEviiiT16_PT17_ilS9_ilS7_S9_ilPT18_ili26rocblas_geam_ex_operation_.has_dyn_sized_stack, 0
	.set _ZN12_GLOBAL__N_120geam_min_plus_kernelIDF16_Dv2_DF16_S1_Li8ELi32ELi64ELi128ELi4ELi4ELi64ELi64ELi4ELc84ELc84ELb1ELb0ELb0EDF16_KPKDF16_KPDF16_EEviiiT16_PT17_ilS9_ilS7_S9_ilPT18_ili26rocblas_geam_ex_operation_.has_recursion, 0
	.set _ZN12_GLOBAL__N_120geam_min_plus_kernelIDF16_Dv2_DF16_S1_Li8ELi32ELi64ELi128ELi4ELi4ELi64ELi64ELi4ELc84ELc84ELb1ELb0ELb0EDF16_KPKDF16_KPDF16_EEviiiT16_PT17_ilS9_ilS7_S9_ilPT18_ili26rocblas_geam_ex_operation_.has_indirect_call, 0
	.section	.AMDGPU.csdata,"",@progbits
; Kernel info:
; codeLenInByte = 21548
; TotalNumSgprs: 22
; NumVgprs: 120
; ScratchSize: 0
; MemoryBound: 0
; FloatMode: 240
; IeeeMode: 1
; LDSByteSize: 3072 bytes/workgroup (compile time only)
; SGPRBlocks: 0
; VGPRBlocks: 14
; NumSGPRsForWavesPerEU: 22
; NumVGPRsForWavesPerEU: 120
; Occupancy: 8
; WaveLimiterHint : 1
; COMPUTE_PGM_RSRC2:SCRATCH_EN: 0
; COMPUTE_PGM_RSRC2:USER_SGPR: 6
; COMPUTE_PGM_RSRC2:TRAP_HANDLER: 0
; COMPUTE_PGM_RSRC2:TGID_X_EN: 1
; COMPUTE_PGM_RSRC2:TGID_Y_EN: 0
; COMPUTE_PGM_RSRC2:TGID_Z_EN: 1
; COMPUTE_PGM_RSRC2:TIDIG_COMP_CNT: 1
	.section	.text._ZN12_GLOBAL__N_120geam_min_plus_kernelIDF16_Dv2_DF16_S1_Li8ELi32ELi64ELi128ELi4ELi4ELi64ELi64ELi4ELc84ELc84ELb0ELb0ELb0EDF16_KPKDF16_KPDF16_EEviiiT16_PT17_ilS9_ilS7_S9_ilPT18_ili26rocblas_geam_ex_operation_,"axG",@progbits,_ZN12_GLOBAL__N_120geam_min_plus_kernelIDF16_Dv2_DF16_S1_Li8ELi32ELi64ELi128ELi4ELi4ELi64ELi64ELi4ELc84ELc84ELb0ELb0ELb0EDF16_KPKDF16_KPDF16_EEviiiT16_PT17_ilS9_ilS7_S9_ilPT18_ili26rocblas_geam_ex_operation_,comdat
	.globl	_ZN12_GLOBAL__N_120geam_min_plus_kernelIDF16_Dv2_DF16_S1_Li8ELi32ELi64ELi128ELi4ELi4ELi64ELi64ELi4ELc84ELc84ELb0ELb0ELb0EDF16_KPKDF16_KPDF16_EEviiiT16_PT17_ilS9_ilS7_S9_ilPT18_ili26rocblas_geam_ex_operation_ ; -- Begin function _ZN12_GLOBAL__N_120geam_min_plus_kernelIDF16_Dv2_DF16_S1_Li8ELi32ELi64ELi128ELi4ELi4ELi64ELi64ELi4ELc84ELc84ELb0ELb0ELb0EDF16_KPKDF16_KPDF16_EEviiiT16_PT17_ilS9_ilS7_S9_ilPT18_ili26rocblas_geam_ex_operation_
	.p2align	8
	.type	_ZN12_GLOBAL__N_120geam_min_plus_kernelIDF16_Dv2_DF16_S1_Li8ELi32ELi64ELi128ELi4ELi4ELi64ELi64ELi4ELc84ELc84ELb0ELb0ELb0EDF16_KPKDF16_KPDF16_EEviiiT16_PT17_ilS9_ilS7_S9_ilPT18_ili26rocblas_geam_ex_operation_,@function
_ZN12_GLOBAL__N_120geam_min_plus_kernelIDF16_Dv2_DF16_S1_Li8ELi32ELi64ELi128ELi4ELi4ELi64ELi64ELi4ELc84ELc84ELb0ELb0ELb0EDF16_KPKDF16_KPDF16_EEviiiT16_PT17_ilS9_ilS7_S9_ilPT18_ili26rocblas_geam_ex_operation_: ; @_ZN12_GLOBAL__N_120geam_min_plus_kernelIDF16_Dv2_DF16_S1_Li8ELi32ELi64ELi128ELi4ELi4ELi64ELi64ELi4ELc84ELc84ELb0ELb0ELb0EDF16_KPKDF16_KPDF16_EEviiiT16_PT17_ilS9_ilS7_S9_ilPT18_ili26rocblas_geam_ex_operation_
; %bb.0:
	s_clause 0x1
	s_load_dwordx2 s[12:13], s[4:5], 0x8
	s_load_dwordx4 s[8:11], s[4:5], 0x20
	s_mov_b32 s20, s7
	s_mov_b32 s21, 0
	s_waitcnt lgkmcnt(0)
	v_cmp_eq_f16_e64 s1, s13, 0
	s_and_b32 s0, exec_lo, s1
	s_mov_b32 vcc_lo, s0
	s_cbranch_vccnz .LBB251_3
; %bb.1:
	s_load_dwordx2 s[2:3], s[4:5], 0x10
	s_lshl_b64 s[14:15], s[20:21], 3
	s_waitcnt lgkmcnt(0)
	s_add_u32 s2, s2, s14
	s_addc_u32 s3, s3, s15
	s_lshl_b64 s[8:9], s[8:9], 1
	s_load_dwordx2 s[2:3], s[2:3], 0x0
	s_waitcnt lgkmcnt(0)
	s_add_u32 s14, s2, s8
	s_addc_u32 s15, s3, s9
	s_andn2_b32 vcc_lo, exec_lo, s1
	s_cbranch_vccnz .LBB251_4
.LBB251_2:
	s_mov_b32 s19, 0
	s_mov_b32 s18, s20
	;; [unrolled: 1-line block ×3, first 2 shown]
	s_mov_b64 s[2:3], 0
	s_andn2_b32 vcc_lo, exec_lo, s1
	s_mov_b64 s[16:17], 0
	s_cbranch_vccz .LBB251_5
	s_branch .LBB251_6
.LBB251_3:
	s_mov_b64 s[14:15], 0
	s_andn2_b32 vcc_lo, exec_lo, s1
	s_cbranch_vccz .LBB251_2
.LBB251_4:
	s_mov_b64 s[18:19], s[20:21]
	s_mov_b64 s[2:3], 0
	;; [unrolled: 1-line block ×3, first 2 shown]
.LBB251_5:
	s_lshl_b64 s[8:9], s[20:21], 3
	s_load_dwordx2 s[16:17], s[4:5], 0x38
	s_add_u32 s8, s10, s8
	s_addc_u32 s9, s11, s9
	s_load_dwordx2 s[8:9], s[8:9], 0x0
	s_waitcnt lgkmcnt(0)
	s_lshl_b64 s[10:11], s[16:17], 1
	s_add_u32 s16, s8, s10
	s_addc_u32 s17, s9, s11
.LBB251_6:
	s_clause 0x1
	s_load_dword s20, s[4:5], 0x40
	s_load_dwordx4 s[8:11], s[4:5], 0x58
	v_cmp_neq_f16_e64 s7, s13, 0
	s_waitcnt lgkmcnt(0)
	v_cmp_eq_f16_e64 s1, s20, 0
	s_and_b32 vcc_lo, exec_lo, s1
	s_cbranch_vccnz .LBB251_8
; %bb.7:
	s_load_dwordx2 s[2:3], s[4:5], 0x48
	s_lshl_b64 s[22:23], s[18:19], 3
	s_waitcnt lgkmcnt(0)
	s_add_u32 s2, s2, s22
	s_addc_u32 s3, s3, s23
	s_lshl_b64 s[8:9], s[8:9], 1
	s_load_dwordx2 s[2:3], s[2:3], 0x0
	s_waitcnt lgkmcnt(0)
	s_add_u32 s2, s2, s8
	s_addc_u32 s3, s3, s9
.LBB251_8:
	s_clause 0x2
	s_load_dword s8, s[4:5], 0x30
	s_load_dword s1, s[4:5], 0x0
	;; [unrolled: 1-line block ×3, first 2 shown]
	s_lshl_b64 s[18:19], s[18:19], 3
	v_and_b32_e32 v3, 3, v0
	v_cndmask_b32_e64 v5, 0, 1, s7
	v_mov_b32_e32 v10, 0
	s_waitcnt lgkmcnt(0)
	s_ashr_i32 s9, s8, 31
	s_add_u32 s10, s10, s18
	s_addc_u32 s11, s11, s19
	s_add_i32 s1, s1, -1
	s_ashr_i32 s18, s1, 31
	s_lshr_b32 s18, s18, 26
	s_add_i32 s1, s1, s18
	s_ashr_i32 s1, s1, 6
	s_add_i32 s18, s1, 1
	s_not_b32 s1, s1
	v_cvt_f32_u32_e32 v2, s18
	v_rcp_iflag_f32_e32 v2, v2
	v_mul_f32_e32 v2, 0x4f7ffffe, v2
	v_cvt_u32_f32_e32 v2, v2
	v_readfirstlane_b32 s19, v2
	v_lshl_add_u32 v2, v1, 3, v0
	s_mul_i32 s1, s1, s19
	v_and_b32_e32 v6, 63, v2
	s_mul_hi_u32 s1, s19, s1
	v_lshrrev_b32_e32 v12, 2, v2
	s_add_i32 s19, s19, s1
	v_lshrrev_b32_e32 v4, 6, v2
	s_mul_hi_u32 s1, s6, s19
	s_mul_i32 s19, s1, s18
	s_add_i32 s22, s1, 1
	s_sub_i32 s19, s6, s19
	s_sub_i32 s23, s19, s18
	s_cmp_ge_u32 s19, s18
	s_cselect_b32 s1, s22, s1
	s_cselect_b32 s19, s23, s19
	s_add_i32 s22, s1, 1
	s_cmp_ge_u32 s19, s18
	s_cselect_b32 s1, s22, s1
	s_andn2_b32 vcc_lo, exec_lo, s7
	s_mul_i32 s19, s1, s18
	s_lshl_b32 s18, s1, 7
	s_sub_i32 s1, s6, s19
	v_or_b32_e32 v2, s18, v6
	s_lshl_b32 s19, s1, 6
	v_cmp_ne_u32_e64 s1, 1, v5
	v_add_nc_u32_e32 v7, s19, v12
	v_lshlrev_b32_e32 v5, 1, v3
	v_ashrrev_i32_e32 v3, 31, v2
	s_cbranch_vccnz .LBB251_11
; %bb.9:
	v_mad_i64_i32 v[8:9], null, s8, v4, 0
	v_mad_i64_i32 v[13:14], null, v7, s21, 0
	v_lshlrev_b64 v[15:16], 1, v[2:3]
	v_lshlrev_b64 v[8:9], 1, v[8:9]
	;; [unrolled: 1-line block ×3, first 2 shown]
	v_add_co_u32 v8, vcc_lo, s16, v8
	v_add_co_ci_u32_e64 v9, null, s17, v9, vcc_lo
	v_add_co_u32 v11, vcc_lo, s14, v13
	v_add_co_ci_u32_e64 v14, null, s15, v14, vcc_lo
	;; [unrolled: 2-line block ×4, first 2 shown]
	flat_load_ushort v11, v[8:9]
	flat_load_ushort v13, v[13:14]
	flat_load_ushort v9, v[8:9] offset:128
	s_waitcnt vmcnt(2) lgkmcnt(2)
	v_mul_f16_e32 v8, s13, v11
	s_waitcnt vmcnt(1) lgkmcnt(1)
	v_mul_f16_e32 v13, s13, v13
	;; [unrolled: 2-line block ×3, first 2 shown]
	v_pack_b32_f16 v8, v8, 0
	s_and_b32 vcc_lo, exec_lo, s1
	s_cbranch_vccnz .LBB251_12
.LBB251_10:
	v_add_nc_u32_e32 v10, 4, v4
	v_mad_i64_i32 v[14:15], null, v7, s21, 0
	v_lshlrev_b64 v[2:3], 1, v[2:3]
	v_mad_i64_i32 v[10:11], null, s8, v10, 0
	v_lshlrev_b64 v[14:15], 1, v[14:15]
	v_lshlrev_b64 v[10:11], 1, v[10:11]
	v_add_co_u32 v10, vcc_lo, s16, v10
	v_add_co_ci_u32_e64 v11, null, s17, v11, vcc_lo
	v_add_co_u32 v14, vcc_lo, s14, v14
	v_add_co_ci_u32_e64 v15, null, s15, v15, vcc_lo
	v_add_co_u32 v2, vcc_lo, v10, v2
	v_add_co_ci_u32_e64 v3, null, v11, v3, vcc_lo
	v_add_co_u32 v10, vcc_lo, v14, v5
	v_add_co_ci_u32_e64 v11, null, 0, v15, vcc_lo
	flat_load_ushort v14, v[2:3]
	flat_load_ushort v10, v[10:11] offset:8
	flat_load_ushort v2, v[2:3] offset:128
	s_waitcnt vmcnt(2) lgkmcnt(2)
	v_mul_f16_e32 v3, s13, v14
	s_waitcnt vmcnt(1) lgkmcnt(1)
	v_mul_f16_e32 v10, s13, v10
	;; [unrolled: 2-line block ×3, first 2 shown]
	v_pack_b32_f16 v3, v3, 0
	s_branch .LBB251_13
.LBB251_11:
	v_mov_b32_e32 v8, 0
	v_mov_b32_e32 v13, 0
	;; [unrolled: 1-line block ×3, first 2 shown]
	s_and_b32 vcc_lo, exec_lo, s1
	s_cbranch_vccz .LBB251_10
.LBB251_12:
	v_mov_b32_e32 v3, 0
	v_mov_b32_e32 v11, 0
.LBB251_13:
	v_lshlrev_b32_e32 v14, 3, v6
	v_lshlrev_b32_e32 v33, 3, v0
	v_lshl_or_b32 v2, v12, 3, v5
	v_lshlrev_b32_e32 v32, 3, v1
	s_load_dwordx2 s[6:7], s[10:11], 0x0
	v_lshl_add_u32 v34, v4, 1, v14
	v_add_nc_u32_e32 v35, 0x800, v33
	ds_write_b16 v2, v13 offset:2048
	s_cmp_lt_i32 s12, 9
	ds_write_b16 v34, v8
	ds_write_b16 v34, v9 offset:512
	s_waitcnt lgkmcnt(0)
	s_barrier
	buffer_gl0_inv
	ds_read2_b64 v[12:15], v32 offset1:32
	ds_read2_b64 v[16:19], v35 offset0:48 offset1:56
	ds_read2_b64 v[20:23], v32 offset0:64 offset1:96
	ds_read2_b64 v[24:27], v35 offset1:8
	ds_read2_b64 v[28:31], v35 offset0:16 offset1:24
	ds_read2_b64 v[52:55], v35 offset0:32 offset1:40
	ds_write_b16 v2, v10 offset:2560
	ds_write_b16 v34, v3 offset:1024
	;; [unrolled: 1-line block ×3, first 2 shown]
	s_waitcnt lgkmcnt(0)
	s_barrier
	buffer_gl0_inv
	v_pk_max_f16 v12, v12, v12
	v_pk_max_f16 v18, v18, v18
	;; [unrolled: 1-line block ×10, first 2 shown]
	v_pk_min_f16 v56, v35, v12
	v_pk_min_f16 v57, v35, v14
	;; [unrolled: 1-line block ×10, first 2 shown]
	v_pk_max_f16 v19, v19, v19
	v_pk_max_f16 v26, v26, v26
	;; [unrolled: 1-line block ×4, first 2 shown]
	v_pk_min_f16 v38, v24, v12
	v_pk_min_f16 v39, v24, v14
	;; [unrolled: 1-line block ×4, first 2 shown]
	v_pk_max_f16 v21, v21, v21
	v_pk_max_f16 v23, v23, v23
	;; [unrolled: 1-line block ×4, first 2 shown]
	v_pk_min_f16 v37, v18, v20
	v_pk_add_f16 v35, v35, 0
	v_pk_min_f16 v42, v19, v13
	v_pk_add_f16 v36, v36, 0
	v_pk_min_f16 v47, v19, v15
	v_pk_min_f16 v41, v26, v12
	v_pk_min_f16 v43, v26, v14
	v_pk_min_f16 v44, v26, v20
	v_pk_min_f16 v26, v26, v22
	v_pk_min_f16 v45, v28, v12
	v_pk_min_f16 v46, v28, v14
	v_pk_min_f16 v48, v28, v20
	v_pk_min_f16 v28, v28, v22
	v_pk_min_f16 v49, v30, v12
	v_pk_min_f16 v50, v30, v14
	v_pk_min_f16 v51, v30, v20
	v_pk_min_f16 v30, v30, v22
	v_pk_max_f16 v27, v27, v27
	v_pk_min_f16 v12, v16, v12
	v_pk_min_f16 v14, v16, v14
	;; [unrolled: 1-line block ×3, first 2 shown]
	v_pk_add_f16 v37, v37, 0
	v_pk_min_f16 v52, v19, v21
	v_pk_min_f16 v16, v16, v22
	;; [unrolled: 1-line block ×3, first 2 shown]
	v_pk_add_f16 v35, v35, v42
	v_pk_add_f16 v36, v36, v47
	;; [unrolled: 1-line block ×3, first 2 shown]
	v_pk_min_f16 v38, v25, v13
	v_pk_min_f16 v42, v25, v15
	;; [unrolled: 1-line block ×3, first 2 shown]
	v_pk_add_f16 v24, v24, 0
	v_pk_min_f16 v25, v25, v23
	v_pk_max_f16 v29, v29, v29
	v_pk_max_f16 v31, v31, v31
	v_pk_add_f16 v37, v37, v52
	v_pk_add_f16 v39, v39, 0
	;; [unrolled: 1-line block ×4, first 2 shown]
	v_pk_min_f16 v63, v27, v13
	v_pk_add_f16 v38, v22, v38
	v_pk_add_f16 v41, v24, v25
	;; [unrolled: 1-line block ×3, first 2 shown]
	v_pk_min_f16 v24, v27, v15
	v_pk_add_f16 v25, v44, 0
	v_pk_min_f16 v44, v27, v21
	v_pk_add_f16 v26, v26, 0
	;; [unrolled: 2-line block ×3, first 2 shown]
	v_pk_add_f16 v40, v40, v47
	v_pk_add_f16 v42, v52, v63
	;; [unrolled: 1-line block ×3, first 2 shown]
	v_pk_min_f16 v52, v29, v13
	v_pk_min_f16 v64, v29, v15
	v_pk_add_f16 v43, v22, v24
	v_pk_add_f16 v45, v26, v27
	;; [unrolled: 1-line block ×3, first 2 shown]
	v_pk_min_f16 v24, v29, v21
	v_pk_min_f16 v26, v29, v23
	v_pk_add_f16 v29, v50, 0
	v_pk_min_f16 v50, v31, v15
	v_pk_add_f16 v63, v46, 0
	v_pk_add_f16 v44, v25, v44
	;; [unrolled: 1-line block ×7, first 2 shown]
	v_pk_min_f16 v29, v31, v23
	v_pk_add_f16 v27, v49, 0
	v_pk_min_f16 v28, v31, v13
	v_pk_add_f16 v49, v25, v26
	v_pk_add_f16 v26, v54, 0
	;; [unrolled: 1-line block ×3, first 2 shown]
	v_pk_max_f16 v22, v53, v53
	v_pk_add_f16 v47, v63, v64
	v_pk_add_f16 v63, v51, 0
	;; [unrolled: 1-line block ×6, first 2 shown]
	v_pk_max_f16 v29, v55, v55
	v_pk_min_f16 v53, v22, v13
	v_pk_min_f16 v55, v22, v15
	;; [unrolled: 1-line block ×4, first 2 shown]
	v_pk_max_f16 v17, v17, v17
	v_pk_min_f16 v64, v31, v21
	v_pk_add_f16 v28, v59, 0
	v_pk_add_f16 v30, v60, 0
	;; [unrolled: 1-line block ×13, first 2 shown]
	v_pk_min_f16 v22, v29, v13
	v_pk_min_f16 v24, v29, v15
	;; [unrolled: 1-line block ×9, first 2 shown]
	v_pk_add_f16 v50, v63, v64
	v_pk_add_f16 v66, v28, v22
	;; [unrolled: 1-line block ×10, first 2 shown]
	s_cbranch_scc1 .LBB251_24
; %bb.14:
	v_mad_i64_i32 v[12:13], null, s21, v7, 0
	v_add_nc_u32_e32 v6, s18, v6
	v_add_nc_u32_e32 v53, 0x800, v2
	;; [unrolled: 1-line block ×4, first 2 shown]
	v_perm_b32 v80, v11, v3, 0x5040100
	v_ashrrev_i32_e32 v7, 31, v6
	v_add_nc_u32_e32 v3, 8, v4
	v_or_b32_e32 v55, 0x800, v33
	v_mad_i64_i32 v[14:15], null, v2, s8, 0
	v_perm_b32 v2, v9, v8, 0x5040100
	v_lshlrev_b64 v[8:9], 1, v[12:13]
	v_lshlrev_b64 v[6:7], 1, v[6:7]
	v_mad_i64_i32 v[3:4], null, v3, s8, 0
	v_or_b32_e32 v65, 0x400, v34
	v_lshlrev_b64 v[26:27], 1, v[14:15]
	v_add_co_u32 v5, vcc_lo, v8, v5
	v_add_co_ci_u32_e64 v8, null, 0, v9, vcc_lo
	v_add_co_u32 v73, vcc_lo, s16, v6
	v_add_co_ci_u32_e64 v74, null, s17, v7, vcc_lo
	;; [unrolled: 2-line block ×3, first 2 shown]
	v_lshlrev_b64 v[28:29], 1, v[3:4]
	v_add_co_u32 v30, vcc_lo, v5, 16
	v_lshl_add_u32 v68, v0, 3, 0xa00
	v_lshl_add_u32 v69, v1, 3, 0x400
	v_add_co_ci_u32_e64 v31, null, 0, v6, vcc_lo
	s_add_i32 s1, s12, -8
	s_lshl_b64 s[8:9], s[8:9], 4
	s_mov_b32 s10, 0
	s_branch .LBB251_16
.LBB251_15:                             ;   in Loop: Header=BB251_16 Depth=1
	v_pk_max_f16 v4, v4, v4
	v_pk_max_f16 v22, v22, v22
	;; [unrolled: 1-line block ×7, first 2 shown]
	v_pk_min_f16 v80, v4, v22
	v_pk_min_f16 v81, v4, v24
	v_pk_max_f16 v16, v16, v16
	v_pk_max_f16 v12, v12, v12
	v_pk_min_f16 v89, v10, v22
	v_pk_min_f16 v90, v10, v24
	;; [unrolled: 1-line block ×4, first 2 shown]
	v_pk_max_f16 v23, v23, v23
	v_pk_max_f16 v25, v25, v25
	;; [unrolled: 1-line block ×15, first 2 shown]
	v_pk_min_f16 v82, v4, v18
	v_pk_min_f16 v83, v14, v22
	;; [unrolled: 1-line block ×58, first 2 shown]
	v_pk_add_f16 v3, v35, v80
	v_pk_add_f16 v5, v36, v81
	;; [unrolled: 1-line block ×26, first 2 shown]
	ds_read2_b64 v[3:6], v55 offset0:48 offset1:56
	ds_read2_b64 v[7:10], v32 offset1:32
	v_pk_add_f16 v41, v44, v88
	v_pk_add_f16 v44, v48, v91
	;; [unrolled: 1-line block ×10, first 2 shown]
	ds_read2_b64 v[11:14], v32 offset0:64 offset1:96
	ds_read2_b64 v[15:18], v55 offset1:8
	v_pk_add_f16 v22, v70, v22
	v_pk_add_f16 v24, v71, v24
	;; [unrolled: 1-line block ×6, first 2 shown]
	s_waitcnt lgkmcnt(3)
	v_pk_max_f16 v5, v5, v5
	s_waitcnt lgkmcnt(2)
	v_pk_max_f16 v7, v7, v7
	v_pk_max_f16 v9, v9, v9
	v_pk_add_f16 v24, v24, v25
	v_pk_add_f16 v25, v60, v19
	;; [unrolled: 1-line block ×3, first 2 shown]
	v_pk_min_f16 v57, v5, v7
	v_pk_min_f16 v58, v5, v9
	ds_read2_b64 v[19:22], v55 offset0:16 offset1:24
	v_pk_add_f16 v37, v37, v101
	v_pk_add_f16 v38, v38, v102
	;; [unrolled: 1-line block ×3, first 2 shown]
	s_waitcnt lgkmcnt(2)
	v_pk_max_f16 v11, v11, v11
	s_waitcnt lgkmcnt(1)
	v_pk_max_f16 v15, v15, v15
	v_pk_add_f16 v62, v62, v57
	v_pk_add_f16 v63, v63, v58
	;; [unrolled: 1-line block ×3, first 2 shown]
	v_pk_min_f16 v59, v5, v11
	v_pk_min_f16 v57, v15, v9
	;; [unrolled: 1-line block ×3, first 2 shown]
	v_perm_b32 v2, v79, v78, 0x5040100
	v_pk_max_f16 v13, v13, v13
	v_pk_add_f16 v78, v35, v59
	v_pk_add_f16 v81, v37, v57
	;; [unrolled: 1-line block ×3, first 2 shown]
	ds_read2_b64 v[57:60], v55 offset0:32 offset1:40
	v_pk_min_f16 v35, v15, v7
	v_pk_max_f16 v17, v17, v17
	v_pk_add_f16 v39, v39, v103
	v_pk_add_f16 v40, v40, v104
	;; [unrolled: 1-line block ×3, first 2 shown]
	v_pk_min_f16 v15, v15, v13
	v_pk_add_f16 v79, v36, v35
	v_pk_min_f16 v35, v17, v7
	v_pk_min_f16 v36, v17, v9
	;; [unrolled: 1-line block ×3, first 2 shown]
	s_waitcnt lgkmcnt(1)
	v_pk_max_f16 v19, v19, v19
	v_pk_add_f16 v42, v42, v106
	v_pk_add_f16 v43, v43, v107
	;; [unrolled: 1-line block ×4, first 2 shown]
	v_pk_min_f16 v17, v17, v13
	v_pk_add_f16 v64, v39, v35
	v_pk_add_f16 v83, v40, v36
	;; [unrolled: 1-line block ×3, first 2 shown]
	v_pk_min_f16 v35, v19, v7
	v_pk_min_f16 v36, v19, v9
	;; [unrolled: 1-line block ×3, first 2 shown]
	v_pk_max_f16 v21, v21, v21
	v_pk_add_f16 v45, v45, v109
	v_pk_add_f16 v46, v46, v110
	;; [unrolled: 1-line block ×4, first 2 shown]
	v_pk_min_f16 v19, v19, v13
	v_pk_add_f16 v66, v42, v35
	v_pk_add_f16 v85, v43, v36
	;; [unrolled: 1-line block ×3, first 2 shown]
	v_pk_min_f16 v35, v21, v7
	v_pk_min_f16 v36, v21, v9
	s_waitcnt lgkmcnt(0)
	v_pk_max_f16 v37, v57, v57
	v_pk_min_f16 v38, v21, v11
	v_pk_add_f16 v49, v49, v113
	v_pk_add_f16 v50, v50, v114
	v_pk_add_f16 v19, v67, v19
	v_pk_add_f16 v57, v45, v35
	v_pk_add_f16 v67, v46, v36
	v_pk_min_f16 v35, v37, v7
	v_pk_add_f16 v87, v47, v38
	v_pk_min_f16 v36, v37, v9
	v_pk_max_f16 v38, v59, v59
	v_pk_add_f16 v51, v51, v115
	v_pk_add_f16 v54, v54, v117
	;; [unrolled: 1-line block ×3, first 2 shown]
	v_pk_min_f16 v35, v37, v11
	v_pk_add_f16 v88, v50, v36
	v_pk_min_f16 v36, v38, v7
	v_pk_max_f16 v3, v3, v3
	v_pk_max_f16 v6, v6, v6
	v_pk_max_f16 v8, v8, v8
	v_pk_min_f16 v21, v21, v13
	v_pk_min_f16 v37, v37, v13
	;; [unrolled: 1-line block ×3, first 2 shown]
	v_pk_add_f16 v89, v51, v35
	v_pk_add_f16 v91, v54, v36
	v_pk_min_f16 v35, v38, v11
	v_pk_min_f16 v36, v38, v13
	;; [unrolled: 1-line block ×6, first 2 shown]
	v_pk_max_f16 v10, v10, v10
	v_pk_min_f16 v5, v5, v13
	v_pk_max_f16 v12, v12, v12
	v_pk_min_f16 v13, v6, v8
	v_pk_add_f16 v52, v52, v116
	v_pk_add_f16 v71, v71, v35
	;; [unrolled: 1-line block ×4, first 2 shown]
	v_pk_min_f16 v23, v6, v10
	v_pk_min_f16 v24, v6, v12
	v_pk_max_f16 v16, v16, v16
	v_pk_add_f16 v35, v62, v13
	v_pk_max_f16 v13, v14, v14
	v_pk_add_f16 v90, v52, v37
	v_pk_add_f16 v72, v72, v36
	v_pk_add_f16 v36, v63, v23
	v_pk_add_f16 v37, v78, v24
	v_pk_min_f16 v14, v16, v8
	v_pk_min_f16 v23, v16, v10
	;; [unrolled: 1-line block ×4, first 2 shown]
	v_pk_max_f16 v18, v18, v18
	v_pk_add_f16 v38, v79, v14
	v_pk_max_f16 v20, v20, v20
	v_pk_add_f16 v48, v48, v112
	v_pk_add_f16 v41, v15, v16
	v_pk_min_f16 v14, v18, v8
	v_pk_min_f16 v15, v18, v10
	;; [unrolled: 1-line block ×4, first 2 shown]
	v_pk_add_f16 v21, v48, v21
	v_pk_add_f16 v42, v64, v14
	;; [unrolled: 1-line block ×5, first 2 shown]
	v_pk_min_f16 v14, v20, v8
	v_pk_min_f16 v15, v20, v10
	;; [unrolled: 1-line block ×4, first 2 shown]
	v_pk_max_f16 v18, v22, v22
	v_pk_add_f16 v46, v66, v14
	v_pk_add_f16 v47, v85, v15
	;; [unrolled: 1-line block ×4, first 2 shown]
	v_pk_min_f16 v14, v18, v8
	v_pk_min_f16 v15, v18, v10
	;; [unrolled: 1-line block ×4, first 2 shown]
	v_pk_max_f16 v18, v58, v58
	v_pk_add_f16 v51, v57, v14
	v_pk_add_f16 v52, v67, v15
	;; [unrolled: 1-line block ×4, first 2 shown]
	v_pk_min_f16 v14, v18, v8
	v_pk_min_f16 v15, v18, v10
	;; [unrolled: 1-line block ×4, first 2 shown]
	v_pk_max_f16 v18, v60, v60
	v_pk_max_f16 v4, v4, v4
	v_pk_add_f16 v70, v70, v39
	v_pk_add_f16 v11, v25, v11
	;; [unrolled: 1-line block ×8, first 2 shown]
	v_pk_min_f16 v14, v18, v8
	v_pk_min_f16 v15, v18, v10
	;; [unrolled: 1-line block ×9, first 2 shown]
	v_add_co_u32 v73, vcc_lo, v73, s8
	v_add_co_ci_u32_e64 v74, null, s9, v74, vcc_lo
	v_add_co_u32 v30, vcc_lo, v30, 16
	v_pk_add_f16 v39, v81, v23
	v_pk_add_f16 v40, v82, v24
	;; [unrolled: 1-line block ×11, first 2 shown]
	v_perm_b32 v80, v77, v75, 0x5040100
	v_add_co_ci_u32_e64 v31, null, 0, v31, vcc_lo
	s_add_i32 s10, s10, 8
	ds_write_b16 v56, v76
	ds_write_b16 v65, v75
	ds_write_b16 v65, v77 offset:512
	s_cmp_ge_i32 s10, s1
	s_waitcnt lgkmcnt(0)
	s_barrier
	buffer_gl0_inv
	s_cbranch_scc1 .LBB251_24
.LBB251_16:                             ; =>This Inner Loop Header: Depth=1
	s_mov_b32 s11, -1
	s_mov_b32 vcc_lo, s0
                                        ; implicit-def: $vgpr78
	s_cbranch_vccz .LBB251_18
; %bb.17:                               ;   in Loop: Header=BB251_16 Depth=1
	v_and_b32_e32 v78, 0xffff0000, v2
	s_mov_b32 s11, 0
.LBB251_18:                             ;   in Loop: Header=BB251_16 Depth=1
	v_mov_b32_e32 v75, 0
	v_mov_b32_e32 v79, 0
	s_andn2_b32 vcc_lo, exec_lo, s11
	s_cbranch_vccnz .LBB251_20
; %bb.19:                               ;   in Loop: Header=BB251_16 Depth=1
	v_add_co_u32 v3, vcc_lo, v73, v28
	v_add_co_ci_u32_e64 v4, null, v74, v29, vcc_lo
	flat_load_ushort v5, v[3:4]
	flat_load_ushort v6, v[30:31]
	flat_load_ushort v3, v[3:4] offset:128
	s_waitcnt vmcnt(2) lgkmcnt(2)
	v_mul_f16_e32 v4, s13, v5
	s_waitcnt vmcnt(1) lgkmcnt(1)
	v_mul_f16_e32 v75, s13, v6
	;; [unrolled: 2-line block ×3, first 2 shown]
	v_bfi_b32 v78, 0xffff, v4, v2
.LBB251_20:                             ;   in Loop: Header=BB251_16 Depth=1
	ds_read2_b64 v[2:5], v68 offset0:48 offset1:56
	ds_read2_b64 v[18:21], v69 offset0:64 offset1:96
	ds_read2_b64 v[22:25], v69 offset1:32
	ds_read2_b64 v[14:17], v68 offset1:8
	ds_read2_b64 v[10:13], v68 offset0:16 offset1:24
	ds_read2_b64 v[6:9], v68 offset0:32 offset1:40
	s_mov_b32 s11, -1
	s_mov_b32 vcc_lo, s0
	ds_write_b16 v53, v75
	ds_write_b16 v34, v78
	ds_write_b16 v34, v79 offset:512
	s_waitcnt lgkmcnt(0)
	s_barrier
	buffer_gl0_inv
                                        ; implicit-def: $vgpr75
	s_cbranch_vccz .LBB251_22
; %bb.21:                               ;   in Loop: Header=BB251_16 Depth=1
	v_and_b32_e32 v75, 0xffff0000, v80
	s_mov_b32 s11, 0
.LBB251_22:                             ;   in Loop: Header=BB251_16 Depth=1
	v_mov_b32_e32 v76, 0
	v_mov_b32_e32 v77, 0
	s_andn2_b32 vcc_lo, exec_lo, s11
	s_cbranch_vccnz .LBB251_15
; %bb.23:                               ;   in Loop: Header=BB251_16 Depth=1
	v_add_co_u32 v75, vcc_lo, v73, v26
	v_add_co_ci_u32_e64 v76, null, v74, v27, vcc_lo
	flat_load_ushort v77, v[75:76]
	flat_load_ushort v81, v[30:31] offset:8
	flat_load_ushort v82, v[75:76] offset:128
	s_waitcnt vmcnt(2) lgkmcnt(2)
	v_mul_f16_e32 v75, s13, v77
	s_waitcnt vmcnt(1) lgkmcnt(1)
	v_mul_f16_e32 v76, s13, v81
	;; [unrolled: 2-line block ×3, first 2 shown]
	v_bfi_b32 v75, 0xffff, v75, v80
	s_branch .LBB251_15
.LBB251_24:
	v_add_nc_u32_e32 v18, 0x800, v33
	s_load_dwordx2 s[0:1], s[4:5], 0x70
	v_cmp_neq_f16_e64 s8, s20, 0
	v_add_nc_u32_e32 v1, s18, v1
	ds_read2_b64 v[2:5], v32 offset0:128 offset1:160
	ds_read2_b64 v[6:9], v18 offset0:112 offset1:120
	ds_read2_b64 v[10:13], v32 offset0:192 offset1:224
	ds_read2_b64 v[14:17], v18 offset0:64 offset1:72
	s_clause 0x1
	s_load_dword s9, s[4:5], 0x50
	s_load_dword s10, s[4:5], 0x68
	ds_read2_b64 v[26:29], v18 offset0:80 offset1:88
	ds_read2_b64 v[73:76], v18 offset0:96 offset1:104
	s_mov_b64 s[4:5], 15
	s_waitcnt lgkmcnt(0)
	s_lshl_b64 s[0:1], s[0:1], 1
	v_pk_max_f16 v2, v2, v2
	v_pk_max_f16 v4, v4, v4
	;; [unrolled: 1-line block ×7, first 2 shown]
	v_pk_min_f16 v24, v16, v2
	v_pk_min_f16 v25, v16, v4
	v_pk_max_f16 v14, v14, v14
	v_pk_min_f16 v19, v8, v4
	v_pk_min_f16 v33, v26, v10
	v_pk_add_f16 v31, v42, v24
	v_pk_add_f16 v32, v43, v25
	v_pk_min_f16 v24, v26, v2
	v_pk_min_f16 v25, v26, v4
	;; [unrolled: 1-line block ×3, first 2 shown]
	v_pk_max_f16 v28, v28, v28
	v_pk_min_f16 v18, v8, v2
	v_pk_min_f16 v20, v8, v10
	;; [unrolled: 1-line block ×3, first 2 shown]
	v_pk_add_f16 v19, v36, v19
	v_pk_add_f16 v34, v46, v24
	;; [unrolled: 1-line block ×3, first 2 shown]
	v_pk_min_f16 v24, v28, v2
	v_pk_max_f16 v26, v73, v73
	v_pk_min_f16 v22, v14, v4
	v_pk_min_f16 v23, v14, v10
	;; [unrolled: 1-line block ×3, first 2 shown]
	v_pk_add_f16 v18, v35, v18
	v_pk_add_f16 v20, v37, v20
	;; [unrolled: 1-line block ×4, first 2 shown]
	v_pk_min_f16 v25, v28, v4
	v_pk_min_f16 v37, v28, v10
	;; [unrolled: 1-line block ×3, first 2 shown]
	v_pk_add_f16 v38, v51, v24
	v_pk_min_f16 v24, v26, v2
	v_pk_min_f16 v30, v16, v10
	v_pk_add_f16 v22, v39, v22
	v_pk_add_f16 v23, v40, v23
	;; [unrolled: 1-line block ×5, first 2 shown]
	v_pk_min_f16 v25, v26, v4
	v_pk_max_f16 v28, v75, v75
	v_pk_add_f16 v41, v60, v24
	v_pk_min_f16 v24, v26, v10
	v_pk_max_f16 v6, v6, v6
	v_pk_add_f16 v30, v44, v30
	v_pk_add_f16 v42, v59, v25
	v_pk_min_f16 v25, v28, v2
	v_pk_min_f16 v43, v28, v4
	v_pk_add_f16 v44, v57, v24
	v_pk_min_f16 v24, v28, v10
	v_pk_min_f16 v2, v6, v2
	;; [unrolled: 1-line block ×5, first 2 shown]
	v_pk_max_f16 v3, v3, v3
	v_pk_max_f16 v9, v9, v9
	v_pk_min_f16 v16, v16, v12
	v_pk_min_f16 v26, v26, v12
	v_pk_add_f16 v46, v66, v25
	v_pk_min_f16 v25, v28, v12
	v_pk_max_f16 v5, v5, v5
	v_pk_min_f16 v8, v8, v12
	v_pk_max_f16 v11, v11, v11
	v_pk_add_f16 v12, v64, v6
	v_pk_min_f16 v6, v9, v3
	v_pk_add_f16 v33, v48, v33
	v_pk_add_f16 v47, v61, v24
	;; [unrolled: 1-line block ×3, first 2 shown]
	v_pk_min_f16 v24, v9, v5
	v_pk_min_f16 v25, v9, v11
	v_pk_max_f16 v15, v15, v15
	v_pk_add_f16 v18, v18, v6
	v_pk_max_f16 v6, v13, v13
	v_pk_add_f16 v19, v19, v24
	v_pk_add_f16 v20, v20, v25
	v_pk_min_f16 v13, v15, v3
	v_pk_min_f16 v24, v15, v5
	;; [unrolled: 1-line block ×4, first 2 shown]
	v_pk_max_f16 v17, v17, v17
	v_pk_add_f16 v16, v45, v16
	v_pk_add_f16 v21, v21, v13
	;; [unrolled: 1-line block ×4, first 2 shown]
	v_pk_min_f16 v13, v17, v3
	v_pk_min_f16 v14, v17, v5
	;; [unrolled: 1-line block ×4, first 2 shown]
	v_pk_max_f16 v49, v27, v27
	v_pk_add_f16 v45, v58, v26
	v_pk_add_f16 v23, v23, v25
	;; [unrolled: 1-line block ×6, first 2 shown]
	v_pk_min_f16 v13, v49, v3
	v_pk_min_f16 v14, v49, v5
	;; [unrolled: 1-line block ×4, first 2 shown]
	v_pk_max_f16 v17, v29, v29
	v_pk_add_f16 v29, v34, v13
	v_pk_add_f16 v30, v35, v14
	;; [unrolled: 1-line block ×4, first 2 shown]
	v_pk_min_f16 v13, v17, v3
	v_pk_min_f16 v14, v17, v5
	;; [unrolled: 1-line block ×4, first 2 shown]
	v_pk_max_f16 v17, v74, v74
	v_pk_add_f16 v37, v50, v37
	v_pk_add_f16 v33, v38, v13
	;; [unrolled: 1-line block ×4, first 2 shown]
	v_pk_min_f16 v13, v17, v3
	v_pk_min_f16 v14, v17, v5
	v_pk_max_f16 v16, v76, v76
	v_pk_max_f16 v7, v7, v7
	v_pk_add_f16 v2, v70, v2
	v_pk_add_f16 v4, v71, v4
	;; [unrolled: 1-line block ×3, first 2 shown]
	v_pk_min_f16 v15, v17, v11
	v_pk_min_f16 v17, v17, v6
	v_pk_add_f16 v37, v41, v13
	v_pk_add_f16 v38, v42, v14
	v_pk_min_f16 v13, v16, v3
	v_pk_min_f16 v14, v16, v5
	;; [unrolled: 1-line block ×4, first 2 shown]
	v_pk_add_f16 v43, v67, v43
	v_pk_add_f16 v10, v72, v10
	;; [unrolled: 1-line block ×5, first 2 shown]
	v_pk_min_f16 v15, v16, v11
	v_pk_add_f16 v41, v46, v13
	v_pk_min_f16 v13, v16, v6
	v_pk_add_f16 v45, v2, v3
	v_pk_min_f16 v3, v7, v11
	v_add_nc_u32_e32 v2, s19, v0
	v_pk_add_f16 v0, v4, v5
	v_pk_min_f16 v5, v7, v6
	v_pk_min_f16 v7, v9, v6
	v_pk_add_f16 v42, v43, v14
	v_pk_add_f16 v43, v47, v15
	;; [unrolled: 1-line block ×4, first 2 shown]
	v_add_nc_u32_e32 v4, 8, v2
	v_add_nc_u32_e32 v6, 16, v2
	v_pk_add_f16 v47, v12, v5
	v_pk_add_f16 v48, v8, v7
	v_add_nc_u32_e32 v8, 24, v2
	v_add_nc_u32_e32 v10, 32, v2
	;; [unrolled: 1-line block ×5, first 2 shown]
	v_ashrrev_i32_e32 v3, 31, v2
	v_ashrrev_i32_e32 v5, 31, v4
	;; [unrolled: 1-line block ×8, first 2 shown]
	v_lshlrev_b64 v[2:3], 1, v[2:3]
	v_lshlrev_b64 v[4:5], 1, v[4:5]
	;; [unrolled: 1-line block ×8, first 2 shown]
	s_add_u32 s6, s6, s0
	s_addc_u32 s7, s7, s1
	s_branch .LBB251_26
.LBB251_25:                             ;   in Loop: Header=BB251_26 Depth=1
	s_add_i32 s0, s4, -1
	v_add_nc_u32_e32 v1, 32, v1
	s_cmp_eq_u32 s0, 1
	s_cselect_b32 vcc_lo, -1, 0
	s_cmp_eq_u32 s0, 2
	v_cndmask_b32_e32 v81, v21, v49, vcc_lo
	s_cselect_b32 vcc_lo, -1, 0
	s_cmp_eq_u32 s0, 3
	v_cndmask_b32_e32 v81, v81, v25, vcc_lo
	;; [unrolled: 3-line block ×62, first 2 shown]
	s_cselect_b32 vcc_lo, -1, 0
	s_cmp_eq_u32 s4, 1
	s_cselect_b32 s0, -1, 0
	s_cmp_eq_u32 s4, 2
	v_cndmask_b32_e64 v49, v21, v49, s0
	s_cselect_b32 s0, -1, 0
	s_cmp_eq_u32 s4, 3
	v_cndmask_b32_e64 v49, v49, v25, s0
	;; [unrolled: 3-line block ×3, first 2 shown]
	s_cselect_b32 s0, -1, 0
	s_cmp_eq_u32 s4, 5
	v_cndmask_b32_e32 v50, v81, v80, vcc_lo
	v_cndmask_b32_e64 v49, v49, v29, s0
	s_cselect_b32 s0, -1, 0
	s_cmp_eq_u32 s4, 6
	v_cndmask_b32_e64 v49, v49, v51, s0
	s_cselect_b32 s0, -1, 0
	s_cmp_eq_u32 s4, 7
	;; [unrolled: 3-line block ×58, first 2 shown]
	s_cselect_b32 vcc_lo, -1, 0
	v_cndmask_b32_e64 v49, v49, v48, s0
	s_add_u32 s4, s4, 16
	s_addc_u32 s5, s5, 0
	s_cmpk_lg_i32 s4, 0x4f
	v_cndmask_b32_e32 v49, v49, v80, vcc_lo
	v_add_f16_e32 v51, v50, v49
	v_add_co_u32 v49, vcc_lo, v83, v16
	v_add_co_ci_u32_e64 v50, null, v84, v17, vcc_lo
	v_add_f16_e32 v51, v51, v85
	flat_store_short v[49:50], v51
	s_cbranch_scc0 .LBB251_42
.LBB251_26:                             ; =>This Inner Loop Header: Depth=1
	v_mad_i64_i32 v[49:50], null, v1, s9, 0
	v_cndmask_b32_e64 v51, 0, 1, s8
	v_mov_b32_e32 v85, 0
	v_mov_b32_e32 v86, 0
	v_cmp_ne_u32_e64 s0, 1, v51
	v_lshlrev_b64 v[49:50], 1, v[49:50]
	v_add_co_u32 v81, vcc_lo, s2, v49
	v_add_co_ci_u32_e64 v82, null, s3, v50, vcc_lo
	s_andn2_b32 vcc_lo, exec_lo, s8
	s_cbranch_vccnz .LBB251_28
; %bb.27:                               ;   in Loop: Header=BB251_26 Depth=1
	v_add_co_u32 v49, vcc_lo, v81, v2
	v_add_co_ci_u32_e64 v50, null, v82, v3, vcc_lo
	flat_load_ushort v49, v[49:50]
	s_waitcnt vmcnt(0) lgkmcnt(0)
	v_mul_f16_e32 v86, s20, v49
.LBB251_28:                             ;   in Loop: Header=BB251_26 Depth=1
	s_add_i32 s1, s4, -15
	v_lshrrev_b32_e32 v49, 16, v21
	s_cmp_eq_u32 s1, 1
	v_lshrrev_b32_e32 v50, 16, v25
	s_cselect_b32 vcc_lo, -1, 0
	s_cmp_eq_u32 s1, 2
	v_cndmask_b32_e32 v51, v21, v49, vcc_lo
	s_cselect_b32 vcc_lo, -1, 0
	s_cmp_eq_u32 s1, 3
	v_cndmask_b32_e32 v51, v51, v25, vcc_lo
	;; [unrolled: 3-line block ×3, first 2 shown]
	s_cselect_b32 vcc_lo, -1, 0
	v_lshrrev_b32_e32 v51, 16, v29
	s_cmp_eq_u32 s1, 5
	v_cndmask_b32_e32 v52, v52, v29, vcc_lo
	s_cselect_b32 vcc_lo, -1, 0
	s_cmp_eq_u32 s1, 6
	v_cndmask_b32_e32 v53, v52, v51, vcc_lo
	s_cselect_b32 vcc_lo, -1, 0
	v_lshrrev_b32_e32 v52, 16, v33
	s_cmp_eq_u32 s1, 7
	v_cndmask_b32_e32 v53, v53, v33, vcc_lo
	s_cselect_b32 vcc_lo, -1, 0
	s_cmp_eq_u32 s1, 8
	v_cndmask_b32_e32 v54, v53, v52, vcc_lo
	;; [unrolled: 7-line block ×29, first 2 shown]
	s_cselect_b32 vcc_lo, -1, 0
	s_cmp_eq_u32 s1, 63
	v_lshrrev_b32_e32 v80, 16, v48
	v_cndmask_b32_e32 v87, v83, v48, vcc_lo
	s_cselect_b32 vcc_lo, -1, 0
	s_add_i32 s11, s4, -14
	s_cmp_eq_u32 s11, 1
	v_cndmask_b32_e32 v87, v87, v80, vcc_lo
	s_cselect_b32 s1, -1, 0
	s_cmp_eq_u32 s11, 2
	v_cndmask_b32_e64 v83, v21, v49, s1
	s_cselect_b32 s1, -1, 0
	s_cmp_eq_u32 s11, 3
	v_cndmask_b32_e64 v83, v83, v25, s1
	;; [unrolled: 3-line block ×61, first 2 shown]
	v_mad_i64_i32 v[83:84], null, v1, s10, 0
	s_cselect_b32 s1, -1, 0
	s_cmp_eq_u32 s11, 63
	v_cndmask_b32_e64 v88, v88, v48, s1
	s_cselect_b32 vcc_lo, -1, 0
	v_lshlrev_b64 v[83:84], 1, v[83:84]
	v_cndmask_b32_e32 v88, v88, v80, vcc_lo
	v_add_co_u32 v83, vcc_lo, s6, v83
	v_add_f16_e32 v87, v87, v88
	v_add_co_ci_u32_e64 v84, null, s7, v84, vcc_lo
	v_add_f16_e32 v88, v87, v86
	v_add_co_u32 v86, vcc_lo, v83, v2
	v_add_co_ci_u32_e64 v87, null, v84, v3, vcc_lo
	s_and_b32 vcc_lo, exec_lo, s0
	flat_store_short v[86:87], v88
	s_cbranch_vccnz .LBB251_30
; %bb.29:                               ;   in Loop: Header=BB251_26 Depth=1
	v_add_co_u32 v85, vcc_lo, v81, v4
	v_add_co_ci_u32_e64 v86, null, v82, v5, vcc_lo
	flat_load_ushort v85, v[85:86]
	s_waitcnt vmcnt(0) lgkmcnt(0)
	v_mul_f16_e32 v85, s20, v85
.LBB251_30:                             ;   in Loop: Header=BB251_26 Depth=1
	s_add_i32 s1, s4, -13
	s_cmp_eq_u32 s1, 1
	s_cselect_b32 vcc_lo, -1, 0
	s_cmp_eq_u32 s1, 2
	v_cndmask_b32_e32 v86, v21, v49, vcc_lo
	s_cselect_b32 vcc_lo, -1, 0
	s_cmp_eq_u32 s1, 3
	v_cndmask_b32_e32 v86, v86, v25, vcc_lo
	;; [unrolled: 3-line block ×62, first 2 shown]
	s_cselect_b32 vcc_lo, -1, 0
	s_add_i32 s11, s4, -12
	s_cmp_eq_u32 s11, 1
	v_cndmask_b32_e32 v86, v86, v80, vcc_lo
	s_cselect_b32 s1, -1, 0
	s_cmp_eq_u32 s11, 2
	v_cndmask_b32_e64 v87, v21, v49, s1
	s_cselect_b32 s1, -1, 0
	s_cmp_eq_u32 s11, 3
	v_cndmask_b32_e64 v87, v87, v25, s1
	;; [unrolled: 3-line block ×61, first 2 shown]
	s_cselect_b32 s1, -1, 0
	s_cmp_eq_u32 s11, 63
	s_cselect_b32 vcc_lo, -1, 0
	v_cndmask_b32_e64 v87, v87, v48, s1
	v_cndmask_b32_e32 v87, v87, v80, vcc_lo
	v_add_f16_e32 v86, v86, v87
	v_add_co_u32 v87, vcc_lo, v83, v4
	v_add_co_ci_u32_e64 v88, null, v84, v5, vcc_lo
	v_add_f16_e32 v89, v86, v85
	v_mov_b32_e32 v85, 0
	v_mov_b32_e32 v86, 0
	s_and_b32 vcc_lo, exec_lo, s0
	flat_store_short v[87:88], v89
	s_cbranch_vccnz .LBB251_32
; %bb.31:                               ;   in Loop: Header=BB251_26 Depth=1
	v_add_co_u32 v86, vcc_lo, v81, v6
	v_add_co_ci_u32_e64 v87, null, v82, v7, vcc_lo
	flat_load_ushort v86, v[86:87]
	s_waitcnt vmcnt(0) lgkmcnt(0)
	v_mul_f16_e32 v86, s20, v86
.LBB251_32:                             ;   in Loop: Header=BB251_26 Depth=1
	s_add_i32 s1, s4, -11
	s_cmp_eq_u32 s1, 1
	s_cselect_b32 vcc_lo, -1, 0
	s_cmp_eq_u32 s1, 2
	v_cndmask_b32_e32 v87, v21, v49, vcc_lo
	s_cselect_b32 vcc_lo, -1, 0
	s_cmp_eq_u32 s1, 3
	v_cndmask_b32_e32 v87, v87, v25, vcc_lo
	;; [unrolled: 3-line block ×62, first 2 shown]
	s_cselect_b32 vcc_lo, -1, 0
	s_add_i32 s11, s4, -10
	s_cmp_eq_u32 s11, 1
	v_cndmask_b32_e32 v87, v87, v80, vcc_lo
	s_cselect_b32 s1, -1, 0
	s_cmp_eq_u32 s11, 2
	v_cndmask_b32_e64 v88, v21, v49, s1
	s_cselect_b32 s1, -1, 0
	s_cmp_eq_u32 s11, 3
	v_cndmask_b32_e64 v88, v88, v25, s1
	;; [unrolled: 3-line block ×61, first 2 shown]
	s_cselect_b32 s1, -1, 0
	s_cmp_eq_u32 s11, 63
	s_cselect_b32 vcc_lo, -1, 0
	v_cndmask_b32_e64 v88, v88, v48, s1
	v_cndmask_b32_e32 v88, v88, v80, vcc_lo
	v_add_f16_e32 v87, v87, v88
	v_add_f16_e32 v88, v87, v86
	v_add_co_u32 v86, vcc_lo, v83, v6
	v_add_co_ci_u32_e64 v87, null, v84, v7, vcc_lo
	s_and_b32 vcc_lo, exec_lo, s0
	flat_store_short v[86:87], v88
	s_cbranch_vccnz .LBB251_34
; %bb.33:                               ;   in Loop: Header=BB251_26 Depth=1
	v_add_co_u32 v85, vcc_lo, v81, v8
	v_add_co_ci_u32_e64 v86, null, v82, v9, vcc_lo
	flat_load_ushort v85, v[85:86]
	s_waitcnt vmcnt(0) lgkmcnt(0)
	v_mul_f16_e32 v85, s20, v85
.LBB251_34:                             ;   in Loop: Header=BB251_26 Depth=1
	s_add_i32 s1, s4, -9
	s_cmp_eq_u32 s1, 1
	s_cselect_b32 vcc_lo, -1, 0
	s_cmp_eq_u32 s1, 2
	v_cndmask_b32_e32 v86, v21, v49, vcc_lo
	s_cselect_b32 vcc_lo, -1, 0
	s_cmp_eq_u32 s1, 3
	v_cndmask_b32_e32 v86, v86, v25, vcc_lo
	;; [unrolled: 3-line block ×62, first 2 shown]
	s_cselect_b32 vcc_lo, -1, 0
	s_add_i32 s11, s4, -8
	s_cmp_eq_u32 s11, 1
	v_cndmask_b32_e32 v86, v86, v80, vcc_lo
	s_cselect_b32 s1, -1, 0
	s_cmp_eq_u32 s11, 2
	v_cndmask_b32_e64 v87, v21, v49, s1
	s_cselect_b32 s1, -1, 0
	s_cmp_eq_u32 s11, 3
	v_cndmask_b32_e64 v87, v87, v25, s1
	;; [unrolled: 3-line block ×61, first 2 shown]
	s_cselect_b32 s1, -1, 0
	s_cmp_eq_u32 s11, 63
	s_cselect_b32 vcc_lo, -1, 0
	v_cndmask_b32_e64 v87, v87, v48, s1
	v_cndmask_b32_e32 v87, v87, v80, vcc_lo
	v_add_f16_e32 v86, v86, v87
	v_add_co_u32 v87, vcc_lo, v83, v8
	v_add_co_ci_u32_e64 v88, null, v84, v9, vcc_lo
	v_add_f16_e32 v89, v86, v85
	v_mov_b32_e32 v85, 0
	v_mov_b32_e32 v86, 0
	s_and_b32 vcc_lo, exec_lo, s0
	flat_store_short v[87:88], v89
	s_cbranch_vccnz .LBB251_36
; %bb.35:                               ;   in Loop: Header=BB251_26 Depth=1
	v_add_co_u32 v86, vcc_lo, v81, v10
	v_add_co_ci_u32_e64 v87, null, v82, v11, vcc_lo
	flat_load_ushort v86, v[86:87]
	s_waitcnt vmcnt(0) lgkmcnt(0)
	v_mul_f16_e32 v86, s20, v86
.LBB251_36:                             ;   in Loop: Header=BB251_26 Depth=1
	s_add_i32 s1, s4, -7
	s_cmp_eq_u32 s1, 1
	s_cselect_b32 vcc_lo, -1, 0
	s_cmp_eq_u32 s1, 2
	v_cndmask_b32_e32 v87, v21, v49, vcc_lo
	s_cselect_b32 vcc_lo, -1, 0
	s_cmp_eq_u32 s1, 3
	v_cndmask_b32_e32 v87, v87, v25, vcc_lo
	;; [unrolled: 3-line block ×62, first 2 shown]
	s_cselect_b32 vcc_lo, -1, 0
	s_add_i32 s11, s4, -6
	s_cmp_eq_u32 s11, 1
	v_cndmask_b32_e32 v87, v87, v80, vcc_lo
	s_cselect_b32 s1, -1, 0
	s_cmp_eq_u32 s11, 2
	v_cndmask_b32_e64 v88, v21, v49, s1
	s_cselect_b32 s1, -1, 0
	s_cmp_eq_u32 s11, 3
	v_cndmask_b32_e64 v88, v88, v25, s1
	;; [unrolled: 3-line block ×61, first 2 shown]
	s_cselect_b32 s1, -1, 0
	s_cmp_eq_u32 s11, 63
	s_cselect_b32 vcc_lo, -1, 0
	v_cndmask_b32_e64 v88, v88, v48, s1
	v_cndmask_b32_e32 v88, v88, v80, vcc_lo
	v_add_f16_e32 v87, v87, v88
	v_add_f16_e32 v88, v87, v86
	v_add_co_u32 v86, vcc_lo, v83, v10
	v_add_co_ci_u32_e64 v87, null, v84, v11, vcc_lo
	s_and_b32 vcc_lo, exec_lo, s0
	flat_store_short v[86:87], v88
	s_cbranch_vccnz .LBB251_38
; %bb.37:                               ;   in Loop: Header=BB251_26 Depth=1
	v_add_co_u32 v85, vcc_lo, v81, v12
	v_add_co_ci_u32_e64 v86, null, v82, v13, vcc_lo
	flat_load_ushort v85, v[85:86]
	s_waitcnt vmcnt(0) lgkmcnt(0)
	v_mul_f16_e32 v85, s20, v85
.LBB251_38:                             ;   in Loop: Header=BB251_26 Depth=1
	s_add_i32 s1, s4, -5
	s_cmp_eq_u32 s1, 1
	s_cselect_b32 vcc_lo, -1, 0
	s_cmp_eq_u32 s1, 2
	v_cndmask_b32_e32 v86, v21, v49, vcc_lo
	s_cselect_b32 vcc_lo, -1, 0
	s_cmp_eq_u32 s1, 3
	v_cndmask_b32_e32 v86, v86, v25, vcc_lo
	;; [unrolled: 3-line block ×62, first 2 shown]
	s_cselect_b32 vcc_lo, -1, 0
	s_add_i32 s11, s4, -4
	s_cmp_eq_u32 s11, 1
	v_cndmask_b32_e32 v86, v86, v80, vcc_lo
	s_cselect_b32 s1, -1, 0
	s_cmp_eq_u32 s11, 2
	v_cndmask_b32_e64 v87, v21, v49, s1
	s_cselect_b32 s1, -1, 0
	s_cmp_eq_u32 s11, 3
	v_cndmask_b32_e64 v87, v87, v25, s1
	;; [unrolled: 3-line block ×61, first 2 shown]
	s_cselect_b32 s1, -1, 0
	s_cmp_eq_u32 s11, 63
	s_cselect_b32 vcc_lo, -1, 0
	v_cndmask_b32_e64 v87, v87, v48, s1
	v_cndmask_b32_e32 v87, v87, v80, vcc_lo
	v_add_f16_e32 v86, v86, v87
	v_add_co_u32 v87, vcc_lo, v83, v12
	v_add_co_ci_u32_e64 v88, null, v84, v13, vcc_lo
	v_add_f16_e32 v89, v86, v85
	v_mov_b32_e32 v85, 0
	v_mov_b32_e32 v86, 0
	s_and_b32 vcc_lo, exec_lo, s0
	flat_store_short v[87:88], v89
	s_cbranch_vccnz .LBB251_40
; %bb.39:                               ;   in Loop: Header=BB251_26 Depth=1
	v_add_co_u32 v86, vcc_lo, v81, v14
	v_add_co_ci_u32_e64 v87, null, v82, v15, vcc_lo
	flat_load_ushort v86, v[86:87]
	s_waitcnt vmcnt(0) lgkmcnt(0)
	v_mul_f16_e32 v86, s20, v86
.LBB251_40:                             ;   in Loop: Header=BB251_26 Depth=1
	s_add_i32 s1, s4, -3
	s_cmp_eq_u32 s1, 1
	s_cselect_b32 vcc_lo, -1, 0
	s_cmp_eq_u32 s1, 2
	v_cndmask_b32_e32 v87, v21, v49, vcc_lo
	s_cselect_b32 vcc_lo, -1, 0
	s_cmp_eq_u32 s1, 3
	v_cndmask_b32_e32 v87, v87, v25, vcc_lo
	;; [unrolled: 3-line block ×62, first 2 shown]
	s_cselect_b32 vcc_lo, -1, 0
	s_add_i32 s11, s4, -2
	s_cmp_eq_u32 s11, 1
	v_cndmask_b32_e32 v87, v87, v80, vcc_lo
	s_cselect_b32 s1, -1, 0
	s_cmp_eq_u32 s11, 2
	v_cndmask_b32_e64 v88, v21, v49, s1
	s_cselect_b32 s1, -1, 0
	s_cmp_eq_u32 s11, 3
	v_cndmask_b32_e64 v88, v88, v25, s1
	;; [unrolled: 3-line block ×61, first 2 shown]
	s_cselect_b32 s1, -1, 0
	s_cmp_eq_u32 s11, 63
	s_cselect_b32 vcc_lo, -1, 0
	v_cndmask_b32_e64 v88, v88, v48, s1
	v_cndmask_b32_e32 v88, v88, v80, vcc_lo
	v_add_f16_e32 v87, v87, v88
	v_add_f16_e32 v88, v87, v86
	v_add_co_u32 v86, vcc_lo, v83, v14
	v_add_co_ci_u32_e64 v87, null, v84, v15, vcc_lo
	s_and_b32 vcc_lo, exec_lo, s0
	flat_store_short v[86:87], v88
	s_cbranch_vccnz .LBB251_25
; %bb.41:                               ;   in Loop: Header=BB251_26 Depth=1
	v_add_co_u32 v81, vcc_lo, v81, v16
	v_add_co_ci_u32_e64 v82, null, v82, v17, vcc_lo
	flat_load_ushort v81, v[81:82]
	s_waitcnt vmcnt(0) lgkmcnt(0)
	v_mul_f16_e32 v85, s20, v81
	s_branch .LBB251_25
.LBB251_42:
	s_endpgm
	.section	.rodata,"a",@progbits
	.p2align	6, 0x0
	.amdhsa_kernel _ZN12_GLOBAL__N_120geam_min_plus_kernelIDF16_Dv2_DF16_S1_Li8ELi32ELi64ELi128ELi4ELi4ELi64ELi64ELi4ELc84ELc84ELb0ELb0ELb0EDF16_KPKDF16_KPDF16_EEviiiT16_PT17_ilS9_ilS7_S9_ilPT18_ili26rocblas_geam_ex_operation_
		.amdhsa_group_segment_fixed_size 3072
		.amdhsa_private_segment_fixed_size 0
		.amdhsa_kernarg_size 128
		.amdhsa_user_sgpr_count 6
		.amdhsa_user_sgpr_private_segment_buffer 1
		.amdhsa_user_sgpr_dispatch_ptr 0
		.amdhsa_user_sgpr_queue_ptr 0
		.amdhsa_user_sgpr_kernarg_segment_ptr 1
		.amdhsa_user_sgpr_dispatch_id 0
		.amdhsa_user_sgpr_flat_scratch_init 0
		.amdhsa_user_sgpr_private_segment_size 0
		.amdhsa_wavefront_size32 1
		.amdhsa_uses_dynamic_stack 0
		.amdhsa_system_sgpr_private_segment_wavefront_offset 0
		.amdhsa_system_sgpr_workgroup_id_x 1
		.amdhsa_system_sgpr_workgroup_id_y 0
		.amdhsa_system_sgpr_workgroup_id_z 1
		.amdhsa_system_sgpr_workgroup_info 0
		.amdhsa_system_vgpr_workitem_id 1
		.amdhsa_next_free_vgpr 122
		.amdhsa_next_free_sgpr 24
		.amdhsa_reserve_vcc 1
		.amdhsa_reserve_flat_scratch 0
		.amdhsa_float_round_mode_32 0
		.amdhsa_float_round_mode_16_64 0
		.amdhsa_float_denorm_mode_32 3
		.amdhsa_float_denorm_mode_16_64 3
		.amdhsa_dx10_clamp 1
		.amdhsa_ieee_mode 1
		.amdhsa_fp16_overflow 0
		.amdhsa_workgroup_processor_mode 1
		.amdhsa_memory_ordered 1
		.amdhsa_forward_progress 1
		.amdhsa_shared_vgpr_count 0
		.amdhsa_exception_fp_ieee_invalid_op 0
		.amdhsa_exception_fp_denorm_src 0
		.amdhsa_exception_fp_ieee_div_zero 0
		.amdhsa_exception_fp_ieee_overflow 0
		.amdhsa_exception_fp_ieee_underflow 0
		.amdhsa_exception_fp_ieee_inexact 0
		.amdhsa_exception_int_div_zero 0
	.end_amdhsa_kernel
	.section	.text._ZN12_GLOBAL__N_120geam_min_plus_kernelIDF16_Dv2_DF16_S1_Li8ELi32ELi64ELi128ELi4ELi4ELi64ELi64ELi4ELc84ELc84ELb0ELb0ELb0EDF16_KPKDF16_KPDF16_EEviiiT16_PT17_ilS9_ilS7_S9_ilPT18_ili26rocblas_geam_ex_operation_,"axG",@progbits,_ZN12_GLOBAL__N_120geam_min_plus_kernelIDF16_Dv2_DF16_S1_Li8ELi32ELi64ELi128ELi4ELi4ELi64ELi64ELi4ELc84ELc84ELb0ELb0ELb0EDF16_KPKDF16_KPDF16_EEviiiT16_PT17_ilS9_ilS7_S9_ilPT18_ili26rocblas_geam_ex_operation_,comdat
.Lfunc_end251:
	.size	_ZN12_GLOBAL__N_120geam_min_plus_kernelIDF16_Dv2_DF16_S1_Li8ELi32ELi64ELi128ELi4ELi4ELi64ELi64ELi4ELc84ELc84ELb0ELb0ELb0EDF16_KPKDF16_KPDF16_EEviiiT16_PT17_ilS9_ilS7_S9_ilPT18_ili26rocblas_geam_ex_operation_, .Lfunc_end251-_ZN12_GLOBAL__N_120geam_min_plus_kernelIDF16_Dv2_DF16_S1_Li8ELi32ELi64ELi128ELi4ELi4ELi64ELi64ELi4ELc84ELc84ELb0ELb0ELb0EDF16_KPKDF16_KPDF16_EEviiiT16_PT17_ilS9_ilS7_S9_ilPT18_ili26rocblas_geam_ex_operation_
                                        ; -- End function
	.set _ZN12_GLOBAL__N_120geam_min_plus_kernelIDF16_Dv2_DF16_S1_Li8ELi32ELi64ELi128ELi4ELi4ELi64ELi64ELi4ELc84ELc84ELb0ELb0ELb0EDF16_KPKDF16_KPDF16_EEviiiT16_PT17_ilS9_ilS7_S9_ilPT18_ili26rocblas_geam_ex_operation_.num_vgpr, 122
	.set _ZN12_GLOBAL__N_120geam_min_plus_kernelIDF16_Dv2_DF16_S1_Li8ELi32ELi64ELi128ELi4ELi4ELi64ELi64ELi4ELc84ELc84ELb0ELb0ELb0EDF16_KPKDF16_KPDF16_EEviiiT16_PT17_ilS9_ilS7_S9_ilPT18_ili26rocblas_geam_ex_operation_.num_agpr, 0
	.set _ZN12_GLOBAL__N_120geam_min_plus_kernelIDF16_Dv2_DF16_S1_Li8ELi32ELi64ELi128ELi4ELi4ELi64ELi64ELi4ELc84ELc84ELb0ELb0ELb0EDF16_KPKDF16_KPDF16_EEviiiT16_PT17_ilS9_ilS7_S9_ilPT18_ili26rocblas_geam_ex_operation_.numbered_sgpr, 24
	.set _ZN12_GLOBAL__N_120geam_min_plus_kernelIDF16_Dv2_DF16_S1_Li8ELi32ELi64ELi128ELi4ELi4ELi64ELi64ELi4ELc84ELc84ELb0ELb0ELb0EDF16_KPKDF16_KPDF16_EEviiiT16_PT17_ilS9_ilS7_S9_ilPT18_ili26rocblas_geam_ex_operation_.num_named_barrier, 0
	.set _ZN12_GLOBAL__N_120geam_min_plus_kernelIDF16_Dv2_DF16_S1_Li8ELi32ELi64ELi128ELi4ELi4ELi64ELi64ELi4ELc84ELc84ELb0ELb0ELb0EDF16_KPKDF16_KPDF16_EEviiiT16_PT17_ilS9_ilS7_S9_ilPT18_ili26rocblas_geam_ex_operation_.private_seg_size, 0
	.set _ZN12_GLOBAL__N_120geam_min_plus_kernelIDF16_Dv2_DF16_S1_Li8ELi32ELi64ELi128ELi4ELi4ELi64ELi64ELi4ELc84ELc84ELb0ELb0ELb0EDF16_KPKDF16_KPDF16_EEviiiT16_PT17_ilS9_ilS7_S9_ilPT18_ili26rocblas_geam_ex_operation_.uses_vcc, 1
	.set _ZN12_GLOBAL__N_120geam_min_plus_kernelIDF16_Dv2_DF16_S1_Li8ELi32ELi64ELi128ELi4ELi4ELi64ELi64ELi4ELc84ELc84ELb0ELb0ELb0EDF16_KPKDF16_KPDF16_EEviiiT16_PT17_ilS9_ilS7_S9_ilPT18_ili26rocblas_geam_ex_operation_.uses_flat_scratch, 0
	.set _ZN12_GLOBAL__N_120geam_min_plus_kernelIDF16_Dv2_DF16_S1_Li8ELi32ELi64ELi128ELi4ELi4ELi64ELi64ELi4ELc84ELc84ELb0ELb0ELb0EDF16_KPKDF16_KPDF16_EEviiiT16_PT17_ilS9_ilS7_S9_ilPT18_ili26rocblas_geam_ex_operation_.has_dyn_sized_stack, 0
	.set _ZN12_GLOBAL__N_120geam_min_plus_kernelIDF16_Dv2_DF16_S1_Li8ELi32ELi64ELi128ELi4ELi4ELi64ELi64ELi4ELc84ELc84ELb0ELb0ELb0EDF16_KPKDF16_KPDF16_EEviiiT16_PT17_ilS9_ilS7_S9_ilPT18_ili26rocblas_geam_ex_operation_.has_recursion, 0
	.set _ZN12_GLOBAL__N_120geam_min_plus_kernelIDF16_Dv2_DF16_S1_Li8ELi32ELi64ELi128ELi4ELi4ELi64ELi64ELi4ELc84ELc84ELb0ELb0ELb0EDF16_KPKDF16_KPDF16_EEviiiT16_PT17_ilS9_ilS7_S9_ilPT18_ili26rocblas_geam_ex_operation_.has_indirect_call, 0
	.section	.AMDGPU.csdata,"",@progbits
; Kernel info:
; codeLenInByte = 21920
; TotalNumSgprs: 26
; NumVgprs: 122
; ScratchSize: 0
; MemoryBound: 0
; FloatMode: 240
; IeeeMode: 1
; LDSByteSize: 3072 bytes/workgroup (compile time only)
; SGPRBlocks: 0
; VGPRBlocks: 15
; NumSGPRsForWavesPerEU: 26
; NumVGPRsForWavesPerEU: 122
; Occupancy: 8
; WaveLimiterHint : 1
; COMPUTE_PGM_RSRC2:SCRATCH_EN: 0
; COMPUTE_PGM_RSRC2:USER_SGPR: 6
; COMPUTE_PGM_RSRC2:TRAP_HANDLER: 0
; COMPUTE_PGM_RSRC2:TGID_X_EN: 1
; COMPUTE_PGM_RSRC2:TGID_Y_EN: 0
; COMPUTE_PGM_RSRC2:TGID_Z_EN: 1
; COMPUTE_PGM_RSRC2:TIDIG_COMP_CNT: 1
	.section	.text._ZN12_GLOBAL__N_120geam_min_plus_kernelIDF16_Dv2_DF16_S1_Li8ELi32ELi64ELi128ELi4ELi4ELi64ELi64ELi4ELc84ELc84ELb0ELb1ELb0EPKDF16_KS3_KPDF16_EEviiiT16_PT17_ilS9_ilS7_S9_ilPT18_ili26rocblas_geam_ex_operation_,"axG",@progbits,_ZN12_GLOBAL__N_120geam_min_plus_kernelIDF16_Dv2_DF16_S1_Li8ELi32ELi64ELi128ELi4ELi4ELi64ELi64ELi4ELc84ELc84ELb0ELb1ELb0EPKDF16_KS3_KPDF16_EEviiiT16_PT17_ilS9_ilS7_S9_ilPT18_ili26rocblas_geam_ex_operation_,comdat
	.globl	_ZN12_GLOBAL__N_120geam_min_plus_kernelIDF16_Dv2_DF16_S1_Li8ELi32ELi64ELi128ELi4ELi4ELi64ELi64ELi4ELc84ELc84ELb0ELb1ELb0EPKDF16_KS3_KPDF16_EEviiiT16_PT17_ilS9_ilS7_S9_ilPT18_ili26rocblas_geam_ex_operation_ ; -- Begin function _ZN12_GLOBAL__N_120geam_min_plus_kernelIDF16_Dv2_DF16_S1_Li8ELi32ELi64ELi128ELi4ELi4ELi64ELi64ELi4ELc84ELc84ELb0ELb1ELb0EPKDF16_KS3_KPDF16_EEviiiT16_PT17_ilS9_ilS7_S9_ilPT18_ili26rocblas_geam_ex_operation_
	.p2align	8
	.type	_ZN12_GLOBAL__N_120geam_min_plus_kernelIDF16_Dv2_DF16_S1_Li8ELi32ELi64ELi128ELi4ELi4ELi64ELi64ELi4ELc84ELc84ELb0ELb1ELb0EPKDF16_KS3_KPDF16_EEviiiT16_PT17_ilS9_ilS7_S9_ilPT18_ili26rocblas_geam_ex_operation_,@function
_ZN12_GLOBAL__N_120geam_min_plus_kernelIDF16_Dv2_DF16_S1_Li8ELi32ELi64ELi128ELi4ELi4ELi64ELi64ELi4ELc84ELc84ELb0ELb1ELb0EPKDF16_KS3_KPDF16_EEviiiT16_PT17_ilS9_ilS7_S9_ilPT18_ili26rocblas_geam_ex_operation_: ; @_ZN12_GLOBAL__N_120geam_min_plus_kernelIDF16_Dv2_DF16_S1_Li8ELi32ELi64ELi128ELi4ELi4ELi64ELi64ELi4ELc84ELc84ELb0ELb1ELb0EPKDF16_KS3_KPDF16_EEviiiT16_PT17_ilS9_ilS7_S9_ilPT18_ili26rocblas_geam_ex_operation_
; %bb.0:
	s_clause 0x1
	s_load_dwordx4 s[0:3], s[4:5], 0x10
	s_load_dwordx4 s[8:11], s[4:5], 0x40
	s_mov_b32 s22, s7
	s_mov_b32 s23, 0
	v_mov_b32_e32 v2, 0
	s_lshl_b64 s[18:19], s[22:23], 1
	s_clause 0x1
	s_load_dwordx4 s[12:15], s[4:5], 0x28
	s_load_dwordx2 s[16:17], s[4:5], 0x50
	s_mov_b64 s[20:21], 0
	s_waitcnt lgkmcnt(0)
	s_add_u32 s0, s0, s18
	s_addc_u32 s1, s1, s19
	global_load_ushort v30, v2, s[0:1]
	s_add_u32 s0, s10, s18
	s_addc_u32 s1, s11, s19
	s_mov_b64 s[18:19], 0
	global_load_ushort v42, v2, s[0:1]
	s_waitcnt vmcnt(1)
	v_cmp_eq_f16_e32 vcc_lo, 0, v30
	v_cmp_neq_f16_e64 s1, 0, v30
	s_cbranch_vccnz .LBB252_2
; %bb.1:
	s_lshl_b64 s[10:11], s[22:23], 3
	s_add_u32 s2, s2, s10
	s_addc_u32 s3, s3, s11
	s_lshl_b64 s[10:11], s[12:13], 1
	s_load_dwordx2 s[2:3], s[2:3], 0x0
	s_waitcnt lgkmcnt(0)
	s_add_u32 s20, s2, s10
	s_addc_u32 s21, s3, s11
.LBB252_2:
	s_andn2_b32 vcc_lo, exec_lo, s1
	s_cbranch_vccnz .LBB252_4
; %bb.3:
	s_lshl_b64 s[2:3], s[22:23], 3
	s_add_u32 s2, s14, s2
	s_addc_u32 s3, s15, s3
	s_lshl_b64 s[8:9], s[8:9], 1
	s_load_dwordx2 s[2:3], s[2:3], 0x0
	s_waitcnt lgkmcnt(0)
	s_add_u32 s18, s2, s8
	s_addc_u32 s19, s3, s9
.LBB252_4:
	s_load_dwordx4 s[8:11], s[4:5], 0x60
	s_waitcnt vmcnt(0)
	v_cmp_eq_f16_e32 vcc_lo, 0, v42
	v_cmp_neq_f16_e64 s0, 0, v42
	s_cbranch_vccnz .LBB252_6
; %bb.5:
	s_lshl_b64 s[2:3], s[22:23], 3
	s_add_u32 s2, s16, s2
	s_addc_u32 s3, s17, s3
	s_waitcnt lgkmcnt(0)
	s_lshl_b64 s[8:9], s[8:9], 1
	s_load_dwordx2 s[2:3], s[2:3], 0x0
	s_waitcnt lgkmcnt(0)
	s_add_u32 s16, s2, s8
	s_addc_u32 s17, s3, s9
	s_branch .LBB252_7
.LBB252_6:
	s_mov_b64 s[16:17], 0
.LBB252_7:
	s_clause 0x1
	s_load_dwordx4 s[12:15], s[4:5], 0x0
	s_load_dword s26, s[4:5], 0x20
	s_lshl_b64 s[2:3], s[22:23], 3
	v_and_b32_e32 v31, 3, v0
	s_waitcnt lgkmcnt(0)
	s_add_u32 s8, s10, s2
	s_addc_u32 s9, s11, s3
	v_mov_b32_e32 v10, 0
	v_mov_b32_e32 v11, 0
	v_lshlrev_b32_e32 v4, 1, v31
	s_add_i32 s2, s12, -1
	s_ashr_i32 s3, s2, 31
	s_lshr_b32 s3, s3, 26
	s_add_i32 s2, s2, s3
	s_ashr_i32 s2, s2, 6
	s_add_i32 s7, s2, 1
	s_not_b32 s2, s2
	v_cvt_f32_u32_e32 v2, s7
	v_rcp_iflag_f32_e32 v2, v2
	v_mul_f32_e32 v2, 0x4f7ffffe, v2
	v_cvt_u32_f32_e32 v2, v2
	v_readfirstlane_b32 s3, v2
	v_lshl_add_u32 v2, v1, 3, v0
	s_mul_i32 s2, s2, s3
	v_lshrrev_b32_e32 v9, 2, v2
	s_mul_hi_u32 s2, s3, s2
	s_add_i32 s3, s3, s2
	s_mul_hi_u32 s2, s6, s3
	s_mul_i32 s3, s2, s7
	s_add_i32 s10, s2, 1
	s_sub_i32 s3, s6, s3
	s_sub_i32 s11, s3, s7
	s_cmp_ge_u32 s3, s7
	s_cselect_b32 s2, s10, s2
	s_cselect_b32 s3, s11, s3
	s_add_i32 s10, s2, 1
	s_cmp_ge_u32 s3, s7
	s_cselect_b32 s3, s10, s2
	s_mul_i32 s2, s3, s7
	s_sub_i32 s2, s6, s2
	s_lshl_b32 s15, s2, 6
	v_cmp_gt_i32_e64 s2, s14, v31
	v_add_nc_u32_e32 v5, s15, v9
	v_cmp_gt_i32_e32 vcc_lo, s12, v5
	s_and_b32 s2, s2, vcc_lo
	s_and_b32 s2, s1, s2
	s_and_saveexec_b32 s6, s2
	s_cbranch_execz .LBB252_9
; %bb.8:
	v_mad_i64_i32 v[6:7], null, v5, s26, 0
	v_lshlrev_b64 v[6:7], 1, v[6:7]
	v_add_co_u32 v3, s2, s20, v6
	v_add_co_ci_u32_e64 v7, null, s21, v7, s2
	v_add_co_u32 v6, s2, v3, v4
	v_add_co_ci_u32_e64 v7, null, 0, v7, s2
	flat_load_ushort v3, v[6:7]
	s_waitcnt vmcnt(0) lgkmcnt(0)
	v_mul_f16_e32 v11, v30, v3
.LBB252_9:
	s_or_b32 exec_lo, exec_lo, s6
	s_load_dword s23, s[4:5], 0x38
	v_lshrrev_b32_e32 v32, 6, v2
	s_add_i32 s24, s14, -1
	v_and_b32_e32 v12, 63, v2
	s_lshl_b32 s22, s3, 7
	s_xor_b32 s25, s1, -1
	v_min_i32_e32 v3, s24, v32
	v_cmp_le_i32_e64 s6, s14, v32
	v_or_b32_e32 v2, s22, v12
	v_cmp_le_i32_e64 s2, s13, v2
	s_or_b32 s7, s2, s6
	s_waitcnt lgkmcnt(0)
	v_mad_i64_i32 v[6:7], null, s23, v3, 0
	v_ashrrev_i32_e32 v3, 31, v2
	v_lshlrev_b64 v[7:8], 1, v[6:7]
	v_add_co_u32 v7, s3, s18, v7
	v_add_co_ci_u32_e64 v8, null, s19, v8, s3
	s_nor_b32 s3, s7, s25
	s_and_saveexec_b32 s7, s3
	s_cbranch_execz .LBB252_11
; %bb.10:
	v_lshlrev_b64 v[13:14], 1, v[2:3]
	v_add_co_u32 v13, s3, v7, v13
	v_add_co_ci_u32_e64 v14, null, v8, v14, s3
	flat_load_ushort v6, v[13:14]
	s_waitcnt vmcnt(0) lgkmcnt(0)
	v_mul_f16_e32 v10, v30, v6
.LBB252_11:
	s_or_b32 exec_lo, exec_lo, s7
	v_or_b32_e32 v6, 64, v2
	v_mov_b32_e32 v13, 0
	v_cmp_le_i32_e64 s3, s13, v6
	v_mov_b32_e32 v6, 0
	s_or_b32 s6, s3, s6
	s_nor_b32 s6, s6, s25
	s_and_saveexec_b32 s7, s6
	s_cbranch_execz .LBB252_13
; %bb.12:
	v_lshlrev_b64 v[13:14], 1, v[2:3]
	v_add_co_u32 v7, s6, v7, v13
	v_add_co_ci_u32_e64 v8, null, v8, v14, s6
	flat_load_ushort v7, v[7:8] offset:128
	s_waitcnt vmcnt(0) lgkmcnt(0)
	v_mul_f16_e32 v13, v30, v7
.LBB252_13:
	s_or_b32 exec_lo, exec_lo, s7
	v_or_b32_e32 v7, 4, v31
	v_cmp_gt_i32_e64 s6, s14, v7
	s_and_b32 s6, s6, vcc_lo
	s_and_b32 s6, s1, s6
	s_and_saveexec_b32 s7, s6
	s_cbranch_execz .LBB252_15
; %bb.14:
	v_mad_i64_i32 v[6:7], null, v5, s26, 0
	v_lshlrev_b64 v[6:7], 1, v[6:7]
	v_add_co_u32 v6, s6, s20, v6
	v_add_co_ci_u32_e64 v7, null, s21, v7, s6
	v_add_co_u32 v6, s6, v6, v4
	v_add_co_ci_u32_e64 v7, null, 0, v7, s6
	flat_load_ushort v6, v[6:7] offset:8
	s_waitcnt vmcnt(0) lgkmcnt(0)
	v_mul_f16_e32 v6, v30, v6
.LBB252_15:
	s_or_b32 exec_lo, exec_lo, s7
	v_add_nc_u32_e32 v16, 4, v32
	v_min_i32_e32 v7, s24, v16
	v_cmp_le_i32_e64 s6, s14, v16
	v_mad_i64_i32 v[7:8], null, s23, v7, 0
	v_lshlrev_b64 v[14:15], 1, v[7:8]
	v_mov_b32_e32 v7, 0
	v_mov_b32_e32 v8, 0
	v_add_co_u32 v14, s7, s18, v14
	v_add_co_ci_u32_e64 v15, null, s19, v15, s7
	s_or_b32 s7, s2, s6
	s_nor_b32 s7, s7, s25
	s_and_saveexec_b32 s10, s7
	s_cbranch_execz .LBB252_17
; %bb.16:
	v_lshlrev_b64 v[16:17], 1, v[2:3]
	v_add_co_u32 v16, s7, v14, v16
	v_add_co_ci_u32_e64 v17, null, v15, v17, s7
	flat_load_ushort v8, v[16:17]
	s_waitcnt vmcnt(0) lgkmcnt(0)
	v_mul_f16_e32 v8, v30, v8
.LBB252_17:
	s_or_b32 exec_lo, exec_lo, s10
	s_or_b32 s6, s3, s6
	s_nor_b32 s6, s6, s25
	s_and_saveexec_b32 s7, s6
	s_cbranch_execz .LBB252_19
; %bb.18:
	v_lshlrev_b64 v[16:17], 1, v[2:3]
	v_add_co_u32 v14, s6, v14, v16
	v_add_co_ci_u32_e64 v15, null, v15, v17, s6
	flat_load_ushort v7, v[14:15] offset:128
	s_waitcnt vmcnt(0) lgkmcnt(0)
	v_mul_f16_e32 v7, v30, v7
.LBB252_19:
	s_or_b32 exec_lo, exec_lo, s7
	v_lshlrev_b32_e32 v12, 3, v12
	v_lshlrev_b32_e32 v34, 3, v0
	v_lshl_or_b32 v9, v9, 3, v4
	v_lshlrev_b32_e32 v33, 3, v1
	s_load_dwordx2 s[10:11], s[8:9], 0x0
	v_lshl_add_u32 v35, v32, 1, v12
	v_add_nc_u32_e32 v36, 0x800, v34
	ds_write_b16 v9, v11 offset:2048
	s_mov_b32 s8, 0
	s_cmp_lt_i32 s14, 9
	ds_write_b16 v35, v10
	ds_write_b16 v35, v13 offset:512
	s_waitcnt lgkmcnt(0)
	s_barrier
	buffer_gl0_inv
	ds_read2_b64 v[10:13], v33 offset1:32
	ds_read2_b64 v[14:17], v36 offset0:48 offset1:56
	ds_read2_b64 v[18:21], v33 offset0:64 offset1:96
	ds_read2_b64 v[22:25], v36 offset1:8
	ds_read2_b64 v[26:29], v36 offset0:16 offset1:24
	ds_read2_b64 v[37:40], v36 offset0:32 offset1:40
	ds_write_b16 v9, v6 offset:2560
	ds_write_b16 v35, v8 offset:1024
	;; [unrolled: 1-line block ×3, first 2 shown]
	s_waitcnt lgkmcnt(0)
	s_barrier
	buffer_gl0_inv
	v_pk_max_f16 v10, v10, v10
	v_pk_max_f16 v16, v16, v16
	;; [unrolled: 1-line block ×6, first 2 shown]
	v_pk_min_f16 v36, v16, v10
	v_pk_max_f16 v22, v22, v22
	v_pk_max_f16 v20, v20, v20
	;; [unrolled: 1-line block ×4, first 2 shown]
	v_pk_min_f16 v41, v16, v12
	v_pk_max_f16 v28, v28, v28
	v_pk_max_f16 v37, v37, v37
	;; [unrolled: 1-line block ×5, first 2 shown]
	v_pk_add_f16 v36, v36, 0
	v_pk_min_f16 v51, v17, v11
	v_pk_min_f16 v43, v16, v18
	;; [unrolled: 1-line block ×19, first 2 shown]
	v_pk_max_f16 v19, v19, v19
	v_pk_max_f16 v21, v21, v21
	v_pk_min_f16 v60, v37, v12
	v_pk_min_f16 v61, v37, v18
	v_pk_max_f16 v23, v23, v23
	v_pk_min_f16 v37, v37, v20
	v_pk_min_f16 v62, v39, v10
	;; [unrolled: 1-line block ×10, first 2 shown]
	v_pk_add_f16 v69, v36, v51
	v_pk_add_f16 v20, v41, 0
	v_pk_min_f16 v36, v17, v13
	v_pk_max_f16 v25, v25, v25
	v_pk_add_f16 v44, v44, 0
	v_pk_min_f16 v58, v23, v11
	v_pk_min_f16 v65, v23, v13
	;; [unrolled: 1-line block ×3, first 2 shown]
	v_pk_add_f16 v59, v20, v36
	v_pk_add_f16 v20, v22, 0
	v_pk_min_f16 v23, v23, v21
	v_pk_add_f16 v41, v43, 0
	v_pk_min_f16 v43, v17, v19
	v_pk_add_f16 v70, v44, v58
	v_pk_add_f16 v22, v47, 0
	;; [unrolled: 1-line block ×4, first 2 shown]
	v_pk_min_f16 v20, v25, v11
	v_pk_add_f16 v46, v46, 0
	v_pk_add_f16 v51, v41, v43
	v_pk_add_f16 v36, v48, 0
	v_pk_max_f16 v27, v27, v27
	v_pk_add_f16 v41, v22, v20
	v_pk_min_f16 v20, v25, v13
	v_pk_add_f16 v45, v45, 0
	v_pk_add_f16 v58, v46, v66
	;; [unrolled: 1-line block ×5, first 2 shown]
	v_pk_min_f16 v20, v25, v19
	v_pk_min_f16 v25, v25, v21
	v_pk_max_f16 v29, v29, v29
	v_pk_add_f16 v67, v45, v65
	v_pk_add_f16 v45, v52, 0
	;; [unrolled: 1-line block ×5, first 2 shown]
	v_pk_min_f16 v20, v27, v11
	v_pk_min_f16 v24, v27, v13
	v_pk_add_f16 v46, v53, 0
	v_pk_add_f16 v26, v26, 0
	;; [unrolled: 1-line block ×6, first 2 shown]
	v_pk_min_f16 v20, v27, v19
	v_pk_min_f16 v24, v27, v21
	;; [unrolled: 1-line block ×3, first 2 shown]
	v_pk_add_f16 v47, v55, 0
	v_pk_add_f16 v52, v56, 0
	;; [unrolled: 1-line block ×8, first 2 shown]
	v_pk_min_f16 v20, v29, v13
	v_pk_min_f16 v23, v29, v19
	;; [unrolled: 1-line block ×3, first 2 shown]
	v_pk_max_f16 v26, v38, v38
	v_pk_add_f16 v54, v61, 0
	v_pk_add_f16 v68, v64, 0
	;; [unrolled: 1-line block ×5, first 2 shown]
	v_pk_min_f16 v20, v26, v11
	v_pk_min_f16 v23, v26, v13
	;; [unrolled: 1-line block ×3, first 2 shown]
	v_pk_max_f16 v27, v40, v40
	v_pk_max_f16 v15, v15, v15
	v_pk_add_f16 v61, v62, 0
	v_pk_add_f16 v62, v63, 0
	;; [unrolled: 1-line block ×7, first 2 shown]
	v_pk_min_f16 v26, v26, v21
	v_pk_add_f16 v36, v22, v20
	v_pk_add_f16 v63, v53, v23
	v_pk_add_f16 v54, v54, v24
	v_pk_min_f16 v20, v27, v11
	v_pk_min_f16 v22, v27, v13
	;; [unrolled: 1-line block ×9, first 2 shown]
	v_pk_add_f16 v46, v60, v26
	v_pk_add_f16 v38, v61, v20
	;; [unrolled: 1-line block ×10, first 2 shown]
	s_cbranch_scc1 .LBB252_34
; %bb.20:
	v_mad_i64_i32 v[5:6], null, s26, v5, 0
	v_lshlrev_b64 v[26:27], 1, v[2:3]
	v_add_nc_u32_e32 v60, 0x800, v9
	v_or_b32_e32 v68, 0x800, v34
	v_add_nc_u32_e32 v71, 0xa00, v9
	v_add_nc_u32_e32 v72, 0x400, v35
	v_lshl_add_u32 v73, v0, 3, 0xa00
	v_lshlrev_b64 v[5:6], 1, v[5:6]
	v_lshl_add_u32 v74, v1, 3, 0x400
	s_add_i32 s9, s14, -8
	v_add_co_u32 v4, s6, v5, v4
	v_add_co_ci_u32_e64 v5, null, 0, v6, s6
	v_add_co_u32 v4, s6, s20, v4
	v_add_co_ci_u32_e64 v5, null, s21, v5, s6
	;; [unrolled: 2-line block ×3, first 2 shown]
	s_branch .LBB252_22
.LBB252_21:                             ;   in Loop: Header=BB252_22 Depth=1
	s_or_b32 exec_lo, exec_lo, s7
	v_pk_max_f16 v4, v4, v4
	v_pk_max_f16 v22, v22, v22
	;; [unrolled: 1-line block ×7, first 2 shown]
	v_pk_min_f16 v78, v4, v22
	v_pk_min_f16 v79, v4, v24
	;; [unrolled: 1-line block ×3, first 2 shown]
	v_pk_max_f16 v16, v16, v16
	v_pk_min_f16 v87, v10, v22
	v_pk_max_f16 v12, v12, v12
	v_pk_min_f16 v88, v10, v24
	v_pk_min_f16 v89, v10, v18
	;; [unrolled: 1-line block ×3, first 2 shown]
	v_pk_max_f16 v6, v6, v6
	v_pk_max_f16 v23, v23, v23
	;; [unrolled: 1-line block ×15, first 2 shown]
	v_pk_min_f16 v81, v14, v22
	v_pk_min_f16 v82, v14, v24
	;; [unrolled: 1-line block ×57, first 2 shown]
	v_pk_add_f16 v3, v69, v78
	v_pk_add_f16 v5, v59, v79
	;; [unrolled: 1-line block ×17, first 2 shown]
	ds_read2_b64 v[2:5], v68 offset0:48 offset1:56
	ds_read2_b64 v[6:9], v33 offset1:32
	v_pk_add_f16 v66, v10, v11
	ds_read2_b64 v[10:13], v33 offset0:64 offset1:96
	v_pk_add_f16 v49, v65, v88
	v_pk_add_f16 v48, v64, v91
	;; [unrolled: 1-line block ×4, first 2 shown]
	ds_read2_b64 v[14:17], v68 offset1:8
	v_pk_add_f16 v59, v70, v81
	v_pk_add_f16 v67, v67, v82
	;; [unrolled: 1-line block ×10, first 2 shown]
	ds_read2_b64 v[18:21], v68 offset0:16 offset1:24
	s_waitcnt lgkmcnt(4)
	v_pk_max_f16 v4, v4, v4
	s_waitcnt lgkmcnt(3)
	v_pk_max_f16 v6, v6, v6
	v_pk_max_f16 v8, v8, v8
	s_waitcnt lgkmcnt(2)
	v_pk_max_f16 v10, v10, v10
	v_pk_add_f16 v58, v58, v100
	v_pk_max_f16 v12, v12, v12
	v_pk_min_f16 v22, v4, v6
	v_pk_min_f16 v23, v4, v8
	;; [unrolled: 1-line block ×3, first 2 shown]
	s_waitcnt lgkmcnt(1)
	v_pk_max_f16 v14, v14, v14
	v_pk_max_f16 v16, v16, v16
	v_pk_add_f16 v44, v44, v22
	v_pk_add_f16 v52, v52, v23
	;; [unrolled: 1-line block ×3, first 2 shown]
	v_pk_min_f16 v22, v14, v6
	v_pk_min_f16 v23, v14, v8
	;; [unrolled: 1-line block ×4, first 2 shown]
	v_pk_add_f16 v41, v41, v84
	v_pk_add_f16 v78, v59, v22
	;; [unrolled: 1-line block ×4, first 2 shown]
	ds_read2_b64 v[22:25], v68 offset0:32 offset1:40
	v_pk_add_f16 v39, v39, v87
	v_pk_add_f16 v50, v50, v102
	;; [unrolled: 1-line block ×3, first 2 shown]
	v_pk_min_f16 v64, v16, v8
	s_waitcnt lgkmcnt(1)
	v_pk_max_f16 v18, v18, v18
	v_pk_add_f16 v57, v57, v86
	v_pk_add_f16 v41, v41, v101
	;; [unrolled: 1-line block ×3, first 2 shown]
	v_pk_min_f16 v59, v16, v6
	v_pk_add_f16 v64, v50, v64
	v_pk_min_f16 v50, v18, v6
	v_pk_max_f16 v20, v20, v20
	v_pk_add_f16 v36, v36, v93
	v_pk_add_f16 v57, v57, v103
	;; [unrolled: 1-line block ×4, first 2 shown]
	v_pk_min_f16 v79, v16, v10
	v_pk_add_f16 v41, v41, v59
	v_pk_min_f16 v59, v18, v8
	v_pk_add_f16 v39, v39, v50
	v_pk_min_f16 v50, v20, v8
	s_waitcnt lgkmcnt(0)
	v_pk_max_f16 v22, v22, v22
	v_pk_add_f16 v37, v37, v90
	v_pk_add_f16 v63, v63, v94
	;; [unrolled: 1-line block ×6, first 2 shown]
	v_pk_min_f16 v49, v20, v6
	v_pk_min_f16 v59, v20, v10
	;; [unrolled: 1-line block ×3, first 2 shown]
	v_pk_add_f16 v80, v48, v50
	v_pk_min_f16 v48, v22, v6
	v_pk_add_f16 v37, v37, v107
	v_pk_add_f16 v63, v63, v112
	;; [unrolled: 1-line block ×3, first 2 shown]
	v_pk_min_f16 v16, v16, v12
	v_pk_add_f16 v20, v47, v20
	v_pk_min_f16 v47, v22, v8
	v_pk_max_f16 v24, v24, v24
	v_pk_add_f16 v36, v36, v48
	v_pk_min_f16 v48, v22, v10
	v_pk_min_f16 v22, v22, v12
	v_pk_max_f16 v2, v2, v2
	v_pk_max_f16 v5, v5, v5
	;; [unrolled: 1-line block ×3, first 2 shown]
	v_pk_add_f16 v55, v55, v92
	v_pk_add_f16 v40, v40, v119
	;; [unrolled: 1-line block ×3, first 2 shown]
	v_pk_min_f16 v65, v18, v10
	v_pk_min_f16 v18, v18, v12
	v_pk_add_f16 v37, v37, v49
	v_pk_add_f16 v63, v63, v47
	v_pk_min_f16 v47, v24, v6
	v_pk_min_f16 v49, v24, v8
	v_pk_add_f16 v22, v46, v22
	v_pk_min_f16 v46, v24, v10
	v_pk_min_f16 v24, v24, v12
	;; [unrolled: 1-line block ×6, first 2 shown]
	v_pk_max_f16 v9, v9, v9
	v_pk_min_f16 v4, v4, v12
	v_pk_max_f16 v11, v11, v11
	v_pk_min_f16 v12, v5, v7
	v_pk_add_f16 v55, v55, v109
	v_pk_add_f16 v8, v69, v8
	;; [unrolled: 1-line block ×3, first 2 shown]
	v_pk_min_f16 v40, v5, v9
	v_pk_add_f16 v4, v43, v4
	v_pk_min_f16 v43, v5, v11
	v_pk_max_f16 v15, v15, v15
	v_pk_add_f16 v69, v44, v12
	v_pk_max_f16 v12, v13, v13
	v_pk_add_f16 v56, v56, v89
	v_pk_add_f16 v62, v62, v97
	;; [unrolled: 1-line block ×5, first 2 shown]
	v_pk_min_f16 v13, v15, v7
	v_pk_min_f16 v40, v15, v9
	;; [unrolled: 1-line block ×4, first 2 shown]
	v_pk_max_f16 v17, v17, v17
	v_pk_add_f16 v54, v54, v95
	v_pk_add_f16 v56, v56, v106
	;; [unrolled: 1-line block ×6, first 2 shown]
	v_pk_min_f16 v13, v17, v7
	v_pk_min_f16 v14, v17, v9
	v_pk_min_f16 v15, v17, v11
	v_pk_min_f16 v17, v17, v12
	v_pk_max_f16 v19, v19, v19
	v_pk_add_f16 v38, v38, v96
	v_pk_add_f16 v54, v54, v113
	;; [unrolled: 1-line block ×9, first 2 shown]
	v_pk_min_f16 v13, v19, v7
	v_pk_min_f16 v14, v19, v9
	;; [unrolled: 1-line block ×4, first 2 shown]
	v_pk_max_f16 v17, v21, v21
	v_pk_add_f16 v53, v53, v98
	v_pk_add_f16 v38, v38, v115
	;; [unrolled: 1-line block ×7, first 2 shown]
	v_pk_min_f16 v13, v17, v7
	v_pk_min_f16 v14, v17, v9
	;; [unrolled: 1-line block ×4, first 2 shown]
	v_pk_max_f16 v17, v23, v23
	v_pk_add_f16 v53, v53, v117
	v_pk_add_f16 v45, v45, v118
	;; [unrolled: 1-line block ×7, first 2 shown]
	v_pk_min_f16 v13, v17, v7
	v_pk_min_f16 v14, v17, v9
	;; [unrolled: 1-line block ×4, first 2 shown]
	v_pk_max_f16 v17, v25, v25
	v_pk_max_f16 v3, v3, v3
	v_pk_add_f16 v53, v53, v46
	v_pk_add_f16 v24, v45, v24
	;; [unrolled: 1-line block ×7, first 2 shown]
	v_pk_min_f16 v13, v17, v7
	v_pk_min_f16 v14, v17, v9
	;; [unrolled: 1-line block ×9, first 2 shown]
	v_add_co_u32 v28, s6, v28, 16
	v_pk_add_f16 v67, v61, v40
	v_pk_add_f16 v58, v58, v43
	;; [unrolled: 1-line block ×11, first 2 shown]
	v_add_co_ci_u32_e64 v29, null, 0, v29, s6
	s_add_i32 s8, s8, 8
	ds_write_b16 v71, v75
	ds_write_b16 v72, v76
	ds_write_b16 v72, v77 offset:512
	s_cmp_ge_i32 s8, s9
	s_waitcnt lgkmcnt(0)
	s_barrier
	buffer_gl0_inv
	s_cbranch_scc1 .LBB252_34
.LBB252_22:                             ; =>This Inner Loop Header: Depth=1
	v_add_nc_u32_e32 v75, s8, v31
	v_mov_b32_e32 v76, 0
	v_add_nc_u32_e32 v2, 8, v75
	v_cmp_gt_i32_e64 s6, s14, v2
	s_and_b32 s6, s6, vcc_lo
	s_and_b32 s6, s1, s6
	s_and_saveexec_b32 s7, s6
	s_cbranch_execz .LBB252_24
; %bb.23:                               ;   in Loop: Header=BB252_22 Depth=1
	v_add_co_u32 v2, s6, -8, v28
	v_add_co_ci_u32_e64 v3, null, -1, v29, s6
	flat_load_ushort v2, v[2:3]
	s_waitcnt vmcnt(0) lgkmcnt(0)
	v_mul_f16_e32 v76, v30, v2
.LBB252_24:                             ;   in Loop: Header=BB252_22 Depth=1
	s_or_b32 exec_lo, exec_lo, s7
	v_add_nc_u32_e32 v77, s8, v32
	v_mov_b32_e32 v78, 0
	v_mov_b32_e32 v79, 0
	v_add_nc_u32_e32 v4, 8, v77
	v_min_i32_e32 v2, s24, v4
	v_cmp_le_i32_e64 s6, s14, v4
	v_mad_i64_i32 v[2:3], null, v2, s23, 0
	v_lshlrev_b64 v[2:3], 1, v[2:3]
	v_add_co_u32 v2, s7, s18, v2
	v_add_co_ci_u32_e64 v3, null, s19, v3, s7
	s_or_b32 s7, s2, s6
	s_nor_b32 s7, s7, s25
	s_and_saveexec_b32 s20, s7
	s_cbranch_execz .LBB252_26
; %bb.25:                               ;   in Loop: Header=BB252_22 Depth=1
	v_add_co_u32 v4, s7, v2, v26
	v_add_co_ci_u32_e64 v5, null, v3, v27, s7
	flat_load_ushort v4, v[4:5]
	s_waitcnt vmcnt(0) lgkmcnt(0)
	v_mul_f16_e32 v79, v30, v4
.LBB252_26:                             ;   in Loop: Header=BB252_22 Depth=1
	s_or_b32 exec_lo, exec_lo, s20
	s_or_b32 s6, s3, s6
	s_nor_b32 s6, s6, s25
	s_and_saveexec_b32 s7, s6
	s_cbranch_execz .LBB252_28
; %bb.27:                               ;   in Loop: Header=BB252_22 Depth=1
	v_add_co_u32 v2, s6, v2, v26
	v_add_co_ci_u32_e64 v3, null, v3, v27, s6
	flat_load_ushort v2, v[2:3] offset:128
	s_waitcnt vmcnt(0) lgkmcnt(0)
	v_mul_f16_e32 v78, v30, v2
.LBB252_28:                             ;   in Loop: Header=BB252_22 Depth=1
	s_or_b32 exec_lo, exec_lo, s7
	ds_read2_b64 v[2:5], v73 offset0:48 offset1:56
	ds_read2_b64 v[18:21], v74 offset0:64 offset1:96
	ds_read2_b64 v[22:25], v74 offset1:32
	ds_read2_b64 v[14:17], v73 offset1:8
	ds_read2_b64 v[10:13], v73 offset0:16 offset1:24
	ds_read2_b64 v[6:9], v73 offset0:32 offset1:40
	v_add_nc_u32_e32 v75, 12, v75
	ds_write_b16 v60, v76
	ds_write_b16 v35, v79
	v_mov_b32_e32 v76, 0
	ds_write_b16 v35, v78 offset:512
	s_waitcnt lgkmcnt(0)
	v_cmp_gt_i32_e64 s6, s14, v75
	v_mov_b32_e32 v75, 0
	s_barrier
	buffer_gl0_inv
	s_and_b32 s6, s6, vcc_lo
	s_and_b32 s6, s1, s6
	s_and_saveexec_b32 s7, s6
	s_xor_b32 s6, exec_lo, s7
	s_cbranch_execz .LBB252_30
; %bb.29:                               ;   in Loop: Header=BB252_22 Depth=1
	flat_load_ushort v75, v[28:29]
	s_waitcnt vmcnt(0) lgkmcnt(0)
	v_mul_f16_e32 v75, v30, v75
.LBB252_30:                             ;   in Loop: Header=BB252_22 Depth=1
	s_or_b32 exec_lo, exec_lo, s6
	v_add_nc_u32_e32 v80, 12, v77
	v_min_i32_e32 v77, s24, v80
	v_cmp_le_i32_e64 s6, s14, v80
	v_mad_i64_i32 v[77:78], null, v77, s23, 0
	v_lshlrev_b64 v[78:79], 1, v[77:78]
	v_add_co_u32 v78, s7, s18, v78
	v_add_co_ci_u32_e64 v79, null, s19, v79, s7
	s_or_b32 s7, s2, s6
	s_nor_b32 s7, s7, s25
	s_and_saveexec_b32 s20, s7
	s_cbranch_execz .LBB252_32
; %bb.31:                               ;   in Loop: Header=BB252_22 Depth=1
	v_add_co_u32 v76, s7, v78, v26
	v_add_co_ci_u32_e64 v77, null, v79, v27, s7
	flat_load_ushort v76, v[76:77]
	s_waitcnt vmcnt(0) lgkmcnt(0)
	v_mul_f16_e32 v76, v30, v76
.LBB252_32:                             ;   in Loop: Header=BB252_22 Depth=1
	s_or_b32 exec_lo, exec_lo, s20
	v_mov_b32_e32 v77, 0
	s_or_b32 s6, s3, s6
	s_nor_b32 s6, s6, s25
	s_and_saveexec_b32 s7, s6
	s_cbranch_execz .LBB252_21
; %bb.33:                               ;   in Loop: Header=BB252_22 Depth=1
	v_add_co_u32 v77, s6, v78, v26
	v_add_co_ci_u32_e64 v78, null, v79, v27, s6
	flat_load_ushort v77, v[77:78] offset:128
	s_waitcnt vmcnt(0) lgkmcnt(0)
	v_mul_f16_e32 v77, v30, v77
	s_branch .LBB252_21
.LBB252_34:
	s_clause 0x2
	s_load_dword s14, s[4:5], 0x58
	s_load_dword s9, s[4:5], 0x70
	s_load_dwordx2 s[2:3], s[4:5], 0x78
	v_add_nc_u32_e32 v68, s22, v1
	v_add_nc_u32_e32 v10, 0x800, v34
	ds_read2_b64 v[2:5], v33 offset0:192 offset1:224
	ds_read2_b64 v[22:25], v33 offset0:128 offset1:160
	v_add_nc_u32_e32 v0, s15, v0
	ds_read2_b64 v[6:9], v10 offset0:112 offset1:120
	ds_read2_b64 v[18:21], v10 offset0:64 offset1:72
	;; [unrolled: 1-line block ×4, first 2 shown]
	v_cmp_gt_i32_e64 s8, s13, v68
	v_cmp_gt_i32_e64 s1, s12, v0
	v_ashrrev_i32_e32 v1, 31, v0
	v_cndmask_b32_e64 v60, 0, 1, s0
	s_waitcnt lgkmcnt(0)
	v_mad_i64_i32 v[26:27], null, v68, s14, 0
	v_mad_i64_i32 v[28:29], null, v68, s9, 0
	s_lshl_b64 s[2:3], s[2:3], 1
	s_add_u32 s10, s10, s2
	s_addc_u32 s11, s11, s3
	v_lshlrev_b64 v[26:27], 1, v[26:27]
	s_and_b32 s2, s1, s8
	v_lshlrev_b64 v[28:29], 1, v[28:29]
	v_add_co_u32 v73, vcc_lo, s16, v26
	v_add_co_ci_u32_e64 v74, null, s17, v27, vcc_lo
	v_add_co_u32 v71, vcc_lo, s10, v28
	v_add_co_ci_u32_e64 v72, null, s11, v29, vcc_lo
	s_and_saveexec_b32 s3, s2
	s_xor_b32 s2, exec_lo, s3
	s_cbranch_execz .LBB252_39
; %bb.35:
	v_lshlrev_b64 v[26:27], 1, v[0:1]
	s_andn2_b32 vcc_lo, exec_lo, s0
	s_cbranch_vccnz .LBB252_37
; %bb.36:
	v_add_co_u32 v28, vcc_lo, v73, v26
	v_add_co_ci_u32_e64 v29, null, v74, v27, vcc_lo
	flat_load_ushort v28, v[28:29]
	s_waitcnt vmcnt(0) lgkmcnt(0)
	v_mul_f16_e32 v28, v42, v28
	s_branch .LBB252_38
.LBB252_37:
	v_mov_b32_e32 v28, 0
.LBB252_38:
	v_pk_max_f16 v29, v22, v22
	v_pk_max_f16 v30, v18, v18
	v_pk_max_f16 v31, v23, v23
	v_pk_max_f16 v32, v19, v19
	v_add_co_u32 v26, vcc_lo, v71, v26
	v_pk_min_f16 v29, v30, v29
	v_add_co_ci_u32_e64 v27, null, v72, v27, vcc_lo
	v_pk_min_f16 v30, v32, v31
	v_pk_add_f16 v29, v70, v29
	v_pk_add_f16 v29, v29, v30
	v_add_f16_sdwa v29, v29, v29 dst_sel:DWORD dst_unused:UNUSED_PAD src0_sel:DWORD src1_sel:WORD_1
	v_add_f16_e32 v28, v29, v28
	flat_store_short v[26:27], v28
.LBB252_39:
	s_or_b32 exec_lo, exec_lo, s2
	v_add_nc_u32_e32 v26, 8, v0
	v_cmp_gt_i32_e64 s0, s12, v26
	v_ashrrev_i32_e32 v27, 31, v26
	s_and_b32 s3, s0, s8
	s_and_saveexec_b32 s2, s3
	s_cbranch_execz .LBB252_44
; %bb.40:
	v_cmp_ne_u32_e32 vcc_lo, 1, v60
	v_lshlrev_b64 v[28:29], 1, v[26:27]
	s_cbranch_vccnz .LBB252_42
; %bb.41:
	v_add_co_u32 v30, vcc_lo, v73, v28
	v_add_co_ci_u32_e64 v31, null, v74, v29, vcc_lo
	flat_load_ushort v30, v[30:31]
	s_waitcnt vmcnt(0) lgkmcnt(0)
	v_mul_f16_e32 v30, v42, v30
	s_branch .LBB252_43
.LBB252_42:
	v_mov_b32_e32 v30, 0
.LBB252_43:
	v_pk_max_f16 v31, v22, v22
	v_pk_max_f16 v32, v20, v20
	v_pk_max_f16 v33, v23, v23
	v_pk_max_f16 v34, v21, v21
	v_add_co_u32 v28, vcc_lo, v71, v28
	v_pk_min_f16 v31, v32, v31
	v_add_co_ci_u32_e64 v29, null, v72, v29, vcc_lo
	v_pk_min_f16 v32, v34, v33
	v_pk_add_f16 v31, v41, v31
	v_pk_add_f16 v31, v31, v32
	v_add_f16_sdwa v31, v31, v31 dst_sel:DWORD dst_unused:UNUSED_PAD src0_sel:DWORD src1_sel:WORD_1
	v_add_f16_e32 v30, v31, v30
	flat_store_short v[28:29], v30
.LBB252_44:
	s_or_b32 exec_lo, exec_lo, s2
	v_add_nc_u32_e32 v28, 16, v0
	v_cmp_gt_i32_e64 s2, s12, v28
	v_ashrrev_i32_e32 v29, 31, v28
	s_and_b32 s4, s2, s8
	s_and_saveexec_b32 s3, s4
	s_cbranch_execz .LBB252_49
; %bb.45:
	v_cmp_ne_u32_e32 vcc_lo, 1, v60
	v_lshlrev_b64 v[30:31], 1, v[28:29]
	s_cbranch_vccnz .LBB252_47
; %bb.46:
	v_add_co_u32 v32, vcc_lo, v73, v30
	v_add_co_ci_u32_e64 v33, null, v74, v31, vcc_lo
	flat_load_ushort v32, v[32:33]
	s_waitcnt vmcnt(0) lgkmcnt(0)
	v_mul_f16_e32 v32, v42, v32
	s_branch .LBB252_48
.LBB252_47:
	v_mov_b32_e32 v32, 0
.LBB252_48:
	v_pk_max_f16 v33, v22, v22
	v_pk_max_f16 v34, v14, v14
	v_pk_max_f16 v35, v23, v23
	v_pk_max_f16 v41, v15, v15
	v_add_co_u32 v30, vcc_lo, v71, v30
	v_pk_min_f16 v33, v34, v33
	v_add_co_ci_u32_e64 v31, null, v72, v31, vcc_lo
	v_pk_min_f16 v34, v41, v35
	v_pk_add_f16 v33, v39, v33
	v_pk_add_f16 v33, v33, v34
	v_add_f16_sdwa v33, v33, v33 dst_sel:DWORD dst_unused:UNUSED_PAD src0_sel:DWORD src1_sel:WORD_1
	v_add_f16_e32 v32, v33, v32
	flat_store_short v[30:31], v32
.LBB252_49:
	;; [unrolled: 35-line block ×6, first 2 shown]
	s_or_b32 exec_lo, exec_lo, s7
	v_add_nc_u32_e32 v38, 56, v0
	v_cmp_gt_i32_e64 s7, s12, v38
	v_ashrrev_i32_e32 v39, 31, v38
	s_and_b32 s12, s7, s8
	s_and_saveexec_b32 s8, s12
	s_cbranch_execz .LBB252_74
; %bb.70:
	v_cmp_ne_u32_e32 vcc_lo, 1, v60
	v_lshlrev_b64 v[40:41], 1, v[38:39]
	s_cbranch_vccnz .LBB252_72
; %bb.71:
	v_add_co_u32 v73, vcc_lo, v73, v40
	v_add_co_ci_u32_e64 v74, null, v74, v41, vcc_lo
	flat_load_ushort v70, v[73:74]
	s_waitcnt vmcnt(0) lgkmcnt(0)
	v_mul_f16_e32 v70, v42, v70
	s_branch .LBB252_73
.LBB252_72:
	v_mov_b32_e32 v70, 0
.LBB252_73:
	v_pk_max_f16 v22, v22, v22
	v_pk_max_f16 v73, v8, v8
	;; [unrolled: 1-line block ×4, first 2 shown]
	v_pk_min_f16 v22, v73, v22
	v_pk_min_f16 v23, v74, v23
	v_pk_add_f16 v22, v69, v22
	v_pk_add_f16 v22, v22, v23
	v_add_f16_sdwa v22, v22, v22 dst_sel:DWORD dst_unused:UNUSED_PAD src0_sel:DWORD src1_sel:WORD_1
	v_add_f16_e32 v69, v22, v70
	v_add_co_u32 v22, vcc_lo, v71, v40
	v_add_co_ci_u32_e64 v23, null, v72, v41, vcc_lo
	flat_store_short v[22:23], v69
.LBB252_74:
	s_or_b32 exec_lo, exec_lo, s8
	v_add_nc_u32_e32 v69, 32, v68
	v_mad_i64_i32 v[22:23], null, v69, s14, 0
	v_mad_i64_i32 v[40:41], null, v69, s9, 0
	v_cmp_gt_i32_e64 s8, s13, v69
	v_lshlrev_b64 v[22:23], 1, v[22:23]
	s_and_b32 s15, s1, s8
	v_lshlrev_b64 v[40:41], 1, v[40:41]
	v_add_co_u32 v69, vcc_lo, s16, v22
	v_add_co_ci_u32_e64 v70, null, s17, v23, vcc_lo
	v_add_co_u32 v40, vcc_lo, s10, v40
	v_add_co_ci_u32_e64 v41, null, s11, v41, vcc_lo
	s_and_saveexec_b32 s12, s15
	s_cbranch_execnz .LBB252_82
; %bb.75:
	s_or_b32 exec_lo, exec_lo, s12
	s_and_b32 s15, s0, s8
	s_and_saveexec_b32 s12, s15
	s_cbranch_execnz .LBB252_86
.LBB252_76:
	s_or_b32 exec_lo, exec_lo, s12
	s_and_b32 s15, s2, s8
	s_and_saveexec_b32 s12, s15
	s_cbranch_execnz .LBB252_90
.LBB252_77:
	s_or_b32 exec_lo, exec_lo, s12
	s_and_b32 s15, s3, s8
	s_and_saveexec_b32 s12, s15
	s_cbranch_execnz .LBB252_94
.LBB252_78:
	s_or_b32 exec_lo, exec_lo, s12
	s_and_b32 s15, s4, s8
	s_and_saveexec_b32 s12, s15
	s_cbranch_execnz .LBB252_98
.LBB252_79:
	s_or_b32 exec_lo, exec_lo, s12
	s_and_b32 s15, s5, s8
	s_and_saveexec_b32 s12, s15
	s_cbranch_execnz .LBB252_102
.LBB252_80:
	s_or_b32 exec_lo, exec_lo, s12
	s_and_b32 s15, s6, s8
	s_and_saveexec_b32 s12, s15
	s_cbranch_execnz .LBB252_106
.LBB252_81:
	s_or_b32 exec_lo, exec_lo, s12
	s_and_b32 s12, s7, s8
	s_and_saveexec_b32 s8, s12
	s_cbranch_execnz .LBB252_110
	s_branch .LBB252_114
.LBB252_82:
	v_cmp_ne_u32_e32 vcc_lo, 1, v60
	v_lshlrev_b64 v[22:23], 1, v[0:1]
	s_cbranch_vccnz .LBB252_84
; %bb.83:
	v_add_co_u32 v71, vcc_lo, v69, v22
	v_add_co_ci_u32_e64 v72, null, v70, v23, vcc_lo
	flat_load_ushort v71, v[71:72]
	s_waitcnt vmcnt(0) lgkmcnt(0)
	v_mul_f16_e32 v71, v42, v71
	s_branch .LBB252_85
.LBB252_84:
	v_mov_b32_e32 v71, 0
.LBB252_85:
	v_pk_max_f16 v72, v24, v24
	v_pk_max_f16 v73, v18, v18
	;; [unrolled: 1-line block ×4, first 2 shown]
	v_add_co_u32 v22, vcc_lo, v40, v22
	v_pk_min_f16 v72, v73, v72
	v_add_co_ci_u32_e64 v23, null, v41, v23, vcc_lo
	v_pk_min_f16 v73, v75, v74
	v_pk_add_f16 v67, v67, v72
	v_pk_add_f16 v67, v67, v73
	v_add_f16_sdwa v67, v67, v67 dst_sel:DWORD dst_unused:UNUSED_PAD src0_sel:DWORD src1_sel:WORD_1
	v_add_f16_e32 v67, v67, v71
	flat_store_short v[22:23], v67
	s_or_b32 exec_lo, exec_lo, s12
	s_and_b32 s15, s0, s8
	s_and_saveexec_b32 s12, s15
	s_cbranch_execz .LBB252_76
.LBB252_86:
	v_cmp_ne_u32_e32 vcc_lo, 1, v60
	v_lshlrev_b64 v[22:23], 1, v[26:27]
	s_cbranch_vccnz .LBB252_88
; %bb.87:
	v_add_co_u32 v71, vcc_lo, v69, v22
	v_add_co_ci_u32_e64 v72, null, v70, v23, vcc_lo
	flat_load_ushort v67, v[71:72]
	s_waitcnt vmcnt(0) lgkmcnt(0)
	v_mul_f16_e32 v67, v42, v67
	s_branch .LBB252_89
.LBB252_88:
	v_mov_b32_e32 v67, 0
.LBB252_89:
	v_pk_max_f16 v71, v24, v24
	v_pk_max_f16 v72, v20, v20
	;; [unrolled: 1-line block ×4, first 2 shown]
	v_add_co_u32 v22, vcc_lo, v40, v22
	v_pk_min_f16 v71, v72, v71
	v_add_co_ci_u32_e64 v23, null, v41, v23, vcc_lo
	v_pk_min_f16 v72, v74, v73
	v_pk_add_f16 v66, v66, v71
	v_pk_add_f16 v66, v66, v72
	v_add_f16_sdwa v66, v66, v66 dst_sel:DWORD dst_unused:UNUSED_PAD src0_sel:DWORD src1_sel:WORD_1
	v_add_f16_e32 v66, v66, v67
	flat_store_short v[22:23], v66
	s_or_b32 exec_lo, exec_lo, s12
	s_and_b32 s15, s2, s8
	s_and_saveexec_b32 s12, s15
	s_cbranch_execz .LBB252_77
.LBB252_90:
	v_cmp_ne_u32_e32 vcc_lo, 1, v60
	v_lshlrev_b64 v[22:23], 1, v[28:29]
	s_cbranch_vccnz .LBB252_92
; %bb.91:
	v_add_co_u32 v66, vcc_lo, v69, v22
	v_add_co_ci_u32_e64 v67, null, v70, v23, vcc_lo
	flat_load_ushort v66, v[66:67]
	s_waitcnt vmcnt(0) lgkmcnt(0)
	v_mul_f16_e32 v66, v42, v66
	s_branch .LBB252_93
.LBB252_92:
	v_mov_b32_e32 v66, 0
.LBB252_93:
	v_pk_max_f16 v67, v24, v24
	v_pk_max_f16 v71, v14, v14
	;; [unrolled: 1-line block ×4, first 2 shown]
	v_add_co_u32 v22, vcc_lo, v40, v22
	v_pk_min_f16 v67, v71, v67
	v_add_co_ci_u32_e64 v23, null, v41, v23, vcc_lo
	v_pk_min_f16 v71, v73, v72
	v_pk_add_f16 v65, v65, v67
	v_pk_add_f16 v65, v65, v71
	v_add_f16_sdwa v65, v65, v65 dst_sel:DWORD dst_unused:UNUSED_PAD src0_sel:DWORD src1_sel:WORD_1
	v_add_f16_e32 v65, v65, v66
	flat_store_short v[22:23], v65
	s_or_b32 exec_lo, exec_lo, s12
	s_and_b32 s15, s3, s8
	s_and_saveexec_b32 s12, s15
	s_cbranch_execz .LBB252_78
.LBB252_94:
	v_cmp_ne_u32_e32 vcc_lo, 1, v60
	v_lshlrev_b64 v[22:23], 1, v[30:31]
	s_cbranch_vccnz .LBB252_96
; %bb.95:
	v_add_co_u32 v65, vcc_lo, v69, v22
	v_add_co_ci_u32_e64 v66, null, v70, v23, vcc_lo
	flat_load_ushort v65, v[65:66]
	s_waitcnt vmcnt(0) lgkmcnt(0)
	v_mul_f16_e32 v65, v42, v65
	s_branch .LBB252_97
.LBB252_96:
	v_mov_b32_e32 v65, 0
.LBB252_97:
	v_pk_max_f16 v66, v24, v24
	v_pk_max_f16 v67, v16, v16
	;; [unrolled: 1-line block ×4, first 2 shown]
	v_add_co_u32 v22, vcc_lo, v40, v22
	v_pk_min_f16 v66, v67, v66
	v_add_co_ci_u32_e64 v23, null, v41, v23, vcc_lo
	v_pk_min_f16 v67, v72, v71
	v_pk_add_f16 v64, v64, v66
	v_pk_add_f16 v64, v64, v67
	v_add_f16_sdwa v64, v64, v64 dst_sel:DWORD dst_unused:UNUSED_PAD src0_sel:DWORD src1_sel:WORD_1
	v_add_f16_e32 v64, v64, v65
	flat_store_short v[22:23], v64
	s_or_b32 exec_lo, exec_lo, s12
	s_and_b32 s15, s4, s8
	s_and_saveexec_b32 s12, s15
	s_cbranch_execz .LBB252_79
.LBB252_98:
	v_cmp_ne_u32_e32 vcc_lo, 1, v60
	v_lshlrev_b64 v[22:23], 1, v[32:33]
	s_cbranch_vccnz .LBB252_100
; %bb.99:
	v_add_co_u32 v64, vcc_lo, v69, v22
	v_add_co_ci_u32_e64 v65, null, v70, v23, vcc_lo
	flat_load_ushort v64, v[64:65]
	s_waitcnt vmcnt(0) lgkmcnt(0)
	v_mul_f16_e32 v64, v42, v64
	s_branch .LBB252_101
.LBB252_100:
	v_mov_b32_e32 v64, 0
.LBB252_101:
	v_pk_max_f16 v65, v24, v24
	v_pk_max_f16 v66, v10, v10
	v_pk_max_f16 v67, v25, v25
	v_pk_max_f16 v71, v11, v11
	v_add_co_u32 v22, vcc_lo, v40, v22
	v_pk_min_f16 v65, v66, v65
	v_add_co_ci_u32_e64 v23, null, v41, v23, vcc_lo
	v_pk_min_f16 v66, v71, v67
	v_pk_add_f16 v63, v63, v65
	v_pk_add_f16 v63, v63, v66
	v_add_f16_sdwa v63, v63, v63 dst_sel:DWORD dst_unused:UNUSED_PAD src0_sel:DWORD src1_sel:WORD_1
	v_add_f16_e32 v63, v63, v64
	flat_store_short v[22:23], v63
	s_or_b32 exec_lo, exec_lo, s12
	s_and_b32 s15, s5, s8
	s_and_saveexec_b32 s12, s15
	s_cbranch_execz .LBB252_80
.LBB252_102:
	v_cmp_ne_u32_e32 vcc_lo, 1, v60
	v_lshlrev_b64 v[22:23], 1, v[34:35]
	s_cbranch_vccnz .LBB252_104
; %bb.103:
	v_add_co_u32 v63, vcc_lo, v69, v22
	v_add_co_ci_u32_e64 v64, null, v70, v23, vcc_lo
	flat_load_ushort v63, v[63:64]
	s_waitcnt vmcnt(0) lgkmcnt(0)
	v_mul_f16_e32 v63, v42, v63
	s_branch .LBB252_105
.LBB252_104:
	v_mov_b32_e32 v63, 0
.LBB252_105:
	v_pk_max_f16 v64, v24, v24
	v_pk_max_f16 v65, v12, v12
	;; [unrolled: 1-line block ×4, first 2 shown]
	v_add_co_u32 v22, vcc_lo, v40, v22
	v_pk_min_f16 v64, v65, v64
	v_add_co_ci_u32_e64 v23, null, v41, v23, vcc_lo
	v_pk_min_f16 v65, v67, v66
	v_pk_add_f16 v62, v62, v64
	v_pk_add_f16 v62, v62, v65
	v_add_f16_sdwa v62, v62, v62 dst_sel:DWORD dst_unused:UNUSED_PAD src0_sel:DWORD src1_sel:WORD_1
	v_add_f16_e32 v62, v62, v63
	flat_store_short v[22:23], v62
	s_or_b32 exec_lo, exec_lo, s12
	s_and_b32 s15, s6, s8
	s_and_saveexec_b32 s12, s15
	s_cbranch_execz .LBB252_81
.LBB252_106:
	v_cmp_ne_u32_e32 vcc_lo, 1, v60
	v_lshlrev_b64 v[22:23], 1, v[36:37]
	s_cbranch_vccnz .LBB252_108
; %bb.107:
	v_add_co_u32 v62, vcc_lo, v69, v22
	v_add_co_ci_u32_e64 v63, null, v70, v23, vcc_lo
	flat_load_ushort v62, v[62:63]
	s_waitcnt vmcnt(0) lgkmcnt(0)
	v_mul_f16_e32 v62, v42, v62
	s_branch .LBB252_109
.LBB252_108:
	v_mov_b32_e32 v62, 0
.LBB252_109:
	v_pk_max_f16 v63, v24, v24
	v_pk_max_f16 v64, v6, v6
	;; [unrolled: 1-line block ×4, first 2 shown]
	v_add_co_u32 v22, vcc_lo, v40, v22
	v_pk_min_f16 v63, v64, v63
	v_add_co_ci_u32_e64 v23, null, v41, v23, vcc_lo
	v_pk_min_f16 v64, v66, v65
	v_pk_add_f16 v61, v61, v63
	v_pk_add_f16 v61, v61, v64
	v_add_f16_sdwa v61, v61, v61 dst_sel:DWORD dst_unused:UNUSED_PAD src0_sel:DWORD src1_sel:WORD_1
	v_add_f16_e32 v61, v61, v62
	flat_store_short v[22:23], v61
	s_or_b32 exec_lo, exec_lo, s12
	s_and_b32 s12, s7, s8
	s_and_saveexec_b32 s8, s12
	s_cbranch_execz .LBB252_114
.LBB252_110:
	v_cmp_ne_u32_e32 vcc_lo, 1, v60
	v_lshlrev_b64 v[22:23], 1, v[38:39]
	s_cbranch_vccnz .LBB252_112
; %bb.111:
	v_add_co_u32 v61, vcc_lo, v69, v22
	v_add_co_ci_u32_e64 v62, null, v70, v23, vcc_lo
	flat_load_ushort v61, v[61:62]
	s_waitcnt vmcnt(0) lgkmcnt(0)
	v_mul_f16_e32 v61, v42, v61
	s_branch .LBB252_113
.LBB252_112:
	v_mov_b32_e32 v61, 0
.LBB252_113:
	v_pk_max_f16 v24, v24, v24
	v_pk_max_f16 v62, v8, v8
	;; [unrolled: 1-line block ×4, first 2 shown]
	v_add_co_u32 v22, vcc_lo, v40, v22
	v_pk_min_f16 v24, v62, v24
	v_add_co_ci_u32_e64 v23, null, v41, v23, vcc_lo
	v_pk_min_f16 v25, v63, v25
	v_pk_add_f16 v24, v59, v24
	v_pk_add_f16 v24, v24, v25
	v_add_f16_sdwa v24, v24, v24 dst_sel:DWORD dst_unused:UNUSED_PAD src0_sel:DWORD src1_sel:WORD_1
	v_add_f16_e32 v24, v24, v61
	flat_store_short v[22:23], v24
.LBB252_114:
	s_or_b32 exec_lo, exec_lo, s8
	v_add_nc_u32_e32 v40, 64, v68
	v_mad_i64_i32 v[22:23], null, v40, s14, 0
	v_mad_i64_i32 v[24:25], null, v40, s9, 0
	v_cmp_gt_i32_e64 s8, s13, v40
	v_lshlrev_b64 v[22:23], 1, v[22:23]
	s_and_b32 s15, s1, s8
	v_lshlrev_b64 v[24:25], 1, v[24:25]
	v_add_co_u32 v40, vcc_lo, s16, v22
	v_add_co_ci_u32_e64 v41, null, s17, v23, vcc_lo
	v_add_co_u32 v24, vcc_lo, s10, v24
	v_add_co_ci_u32_e64 v25, null, s11, v25, vcc_lo
	s_and_saveexec_b32 s12, s15
	s_cbranch_execnz .LBB252_122
; %bb.115:
	s_or_b32 exec_lo, exec_lo, s12
	s_and_b32 s15, s0, s8
	s_and_saveexec_b32 s12, s15
	s_cbranch_execnz .LBB252_126
.LBB252_116:
	s_or_b32 exec_lo, exec_lo, s12
	s_and_b32 s15, s2, s8
	s_and_saveexec_b32 s12, s15
	s_cbranch_execnz .LBB252_130
.LBB252_117:
	s_or_b32 exec_lo, exec_lo, s12
	s_and_b32 s15, s3, s8
	s_and_saveexec_b32 s12, s15
	s_cbranch_execnz .LBB252_134
.LBB252_118:
	s_or_b32 exec_lo, exec_lo, s12
	s_and_b32 s15, s4, s8
	s_and_saveexec_b32 s12, s15
	s_cbranch_execnz .LBB252_138
.LBB252_119:
	s_or_b32 exec_lo, exec_lo, s12
	s_and_b32 s15, s5, s8
	s_and_saveexec_b32 s12, s15
	s_cbranch_execnz .LBB252_142
.LBB252_120:
	s_or_b32 exec_lo, exec_lo, s12
	s_and_b32 s15, s6, s8
	s_and_saveexec_b32 s12, s15
	s_cbranch_execnz .LBB252_146
.LBB252_121:
	s_or_b32 exec_lo, exec_lo, s12
	s_and_b32 s12, s7, s8
	s_and_saveexec_b32 s8, s12
	s_cbranch_execnz .LBB252_150
	s_branch .LBB252_154
.LBB252_122:
	v_cmp_ne_u32_e32 vcc_lo, 1, v60
	v_lshlrev_b64 v[22:23], 1, v[0:1]
	s_cbranch_vccnz .LBB252_124
; %bb.123:
	v_add_co_u32 v61, vcc_lo, v40, v22
	v_add_co_ci_u32_e64 v62, null, v41, v23, vcc_lo
	flat_load_ushort v59, v[61:62]
	s_waitcnt vmcnt(0) lgkmcnt(0)
	v_mul_f16_e32 v59, v42, v59
	s_branch .LBB252_125
.LBB252_124:
	v_mov_b32_e32 v59, 0
.LBB252_125:
	v_pk_max_f16 v61, v2, v2
	v_pk_max_f16 v62, v18, v18
	;; [unrolled: 1-line block ×4, first 2 shown]
	v_add_co_u32 v22, vcc_lo, v24, v22
	v_pk_min_f16 v61, v62, v61
	v_add_co_ci_u32_e64 v23, null, v25, v23, vcc_lo
	v_pk_min_f16 v62, v64, v63
	v_pk_add_f16 v58, v58, v61
	v_pk_add_f16 v58, v58, v62
	v_add_f16_sdwa v58, v58, v58 dst_sel:DWORD dst_unused:UNUSED_PAD src0_sel:DWORD src1_sel:WORD_1
	v_add_f16_e32 v58, v58, v59
	flat_store_short v[22:23], v58
	s_or_b32 exec_lo, exec_lo, s12
	s_and_b32 s15, s0, s8
	s_and_saveexec_b32 s12, s15
	s_cbranch_execz .LBB252_116
.LBB252_126:
	v_cmp_ne_u32_e32 vcc_lo, 1, v60
	v_lshlrev_b64 v[22:23], 1, v[26:27]
	s_cbranch_vccnz .LBB252_128
; %bb.127:
	v_add_co_u32 v58, vcc_lo, v40, v22
	v_add_co_ci_u32_e64 v59, null, v41, v23, vcc_lo
	flat_load_ushort v58, v[58:59]
	s_waitcnt vmcnt(0) lgkmcnt(0)
	v_mul_f16_e32 v58, v42, v58
	s_branch .LBB252_129
.LBB252_128:
	v_mov_b32_e32 v58, 0
.LBB252_129:
	v_pk_max_f16 v59, v2, v2
	v_pk_max_f16 v61, v20, v20
	;; [unrolled: 1-line block ×4, first 2 shown]
	v_add_co_u32 v22, vcc_lo, v24, v22
	v_pk_min_f16 v59, v61, v59
	v_add_co_ci_u32_e64 v23, null, v25, v23, vcc_lo
	v_pk_min_f16 v61, v63, v62
	v_pk_add_f16 v57, v57, v59
	v_pk_add_f16 v57, v57, v61
	v_add_f16_sdwa v57, v57, v57 dst_sel:DWORD dst_unused:UNUSED_PAD src0_sel:DWORD src1_sel:WORD_1
	v_add_f16_e32 v57, v57, v58
	flat_store_short v[22:23], v57
	s_or_b32 exec_lo, exec_lo, s12
	s_and_b32 s15, s2, s8
	s_and_saveexec_b32 s12, s15
	s_cbranch_execz .LBB252_117
.LBB252_130:
	v_cmp_ne_u32_e32 vcc_lo, 1, v60
	v_lshlrev_b64 v[22:23], 1, v[28:29]
	s_cbranch_vccnz .LBB252_132
; %bb.131:
	v_add_co_u32 v57, vcc_lo, v40, v22
	v_add_co_ci_u32_e64 v58, null, v41, v23, vcc_lo
	flat_load_ushort v57, v[57:58]
	s_waitcnt vmcnt(0) lgkmcnt(0)
	v_mul_f16_e32 v57, v42, v57
	s_branch .LBB252_133
.LBB252_132:
	v_mov_b32_e32 v57, 0
.LBB252_133:
	v_pk_max_f16 v58, v2, v2
	v_pk_max_f16 v59, v14, v14
	;; [unrolled: 1-line block ×4, first 2 shown]
	v_add_co_u32 v22, vcc_lo, v24, v22
	v_pk_min_f16 v58, v59, v58
	v_add_co_ci_u32_e64 v23, null, v25, v23, vcc_lo
	v_pk_min_f16 v59, v62, v61
	v_pk_add_f16 v56, v56, v58
	v_pk_add_f16 v56, v56, v59
	v_add_f16_sdwa v56, v56, v56 dst_sel:DWORD dst_unused:UNUSED_PAD src0_sel:DWORD src1_sel:WORD_1
	v_add_f16_e32 v56, v56, v57
	flat_store_short v[22:23], v56
	s_or_b32 exec_lo, exec_lo, s12
	s_and_b32 s15, s3, s8
	s_and_saveexec_b32 s12, s15
	s_cbranch_execz .LBB252_118
.LBB252_134:
	v_cmp_ne_u32_e32 vcc_lo, 1, v60
	v_lshlrev_b64 v[22:23], 1, v[30:31]
	s_cbranch_vccnz .LBB252_136
; %bb.135:
	v_add_co_u32 v56, vcc_lo, v40, v22
	v_add_co_ci_u32_e64 v57, null, v41, v23, vcc_lo
	flat_load_ushort v56, v[56:57]
	s_waitcnt vmcnt(0) lgkmcnt(0)
	v_mul_f16_e32 v56, v42, v56
	s_branch .LBB252_137
.LBB252_136:
	v_mov_b32_e32 v56, 0
.LBB252_137:
	v_pk_max_f16 v57, v2, v2
	v_pk_max_f16 v58, v16, v16
	;; [unrolled: 1-line block ×4, first 2 shown]
	v_add_co_u32 v22, vcc_lo, v24, v22
	v_pk_min_f16 v57, v58, v57
	v_add_co_ci_u32_e64 v23, null, v25, v23, vcc_lo
	v_pk_min_f16 v58, v61, v59
	v_pk_add_f16 v55, v55, v57
	v_pk_add_f16 v55, v55, v58
	v_add_f16_sdwa v55, v55, v55 dst_sel:DWORD dst_unused:UNUSED_PAD src0_sel:DWORD src1_sel:WORD_1
	v_add_f16_e32 v55, v55, v56
	flat_store_short v[22:23], v55
	s_or_b32 exec_lo, exec_lo, s12
	s_and_b32 s15, s4, s8
	s_and_saveexec_b32 s12, s15
	s_cbranch_execz .LBB252_119
.LBB252_138:
	v_cmp_ne_u32_e32 vcc_lo, 1, v60
	v_lshlrev_b64 v[22:23], 1, v[32:33]
	s_cbranch_vccnz .LBB252_140
; %bb.139:
	v_add_co_u32 v55, vcc_lo, v40, v22
	v_add_co_ci_u32_e64 v56, null, v41, v23, vcc_lo
	flat_load_ushort v55, v[55:56]
	s_waitcnt vmcnt(0) lgkmcnt(0)
	v_mul_f16_e32 v55, v42, v55
	s_branch .LBB252_141
.LBB252_140:
	v_mov_b32_e32 v55, 0
.LBB252_141:
	v_pk_max_f16 v56, v2, v2
	v_pk_max_f16 v57, v10, v10
	;; [unrolled: 1-line block ×4, first 2 shown]
	v_add_co_u32 v22, vcc_lo, v24, v22
	v_pk_min_f16 v56, v57, v56
	v_add_co_ci_u32_e64 v23, null, v25, v23, vcc_lo
	v_pk_min_f16 v57, v59, v58
	v_pk_add_f16 v54, v54, v56
	v_pk_add_f16 v54, v54, v57
	v_add_f16_sdwa v54, v54, v54 dst_sel:DWORD dst_unused:UNUSED_PAD src0_sel:DWORD src1_sel:WORD_1
	v_add_f16_e32 v54, v54, v55
	flat_store_short v[22:23], v54
	s_or_b32 exec_lo, exec_lo, s12
	s_and_b32 s15, s5, s8
	s_and_saveexec_b32 s12, s15
	s_cbranch_execz .LBB252_120
.LBB252_142:
	v_cmp_ne_u32_e32 vcc_lo, 1, v60
	v_lshlrev_b64 v[22:23], 1, v[34:35]
	s_cbranch_vccnz .LBB252_144
; %bb.143:
	v_add_co_u32 v54, vcc_lo, v40, v22
	v_add_co_ci_u32_e64 v55, null, v41, v23, vcc_lo
	flat_load_ushort v54, v[54:55]
	s_waitcnt vmcnt(0) lgkmcnt(0)
	v_mul_f16_e32 v54, v42, v54
	s_branch .LBB252_145
.LBB252_144:
	v_mov_b32_e32 v54, 0
.LBB252_145:
	v_pk_max_f16 v55, v2, v2
	v_pk_max_f16 v56, v12, v12
	;; [unrolled: 1-line block ×4, first 2 shown]
	v_add_co_u32 v22, vcc_lo, v24, v22
	v_pk_min_f16 v55, v56, v55
	v_add_co_ci_u32_e64 v23, null, v25, v23, vcc_lo
	v_pk_min_f16 v56, v58, v57
	v_pk_add_f16 v53, v53, v55
	v_pk_add_f16 v53, v53, v56
	v_add_f16_sdwa v53, v53, v53 dst_sel:DWORD dst_unused:UNUSED_PAD src0_sel:DWORD src1_sel:WORD_1
	v_add_f16_e32 v53, v53, v54
	flat_store_short v[22:23], v53
	s_or_b32 exec_lo, exec_lo, s12
	s_and_b32 s15, s6, s8
	s_and_saveexec_b32 s12, s15
	s_cbranch_execz .LBB252_121
.LBB252_146:
	v_cmp_ne_u32_e32 vcc_lo, 1, v60
	v_lshlrev_b64 v[22:23], 1, v[36:37]
	s_cbranch_vccnz .LBB252_148
; %bb.147:
	v_add_co_u32 v53, vcc_lo, v40, v22
	v_add_co_ci_u32_e64 v54, null, v41, v23, vcc_lo
	flat_load_ushort v53, v[53:54]
	s_waitcnt vmcnt(0) lgkmcnt(0)
	v_mul_f16_e32 v53, v42, v53
	s_branch .LBB252_149
.LBB252_148:
	v_mov_b32_e32 v53, 0
.LBB252_149:
	v_pk_max_f16 v54, v2, v2
	v_pk_max_f16 v55, v6, v6
	;; [unrolled: 1-line block ×4, first 2 shown]
	v_add_co_u32 v22, vcc_lo, v24, v22
	v_pk_min_f16 v54, v55, v54
	v_add_co_ci_u32_e64 v23, null, v25, v23, vcc_lo
	v_pk_min_f16 v55, v57, v56
	v_pk_add_f16 v52, v52, v54
	v_pk_add_f16 v52, v52, v55
	v_add_f16_sdwa v52, v52, v52 dst_sel:DWORD dst_unused:UNUSED_PAD src0_sel:DWORD src1_sel:WORD_1
	v_add_f16_e32 v52, v52, v53
	flat_store_short v[22:23], v52
	s_or_b32 exec_lo, exec_lo, s12
	s_and_b32 s12, s7, s8
	s_and_saveexec_b32 s8, s12
	s_cbranch_execz .LBB252_154
.LBB252_150:
	v_cmp_ne_u32_e32 vcc_lo, 1, v60
	v_lshlrev_b64 v[22:23], 1, v[38:39]
	s_cbranch_vccnz .LBB252_152
; %bb.151:
	v_add_co_u32 v40, vcc_lo, v40, v22
	v_add_co_ci_u32_e64 v41, null, v41, v23, vcc_lo
	flat_load_ushort v40, v[40:41]
	s_waitcnt vmcnt(0) lgkmcnt(0)
	v_mul_f16_e32 v40, v42, v40
	s_branch .LBB252_153
.LBB252_152:
	v_mov_b32_e32 v40, 0
.LBB252_153:
	v_pk_max_f16 v2, v2, v2
	v_pk_max_f16 v41, v8, v8
	;; [unrolled: 1-line block ×4, first 2 shown]
	v_pk_min_f16 v2, v41, v2
	v_pk_min_f16 v3, v52, v3
	v_pk_add_f16 v2, v51, v2
	v_pk_add_f16 v2, v2, v3
	v_add_f16_sdwa v2, v2, v2 dst_sel:DWORD dst_unused:UNUSED_PAD src0_sel:DWORD src1_sel:WORD_1
	v_add_f16_e32 v40, v2, v40
	v_add_co_u32 v2, vcc_lo, v24, v22
	v_add_co_ci_u32_e64 v3, null, v25, v23, vcc_lo
	flat_store_short v[2:3], v40
.LBB252_154:
	s_or_b32 exec_lo, exec_lo, s8
	v_add_nc_u32_e32 v24, 0x60, v68
	v_mad_i64_i32 v[2:3], null, v24, s14, 0
	v_mad_i64_i32 v[22:23], null, v24, s9, 0
	v_cmp_gt_i32_e64 s8, s13, v24
	v_lshlrev_b64 v[2:3], 1, v[2:3]
	s_and_b32 s9, s1, s8
	v_lshlrev_b64 v[24:25], 1, v[22:23]
	v_add_co_u32 v22, vcc_lo, s16, v2
	v_add_co_ci_u32_e64 v23, null, s17, v3, vcc_lo
	v_add_co_u32 v2, vcc_lo, s10, v24
	v_add_co_ci_u32_e64 v3, null, s11, v25, vcc_lo
	s_and_saveexec_b32 s1, s9
	s_cbranch_execnz .LBB252_163
; %bb.155:
	s_or_b32 exec_lo, exec_lo, s1
	s_and_b32 s1, s0, s8
	s_and_saveexec_b32 s0, s1
	s_cbranch_execnz .LBB252_167
.LBB252_156:
	s_or_b32 exec_lo, exec_lo, s0
	s_and_b32 s1, s2, s8
	s_and_saveexec_b32 s0, s1
	s_cbranch_execnz .LBB252_171
.LBB252_157:
	s_or_b32 exec_lo, exec_lo, s0
	s_and_b32 s1, s3, s8
	s_and_saveexec_b32 s0, s1
	s_cbranch_execnz .LBB252_175
.LBB252_158:
	s_or_b32 exec_lo, exec_lo, s0
	s_and_b32 s1, s4, s8
	s_and_saveexec_b32 s0, s1
	s_cbranch_execnz .LBB252_179
.LBB252_159:
	s_or_b32 exec_lo, exec_lo, s0
	s_and_b32 s1, s5, s8
	s_and_saveexec_b32 s0, s1
	s_cbranch_execnz .LBB252_183
.LBB252_160:
	s_or_b32 exec_lo, exec_lo, s0
	s_and_b32 s1, s6, s8
	s_and_saveexec_b32 s0, s1
	s_cbranch_execnz .LBB252_187
.LBB252_161:
	s_or_b32 exec_lo, exec_lo, s0
	s_and_b32 s0, s7, s8
	s_and_saveexec_b32 s1, s0
	s_cbranch_execnz .LBB252_191
.LBB252_162:
	s_endpgm
.LBB252_163:
	v_cmp_ne_u32_e32 vcc_lo, 1, v60
	v_lshlrev_b64 v[0:1], 1, v[0:1]
	s_cbranch_vccnz .LBB252_165
; %bb.164:
	v_add_co_u32 v24, vcc_lo, v22, v0
	v_add_co_ci_u32_e64 v25, null, v23, v1, vcc_lo
	flat_load_ushort v24, v[24:25]
	s_waitcnt vmcnt(0) lgkmcnt(0)
	v_mul_f16_e32 v24, v42, v24
	s_branch .LBB252_166
.LBB252_165:
	v_mov_b32_e32 v24, 0
.LBB252_166:
	v_pk_max_f16 v25, v4, v4
	v_pk_max_f16 v18, v18, v18
	v_pk_max_f16 v40, v5, v5
	v_pk_max_f16 v19, v19, v19
	v_add_co_u32 v0, vcc_lo, v2, v0
	v_pk_min_f16 v18, v18, v25
	v_add_co_ci_u32_e64 v1, null, v3, v1, vcc_lo
	v_pk_min_f16 v19, v19, v40
	v_pk_add_f16 v18, v50, v18
	v_pk_add_f16 v18, v18, v19
	v_add_f16_sdwa v18, v18, v18 dst_sel:DWORD dst_unused:UNUSED_PAD src0_sel:DWORD src1_sel:WORD_1
	v_add_f16_e32 v18, v18, v24
	flat_store_short v[0:1], v18
	s_or_b32 exec_lo, exec_lo, s1
	s_and_b32 s1, s0, s8
	s_and_saveexec_b32 s0, s1
	s_cbranch_execz .LBB252_156
.LBB252_167:
	v_cmp_ne_u32_e32 vcc_lo, 1, v60
	v_lshlrev_b64 v[0:1], 1, v[26:27]
	s_cbranch_vccnz .LBB252_169
; %bb.168:
	v_add_co_u32 v18, vcc_lo, v22, v0
	v_add_co_ci_u32_e64 v19, null, v23, v1, vcc_lo
	flat_load_ushort v18, v[18:19]
	s_waitcnt vmcnt(0) lgkmcnt(0)
	v_mul_f16_e32 v18, v42, v18
	s_branch .LBB252_170
.LBB252_169:
	v_mov_b32_e32 v18, 0
.LBB252_170:
	v_pk_max_f16 v19, v4, v4
	v_pk_max_f16 v20, v20, v20
	;; [unrolled: 1-line block ×4, first 2 shown]
	v_add_co_u32 v0, vcc_lo, v2, v0
	v_pk_min_f16 v19, v20, v19
	v_add_co_ci_u32_e64 v1, null, v3, v1, vcc_lo
	v_pk_min_f16 v20, v21, v24
	v_pk_add_f16 v19, v49, v19
	v_pk_add_f16 v19, v19, v20
	v_add_f16_sdwa v19, v19, v19 dst_sel:DWORD dst_unused:UNUSED_PAD src0_sel:DWORD src1_sel:WORD_1
	v_add_f16_e32 v18, v19, v18
	flat_store_short v[0:1], v18
	s_or_b32 exec_lo, exec_lo, s0
	s_and_b32 s1, s2, s8
	s_and_saveexec_b32 s0, s1
	s_cbranch_execz .LBB252_157
.LBB252_171:
	v_cmp_ne_u32_e32 vcc_lo, 1, v60
	v_lshlrev_b64 v[0:1], 1, v[28:29]
	s_cbranch_vccnz .LBB252_173
; %bb.172:
	v_add_co_u32 v18, vcc_lo, v22, v0
	v_add_co_ci_u32_e64 v19, null, v23, v1, vcc_lo
	flat_load_ushort v18, v[18:19]
	s_waitcnt vmcnt(0) lgkmcnt(0)
	v_mul_f16_e32 v18, v42, v18
	s_branch .LBB252_174
.LBB252_173:
	v_mov_b32_e32 v18, 0
.LBB252_174:
	v_pk_max_f16 v19, v4, v4
	v_pk_max_f16 v14, v14, v14
	;; [unrolled: 1-line block ×4, first 2 shown]
	v_add_co_u32 v0, vcc_lo, v2, v0
	v_pk_min_f16 v14, v14, v19
	v_add_co_ci_u32_e64 v1, null, v3, v1, vcc_lo
	v_pk_min_f16 v15, v15, v20
	v_pk_add_f16 v14, v48, v14
	v_pk_add_f16 v14, v14, v15
	v_add_f16_sdwa v14, v14, v14 dst_sel:DWORD dst_unused:UNUSED_PAD src0_sel:DWORD src1_sel:WORD_1
	v_add_f16_e32 v14, v14, v18
	flat_store_short v[0:1], v14
	s_or_b32 exec_lo, exec_lo, s0
	s_and_b32 s1, s3, s8
	s_and_saveexec_b32 s0, s1
	s_cbranch_execz .LBB252_158
.LBB252_175:
	v_cmp_ne_u32_e32 vcc_lo, 1, v60
	v_lshlrev_b64 v[0:1], 1, v[30:31]
	s_cbranch_vccnz .LBB252_177
; %bb.176:
	v_add_co_u32 v14, vcc_lo, v22, v0
	v_add_co_ci_u32_e64 v15, null, v23, v1, vcc_lo
	flat_load_ushort v14, v[14:15]
	s_waitcnt vmcnt(0) lgkmcnt(0)
	v_mul_f16_e32 v14, v42, v14
	s_branch .LBB252_178
.LBB252_177:
	v_mov_b32_e32 v14, 0
.LBB252_178:
	v_pk_max_f16 v15, v4, v4
	v_pk_max_f16 v16, v16, v16
	;; [unrolled: 1-line block ×4, first 2 shown]
	v_add_co_u32 v0, vcc_lo, v2, v0
	v_pk_min_f16 v15, v16, v15
	v_add_co_ci_u32_e64 v1, null, v3, v1, vcc_lo
	v_pk_min_f16 v16, v17, v18
	v_pk_add_f16 v15, v47, v15
	v_pk_add_f16 v15, v15, v16
	v_add_f16_sdwa v15, v15, v15 dst_sel:DWORD dst_unused:UNUSED_PAD src0_sel:DWORD src1_sel:WORD_1
	v_add_f16_e32 v14, v15, v14
	flat_store_short v[0:1], v14
	s_or_b32 exec_lo, exec_lo, s0
	s_and_b32 s1, s4, s8
	s_and_saveexec_b32 s0, s1
	s_cbranch_execz .LBB252_159
.LBB252_179:
	v_cmp_ne_u32_e32 vcc_lo, 1, v60
	v_lshlrev_b64 v[0:1], 1, v[32:33]
	s_cbranch_vccnz .LBB252_181
; %bb.180:
	v_add_co_u32 v14, vcc_lo, v22, v0
	v_add_co_ci_u32_e64 v15, null, v23, v1, vcc_lo
	flat_load_ushort v14, v[14:15]
	s_waitcnt vmcnt(0) lgkmcnt(0)
	v_mul_f16_e32 v14, v42, v14
	s_branch .LBB252_182
.LBB252_181:
	v_mov_b32_e32 v14, 0
.LBB252_182:
	v_pk_max_f16 v15, v4, v4
	v_pk_max_f16 v10, v10, v10
	v_pk_max_f16 v16, v5, v5
	v_pk_max_f16 v11, v11, v11
	v_add_co_u32 v0, vcc_lo, v2, v0
	v_pk_min_f16 v10, v10, v15
	v_add_co_ci_u32_e64 v1, null, v3, v1, vcc_lo
	v_pk_min_f16 v11, v11, v16
	v_pk_add_f16 v10, v46, v10
	v_pk_add_f16 v10, v10, v11
	v_add_f16_sdwa v10, v10, v10 dst_sel:DWORD dst_unused:UNUSED_PAD src0_sel:DWORD src1_sel:WORD_1
	v_add_f16_e32 v10, v10, v14
	flat_store_short v[0:1], v10
	s_or_b32 exec_lo, exec_lo, s0
	s_and_b32 s1, s5, s8
	s_and_saveexec_b32 s0, s1
	s_cbranch_execz .LBB252_160
.LBB252_183:
	v_cmp_ne_u32_e32 vcc_lo, 1, v60
	v_lshlrev_b64 v[0:1], 1, v[34:35]
	s_cbranch_vccnz .LBB252_185
; %bb.184:
	v_add_co_u32 v10, vcc_lo, v22, v0
	v_add_co_ci_u32_e64 v11, null, v23, v1, vcc_lo
	flat_load_ushort v10, v[10:11]
	s_waitcnt vmcnt(0) lgkmcnt(0)
	v_mul_f16_e32 v10, v42, v10
	s_branch .LBB252_186
.LBB252_185:
	v_mov_b32_e32 v10, 0
.LBB252_186:
	v_pk_max_f16 v11, v4, v4
	v_pk_max_f16 v12, v12, v12
	v_pk_max_f16 v14, v5, v5
	v_pk_max_f16 v13, v13, v13
	v_add_co_u32 v0, vcc_lo, v2, v0
	v_pk_min_f16 v11, v12, v11
	v_add_co_ci_u32_e64 v1, null, v3, v1, vcc_lo
	v_pk_min_f16 v12, v13, v14
	v_pk_add_f16 v11, v45, v11
	v_pk_add_f16 v11, v11, v12
	v_add_f16_sdwa v11, v11, v11 dst_sel:DWORD dst_unused:UNUSED_PAD src0_sel:DWORD src1_sel:WORD_1
	v_add_f16_e32 v10, v11, v10
	flat_store_short v[0:1], v10
	s_or_b32 exec_lo, exec_lo, s0
	s_and_b32 s1, s6, s8
	s_and_saveexec_b32 s0, s1
	s_cbranch_execz .LBB252_161
.LBB252_187:
	v_cmp_ne_u32_e32 vcc_lo, 1, v60
	v_lshlrev_b64 v[0:1], 1, v[36:37]
	s_cbranch_vccnz .LBB252_189
; %bb.188:
	v_add_co_u32 v10, vcc_lo, v22, v0
	v_add_co_ci_u32_e64 v11, null, v23, v1, vcc_lo
	flat_load_ushort v10, v[10:11]
	s_waitcnt vmcnt(0) lgkmcnt(0)
	v_mul_f16_e32 v10, v42, v10
	s_branch .LBB252_190
.LBB252_189:
	v_mov_b32_e32 v10, 0
.LBB252_190:
	v_pk_max_f16 v11, v4, v4
	v_pk_max_f16 v6, v6, v6
	;; [unrolled: 1-line block ×4, first 2 shown]
	v_add_co_u32 v0, vcc_lo, v2, v0
	v_pk_min_f16 v6, v6, v11
	v_add_co_ci_u32_e64 v1, null, v3, v1, vcc_lo
	v_pk_min_f16 v7, v7, v12
	v_pk_add_f16 v6, v44, v6
	v_pk_add_f16 v6, v6, v7
	v_add_f16_sdwa v6, v6, v6 dst_sel:DWORD dst_unused:UNUSED_PAD src0_sel:DWORD src1_sel:WORD_1
	v_add_f16_e32 v6, v6, v10
	flat_store_short v[0:1], v6
	s_or_b32 exec_lo, exec_lo, s0
	s_and_b32 s0, s7, s8
	s_and_saveexec_b32 s1, s0
	s_cbranch_execz .LBB252_162
.LBB252_191:
	v_cmp_ne_u32_e32 vcc_lo, 1, v60
	v_lshlrev_b64 v[0:1], 1, v[38:39]
	s_cbranch_vccnz .LBB252_193
; %bb.192:
	v_add_co_u32 v6, vcc_lo, v22, v0
	v_add_co_ci_u32_e64 v7, null, v23, v1, vcc_lo
	flat_load_ushort v6, v[6:7]
	s_waitcnt vmcnt(0) lgkmcnt(0)
	v_mul_f16_e32 v6, v42, v6
	s_branch .LBB252_194
.LBB252_193:
	v_mov_b32_e32 v6, 0
.LBB252_194:
	v_pk_max_f16 v4, v4, v4
	v_pk_max_f16 v7, v8, v8
	;; [unrolled: 1-line block ×4, first 2 shown]
	v_add_co_u32 v0, vcc_lo, v2, v0
	v_pk_min_f16 v4, v7, v4
	v_add_co_ci_u32_e64 v1, null, v3, v1, vcc_lo
	v_pk_min_f16 v5, v8, v5
	v_pk_add_f16 v4, v43, v4
	v_pk_add_f16 v4, v4, v5
	v_add_f16_sdwa v4, v4, v4 dst_sel:DWORD dst_unused:UNUSED_PAD src0_sel:DWORD src1_sel:WORD_1
	v_add_f16_e32 v4, v4, v6
	flat_store_short v[0:1], v4
	s_endpgm
	.section	.rodata,"a",@progbits
	.p2align	6, 0x0
	.amdhsa_kernel _ZN12_GLOBAL__N_120geam_min_plus_kernelIDF16_Dv2_DF16_S1_Li8ELi32ELi64ELi128ELi4ELi4ELi64ELi64ELi4ELc84ELc84ELb0ELb1ELb0EPKDF16_KS3_KPDF16_EEviiiT16_PT17_ilS9_ilS7_S9_ilPT18_ili26rocblas_geam_ex_operation_
		.amdhsa_group_segment_fixed_size 3072
		.amdhsa_private_segment_fixed_size 0
		.amdhsa_kernarg_size 136
		.amdhsa_user_sgpr_count 6
		.amdhsa_user_sgpr_private_segment_buffer 1
		.amdhsa_user_sgpr_dispatch_ptr 0
		.amdhsa_user_sgpr_queue_ptr 0
		.amdhsa_user_sgpr_kernarg_segment_ptr 1
		.amdhsa_user_sgpr_dispatch_id 0
		.amdhsa_user_sgpr_flat_scratch_init 0
		.amdhsa_user_sgpr_private_segment_size 0
		.amdhsa_wavefront_size32 1
		.amdhsa_uses_dynamic_stack 0
		.amdhsa_system_sgpr_private_segment_wavefront_offset 0
		.amdhsa_system_sgpr_workgroup_id_x 1
		.amdhsa_system_sgpr_workgroup_id_y 0
		.amdhsa_system_sgpr_workgroup_id_z 1
		.amdhsa_system_sgpr_workgroup_info 0
		.amdhsa_system_vgpr_workitem_id 1
		.amdhsa_next_free_vgpr 120
		.amdhsa_next_free_sgpr 27
		.amdhsa_reserve_vcc 1
		.amdhsa_reserve_flat_scratch 0
		.amdhsa_float_round_mode_32 0
		.amdhsa_float_round_mode_16_64 0
		.amdhsa_float_denorm_mode_32 3
		.amdhsa_float_denorm_mode_16_64 3
		.amdhsa_dx10_clamp 1
		.amdhsa_ieee_mode 1
		.amdhsa_fp16_overflow 0
		.amdhsa_workgroup_processor_mode 1
		.amdhsa_memory_ordered 1
		.amdhsa_forward_progress 1
		.amdhsa_shared_vgpr_count 0
		.amdhsa_exception_fp_ieee_invalid_op 0
		.amdhsa_exception_fp_denorm_src 0
		.amdhsa_exception_fp_ieee_div_zero 0
		.amdhsa_exception_fp_ieee_overflow 0
		.amdhsa_exception_fp_ieee_underflow 0
		.amdhsa_exception_fp_ieee_inexact 0
		.amdhsa_exception_int_div_zero 0
	.end_amdhsa_kernel
	.section	.text._ZN12_GLOBAL__N_120geam_min_plus_kernelIDF16_Dv2_DF16_S1_Li8ELi32ELi64ELi128ELi4ELi4ELi64ELi64ELi4ELc84ELc84ELb0ELb1ELb0EPKDF16_KS3_KPDF16_EEviiiT16_PT17_ilS9_ilS7_S9_ilPT18_ili26rocblas_geam_ex_operation_,"axG",@progbits,_ZN12_GLOBAL__N_120geam_min_plus_kernelIDF16_Dv2_DF16_S1_Li8ELi32ELi64ELi128ELi4ELi4ELi64ELi64ELi4ELc84ELc84ELb0ELb1ELb0EPKDF16_KS3_KPDF16_EEviiiT16_PT17_ilS9_ilS7_S9_ilPT18_ili26rocblas_geam_ex_operation_,comdat
.Lfunc_end252:
	.size	_ZN12_GLOBAL__N_120geam_min_plus_kernelIDF16_Dv2_DF16_S1_Li8ELi32ELi64ELi128ELi4ELi4ELi64ELi64ELi4ELc84ELc84ELb0ELb1ELb0EPKDF16_KS3_KPDF16_EEviiiT16_PT17_ilS9_ilS7_S9_ilPT18_ili26rocblas_geam_ex_operation_, .Lfunc_end252-_ZN12_GLOBAL__N_120geam_min_plus_kernelIDF16_Dv2_DF16_S1_Li8ELi32ELi64ELi128ELi4ELi4ELi64ELi64ELi4ELc84ELc84ELb0ELb1ELb0EPKDF16_KS3_KPDF16_EEviiiT16_PT17_ilS9_ilS7_S9_ilPT18_ili26rocblas_geam_ex_operation_
                                        ; -- End function
	.set _ZN12_GLOBAL__N_120geam_min_plus_kernelIDF16_Dv2_DF16_S1_Li8ELi32ELi64ELi128ELi4ELi4ELi64ELi64ELi4ELc84ELc84ELb0ELb1ELb0EPKDF16_KS3_KPDF16_EEviiiT16_PT17_ilS9_ilS7_S9_ilPT18_ili26rocblas_geam_ex_operation_.num_vgpr, 120
	.set _ZN12_GLOBAL__N_120geam_min_plus_kernelIDF16_Dv2_DF16_S1_Li8ELi32ELi64ELi128ELi4ELi4ELi64ELi64ELi4ELc84ELc84ELb0ELb1ELb0EPKDF16_KS3_KPDF16_EEviiiT16_PT17_ilS9_ilS7_S9_ilPT18_ili26rocblas_geam_ex_operation_.num_agpr, 0
	.set _ZN12_GLOBAL__N_120geam_min_plus_kernelIDF16_Dv2_DF16_S1_Li8ELi32ELi64ELi128ELi4ELi4ELi64ELi64ELi4ELc84ELc84ELb0ELb1ELb0EPKDF16_KS3_KPDF16_EEviiiT16_PT17_ilS9_ilS7_S9_ilPT18_ili26rocblas_geam_ex_operation_.numbered_sgpr, 27
	.set _ZN12_GLOBAL__N_120geam_min_plus_kernelIDF16_Dv2_DF16_S1_Li8ELi32ELi64ELi128ELi4ELi4ELi64ELi64ELi4ELc84ELc84ELb0ELb1ELb0EPKDF16_KS3_KPDF16_EEviiiT16_PT17_ilS9_ilS7_S9_ilPT18_ili26rocblas_geam_ex_operation_.num_named_barrier, 0
	.set _ZN12_GLOBAL__N_120geam_min_plus_kernelIDF16_Dv2_DF16_S1_Li8ELi32ELi64ELi128ELi4ELi4ELi64ELi64ELi4ELc84ELc84ELb0ELb1ELb0EPKDF16_KS3_KPDF16_EEviiiT16_PT17_ilS9_ilS7_S9_ilPT18_ili26rocblas_geam_ex_operation_.private_seg_size, 0
	.set _ZN12_GLOBAL__N_120geam_min_plus_kernelIDF16_Dv2_DF16_S1_Li8ELi32ELi64ELi128ELi4ELi4ELi64ELi64ELi4ELc84ELc84ELb0ELb1ELb0EPKDF16_KS3_KPDF16_EEviiiT16_PT17_ilS9_ilS7_S9_ilPT18_ili26rocblas_geam_ex_operation_.uses_vcc, 1
	.set _ZN12_GLOBAL__N_120geam_min_plus_kernelIDF16_Dv2_DF16_S1_Li8ELi32ELi64ELi128ELi4ELi4ELi64ELi64ELi4ELc84ELc84ELb0ELb1ELb0EPKDF16_KS3_KPDF16_EEviiiT16_PT17_ilS9_ilS7_S9_ilPT18_ili26rocblas_geam_ex_operation_.uses_flat_scratch, 0
	.set _ZN12_GLOBAL__N_120geam_min_plus_kernelIDF16_Dv2_DF16_S1_Li8ELi32ELi64ELi128ELi4ELi4ELi64ELi64ELi4ELc84ELc84ELb0ELb1ELb0EPKDF16_KS3_KPDF16_EEviiiT16_PT17_ilS9_ilS7_S9_ilPT18_ili26rocblas_geam_ex_operation_.has_dyn_sized_stack, 0
	.set _ZN12_GLOBAL__N_120geam_min_plus_kernelIDF16_Dv2_DF16_S1_Li8ELi32ELi64ELi128ELi4ELi4ELi64ELi64ELi4ELc84ELc84ELb0ELb1ELb0EPKDF16_KS3_KPDF16_EEviiiT16_PT17_ilS9_ilS7_S9_ilPT18_ili26rocblas_geam_ex_operation_.has_recursion, 0
	.set _ZN12_GLOBAL__N_120geam_min_plus_kernelIDF16_Dv2_DF16_S1_Li8ELi32ELi64ELi128ELi4ELi4ELi64ELi64ELi4ELc84ELc84ELb0ELb1ELb0EPKDF16_KS3_KPDF16_EEviiiT16_PT17_ilS9_ilS7_S9_ilPT18_ili26rocblas_geam_ex_operation_.has_indirect_call, 0
	.section	.AMDGPU.csdata,"",@progbits
; Kernel info:
; codeLenInByte = 12116
; TotalNumSgprs: 29
; NumVgprs: 120
; ScratchSize: 0
; MemoryBound: 0
; FloatMode: 240
; IeeeMode: 1
; LDSByteSize: 3072 bytes/workgroup (compile time only)
; SGPRBlocks: 0
; VGPRBlocks: 14
; NumSGPRsForWavesPerEU: 29
; NumVGPRsForWavesPerEU: 120
; Occupancy: 8
; WaveLimiterHint : 1
; COMPUTE_PGM_RSRC2:SCRATCH_EN: 0
; COMPUTE_PGM_RSRC2:USER_SGPR: 6
; COMPUTE_PGM_RSRC2:TRAP_HANDLER: 0
; COMPUTE_PGM_RSRC2:TGID_X_EN: 1
; COMPUTE_PGM_RSRC2:TGID_Y_EN: 0
; COMPUTE_PGM_RSRC2:TGID_Z_EN: 1
; COMPUTE_PGM_RSRC2:TIDIG_COMP_CNT: 1
	.section	.text._ZN12_GLOBAL__N_120geam_min_plus_kernelIDF16_Dv2_DF16_S1_Li8ELi32ELi64ELi128ELi4ELi4ELi64ELi64ELi4ELc84ELc84ELb1ELb1ELb0EDF16_KPKDF16_KPDF16_EEviiiT16_PT17_ilS9_ilS7_S9_ilPT18_ili26rocblas_geam_ex_operation_,"axG",@progbits,_ZN12_GLOBAL__N_120geam_min_plus_kernelIDF16_Dv2_DF16_S1_Li8ELi32ELi64ELi128ELi4ELi4ELi64ELi64ELi4ELc84ELc84ELb1ELb1ELb0EDF16_KPKDF16_KPDF16_EEviiiT16_PT17_ilS9_ilS7_S9_ilPT18_ili26rocblas_geam_ex_operation_,comdat
	.globl	_ZN12_GLOBAL__N_120geam_min_plus_kernelIDF16_Dv2_DF16_S1_Li8ELi32ELi64ELi128ELi4ELi4ELi64ELi64ELi4ELc84ELc84ELb1ELb1ELb0EDF16_KPKDF16_KPDF16_EEviiiT16_PT17_ilS9_ilS7_S9_ilPT18_ili26rocblas_geam_ex_operation_ ; -- Begin function _ZN12_GLOBAL__N_120geam_min_plus_kernelIDF16_Dv2_DF16_S1_Li8ELi32ELi64ELi128ELi4ELi4ELi64ELi64ELi4ELc84ELc84ELb1ELb1ELb0EDF16_KPKDF16_KPDF16_EEviiiT16_PT17_ilS9_ilS7_S9_ilPT18_ili26rocblas_geam_ex_operation_
	.p2align	8
	.type	_ZN12_GLOBAL__N_120geam_min_plus_kernelIDF16_Dv2_DF16_S1_Li8ELi32ELi64ELi128ELi4ELi4ELi64ELi64ELi4ELc84ELc84ELb1ELb1ELb0EDF16_KPKDF16_KPDF16_EEviiiT16_PT17_ilS9_ilS7_S9_ilPT18_ili26rocblas_geam_ex_operation_,@function
_ZN12_GLOBAL__N_120geam_min_plus_kernelIDF16_Dv2_DF16_S1_Li8ELi32ELi64ELi128ELi4ELi4ELi64ELi64ELi4ELc84ELc84ELb1ELb1ELb0EDF16_KPKDF16_KPDF16_EEviiiT16_PT17_ilS9_ilS7_S9_ilPT18_ili26rocblas_geam_ex_operation_: ; @_ZN12_GLOBAL__N_120geam_min_plus_kernelIDF16_Dv2_DF16_S1_Li8ELi32ELi64ELi128ELi4ELi4ELi64ELi64ELi4ELc84ELc84ELb1ELb1ELb0EDF16_KPKDF16_KPDF16_EEviiiT16_PT17_ilS9_ilS7_S9_ilPT18_ili26rocblas_geam_ex_operation_
; %bb.0:
	s_clause 0x1
	s_load_dwordx4 s[12:15], s[4:5], 0x0
	s_load_dwordx4 s[0:3], s[4:5], 0x20
	s_mov_b32 s18, s7
	s_mov_b32 s19, 0
	s_waitcnt lgkmcnt(0)
	v_cmp_eq_f16_e64 s7, s15, 0
	s_and_b32 vcc_lo, exec_lo, s7
	s_cbranch_vccnz .LBB253_3
; %bb.1:
	s_load_dwordx2 s[8:9], s[4:5], 0x10
	s_lshl_b64 s[10:11], s[18:19], 3
	s_waitcnt lgkmcnt(0)
	s_add_u32 s8, s8, s10
	s_addc_u32 s9, s9, s11
	s_lshl_b64 s[0:1], s[0:1], 1
	s_load_dwordx2 s[8:9], s[8:9], 0x0
	s_waitcnt lgkmcnt(0)
	s_add_u32 s8, s8, s0
	s_addc_u32 s9, s9, s1
	s_andn2_b32 vcc_lo, exec_lo, s7
	s_cbranch_vccnz .LBB253_4
.LBB253_2:
	s_mov_b32 s21, 0
	s_mov_b32 s20, s18
	;; [unrolled: 1-line block ×3, first 2 shown]
	s_mov_b64 s[10:11], 0
	s_andn2_b32 vcc_lo, exec_lo, s0
	s_mov_b64 s[16:17], 0
	s_cbranch_vccz .LBB253_5
	s_branch .LBB253_6
.LBB253_3:
	s_mov_b64 s[8:9], 0
	s_andn2_b32 vcc_lo, exec_lo, s7
	s_cbranch_vccz .LBB253_2
.LBB253_4:
	s_mov_b64 s[20:21], s[18:19]
	s_mov_b64 s[10:11], 0
	;; [unrolled: 1-line block ×3, first 2 shown]
.LBB253_5:
	s_lshl_b64 s[0:1], s[18:19], 3
	s_load_dwordx2 s[16:17], s[4:5], 0x38
	s_add_u32 s0, s2, s0
	s_addc_u32 s1, s3, s1
	s_load_dwordx2 s[0:1], s[0:1], 0x0
	s_waitcnt lgkmcnt(0)
	s_lshl_b64 s[2:3], s[16:17], 1
	s_add_u32 s16, s0, s2
	s_addc_u32 s17, s1, s3
.LBB253_6:
	s_clause 0x1
	s_load_dword s15, s[4:5], 0x40
	s_load_dwordx4 s[0:3], s[4:5], 0x58
	s_waitcnt lgkmcnt(0)
	v_cmp_eq_f16_e64 s7, s15, 0
	v_cmp_neq_f16_e64 s22, s15, 0
	s_and_b32 vcc_lo, exec_lo, s7
	s_cbranch_vccnz .LBB253_8
; %bb.7:
	s_load_dwordx2 s[10:11], s[4:5], 0x48
	s_lshl_b64 s[18:19], s[20:21], 3
	s_waitcnt lgkmcnt(0)
	s_add_u32 s10, s10, s18
	s_addc_u32 s11, s11, s19
	s_lshl_b64 s[0:1], s[0:1], 1
	s_load_dwordx2 s[10:11], s[10:11], 0x0
	s_waitcnt lgkmcnt(0)
	s_add_u32 s10, s10, s0
	s_addc_u32 s11, s11, s1
.LBB253_8:
	s_lshl_b64 s[0:1], s[20:21], 3
	s_load_dword s25, s[4:5], 0x18
	s_add_u32 s20, s2, s0
	s_addc_u32 s21, s3, s1
	s_add_i32 s0, s12, -1
	v_and_b32_e32 v32, 3, v0
	s_ashr_i32 s1, s0, 31
	v_mov_b32_e32 v10, 0
	s_lshr_b32 s1, s1, 26
	v_mov_b32_e32 v11, 0
	s_add_i32 s0, s0, s1
	v_cmp_gt_i32_e32 vcc_lo, s14, v32
	s_ashr_i32 s0, s0, 6
	v_lshlrev_b32_e32 v4, 1, v32
	s_add_i32 s1, s0, 1
	s_not_b32 s0, s0
	v_cvt_f32_u32_e32 v2, s1
	v_rcp_iflag_f32_e32 v2, v2
	v_mul_f32_e32 v2, 0x4f7ffffe, v2
	v_cvt_u32_f32_e32 v2, v2
	v_readfirstlane_b32 s2, v2
	v_lshl_add_u32 v2, v1, 3, v0
	s_mul_i32 s0, s0, s2
	v_lshrrev_b32_e32 v8, 2, v2
	s_mul_hi_u32 s0, s2, s0
	s_add_i32 s2, s2, s0
	s_mul_hi_u32 s0, s6, s2
	s_mul_i32 s2, s0, s1
	s_add_i32 s3, s0, 1
	s_sub_i32 s2, s6, s2
	s_sub_i32 s7, s2, s1
	s_cmp_ge_u32 s2, s1
	s_cselect_b32 s0, s3, s0
	s_cselect_b32 s2, s7, s2
	s_add_i32 s3, s0, 1
	s_cmp_ge_u32 s2, s1
	s_cselect_b32 s2, s3, s0
	s_mul_i32 s0, s2, s1
	s_sub_i32 s0, s6, s0
	s_lshl_b32 s3, s0, 6
	v_add_nc_u32_e32 v5, s3, v8
	v_cmp_gt_i32_e64 s0, s12, v5
	v_cmp_le_i32_e64 s1, s12, v5
	s_and_b32 s6, vcc_lo, s0
	s_and_saveexec_b32 s0, s6
	s_cbranch_execz .LBB253_10
; %bb.9:
	s_waitcnt lgkmcnt(0)
	v_mad_i64_i32 v[6:7], null, v5, s25, 0
	v_lshlrev_b64 v[6:7], 1, v[6:7]
	v_add_co_u32 v3, vcc_lo, s8, v6
	v_add_co_ci_u32_e64 v7, null, s9, v7, vcc_lo
	v_add_co_u32 v6, vcc_lo, v3, v4
	v_add_co_ci_u32_e64 v7, null, 0, v7, vcc_lo
	flat_load_ushort v11, v[6:7]
.LBB253_10:
	s_or_b32 exec_lo, exec_lo, s0
	s_load_dword s18, s[4:5], 0x30
	v_lshrrev_b32_e32 v33, 6, v2
	v_and_b32_e32 v12, 63, v2
	s_lshl_b32 s23, s2, 7
	v_cmp_le_i32_e64 s2, s14, v33
	v_or_b32_e32 v2, s23, v12
	v_cmp_le_i32_e32 vcc_lo, s13, v2
	v_ashrrev_i32_e32 v3, 31, v2
	s_waitcnt lgkmcnt(0)
	v_mad_i64_i32 v[6:7], null, s18, v33, 0
	s_ashr_i32 s19, s18, 31
	v_lshlrev_b64 v[13:14], 1, v[6:7]
	v_add_co_u32 v7, s0, s16, v13
	v_add_co_ci_u32_e64 v9, null, s17, v14, s0
	s_nor_b32 s0, vcc_lo, s2
	s_and_saveexec_b32 s6, s0
	s_cbranch_execz .LBB253_12
; %bb.11:
	v_lshlrev_b64 v[13:14], 1, v[2:3]
	v_add_co_u32 v13, s0, v7, v13
	v_add_co_ci_u32_e64 v14, null, v9, v14, s0
	flat_load_ushort v10, v[13:14]
.LBB253_12:
	s_or_b32 exec_lo, exec_lo, s6
	v_or_b32_e32 v6, 64, v2
	v_mov_b32_e32 v13, 0
	v_cmp_le_i32_e64 s0, s13, v6
	v_mov_b32_e32 v6, 0
	s_nor_b32 s2, s0, s2
	s_and_saveexec_b32 s6, s2
	s_cbranch_execz .LBB253_14
; %bb.13:
	v_lshlrev_b64 v[13:14], 1, v[2:3]
	v_add_co_u32 v13, s2, v7, v13
	v_add_co_ci_u32_e64 v14, null, v9, v14, s2
	flat_load_ushort v13, v[13:14] offset:128
.LBB253_14:
	s_or_b32 exec_lo, exec_lo, s6
	v_or_b32_e32 v7, 4, v32
	s_xor_b32 s24, s1, -1
	v_cmp_gt_i32_e64 s2, s14, v7
	s_and_b32 s1, s2, s24
	s_and_saveexec_b32 s2, s1
	s_cbranch_execz .LBB253_16
; %bb.15:
	v_mad_i64_i32 v[6:7], null, v5, s25, 0
	v_lshlrev_b64 v[6:7], 1, v[6:7]
	v_add_co_u32 v6, s1, s8, v6
	v_add_co_ci_u32_e64 v7, null, s9, v7, s1
	v_add_co_u32 v6, s1, v6, v4
	v_add_co_ci_u32_e64 v7, null, 0, v7, s1
	flat_load_ushort v6, v[6:7] offset:8
.LBB253_16:
	s_or_b32 exec_lo, exec_lo, s2
	v_add_nc_u32_e32 v9, 4, v33
	v_mad_u64_u32 v[14:15], null, s18, v9, 0
	v_cmp_le_i32_e64 s1, s14, v9
	v_mov_b32_e32 v7, v15
	v_mad_u64_u32 v[15:16], null, s19, v9, v[7:8]
	v_mov_b32_e32 v7, 0
	v_mov_b32_e32 v9, 0
	v_lshlrev_b64 v[14:15], 1, v[14:15]
	v_add_co_u32 v14, s2, s16, v14
	v_add_co_ci_u32_e64 v15, null, s17, v15, s2
	s_nor_b32 s2, vcc_lo, s1
	s_and_saveexec_b32 s6, s2
	s_cbranch_execz .LBB253_18
; %bb.17:
	v_lshlrev_b64 v[16:17], 1, v[2:3]
	v_add_co_u32 v16, s2, v14, v16
	v_add_co_ci_u32_e64 v17, null, v15, v17, s2
	flat_load_ushort v9, v[16:17]
.LBB253_18:
	s_or_b32 exec_lo, exec_lo, s6
	s_nor_b32 s1, s0, s1
	s_and_saveexec_b32 s2, s1
	s_cbranch_execz .LBB253_20
; %bb.19:
	v_lshlrev_b64 v[16:17], 1, v[2:3]
	v_add_co_u32 v14, s1, v14, v16
	v_add_co_ci_u32_e64 v15, null, v15, v17, s1
	flat_load_ushort v7, v[14:15] offset:128
.LBB253_20:
	s_or_b32 exec_lo, exec_lo, s2
	v_lshlrev_b32_e32 v12, 3, v12
	v_lshlrev_b32_e32 v35, 3, v0
	v_lshl_or_b32 v8, v8, 3, v4
	v_lshlrev_b32_e32 v34, 3, v1
	s_load_dwordx2 s[6:7], s[20:21], 0x0
	v_lshl_add_u32 v36, v33, 1, v12
	v_add_nc_u32_e32 v30, 0x800, v35
	s_waitcnt vmcnt(0)
	ds_write_b16 v8, v11 offset:2048
	s_mov_b32 s20, 0
	s_cmp_lt_i32 s14, 9
	s_waitcnt lgkmcnt(0)
	ds_write_b16 v36, v10
	ds_write_b16 v36, v13 offset:512
	s_waitcnt lgkmcnt(0)
	s_barrier
	buffer_gl0_inv
	ds_read2_b64 v[10:13], v34 offset1:32
	ds_read2_b64 v[14:17], v30 offset0:48 offset1:56
	ds_read2_b64 v[18:21], v34 offset0:64 offset1:96
	ds_read2_b64 v[22:25], v30 offset1:8
	ds_read2_b64 v[26:29], v30 offset0:16 offset1:24
	ds_read2_b64 v[37:40], v30 offset0:32 offset1:40
	ds_write_b16 v8, v6 offset:2560
	ds_write_b16 v36, v9 offset:1024
	;; [unrolled: 1-line block ×3, first 2 shown]
	s_waitcnt lgkmcnt(0)
	s_barrier
	buffer_gl0_inv
	v_pk_max_f16 v10, v10, v10
	v_pk_max_f16 v16, v16, v16
	;; [unrolled: 1-line block ×6, first 2 shown]
	v_pk_min_f16 v30, v16, v10
	v_pk_max_f16 v22, v22, v22
	v_pk_max_f16 v20, v20, v20
	;; [unrolled: 1-line block ×4, first 2 shown]
	v_pk_min_f16 v31, v16, v12
	v_pk_max_f16 v28, v28, v28
	v_pk_max_f16 v37, v37, v37
	;; [unrolled: 1-line block ×5, first 2 shown]
	v_pk_add_f16 v30, v30, 0
	v_pk_min_f16 v50, v17, v11
	v_pk_min_f16 v41, v16, v18
	;; [unrolled: 1-line block ×19, first 2 shown]
	v_pk_max_f16 v19, v19, v19
	v_pk_max_f16 v21, v21, v21
	v_pk_min_f16 v56, v37, v12
	v_pk_min_f16 v59, v37, v18
	v_pk_max_f16 v23, v23, v23
	v_pk_min_f16 v37, v37, v20
	v_pk_min_f16 v60, v39, v10
	;; [unrolled: 1-line block ×10, first 2 shown]
	v_pk_add_f16 v68, v30, v50
	v_pk_add_f16 v20, v31, 0
	v_pk_min_f16 v30, v17, v13
	v_pk_max_f16 v25, v25, v25
	v_pk_add_f16 v42, v42, 0
	v_pk_min_f16 v57, v23, v11
	v_pk_min_f16 v63, v23, v13
	;; [unrolled: 1-line block ×3, first 2 shown]
	v_pk_add_f16 v58, v20, v30
	v_pk_add_f16 v20, v22, 0
	v_pk_min_f16 v23, v23, v21
	v_pk_add_f16 v70, v42, v57
	v_pk_add_f16 v22, v45, 0
	;; [unrolled: 1-line block ×5, first 2 shown]
	v_pk_min_f16 v20, v25, v11
	v_pk_min_f16 v41, v17, v19
	v_pk_add_f16 v30, v46, 0
	v_pk_max_f16 v27, v27, v27
	v_pk_add_f16 v43, v43, 0
	v_pk_add_f16 v69, v22, v20
	v_pk_min_f16 v20, v25, v13
	v_pk_add_f16 v50, v31, v41
	v_pk_add_f16 v31, v47, 0
	;; [unrolled: 1-line block ×3, first 2 shown]
	v_pk_max_f16 v29, v29, v29
	v_pk_add_f16 v65, v30, v20
	v_pk_min_f16 v20, v25, v19
	v_pk_min_f16 v25, v25, v21
	v_pk_add_f16 v44, v44, 0
	v_pk_add_f16 v66, v43, v63
	;; [unrolled: 1-line block ×7, first 2 shown]
	v_pk_min_f16 v20, v27, v11
	v_pk_min_f16 v24, v27, v13
	v_pk_add_f16 v57, v44, v64
	v_pk_add_f16 v26, v26, 0
	;; [unrolled: 1-line block ×5, first 2 shown]
	v_pk_min_f16 v20, v27, v19
	v_pk_min_f16 v24, v27, v21
	;; [unrolled: 1-line block ×3, first 2 shown]
	v_pk_add_f16 v44, v53, 0
	v_pk_add_f16 v45, v54, 0
	;; [unrolled: 1-line block ×8, first 2 shown]
	v_pk_min_f16 v20, v29, v13
	v_pk_min_f16 v23, v29, v19
	;; [unrolled: 1-line block ×3, first 2 shown]
	v_pk_max_f16 v26, v38, v38
	v_pk_add_f16 v52, v59, 0
	v_pk_add_f16 v63, v44, v20
	;; [unrolled: 1-line block ×4, first 2 shown]
	v_pk_min_f16 v20, v26, v11
	v_pk_min_f16 v23, v26, v13
	;; [unrolled: 1-line block ×3, first 2 shown]
	v_pk_max_f16 v27, v40, v40
	v_pk_max_f16 v15, v15, v15
	v_pk_add_f16 v59, v37, 0
	v_pk_add_f16 v30, v60, 0
	;; [unrolled: 1-line block ×9, first 2 shown]
	v_pk_min_f16 v26, v26, v21
	v_pk_add_f16 v37, v22, v20
	v_pk_add_f16 v62, v51, v23
	;; [unrolled: 1-line block ×3, first 2 shown]
	v_pk_min_f16 v20, v27, v11
	v_pk_min_f16 v22, v27, v13
	v_pk_min_f16 v23, v27, v19
	v_pk_min_f16 v24, v27, v21
	v_pk_min_f16 v11, v15, v11
	v_pk_min_f16 v13, v15, v13
	v_pk_min_f16 v19, v15, v19
	v_pk_min_f16 v15, v15, v21
	v_pk_min_f16 v17, v17, v21
	v_pk_add_f16 v45, v59, v26
	v_pk_add_f16 v38, v30, v20
	v_pk_add_f16 v61, v60, v22
	v_pk_add_f16 v52, v67, v23
	v_pk_add_f16 v44, v25, v24
	v_pk_add_f16 v40, v10, v11
	v_pk_add_f16 v60, v12, v13
	v_pk_add_f16 v51, v18, v19
	v_pk_add_f16 v43, v14, v15
	v_pk_add_f16 v42, v16, v17
	s_cbranch_scc1 .LBB253_35
; %bb.21:
	v_mad_i64_i32 v[5:6], null, s25, v5, 0
	v_add_nc_u32_e32 v7, 8, v33
	v_lshlrev_b64 v[2:3], 1, v[2:3]
	v_add_nc_u32_e32 v59, 0x800, v8
	v_add_nc_u32_e32 v71, 0xa00, v8
	v_or_b32_e32 v67, 0x800, v35
	v_mad_i64_i32 v[9:10], null, v7, s18, 0
	v_lshlrev_b64 v[5:6], 1, v[5:6]
	v_add_nc_u32_e32 v7, 12, v33
	v_add_nc_u32_e32 v72, 0x400, v36
	v_lshl_add_u32 v73, v0, 3, 0xa00
	v_lshl_add_u32 v74, v1, 3, 0x400
	v_add_co_u32 v4, s1, v5, v4
	v_add_co_ci_u32_e64 v5, null, 0, v6, s1
	v_mad_i64_i32 v[7:8], null, v7, s18, 0
	v_add_co_u32 v75, s1, s16, v2
	v_add_co_ci_u32_e64 v76, null, s17, v3, s1
	v_add_co_u32 v2, s1, s8, v4
	v_add_co_ci_u32_e64 v3, null, s9, v5, s1
	v_lshlrev_b64 v[26:27], 1, v[9:10]
	v_add_co_u32 v30, s1, v2, 24
	v_lshlrev_b64 v[28:29], 1, v[7:8]
	v_add_co_ci_u32_e64 v31, null, 0, v3, s1
	s_add_i32 s16, s14, -8
	s_lshl_b64 s[8:9], s[18:19], 4
	s_branch .LBB253_23
.LBB253_22:                             ;   in Loop: Header=BB253_23 Depth=1
	s_or_b32 exec_lo, exec_lo, s2
	v_pk_max_f16 v4, v4, v4
	v_pk_max_f16 v22, v22, v22
	;; [unrolled: 1-line block ×7, first 2 shown]
	v_pk_min_f16 v80, v4, v22
	v_pk_min_f16 v81, v4, v24
	;; [unrolled: 1-line block ×3, first 2 shown]
	v_pk_max_f16 v20, v20, v20
	v_pk_max_f16 v12, v12, v12
	v_pk_min_f16 v89, v10, v22
	v_pk_min_f16 v90, v10, v24
	;; [unrolled: 1-line block ×4, first 2 shown]
	v_pk_max_f16 v6, v6, v6
	v_pk_max_f16 v23, v23, v23
	;; [unrolled: 1-line block ×15, first 2 shown]
	v_pk_min_f16 v83, v18, v22
	v_pk_min_f16 v84, v18, v24
	;; [unrolled: 1-line block ×55, first 2 shown]
	v_pk_add_f16 v3, v68, v80
	v_pk_add_f16 v5, v58, v81
	;; [unrolled: 1-line block ×4, first 2 shown]
	v_pk_min_f16 v19, v19, v17
	v_pk_min_f16 v21, v21, v17
	v_pk_add_f16 v17, v70, v83
	v_pk_add_f16 v47, v63, v93
	;; [unrolled: 1-line block ×13, first 2 shown]
	ds_read2_b64 v[2:5], v67 offset0:48 offset1:56
	ds_read2_b64 v[6:9], v34 offset1:32
	v_pk_add_f16 v68, v10, v11
	ds_read2_b64 v[10:13], v34 offset0:64 offset1:96
	v_pk_add_f16 v20, v48, v20
	v_pk_add_f16 v48, v64, v90
	;; [unrolled: 1-line block ×3, first 2 shown]
	ds_read2_b64 v[14:17], v67 offset1:8
	v_pk_add_f16 v18, v49, v18
	v_pk_add_f16 v50, v66, v84
	;; [unrolled: 1-line block ×9, first 2 shown]
	ds_read2_b64 v[18:21], v67 offset0:16 offset1:24
	v_pk_add_f16 v50, v50, v101
	v_pk_add_f16 v57, v57, v102
	s_waitcnt lgkmcnt(4)
	v_pk_max_f16 v4, v4, v4
	s_waitcnt lgkmcnt(3)
	v_pk_max_f16 v6, v6, v6
	v_pk_max_f16 v8, v8, v8
	s_waitcnt lgkmcnt(2)
	v_pk_max_f16 v10, v10, v10
	v_pk_add_f16 v41, v41, v89
	v_pk_add_f16 v49, v49, v103
	v_pk_min_f16 v22, v4, v6
	v_pk_min_f16 v23, v4, v8
	v_pk_min_f16 v24, v4, v10
	s_waitcnt lgkmcnt(1)
	v_pk_max_f16 v14, v14, v14
	v_pk_max_f16 v16, v16, v16
	v_pk_add_f16 v51, v51, v22
	v_pk_add_f16 v60, v60, v23
	v_pk_add_f16 v63, v63, v24
	v_pk_min_f16 v22, v14, v6
	v_pk_min_f16 v23, v14, v8
	;; [unrolled: 1-line block ×3, first 2 shown]
	s_waitcnt lgkmcnt(0)
	v_pk_max_f16 v18, v18, v18
	v_pk_add_f16 v56, v56, v88
	v_pk_add_f16 v64, v64, v22
	;; [unrolled: 1-line block ×4, first 2 shown]
	ds_read2_b64 v[22:25], v67 offset0:32 offset1:40
	v_pk_min_f16 v50, v16, v6
	v_pk_add_f16 v41, v41, v106
	v_pk_max_f16 v20, v20, v20
	v_pk_add_f16 v37, v37, v95
	v_pk_add_f16 v56, v56, v105
	;; [unrolled: 1-line block ×3, first 2 shown]
	v_pk_min_f16 v49, v18, v6
	v_pk_add_f16 v48, v48, v107
	v_pk_add_f16 v47, v47, v110
	v_pk_max_f16 v12, v12, v12
	v_pk_min_f16 v81, v16, v10
	v_pk_min_f16 v50, v18, v8
	v_pk_add_f16 v41, v41, v49
	v_pk_min_f16 v49, v20, v8
	v_pk_add_f16 v39, v39, v92
	v_pk_add_f16 v62, v62, v96
	;; [unrolled: 1-line block ×4, first 2 shown]
	v_pk_min_f16 v14, v14, v12
	s_waitcnt lgkmcnt(0)
	v_pk_max_f16 v22, v22, v22
	v_pk_add_f16 v56, v56, v81
	v_pk_add_f16 v81, v48, v50
	v_pk_min_f16 v48, v20, v6
	v_pk_min_f16 v50, v20, v10
	;; [unrolled: 1-line block ×3, first 2 shown]
	v_pk_add_f16 v83, v47, v49
	v_pk_min_f16 v47, v22, v6
	v_pk_add_f16 v58, v58, v104
	v_pk_add_f16 v39, v39, v109
	;; [unrolled: 1-line block ×5, first 2 shown]
	v_pk_min_f16 v65, v16, v8
	v_pk_add_f16 v20, v46, v20
	v_pk_min_f16 v46, v22, v8
	v_pk_max_f16 v24, v24, v24
	v_pk_add_f16 v37, v37, v47
	v_pk_min_f16 v47, v22, v10
	v_pk_min_f16 v22, v22, v12
	v_pk_max_f16 v2, v2, v2
	v_pk_max_f16 v5, v5, v5
	;; [unrolled: 1-line block ×3, first 2 shown]
	v_pk_add_f16 v55, v55, v91
	v_pk_add_f16 v54, v54, v94
	;; [unrolled: 1-line block ×4, first 2 shown]
	v_pk_min_f16 v16, v16, v12
	v_pk_add_f16 v65, v58, v65
	v_pk_min_f16 v58, v18, v10
	v_pk_min_f16 v18, v18, v12
	v_pk_add_f16 v39, v39, v48
	v_pk_add_f16 v62, v62, v46
	v_pk_min_f16 v46, v24, v6
	v_pk_min_f16 v48, v24, v8
	v_pk_add_f16 v22, v45, v22
	v_pk_min_f16 v45, v24, v10
	v_pk_min_f16 v24, v24, v12
	;; [unrolled: 1-line block ×6, first 2 shown]
	v_pk_max_f16 v9, v9, v9
	v_pk_min_f16 v4, v4, v12
	v_pk_max_f16 v11, v11, v11
	v_pk_min_f16 v12, v5, v7
	v_pk_add_f16 v55, v55, v108
	v_pk_add_f16 v54, v54, v111
	;; [unrolled: 1-line block ×4, first 2 shown]
	v_pk_min_f16 v40, v5, v9
	v_pk_add_f16 v4, v42, v4
	v_pk_min_f16 v42, v5, v11
	v_pk_max_f16 v15, v15, v15
	v_pk_add_f16 v68, v51, v12
	v_pk_max_f16 v12, v13, v13
	v_pk_add_f16 v61, v61, v99
	v_pk_add_f16 v55, v55, v58
	;; [unrolled: 1-line block ×5, first 2 shown]
	v_pk_min_f16 v13, v15, v7
	v_pk_min_f16 v40, v15, v9
	;; [unrolled: 1-line block ×4, first 2 shown]
	v_pk_max_f16 v17, v17, v17
	v_pk_add_f16 v53, v53, v97
	v_pk_add_f16 v61, v61, v118
	;; [unrolled: 1-line block ×6, first 2 shown]
	v_pk_min_f16 v13, v17, v7
	v_pk_min_f16 v14, v17, v9
	;; [unrolled: 1-line block ×4, first 2 shown]
	v_pk_max_f16 v19, v19, v19
	v_pk_add_f16 v38, v38, v98
	v_pk_add_f16 v53, v53, v115
	;; [unrolled: 1-line block ×8, first 2 shown]
	v_pk_min_f16 v13, v19, v7
	v_pk_min_f16 v14, v19, v9
	;; [unrolled: 1-line block ×4, first 2 shown]
	v_pk_max_f16 v17, v21, v21
	v_pk_add_f16 v52, v52, v100
	v_pk_add_f16 v38, v38, v117
	;; [unrolled: 1-line block ×7, first 2 shown]
	v_pk_min_f16 v13, v17, v7
	v_pk_min_f16 v14, v17, v9
	;; [unrolled: 1-line block ×4, first 2 shown]
	v_pk_max_f16 v17, v23, v23
	v_pk_add_f16 v52, v52, v119
	v_pk_add_f16 v44, v44, v120
	;; [unrolled: 1-line block ×8, first 2 shown]
	v_pk_min_f16 v13, v17, v7
	v_pk_min_f16 v14, v17, v9
	;; [unrolled: 1-line block ×4, first 2 shown]
	v_pk_max_f16 v17, v25, v25
	v_pk_max_f16 v3, v3, v3
	v_pk_add_f16 v52, v52, v45
	v_pk_add_f16 v24, v44, v24
	;; [unrolled: 1-line block ×7, first 2 shown]
	v_pk_min_f16 v13, v17, v7
	v_pk_min_f16 v14, v17, v9
	;; [unrolled: 1-line block ×9, first 2 shown]
	v_add_co_u32 v75, s1, v75, s8
	v_add_co_ci_u32_e64 v76, null, s9, v76, s1
	v_add_co_u32 v30, s1, v30, 16
	v_pk_add_f16 v66, v80, v40
	v_pk_add_f16 v57, v57, v42
	;; [unrolled: 1-line block ×11, first 2 shown]
	v_add_co_ci_u32_e64 v31, null, 0, v31, s1
	s_add_i32 s20, s20, 8
	s_waitcnt vmcnt(0)
	ds_write_b16 v71, v77
	ds_write_b16 v72, v78
	ds_write_b16 v72, v79 offset:512
	s_cmp_ge_i32 s20, s16
	s_waitcnt lgkmcnt(0)
	s_barrier
	buffer_gl0_inv
	s_cbranch_scc1 .LBB253_35
.LBB253_23:                             ; =>This Inner Loop Header: Depth=1
	v_add_nc_u32_e32 v77, s20, v32
	v_mov_b32_e32 v78, 0
	v_add_nc_u32_e32 v2, 8, v77
	v_cmp_gt_i32_e64 s1, s14, v2
	s_and_b32 s1, s1, s24
	s_and_saveexec_b32 s2, s1
	s_cbranch_execz .LBB253_25
; %bb.24:                               ;   in Loop: Header=BB253_23 Depth=1
	v_add_co_u32 v2, s1, -8, v30
	v_add_co_ci_u32_e64 v3, null, -1, v31, s1
	flat_load_ushort v78, v[2:3]
.LBB253_25:                             ;   in Loop: Header=BB253_23 Depth=1
	s_or_b32 exec_lo, exec_lo, s2
	v_add_nc_u32_e32 v79, s20, v33
	v_mov_b32_e32 v80, 0
	v_mov_b32_e32 v81, 0
	v_add_nc_u32_e32 v2, 8, v79
	v_cmp_le_i32_e64 s1, s14, v2
	s_nor_b32 s2, vcc_lo, s1
	s_and_saveexec_b32 s17, s2
	s_cbranch_execz .LBB253_27
; %bb.26:                               ;   in Loop: Header=BB253_23 Depth=1
	v_add_co_u32 v2, s2, v75, v26
	v_add_co_ci_u32_e64 v3, null, v76, v27, s2
	flat_load_ushort v81, v[2:3]
.LBB253_27:                             ;   in Loop: Header=BB253_23 Depth=1
	s_or_b32 exec_lo, exec_lo, s17
	s_nor_b32 s1, s0, s1
	s_and_saveexec_b32 s2, s1
	s_cbranch_execz .LBB253_29
; %bb.28:                               ;   in Loop: Header=BB253_23 Depth=1
	v_add_co_u32 v2, s1, v75, v26
	v_add_co_ci_u32_e64 v3, null, v76, v27, s1
	flat_load_ushort v80, v[2:3] offset:128
.LBB253_29:                             ;   in Loop: Header=BB253_23 Depth=1
	s_or_b32 exec_lo, exec_lo, s2
	ds_read2_b64 v[2:5], v73 offset0:48 offset1:56
	ds_read2_b64 v[14:17], v74 offset0:64 offset1:96
	ds_read2_b64 v[22:25], v74 offset1:32
	ds_read2_b64 v[18:21], v73 offset1:8
	ds_read2_b64 v[10:13], v73 offset0:16 offset1:24
	ds_read2_b64 v[6:9], v73 offset0:32 offset1:40
	v_add_nc_u32_e32 v77, 12, v77
	s_waitcnt vmcnt(0) lgkmcnt(6)
	ds_write_b16 v59, v78
	ds_write_b16 v36, v81
	ds_write_b16 v36, v80 offset:512
	v_mov_b32_e32 v78, 0
	s_waitcnt lgkmcnt(0)
	s_barrier
	v_cmp_gt_i32_e64 s1, s14, v77
	v_mov_b32_e32 v77, 0
	buffer_gl0_inv
	s_and_b32 s1, s1, s24
	s_and_saveexec_b32 s2, s1
	s_xor_b32 s1, exec_lo, s2
	s_cbranch_execz .LBB253_31
; %bb.30:                               ;   in Loop: Header=BB253_23 Depth=1
	flat_load_ushort v77, v[30:31]
.LBB253_31:                             ;   in Loop: Header=BB253_23 Depth=1
	s_or_b32 exec_lo, exec_lo, s1
	v_add_nc_u32_e32 v79, 12, v79
	v_cmp_le_i32_e64 s1, s14, v79
	s_nor_b32 s2, vcc_lo, s1
	s_and_saveexec_b32 s17, s2
	s_cbranch_execz .LBB253_33
; %bb.32:                               ;   in Loop: Header=BB253_23 Depth=1
	v_add_co_u32 v78, s2, v75, v28
	v_add_co_ci_u32_e64 v79, null, v76, v29, s2
	flat_load_ushort v78, v[78:79]
.LBB253_33:                             ;   in Loop: Header=BB253_23 Depth=1
	s_or_b32 exec_lo, exec_lo, s17
	v_mov_b32_e32 v79, 0
	s_nor_b32 s1, s0, s1
	s_and_saveexec_b32 s2, s1
	s_cbranch_execz .LBB253_22
; %bb.34:                               ;   in Loop: Header=BB253_23 Depth=1
	v_add_co_u32 v79, s1, v75, v28
	v_add_co_ci_u32_e64 v80, null, v76, v29, s1
	flat_load_ushort v79, v[79:80] offset:128
	s_branch .LBB253_22
.LBB253_35:
	s_clause 0x2
	s_load_dword s14, s[4:5], 0x50
	s_load_dword s9, s[4:5], 0x68
	s_load_dwordx2 s[4:5], s[4:5], 0x70
	v_add_nc_u32_e32 v67, s23, v1
	v_add_nc_u32_e32 v10, 0x800, v35
	ds_read2_b64 v[2:5], v34 offset0:192 offset1:224
	ds_read2_b64 v[22:25], v34 offset0:128 offset1:160
	v_add_nc_u32_e32 v0, s3, v0
	ds_read2_b64 v[6:9], v10 offset0:112 offset1:120
	ds_read2_b64 v[18:21], v10 offset0:64 offset1:72
	;; [unrolled: 1-line block ×4, first 2 shown]
	v_cmp_gt_i32_e64 s8, s13, v67
	v_cmp_gt_i32_e64 s0, s12, v0
	v_ashrrev_i32_e32 v1, 31, v0
	v_cndmask_b32_e64 v59, 0, 1, s22
	s_waitcnt lgkmcnt(0)
	v_mad_i64_i32 v[26:27], null, v67, s14, 0
	v_mad_i64_i32 v[28:29], null, v67, s9, 0
	s_lshl_b64 s[2:3], s[4:5], 1
	s_add_u32 s16, s6, s2
	s_addc_u32 s17, s7, s3
	v_lshlrev_b64 v[26:27], 1, v[26:27]
	s_and_b32 s1, s0, s8
	v_lshlrev_b64 v[28:29], 1, v[28:29]
	v_add_co_u32 v73, vcc_lo, s10, v26
	v_add_co_ci_u32_e64 v74, null, s11, v27, vcc_lo
	v_add_co_u32 v71, vcc_lo, s16, v28
	v_add_co_ci_u32_e64 v72, null, s17, v29, vcc_lo
	s_and_saveexec_b32 s2, s1
	s_xor_b32 s1, exec_lo, s2
	s_cbranch_execz .LBB253_40
; %bb.36:
	v_lshlrev_b64 v[26:27], 1, v[0:1]
	s_andn2_b32 vcc_lo, exec_lo, s22
	s_cbranch_vccnz .LBB253_38
; %bb.37:
	v_add_co_u32 v28, vcc_lo, v73, v26
	v_add_co_ci_u32_e64 v29, null, v74, v27, vcc_lo
	flat_load_ushort v28, v[28:29]
	s_waitcnt vmcnt(0) lgkmcnt(0)
	v_mul_f16_e32 v28, s15, v28
	s_branch .LBB253_39
.LBB253_38:
	v_mov_b32_e32 v28, 0
.LBB253_39:
	v_pk_max_f16 v29, v22, v22
	v_pk_max_f16 v30, v18, v18
	;; [unrolled: 1-line block ×4, first 2 shown]
	v_add_co_u32 v26, vcc_lo, v71, v26
	v_pk_min_f16 v29, v30, v29
	v_add_co_ci_u32_e64 v27, null, v72, v27, vcc_lo
	v_pk_min_f16 v30, v32, v31
	v_pk_add_f16 v29, v70, v29
	v_pk_add_f16 v29, v29, v30
	v_add_f16_sdwa v29, v29, v29 dst_sel:DWORD dst_unused:UNUSED_PAD src0_sel:DWORD src1_sel:WORD_1
	v_add_f16_e32 v28, v29, v28
	flat_store_short v[26:27], v28
.LBB253_40:
	s_or_b32 exec_lo, exec_lo, s1
	v_add_nc_u32_e32 v26, 8, v0
	v_cmp_gt_i32_e64 s1, s12, v26
	v_ashrrev_i32_e32 v27, 31, v26
	s_and_b32 s3, s1, s8
	s_and_saveexec_b32 s2, s3
	s_cbranch_execz .LBB253_45
; %bb.41:
	v_cmp_ne_u32_e32 vcc_lo, 1, v59
	v_lshlrev_b64 v[28:29], 1, v[26:27]
	s_cbranch_vccnz .LBB253_43
; %bb.42:
	v_add_co_u32 v30, vcc_lo, v73, v28
	v_add_co_ci_u32_e64 v31, null, v74, v29, vcc_lo
	flat_load_ushort v30, v[30:31]
	s_waitcnt vmcnt(0) lgkmcnt(0)
	v_mul_f16_e32 v30, s15, v30
	s_branch .LBB253_44
.LBB253_43:
	v_mov_b32_e32 v30, 0
.LBB253_44:
	v_pk_max_f16 v31, v22, v22
	v_pk_max_f16 v32, v20, v20
	v_pk_max_f16 v33, v23, v23
	v_pk_max_f16 v34, v21, v21
	v_add_co_u32 v28, vcc_lo, v71, v28
	v_pk_min_f16 v31, v32, v31
	v_add_co_ci_u32_e64 v29, null, v72, v29, vcc_lo
	v_pk_min_f16 v32, v34, v33
	v_pk_add_f16 v31, v69, v31
	v_pk_add_f16 v31, v31, v32
	v_add_f16_sdwa v31, v31, v31 dst_sel:DWORD dst_unused:UNUSED_PAD src0_sel:DWORD src1_sel:WORD_1
	v_add_f16_e32 v30, v31, v30
	flat_store_short v[28:29], v30
.LBB253_45:
	s_or_b32 exec_lo, exec_lo, s2
	v_add_nc_u32_e32 v28, 16, v0
	v_cmp_gt_i32_e64 s2, s12, v28
	v_ashrrev_i32_e32 v29, 31, v28
	s_and_b32 s4, s2, s8
	s_and_saveexec_b32 s3, s4
	s_cbranch_execz .LBB253_50
; %bb.46:
	v_cmp_ne_u32_e32 vcc_lo, 1, v59
	v_lshlrev_b64 v[30:31], 1, v[28:29]
	s_cbranch_vccnz .LBB253_48
; %bb.47:
	v_add_co_u32 v32, vcc_lo, v73, v30
	v_add_co_ci_u32_e64 v33, null, v74, v31, vcc_lo
	flat_load_ushort v32, v[32:33]
	s_waitcnt vmcnt(0) lgkmcnt(0)
	v_mul_f16_e32 v32, s15, v32
	s_branch .LBB253_49
.LBB253_48:
	v_mov_b32_e32 v32, 0
.LBB253_49:
	v_pk_max_f16 v33, v22, v22
	v_pk_max_f16 v34, v14, v14
	v_pk_max_f16 v35, v23, v23
	v_pk_max_f16 v36, v15, v15
	v_add_co_u32 v30, vcc_lo, v71, v30
	v_pk_min_f16 v33, v34, v33
	v_add_co_ci_u32_e64 v31, null, v72, v31, vcc_lo
	v_pk_min_f16 v34, v36, v35
	v_pk_add_f16 v33, v41, v33
	v_pk_add_f16 v33, v33, v34
	v_add_f16_sdwa v33, v33, v33 dst_sel:DWORD dst_unused:UNUSED_PAD src0_sel:DWORD src1_sel:WORD_1
	v_add_f16_e32 v32, v33, v32
	flat_store_short v[30:31], v32
.LBB253_50:
	;; [unrolled: 35-line block ×6, first 2 shown]
	s_or_b32 exec_lo, exec_lo, s7
	v_add_nc_u32_e32 v38, 56, v0
	v_cmp_gt_i32_e64 s7, s12, v38
	v_ashrrev_i32_e32 v39, 31, v38
	s_and_b32 s12, s7, s8
	s_and_saveexec_b32 s8, s12
	s_cbranch_execz .LBB253_75
; %bb.71:
	v_cmp_ne_u32_e32 vcc_lo, 1, v59
	v_lshlrev_b64 v[40:41], 1, v[38:39]
	s_cbranch_vccnz .LBB253_73
; %bb.72:
	v_add_co_u32 v69, vcc_lo, v73, v40
	v_add_co_ci_u32_e64 v70, null, v74, v41, vcc_lo
	flat_load_ushort v69, v[69:70]
	s_waitcnt vmcnt(0) lgkmcnt(0)
	v_mul_f16_e32 v69, s15, v69
	s_branch .LBB253_74
.LBB253_73:
	v_mov_b32_e32 v69, 0
.LBB253_74:
	v_pk_max_f16 v22, v22, v22
	v_pk_max_f16 v70, v8, v8
	;; [unrolled: 1-line block ×4, first 2 shown]
	v_pk_min_f16 v22, v70, v22
	v_pk_min_f16 v23, v73, v23
	v_pk_add_f16 v22, v68, v22
	v_pk_add_f16 v22, v22, v23
	v_add_f16_sdwa v22, v22, v22 dst_sel:DWORD dst_unused:UNUSED_PAD src0_sel:DWORD src1_sel:WORD_1
	v_add_f16_e32 v68, v22, v69
	v_add_co_u32 v22, vcc_lo, v71, v40
	v_add_co_ci_u32_e64 v23, null, v72, v41, vcc_lo
	flat_store_short v[22:23], v68
.LBB253_75:
	s_or_b32 exec_lo, exec_lo, s8
	v_add_nc_u32_e32 v68, 32, v67
	v_mad_i64_i32 v[22:23], null, v68, s14, 0
	v_mad_i64_i32 v[40:41], null, v68, s9, 0
	v_cmp_gt_i32_e64 s8, s13, v68
	v_lshlrev_b64 v[22:23], 1, v[22:23]
	s_and_b32 s18, s0, s8
	v_lshlrev_b64 v[40:41], 1, v[40:41]
	v_add_co_u32 v68, vcc_lo, s10, v22
	v_add_co_ci_u32_e64 v69, null, s11, v23, vcc_lo
	v_add_co_u32 v40, vcc_lo, s16, v40
	v_add_co_ci_u32_e64 v41, null, s17, v41, vcc_lo
	s_and_saveexec_b32 s12, s18
	s_cbranch_execnz .LBB253_83
; %bb.76:
	s_or_b32 exec_lo, exec_lo, s12
	s_and_b32 s18, s1, s8
	s_and_saveexec_b32 s12, s18
	s_cbranch_execnz .LBB253_87
.LBB253_77:
	s_or_b32 exec_lo, exec_lo, s12
	s_and_b32 s18, s2, s8
	s_and_saveexec_b32 s12, s18
	s_cbranch_execnz .LBB253_91
.LBB253_78:
	s_or_b32 exec_lo, exec_lo, s12
	s_and_b32 s18, s3, s8
	s_and_saveexec_b32 s12, s18
	s_cbranch_execnz .LBB253_95
.LBB253_79:
	s_or_b32 exec_lo, exec_lo, s12
	s_and_b32 s18, s4, s8
	s_and_saveexec_b32 s12, s18
	s_cbranch_execnz .LBB253_99
.LBB253_80:
	s_or_b32 exec_lo, exec_lo, s12
	s_and_b32 s18, s5, s8
	s_and_saveexec_b32 s12, s18
	s_cbranch_execnz .LBB253_103
.LBB253_81:
	s_or_b32 exec_lo, exec_lo, s12
	s_and_b32 s18, s6, s8
	s_and_saveexec_b32 s12, s18
	s_cbranch_execnz .LBB253_107
.LBB253_82:
	s_or_b32 exec_lo, exec_lo, s12
	s_and_b32 s12, s7, s8
	s_and_saveexec_b32 s8, s12
	s_cbranch_execnz .LBB253_111
	s_branch .LBB253_115
.LBB253_83:
	v_cmp_ne_u32_e32 vcc_lo, 1, v59
	v_lshlrev_b64 v[22:23], 1, v[0:1]
	s_cbranch_vccnz .LBB253_85
; %bb.84:
	v_add_co_u32 v70, vcc_lo, v68, v22
	v_add_co_ci_u32_e64 v71, null, v69, v23, vcc_lo
	flat_load_ushort v70, v[70:71]
	s_waitcnt vmcnt(0) lgkmcnt(0)
	v_mul_f16_e32 v70, s15, v70
	s_branch .LBB253_86
.LBB253_85:
	v_mov_b32_e32 v70, 0
.LBB253_86:
	v_pk_max_f16 v71, v24, v24
	v_pk_max_f16 v72, v18, v18
	;; [unrolled: 1-line block ×4, first 2 shown]
	v_add_co_u32 v22, vcc_lo, v40, v22
	v_pk_min_f16 v71, v72, v71
	v_add_co_ci_u32_e64 v23, null, v41, v23, vcc_lo
	v_pk_min_f16 v72, v74, v73
	v_pk_add_f16 v66, v66, v71
	v_pk_add_f16 v66, v66, v72
	v_add_f16_sdwa v66, v66, v66 dst_sel:DWORD dst_unused:UNUSED_PAD src0_sel:DWORD src1_sel:WORD_1
	v_add_f16_e32 v66, v66, v70
	flat_store_short v[22:23], v66
	s_or_b32 exec_lo, exec_lo, s12
	s_and_b32 s18, s1, s8
	s_and_saveexec_b32 s12, s18
	s_cbranch_execz .LBB253_77
.LBB253_87:
	v_cmp_ne_u32_e32 vcc_lo, 1, v59
	v_lshlrev_b64 v[22:23], 1, v[26:27]
	s_cbranch_vccnz .LBB253_89
; %bb.88:
	v_add_co_u32 v70, vcc_lo, v68, v22
	v_add_co_ci_u32_e64 v71, null, v69, v23, vcc_lo
	flat_load_ushort v66, v[70:71]
	s_waitcnt vmcnt(0) lgkmcnt(0)
	v_mul_f16_e32 v66, s15, v66
	s_branch .LBB253_90
.LBB253_89:
	v_mov_b32_e32 v66, 0
.LBB253_90:
	v_pk_max_f16 v70, v24, v24
	v_pk_max_f16 v71, v20, v20
	;; [unrolled: 1-line block ×4, first 2 shown]
	v_add_co_u32 v22, vcc_lo, v40, v22
	v_pk_min_f16 v70, v71, v70
	v_add_co_ci_u32_e64 v23, null, v41, v23, vcc_lo
	v_pk_min_f16 v71, v73, v72
	v_pk_add_f16 v65, v65, v70
	v_pk_add_f16 v65, v65, v71
	v_add_f16_sdwa v65, v65, v65 dst_sel:DWORD dst_unused:UNUSED_PAD src0_sel:DWORD src1_sel:WORD_1
	v_add_f16_e32 v65, v65, v66
	flat_store_short v[22:23], v65
	s_or_b32 exec_lo, exec_lo, s12
	s_and_b32 s18, s2, s8
	s_and_saveexec_b32 s12, s18
	s_cbranch_execz .LBB253_78
.LBB253_91:
	v_cmp_ne_u32_e32 vcc_lo, 1, v59
	v_lshlrev_b64 v[22:23], 1, v[28:29]
	s_cbranch_vccnz .LBB253_93
; %bb.92:
	v_add_co_u32 v65, vcc_lo, v68, v22
	v_add_co_ci_u32_e64 v66, null, v69, v23, vcc_lo
	flat_load_ushort v65, v[65:66]
	s_waitcnt vmcnt(0) lgkmcnt(0)
	v_mul_f16_e32 v65, s15, v65
	s_branch .LBB253_94
.LBB253_93:
	v_mov_b32_e32 v65, 0
.LBB253_94:
	v_pk_max_f16 v66, v24, v24
	v_pk_max_f16 v70, v14, v14
	;; [unrolled: 1-line block ×4, first 2 shown]
	v_add_co_u32 v22, vcc_lo, v40, v22
	v_pk_min_f16 v66, v70, v66
	v_add_co_ci_u32_e64 v23, null, v41, v23, vcc_lo
	v_pk_min_f16 v70, v72, v71
	v_pk_add_f16 v64, v64, v66
	v_pk_add_f16 v64, v64, v70
	v_add_f16_sdwa v64, v64, v64 dst_sel:DWORD dst_unused:UNUSED_PAD src0_sel:DWORD src1_sel:WORD_1
	v_add_f16_e32 v64, v64, v65
	flat_store_short v[22:23], v64
	s_or_b32 exec_lo, exec_lo, s12
	s_and_b32 s18, s3, s8
	s_and_saveexec_b32 s12, s18
	s_cbranch_execz .LBB253_79
.LBB253_95:
	v_cmp_ne_u32_e32 vcc_lo, 1, v59
	v_lshlrev_b64 v[22:23], 1, v[30:31]
	s_cbranch_vccnz .LBB253_97
; %bb.96:
	v_add_co_u32 v64, vcc_lo, v68, v22
	v_add_co_ci_u32_e64 v65, null, v69, v23, vcc_lo
	flat_load_ushort v64, v[64:65]
	s_waitcnt vmcnt(0) lgkmcnt(0)
	v_mul_f16_e32 v64, s15, v64
	s_branch .LBB253_98
.LBB253_97:
	v_mov_b32_e32 v64, 0
.LBB253_98:
	v_pk_max_f16 v65, v24, v24
	v_pk_max_f16 v66, v16, v16
	;; [unrolled: 1-line block ×4, first 2 shown]
	v_add_co_u32 v22, vcc_lo, v40, v22
	v_pk_min_f16 v65, v66, v65
	v_add_co_ci_u32_e64 v23, null, v41, v23, vcc_lo
	v_pk_min_f16 v66, v71, v70
	v_pk_add_f16 v63, v63, v65
	v_pk_add_f16 v63, v63, v66
	v_add_f16_sdwa v63, v63, v63 dst_sel:DWORD dst_unused:UNUSED_PAD src0_sel:DWORD src1_sel:WORD_1
	v_add_f16_e32 v63, v63, v64
	flat_store_short v[22:23], v63
	s_or_b32 exec_lo, exec_lo, s12
	s_and_b32 s18, s4, s8
	s_and_saveexec_b32 s12, s18
	s_cbranch_execz .LBB253_80
.LBB253_99:
	v_cmp_ne_u32_e32 vcc_lo, 1, v59
	v_lshlrev_b64 v[22:23], 1, v[32:33]
	s_cbranch_vccnz .LBB253_101
; %bb.100:
	v_add_co_u32 v63, vcc_lo, v68, v22
	v_add_co_ci_u32_e64 v64, null, v69, v23, vcc_lo
	flat_load_ushort v63, v[63:64]
	s_waitcnt vmcnt(0) lgkmcnt(0)
	v_mul_f16_e32 v63, s15, v63
	s_branch .LBB253_102
.LBB253_101:
	v_mov_b32_e32 v63, 0
.LBB253_102:
	v_pk_max_f16 v64, v24, v24
	v_pk_max_f16 v65, v10, v10
	;; [unrolled: 1-line block ×4, first 2 shown]
	v_add_co_u32 v22, vcc_lo, v40, v22
	v_pk_min_f16 v64, v65, v64
	v_add_co_ci_u32_e64 v23, null, v41, v23, vcc_lo
	v_pk_min_f16 v65, v70, v66
	v_pk_add_f16 v62, v62, v64
	v_pk_add_f16 v62, v62, v65
	v_add_f16_sdwa v62, v62, v62 dst_sel:DWORD dst_unused:UNUSED_PAD src0_sel:DWORD src1_sel:WORD_1
	v_add_f16_e32 v62, v62, v63
	flat_store_short v[22:23], v62
	s_or_b32 exec_lo, exec_lo, s12
	s_and_b32 s18, s5, s8
	s_and_saveexec_b32 s12, s18
	s_cbranch_execz .LBB253_81
.LBB253_103:
	v_cmp_ne_u32_e32 vcc_lo, 1, v59
	v_lshlrev_b64 v[22:23], 1, v[34:35]
	s_cbranch_vccnz .LBB253_105
; %bb.104:
	v_add_co_u32 v62, vcc_lo, v68, v22
	v_add_co_ci_u32_e64 v63, null, v69, v23, vcc_lo
	flat_load_ushort v62, v[62:63]
	s_waitcnt vmcnt(0) lgkmcnt(0)
	v_mul_f16_e32 v62, s15, v62
	s_branch .LBB253_106
.LBB253_105:
	v_mov_b32_e32 v62, 0
.LBB253_106:
	v_pk_max_f16 v63, v24, v24
	v_pk_max_f16 v64, v12, v12
	;; [unrolled: 1-line block ×4, first 2 shown]
	v_add_co_u32 v22, vcc_lo, v40, v22
	v_pk_min_f16 v63, v64, v63
	v_add_co_ci_u32_e64 v23, null, v41, v23, vcc_lo
	v_pk_min_f16 v64, v66, v65
	v_pk_add_f16 v61, v61, v63
	v_pk_add_f16 v61, v61, v64
	v_add_f16_sdwa v61, v61, v61 dst_sel:DWORD dst_unused:UNUSED_PAD src0_sel:DWORD src1_sel:WORD_1
	v_add_f16_e32 v61, v61, v62
	flat_store_short v[22:23], v61
	s_or_b32 exec_lo, exec_lo, s12
	s_and_b32 s18, s6, s8
	s_and_saveexec_b32 s12, s18
	s_cbranch_execz .LBB253_82
.LBB253_107:
	v_cmp_ne_u32_e32 vcc_lo, 1, v59
	v_lshlrev_b64 v[22:23], 1, v[36:37]
	s_cbranch_vccnz .LBB253_109
; %bb.108:
	v_add_co_u32 v61, vcc_lo, v68, v22
	v_add_co_ci_u32_e64 v62, null, v69, v23, vcc_lo
	flat_load_ushort v61, v[61:62]
	s_waitcnt vmcnt(0) lgkmcnt(0)
	v_mul_f16_e32 v61, s15, v61
	s_branch .LBB253_110
.LBB253_109:
	v_mov_b32_e32 v61, 0
.LBB253_110:
	v_pk_max_f16 v62, v24, v24
	v_pk_max_f16 v63, v6, v6
	;; [unrolled: 1-line block ×4, first 2 shown]
	v_add_co_u32 v22, vcc_lo, v40, v22
	v_pk_min_f16 v62, v63, v62
	v_add_co_ci_u32_e64 v23, null, v41, v23, vcc_lo
	v_pk_min_f16 v63, v65, v64
	v_pk_add_f16 v60, v60, v62
	v_pk_add_f16 v60, v60, v63
	v_add_f16_sdwa v60, v60, v60 dst_sel:DWORD dst_unused:UNUSED_PAD src0_sel:DWORD src1_sel:WORD_1
	v_add_f16_e32 v60, v60, v61
	flat_store_short v[22:23], v60
	s_or_b32 exec_lo, exec_lo, s12
	s_and_b32 s12, s7, s8
	s_and_saveexec_b32 s8, s12
	s_cbranch_execz .LBB253_115
.LBB253_111:
	v_cmp_ne_u32_e32 vcc_lo, 1, v59
	v_lshlrev_b64 v[22:23], 1, v[38:39]
	s_cbranch_vccnz .LBB253_113
; %bb.112:
	v_add_co_u32 v60, vcc_lo, v68, v22
	v_add_co_ci_u32_e64 v61, null, v69, v23, vcc_lo
	flat_load_ushort v60, v[60:61]
	s_waitcnt vmcnt(0) lgkmcnt(0)
	v_mul_f16_e32 v60, s15, v60
	s_branch .LBB253_114
.LBB253_113:
	v_mov_b32_e32 v60, 0
.LBB253_114:
	v_pk_max_f16 v24, v24, v24
	v_pk_max_f16 v61, v8, v8
	;; [unrolled: 1-line block ×4, first 2 shown]
	v_add_co_u32 v22, vcc_lo, v40, v22
	v_pk_min_f16 v24, v61, v24
	v_add_co_ci_u32_e64 v23, null, v41, v23, vcc_lo
	v_pk_min_f16 v25, v62, v25
	v_pk_add_f16 v24, v58, v24
	v_pk_add_f16 v24, v24, v25
	v_add_f16_sdwa v24, v24, v24 dst_sel:DWORD dst_unused:UNUSED_PAD src0_sel:DWORD src1_sel:WORD_1
	v_add_f16_e32 v24, v24, v60
	flat_store_short v[22:23], v24
.LBB253_115:
	s_or_b32 exec_lo, exec_lo, s8
	v_add_nc_u32_e32 v40, 64, v67
	v_mad_i64_i32 v[22:23], null, v40, s14, 0
	v_mad_i64_i32 v[24:25], null, v40, s9, 0
	v_cmp_gt_i32_e64 s8, s13, v40
	v_lshlrev_b64 v[22:23], 1, v[22:23]
	s_and_b32 s18, s0, s8
	v_lshlrev_b64 v[24:25], 1, v[24:25]
	v_add_co_u32 v40, vcc_lo, s10, v22
	v_add_co_ci_u32_e64 v41, null, s11, v23, vcc_lo
	v_add_co_u32 v24, vcc_lo, s16, v24
	v_add_co_ci_u32_e64 v25, null, s17, v25, vcc_lo
	s_and_saveexec_b32 s12, s18
	s_cbranch_execnz .LBB253_123
; %bb.116:
	s_or_b32 exec_lo, exec_lo, s12
	s_and_b32 s18, s1, s8
	s_and_saveexec_b32 s12, s18
	s_cbranch_execnz .LBB253_127
.LBB253_117:
	s_or_b32 exec_lo, exec_lo, s12
	s_and_b32 s18, s2, s8
	s_and_saveexec_b32 s12, s18
	s_cbranch_execnz .LBB253_131
.LBB253_118:
	s_or_b32 exec_lo, exec_lo, s12
	s_and_b32 s18, s3, s8
	s_and_saveexec_b32 s12, s18
	s_cbranch_execnz .LBB253_135
.LBB253_119:
	s_or_b32 exec_lo, exec_lo, s12
	s_and_b32 s18, s4, s8
	s_and_saveexec_b32 s12, s18
	s_cbranch_execnz .LBB253_139
.LBB253_120:
	s_or_b32 exec_lo, exec_lo, s12
	s_and_b32 s18, s5, s8
	s_and_saveexec_b32 s12, s18
	s_cbranch_execnz .LBB253_143
.LBB253_121:
	s_or_b32 exec_lo, exec_lo, s12
	s_and_b32 s18, s6, s8
	s_and_saveexec_b32 s12, s18
	s_cbranch_execnz .LBB253_147
.LBB253_122:
	s_or_b32 exec_lo, exec_lo, s12
	s_and_b32 s12, s7, s8
	s_and_saveexec_b32 s8, s12
	s_cbranch_execnz .LBB253_151
	s_branch .LBB253_155
.LBB253_123:
	v_cmp_ne_u32_e32 vcc_lo, 1, v59
	v_lshlrev_b64 v[22:23], 1, v[0:1]
	s_cbranch_vccnz .LBB253_125
; %bb.124:
	v_add_co_u32 v60, vcc_lo, v40, v22
	v_add_co_ci_u32_e64 v61, null, v41, v23, vcc_lo
	flat_load_ushort v58, v[60:61]
	s_waitcnt vmcnt(0) lgkmcnt(0)
	v_mul_f16_e32 v58, s15, v58
	s_branch .LBB253_126
.LBB253_125:
	v_mov_b32_e32 v58, 0
.LBB253_126:
	v_pk_max_f16 v60, v2, v2
	v_pk_max_f16 v61, v18, v18
	;; [unrolled: 1-line block ×4, first 2 shown]
	v_add_co_u32 v22, vcc_lo, v24, v22
	v_pk_min_f16 v60, v61, v60
	v_add_co_ci_u32_e64 v23, null, v25, v23, vcc_lo
	v_pk_min_f16 v61, v63, v62
	v_pk_add_f16 v57, v57, v60
	v_pk_add_f16 v57, v57, v61
	v_add_f16_sdwa v57, v57, v57 dst_sel:DWORD dst_unused:UNUSED_PAD src0_sel:DWORD src1_sel:WORD_1
	v_add_f16_e32 v57, v57, v58
	flat_store_short v[22:23], v57
	s_or_b32 exec_lo, exec_lo, s12
	s_and_b32 s18, s1, s8
	s_and_saveexec_b32 s12, s18
	s_cbranch_execz .LBB253_117
.LBB253_127:
	v_cmp_ne_u32_e32 vcc_lo, 1, v59
	v_lshlrev_b64 v[22:23], 1, v[26:27]
	s_cbranch_vccnz .LBB253_129
; %bb.128:
	v_add_co_u32 v57, vcc_lo, v40, v22
	v_add_co_ci_u32_e64 v58, null, v41, v23, vcc_lo
	flat_load_ushort v57, v[57:58]
	s_waitcnt vmcnt(0) lgkmcnt(0)
	v_mul_f16_e32 v57, s15, v57
	s_branch .LBB253_130
.LBB253_129:
	v_mov_b32_e32 v57, 0
.LBB253_130:
	v_pk_max_f16 v58, v2, v2
	v_pk_max_f16 v60, v20, v20
	v_pk_max_f16 v61, v3, v3
	v_pk_max_f16 v62, v21, v21
	v_add_co_u32 v22, vcc_lo, v24, v22
	v_pk_min_f16 v58, v60, v58
	v_add_co_ci_u32_e64 v23, null, v25, v23, vcc_lo
	v_pk_min_f16 v60, v62, v61
	v_pk_add_f16 v56, v56, v58
	v_pk_add_f16 v56, v56, v60
	v_add_f16_sdwa v56, v56, v56 dst_sel:DWORD dst_unused:UNUSED_PAD src0_sel:DWORD src1_sel:WORD_1
	v_add_f16_e32 v56, v56, v57
	flat_store_short v[22:23], v56
	s_or_b32 exec_lo, exec_lo, s12
	s_and_b32 s18, s2, s8
	s_and_saveexec_b32 s12, s18
	s_cbranch_execz .LBB253_118
.LBB253_131:
	v_cmp_ne_u32_e32 vcc_lo, 1, v59
	v_lshlrev_b64 v[22:23], 1, v[28:29]
	s_cbranch_vccnz .LBB253_133
; %bb.132:
	v_add_co_u32 v56, vcc_lo, v40, v22
	v_add_co_ci_u32_e64 v57, null, v41, v23, vcc_lo
	flat_load_ushort v56, v[56:57]
	s_waitcnt vmcnt(0) lgkmcnt(0)
	v_mul_f16_e32 v56, s15, v56
	s_branch .LBB253_134
.LBB253_133:
	v_mov_b32_e32 v56, 0
.LBB253_134:
	v_pk_max_f16 v57, v2, v2
	v_pk_max_f16 v58, v14, v14
	;; [unrolled: 1-line block ×4, first 2 shown]
	v_add_co_u32 v22, vcc_lo, v24, v22
	v_pk_min_f16 v57, v58, v57
	v_add_co_ci_u32_e64 v23, null, v25, v23, vcc_lo
	v_pk_min_f16 v58, v61, v60
	v_pk_add_f16 v55, v55, v57
	v_pk_add_f16 v55, v55, v58
	v_add_f16_sdwa v55, v55, v55 dst_sel:DWORD dst_unused:UNUSED_PAD src0_sel:DWORD src1_sel:WORD_1
	v_add_f16_e32 v55, v55, v56
	flat_store_short v[22:23], v55
	s_or_b32 exec_lo, exec_lo, s12
	s_and_b32 s18, s3, s8
	s_and_saveexec_b32 s12, s18
	s_cbranch_execz .LBB253_119
.LBB253_135:
	v_cmp_ne_u32_e32 vcc_lo, 1, v59
	v_lshlrev_b64 v[22:23], 1, v[30:31]
	s_cbranch_vccnz .LBB253_137
; %bb.136:
	v_add_co_u32 v55, vcc_lo, v40, v22
	v_add_co_ci_u32_e64 v56, null, v41, v23, vcc_lo
	flat_load_ushort v55, v[55:56]
	s_waitcnt vmcnt(0) lgkmcnt(0)
	v_mul_f16_e32 v55, s15, v55
	s_branch .LBB253_138
.LBB253_137:
	v_mov_b32_e32 v55, 0
.LBB253_138:
	v_pk_max_f16 v56, v2, v2
	v_pk_max_f16 v57, v16, v16
	;; [unrolled: 1-line block ×4, first 2 shown]
	v_add_co_u32 v22, vcc_lo, v24, v22
	v_pk_min_f16 v56, v57, v56
	v_add_co_ci_u32_e64 v23, null, v25, v23, vcc_lo
	v_pk_min_f16 v57, v60, v58
	v_pk_add_f16 v54, v54, v56
	v_pk_add_f16 v54, v54, v57
	v_add_f16_sdwa v54, v54, v54 dst_sel:DWORD dst_unused:UNUSED_PAD src0_sel:DWORD src1_sel:WORD_1
	v_add_f16_e32 v54, v54, v55
	flat_store_short v[22:23], v54
	s_or_b32 exec_lo, exec_lo, s12
	s_and_b32 s18, s4, s8
	s_and_saveexec_b32 s12, s18
	s_cbranch_execz .LBB253_120
.LBB253_139:
	v_cmp_ne_u32_e32 vcc_lo, 1, v59
	v_lshlrev_b64 v[22:23], 1, v[32:33]
	s_cbranch_vccnz .LBB253_141
; %bb.140:
	v_add_co_u32 v54, vcc_lo, v40, v22
	v_add_co_ci_u32_e64 v55, null, v41, v23, vcc_lo
	flat_load_ushort v54, v[54:55]
	s_waitcnt vmcnt(0) lgkmcnt(0)
	v_mul_f16_e32 v54, s15, v54
	s_branch .LBB253_142
.LBB253_141:
	v_mov_b32_e32 v54, 0
.LBB253_142:
	v_pk_max_f16 v55, v2, v2
	v_pk_max_f16 v56, v10, v10
	;; [unrolled: 1-line block ×4, first 2 shown]
	v_add_co_u32 v22, vcc_lo, v24, v22
	v_pk_min_f16 v55, v56, v55
	v_add_co_ci_u32_e64 v23, null, v25, v23, vcc_lo
	v_pk_min_f16 v56, v58, v57
	v_pk_add_f16 v53, v53, v55
	v_pk_add_f16 v53, v53, v56
	v_add_f16_sdwa v53, v53, v53 dst_sel:DWORD dst_unused:UNUSED_PAD src0_sel:DWORD src1_sel:WORD_1
	v_add_f16_e32 v53, v53, v54
	flat_store_short v[22:23], v53
	s_or_b32 exec_lo, exec_lo, s12
	s_and_b32 s18, s5, s8
	s_and_saveexec_b32 s12, s18
	s_cbranch_execz .LBB253_121
.LBB253_143:
	v_cmp_ne_u32_e32 vcc_lo, 1, v59
	v_lshlrev_b64 v[22:23], 1, v[34:35]
	s_cbranch_vccnz .LBB253_145
; %bb.144:
	v_add_co_u32 v53, vcc_lo, v40, v22
	v_add_co_ci_u32_e64 v54, null, v41, v23, vcc_lo
	flat_load_ushort v53, v[53:54]
	s_waitcnt vmcnt(0) lgkmcnt(0)
	v_mul_f16_e32 v53, s15, v53
	s_branch .LBB253_146
.LBB253_145:
	v_mov_b32_e32 v53, 0
.LBB253_146:
	v_pk_max_f16 v54, v2, v2
	v_pk_max_f16 v55, v12, v12
	;; [unrolled: 1-line block ×4, first 2 shown]
	v_add_co_u32 v22, vcc_lo, v24, v22
	v_pk_min_f16 v54, v55, v54
	v_add_co_ci_u32_e64 v23, null, v25, v23, vcc_lo
	v_pk_min_f16 v55, v57, v56
	v_pk_add_f16 v52, v52, v54
	v_pk_add_f16 v52, v52, v55
	v_add_f16_sdwa v52, v52, v52 dst_sel:DWORD dst_unused:UNUSED_PAD src0_sel:DWORD src1_sel:WORD_1
	v_add_f16_e32 v52, v52, v53
	flat_store_short v[22:23], v52
	s_or_b32 exec_lo, exec_lo, s12
	s_and_b32 s18, s6, s8
	s_and_saveexec_b32 s12, s18
	s_cbranch_execz .LBB253_122
.LBB253_147:
	v_cmp_ne_u32_e32 vcc_lo, 1, v59
	v_lshlrev_b64 v[22:23], 1, v[36:37]
	s_cbranch_vccnz .LBB253_149
; %bb.148:
	v_add_co_u32 v52, vcc_lo, v40, v22
	v_add_co_ci_u32_e64 v53, null, v41, v23, vcc_lo
	flat_load_ushort v52, v[52:53]
	s_waitcnt vmcnt(0) lgkmcnt(0)
	v_mul_f16_e32 v52, s15, v52
	s_branch .LBB253_150
.LBB253_149:
	v_mov_b32_e32 v52, 0
.LBB253_150:
	v_pk_max_f16 v53, v2, v2
	v_pk_max_f16 v54, v6, v6
	;; [unrolled: 1-line block ×4, first 2 shown]
	v_add_co_u32 v22, vcc_lo, v24, v22
	v_pk_min_f16 v53, v54, v53
	v_add_co_ci_u32_e64 v23, null, v25, v23, vcc_lo
	v_pk_min_f16 v54, v56, v55
	v_pk_add_f16 v51, v51, v53
	v_pk_add_f16 v51, v51, v54
	v_add_f16_sdwa v51, v51, v51 dst_sel:DWORD dst_unused:UNUSED_PAD src0_sel:DWORD src1_sel:WORD_1
	v_add_f16_e32 v51, v51, v52
	flat_store_short v[22:23], v51
	s_or_b32 exec_lo, exec_lo, s12
	s_and_b32 s12, s7, s8
	s_and_saveexec_b32 s8, s12
	s_cbranch_execz .LBB253_155
.LBB253_151:
	v_cmp_ne_u32_e32 vcc_lo, 1, v59
	v_lshlrev_b64 v[22:23], 1, v[38:39]
	s_cbranch_vccnz .LBB253_153
; %bb.152:
	v_add_co_u32 v40, vcc_lo, v40, v22
	v_add_co_ci_u32_e64 v41, null, v41, v23, vcc_lo
	flat_load_ushort v40, v[40:41]
	s_waitcnt vmcnt(0) lgkmcnt(0)
	v_mul_f16_e32 v40, s15, v40
	s_branch .LBB253_154
.LBB253_153:
	v_mov_b32_e32 v40, 0
.LBB253_154:
	v_pk_max_f16 v2, v2, v2
	v_pk_max_f16 v41, v8, v8
	;; [unrolled: 1-line block ×4, first 2 shown]
	v_pk_min_f16 v2, v41, v2
	v_pk_min_f16 v3, v51, v3
	v_pk_add_f16 v2, v50, v2
	v_pk_add_f16 v2, v2, v3
	v_add_f16_sdwa v2, v2, v2 dst_sel:DWORD dst_unused:UNUSED_PAD src0_sel:DWORD src1_sel:WORD_1
	v_add_f16_e32 v40, v2, v40
	v_add_co_u32 v2, vcc_lo, v24, v22
	v_add_co_ci_u32_e64 v3, null, v25, v23, vcc_lo
	flat_store_short v[2:3], v40
.LBB253_155:
	s_or_b32 exec_lo, exec_lo, s8
	v_add_nc_u32_e32 v24, 0x60, v67
	v_mad_i64_i32 v[2:3], null, v24, s14, 0
	v_mad_i64_i32 v[22:23], null, v24, s9, 0
	v_cmp_gt_i32_e64 s8, s13, v24
	v_lshlrev_b64 v[2:3], 1, v[2:3]
	s_and_b32 s9, s0, s8
	v_lshlrev_b64 v[24:25], 1, v[22:23]
	v_add_co_u32 v22, vcc_lo, s10, v2
	v_add_co_ci_u32_e64 v23, null, s11, v3, vcc_lo
	v_add_co_u32 v2, vcc_lo, s16, v24
	v_add_co_ci_u32_e64 v3, null, s17, v25, vcc_lo
	s_and_saveexec_b32 s0, s9
	s_cbranch_execnz .LBB253_164
; %bb.156:
	s_or_b32 exec_lo, exec_lo, s0
	s_and_b32 s1, s1, s8
	s_and_saveexec_b32 s0, s1
	s_cbranch_execnz .LBB253_168
.LBB253_157:
	s_or_b32 exec_lo, exec_lo, s0
	s_and_b32 s1, s2, s8
	s_and_saveexec_b32 s0, s1
	s_cbranch_execnz .LBB253_172
.LBB253_158:
	s_or_b32 exec_lo, exec_lo, s0
	s_and_b32 s1, s3, s8
	s_and_saveexec_b32 s0, s1
	s_cbranch_execnz .LBB253_176
.LBB253_159:
	s_or_b32 exec_lo, exec_lo, s0
	s_and_b32 s1, s4, s8
	s_and_saveexec_b32 s0, s1
	s_cbranch_execnz .LBB253_180
.LBB253_160:
	s_or_b32 exec_lo, exec_lo, s0
	s_and_b32 s1, s5, s8
	s_and_saveexec_b32 s0, s1
	s_cbranch_execnz .LBB253_184
.LBB253_161:
	s_or_b32 exec_lo, exec_lo, s0
	s_and_b32 s1, s6, s8
	s_and_saveexec_b32 s0, s1
	s_cbranch_execnz .LBB253_188
.LBB253_162:
	s_or_b32 exec_lo, exec_lo, s0
	s_and_b32 s0, s7, s8
	s_and_saveexec_b32 s1, s0
	s_cbranch_execnz .LBB253_192
.LBB253_163:
	s_endpgm
.LBB253_164:
	v_cmp_ne_u32_e32 vcc_lo, 1, v59
	v_lshlrev_b64 v[0:1], 1, v[0:1]
	s_cbranch_vccnz .LBB253_166
; %bb.165:
	v_add_co_u32 v24, vcc_lo, v22, v0
	v_add_co_ci_u32_e64 v25, null, v23, v1, vcc_lo
	flat_load_ushort v24, v[24:25]
	s_waitcnt vmcnt(0) lgkmcnt(0)
	v_mul_f16_e32 v24, s15, v24
	s_branch .LBB253_167
.LBB253_166:
	v_mov_b32_e32 v24, 0
.LBB253_167:
	v_pk_max_f16 v25, v4, v4
	v_pk_max_f16 v18, v18, v18
	;; [unrolled: 1-line block ×4, first 2 shown]
	v_add_co_u32 v0, vcc_lo, v2, v0
	v_pk_min_f16 v18, v18, v25
	v_add_co_ci_u32_e64 v1, null, v3, v1, vcc_lo
	v_pk_min_f16 v19, v19, v40
	v_pk_add_f16 v18, v49, v18
	v_pk_add_f16 v18, v18, v19
	v_add_f16_sdwa v18, v18, v18 dst_sel:DWORD dst_unused:UNUSED_PAD src0_sel:DWORD src1_sel:WORD_1
	v_add_f16_e32 v18, v18, v24
	flat_store_short v[0:1], v18
	s_or_b32 exec_lo, exec_lo, s0
	s_and_b32 s1, s1, s8
	s_and_saveexec_b32 s0, s1
	s_cbranch_execz .LBB253_157
.LBB253_168:
	v_cmp_ne_u32_e32 vcc_lo, 1, v59
	v_lshlrev_b64 v[0:1], 1, v[26:27]
	s_cbranch_vccnz .LBB253_170
; %bb.169:
	v_add_co_u32 v18, vcc_lo, v22, v0
	v_add_co_ci_u32_e64 v19, null, v23, v1, vcc_lo
	flat_load_ushort v18, v[18:19]
	s_waitcnt vmcnt(0) lgkmcnt(0)
	v_mul_f16_e32 v18, s15, v18
	s_branch .LBB253_171
.LBB253_170:
	v_mov_b32_e32 v18, 0
.LBB253_171:
	v_pk_max_f16 v19, v4, v4
	v_pk_max_f16 v20, v20, v20
	;; [unrolled: 1-line block ×4, first 2 shown]
	v_add_co_u32 v0, vcc_lo, v2, v0
	v_pk_min_f16 v19, v20, v19
	v_add_co_ci_u32_e64 v1, null, v3, v1, vcc_lo
	v_pk_min_f16 v20, v21, v24
	v_pk_add_f16 v19, v48, v19
	v_pk_add_f16 v19, v19, v20
	v_add_f16_sdwa v19, v19, v19 dst_sel:DWORD dst_unused:UNUSED_PAD src0_sel:DWORD src1_sel:WORD_1
	v_add_f16_e32 v18, v19, v18
	flat_store_short v[0:1], v18
	s_or_b32 exec_lo, exec_lo, s0
	s_and_b32 s1, s2, s8
	s_and_saveexec_b32 s0, s1
	s_cbranch_execz .LBB253_158
.LBB253_172:
	v_cmp_ne_u32_e32 vcc_lo, 1, v59
	v_lshlrev_b64 v[0:1], 1, v[28:29]
	s_cbranch_vccnz .LBB253_174
; %bb.173:
	v_add_co_u32 v18, vcc_lo, v22, v0
	v_add_co_ci_u32_e64 v19, null, v23, v1, vcc_lo
	flat_load_ushort v18, v[18:19]
	s_waitcnt vmcnt(0) lgkmcnt(0)
	v_mul_f16_e32 v18, s15, v18
	s_branch .LBB253_175
.LBB253_174:
	v_mov_b32_e32 v18, 0
.LBB253_175:
	v_pk_max_f16 v19, v4, v4
	v_pk_max_f16 v14, v14, v14
	;; [unrolled: 1-line block ×4, first 2 shown]
	v_add_co_u32 v0, vcc_lo, v2, v0
	v_pk_min_f16 v14, v14, v19
	v_add_co_ci_u32_e64 v1, null, v3, v1, vcc_lo
	v_pk_min_f16 v15, v15, v20
	v_pk_add_f16 v14, v47, v14
	v_pk_add_f16 v14, v14, v15
	v_add_f16_sdwa v14, v14, v14 dst_sel:DWORD dst_unused:UNUSED_PAD src0_sel:DWORD src1_sel:WORD_1
	v_add_f16_e32 v14, v14, v18
	flat_store_short v[0:1], v14
	s_or_b32 exec_lo, exec_lo, s0
	s_and_b32 s1, s3, s8
	s_and_saveexec_b32 s0, s1
	s_cbranch_execz .LBB253_159
.LBB253_176:
	v_cmp_ne_u32_e32 vcc_lo, 1, v59
	v_lshlrev_b64 v[0:1], 1, v[30:31]
	s_cbranch_vccnz .LBB253_178
; %bb.177:
	v_add_co_u32 v14, vcc_lo, v22, v0
	v_add_co_ci_u32_e64 v15, null, v23, v1, vcc_lo
	flat_load_ushort v14, v[14:15]
	s_waitcnt vmcnt(0) lgkmcnt(0)
	v_mul_f16_e32 v14, s15, v14
	s_branch .LBB253_179
.LBB253_178:
	v_mov_b32_e32 v14, 0
.LBB253_179:
	v_pk_max_f16 v15, v4, v4
	v_pk_max_f16 v16, v16, v16
	v_pk_max_f16 v18, v5, v5
	v_pk_max_f16 v17, v17, v17
	v_add_co_u32 v0, vcc_lo, v2, v0
	v_pk_min_f16 v15, v16, v15
	v_add_co_ci_u32_e64 v1, null, v3, v1, vcc_lo
	v_pk_min_f16 v16, v17, v18
	v_pk_add_f16 v15, v46, v15
	v_pk_add_f16 v15, v15, v16
	v_add_f16_sdwa v15, v15, v15 dst_sel:DWORD dst_unused:UNUSED_PAD src0_sel:DWORD src1_sel:WORD_1
	v_add_f16_e32 v14, v15, v14
	flat_store_short v[0:1], v14
	s_or_b32 exec_lo, exec_lo, s0
	s_and_b32 s1, s4, s8
	s_and_saveexec_b32 s0, s1
	s_cbranch_execz .LBB253_160
.LBB253_180:
	v_cmp_ne_u32_e32 vcc_lo, 1, v59
	v_lshlrev_b64 v[0:1], 1, v[32:33]
	s_cbranch_vccnz .LBB253_182
; %bb.181:
	v_add_co_u32 v14, vcc_lo, v22, v0
	v_add_co_ci_u32_e64 v15, null, v23, v1, vcc_lo
	flat_load_ushort v14, v[14:15]
	s_waitcnt vmcnt(0) lgkmcnt(0)
	v_mul_f16_e32 v14, s15, v14
	s_branch .LBB253_183
.LBB253_182:
	v_mov_b32_e32 v14, 0
.LBB253_183:
	v_pk_max_f16 v15, v4, v4
	v_pk_max_f16 v10, v10, v10
	;; [unrolled: 1-line block ×4, first 2 shown]
	v_add_co_u32 v0, vcc_lo, v2, v0
	v_pk_min_f16 v10, v10, v15
	v_add_co_ci_u32_e64 v1, null, v3, v1, vcc_lo
	v_pk_min_f16 v11, v11, v16
	v_pk_add_f16 v10, v45, v10
	v_pk_add_f16 v10, v10, v11
	v_add_f16_sdwa v10, v10, v10 dst_sel:DWORD dst_unused:UNUSED_PAD src0_sel:DWORD src1_sel:WORD_1
	v_add_f16_e32 v10, v10, v14
	flat_store_short v[0:1], v10
	s_or_b32 exec_lo, exec_lo, s0
	s_and_b32 s1, s5, s8
	s_and_saveexec_b32 s0, s1
	s_cbranch_execz .LBB253_161
.LBB253_184:
	v_cmp_ne_u32_e32 vcc_lo, 1, v59
	v_lshlrev_b64 v[0:1], 1, v[34:35]
	s_cbranch_vccnz .LBB253_186
; %bb.185:
	v_add_co_u32 v10, vcc_lo, v22, v0
	v_add_co_ci_u32_e64 v11, null, v23, v1, vcc_lo
	flat_load_ushort v10, v[10:11]
	s_waitcnt vmcnt(0) lgkmcnt(0)
	v_mul_f16_e32 v10, s15, v10
	s_branch .LBB253_187
.LBB253_186:
	v_mov_b32_e32 v10, 0
.LBB253_187:
	v_pk_max_f16 v11, v4, v4
	v_pk_max_f16 v12, v12, v12
	;; [unrolled: 1-line block ×4, first 2 shown]
	v_add_co_u32 v0, vcc_lo, v2, v0
	v_pk_min_f16 v11, v12, v11
	v_add_co_ci_u32_e64 v1, null, v3, v1, vcc_lo
	v_pk_min_f16 v12, v13, v14
	v_pk_add_f16 v11, v44, v11
	v_pk_add_f16 v11, v11, v12
	v_add_f16_sdwa v11, v11, v11 dst_sel:DWORD dst_unused:UNUSED_PAD src0_sel:DWORD src1_sel:WORD_1
	v_add_f16_e32 v10, v11, v10
	flat_store_short v[0:1], v10
	s_or_b32 exec_lo, exec_lo, s0
	s_and_b32 s1, s6, s8
	s_and_saveexec_b32 s0, s1
	s_cbranch_execz .LBB253_162
.LBB253_188:
	v_cmp_ne_u32_e32 vcc_lo, 1, v59
	v_lshlrev_b64 v[0:1], 1, v[36:37]
	s_cbranch_vccnz .LBB253_190
; %bb.189:
	v_add_co_u32 v10, vcc_lo, v22, v0
	v_add_co_ci_u32_e64 v11, null, v23, v1, vcc_lo
	flat_load_ushort v10, v[10:11]
	s_waitcnt vmcnt(0) lgkmcnt(0)
	v_mul_f16_e32 v10, s15, v10
	s_branch .LBB253_191
.LBB253_190:
	v_mov_b32_e32 v10, 0
.LBB253_191:
	v_pk_max_f16 v11, v4, v4
	v_pk_max_f16 v6, v6, v6
	v_pk_max_f16 v12, v5, v5
	v_pk_max_f16 v7, v7, v7
	v_add_co_u32 v0, vcc_lo, v2, v0
	v_pk_min_f16 v6, v6, v11
	v_add_co_ci_u32_e64 v1, null, v3, v1, vcc_lo
	v_pk_min_f16 v7, v7, v12
	v_pk_add_f16 v6, v43, v6
	v_pk_add_f16 v6, v6, v7
	v_add_f16_sdwa v6, v6, v6 dst_sel:DWORD dst_unused:UNUSED_PAD src0_sel:DWORD src1_sel:WORD_1
	v_add_f16_e32 v6, v6, v10
	flat_store_short v[0:1], v6
	s_or_b32 exec_lo, exec_lo, s0
	s_and_b32 s0, s7, s8
	s_and_saveexec_b32 s1, s0
	s_cbranch_execz .LBB253_163
.LBB253_192:
	v_cmp_ne_u32_e32 vcc_lo, 1, v59
	v_lshlrev_b64 v[0:1], 1, v[38:39]
	s_cbranch_vccnz .LBB253_194
; %bb.193:
	v_add_co_u32 v6, vcc_lo, v22, v0
	v_add_co_ci_u32_e64 v7, null, v23, v1, vcc_lo
	flat_load_ushort v6, v[6:7]
	s_waitcnt vmcnt(0) lgkmcnt(0)
	v_mul_f16_e32 v6, s15, v6
	s_branch .LBB253_195
.LBB253_194:
	v_mov_b32_e32 v6, 0
.LBB253_195:
	v_pk_max_f16 v4, v4, v4
	v_pk_max_f16 v7, v8, v8
	;; [unrolled: 1-line block ×4, first 2 shown]
	v_add_co_u32 v0, vcc_lo, v2, v0
	v_pk_min_f16 v4, v7, v4
	v_add_co_ci_u32_e64 v1, null, v3, v1, vcc_lo
	v_pk_min_f16 v5, v8, v5
	v_pk_add_f16 v4, v42, v4
	v_pk_add_f16 v4, v4, v5
	v_add_f16_sdwa v4, v4, v4 dst_sel:DWORD dst_unused:UNUSED_PAD src0_sel:DWORD src1_sel:WORD_1
	v_add_f16_e32 v4, v4, v6
	flat_store_short v[0:1], v4
	s_endpgm
	.section	.rodata,"a",@progbits
	.p2align	6, 0x0
	.amdhsa_kernel _ZN12_GLOBAL__N_120geam_min_plus_kernelIDF16_Dv2_DF16_S1_Li8ELi32ELi64ELi128ELi4ELi4ELi64ELi64ELi4ELc84ELc84ELb1ELb1ELb0EDF16_KPKDF16_KPDF16_EEviiiT16_PT17_ilS9_ilS7_S9_ilPT18_ili26rocblas_geam_ex_operation_
		.amdhsa_group_segment_fixed_size 3072
		.amdhsa_private_segment_fixed_size 0
		.amdhsa_kernarg_size 128
		.amdhsa_user_sgpr_count 6
		.amdhsa_user_sgpr_private_segment_buffer 1
		.amdhsa_user_sgpr_dispatch_ptr 0
		.amdhsa_user_sgpr_queue_ptr 0
		.amdhsa_user_sgpr_kernarg_segment_ptr 1
		.amdhsa_user_sgpr_dispatch_id 0
		.amdhsa_user_sgpr_flat_scratch_init 0
		.amdhsa_user_sgpr_private_segment_size 0
		.amdhsa_wavefront_size32 1
		.amdhsa_uses_dynamic_stack 0
		.amdhsa_system_sgpr_private_segment_wavefront_offset 0
		.amdhsa_system_sgpr_workgroup_id_x 1
		.amdhsa_system_sgpr_workgroup_id_y 0
		.amdhsa_system_sgpr_workgroup_id_z 1
		.amdhsa_system_sgpr_workgroup_info 0
		.amdhsa_system_vgpr_workitem_id 1
		.amdhsa_next_free_vgpr 124
		.amdhsa_next_free_sgpr 26
		.amdhsa_reserve_vcc 1
		.amdhsa_reserve_flat_scratch 0
		.amdhsa_float_round_mode_32 0
		.amdhsa_float_round_mode_16_64 0
		.amdhsa_float_denorm_mode_32 3
		.amdhsa_float_denorm_mode_16_64 3
		.amdhsa_dx10_clamp 1
		.amdhsa_ieee_mode 1
		.amdhsa_fp16_overflow 0
		.amdhsa_workgroup_processor_mode 1
		.amdhsa_memory_ordered 1
		.amdhsa_forward_progress 1
		.amdhsa_shared_vgpr_count 0
		.amdhsa_exception_fp_ieee_invalid_op 0
		.amdhsa_exception_fp_denorm_src 0
		.amdhsa_exception_fp_ieee_div_zero 0
		.amdhsa_exception_fp_ieee_overflow 0
		.amdhsa_exception_fp_ieee_underflow 0
		.amdhsa_exception_fp_ieee_inexact 0
		.amdhsa_exception_int_div_zero 0
	.end_amdhsa_kernel
	.section	.text._ZN12_GLOBAL__N_120geam_min_plus_kernelIDF16_Dv2_DF16_S1_Li8ELi32ELi64ELi128ELi4ELi4ELi64ELi64ELi4ELc84ELc84ELb1ELb1ELb0EDF16_KPKDF16_KPDF16_EEviiiT16_PT17_ilS9_ilS7_S9_ilPT18_ili26rocblas_geam_ex_operation_,"axG",@progbits,_ZN12_GLOBAL__N_120geam_min_plus_kernelIDF16_Dv2_DF16_S1_Li8ELi32ELi64ELi128ELi4ELi4ELi64ELi64ELi4ELc84ELc84ELb1ELb1ELb0EDF16_KPKDF16_KPDF16_EEviiiT16_PT17_ilS9_ilS7_S9_ilPT18_ili26rocblas_geam_ex_operation_,comdat
.Lfunc_end253:
	.size	_ZN12_GLOBAL__N_120geam_min_plus_kernelIDF16_Dv2_DF16_S1_Li8ELi32ELi64ELi128ELi4ELi4ELi64ELi64ELi4ELc84ELc84ELb1ELb1ELb0EDF16_KPKDF16_KPDF16_EEviiiT16_PT17_ilS9_ilS7_S9_ilPT18_ili26rocblas_geam_ex_operation_, .Lfunc_end253-_ZN12_GLOBAL__N_120geam_min_plus_kernelIDF16_Dv2_DF16_S1_Li8ELi32ELi64ELi128ELi4ELi4ELi64ELi64ELi4ELc84ELc84ELb1ELb1ELb0EDF16_KPKDF16_KPDF16_EEviiiT16_PT17_ilS9_ilS7_S9_ilPT18_ili26rocblas_geam_ex_operation_
                                        ; -- End function
	.set _ZN12_GLOBAL__N_120geam_min_plus_kernelIDF16_Dv2_DF16_S1_Li8ELi32ELi64ELi128ELi4ELi4ELi64ELi64ELi4ELc84ELc84ELb1ELb1ELb0EDF16_KPKDF16_KPDF16_EEviiiT16_PT17_ilS9_ilS7_S9_ilPT18_ili26rocblas_geam_ex_operation_.num_vgpr, 124
	.set _ZN12_GLOBAL__N_120geam_min_plus_kernelIDF16_Dv2_DF16_S1_Li8ELi32ELi64ELi128ELi4ELi4ELi64ELi64ELi4ELc84ELc84ELb1ELb1ELb0EDF16_KPKDF16_KPDF16_EEviiiT16_PT17_ilS9_ilS7_S9_ilPT18_ili26rocblas_geam_ex_operation_.num_agpr, 0
	.set _ZN12_GLOBAL__N_120geam_min_plus_kernelIDF16_Dv2_DF16_S1_Li8ELi32ELi64ELi128ELi4ELi4ELi64ELi64ELi4ELc84ELc84ELb1ELb1ELb0EDF16_KPKDF16_KPDF16_EEviiiT16_PT17_ilS9_ilS7_S9_ilPT18_ili26rocblas_geam_ex_operation_.numbered_sgpr, 26
	.set _ZN12_GLOBAL__N_120geam_min_plus_kernelIDF16_Dv2_DF16_S1_Li8ELi32ELi64ELi128ELi4ELi4ELi64ELi64ELi4ELc84ELc84ELb1ELb1ELb0EDF16_KPKDF16_KPDF16_EEviiiT16_PT17_ilS9_ilS7_S9_ilPT18_ili26rocblas_geam_ex_operation_.num_named_barrier, 0
	.set _ZN12_GLOBAL__N_120geam_min_plus_kernelIDF16_Dv2_DF16_S1_Li8ELi32ELi64ELi128ELi4ELi4ELi64ELi64ELi4ELc84ELc84ELb1ELb1ELb0EDF16_KPKDF16_KPDF16_EEviiiT16_PT17_ilS9_ilS7_S9_ilPT18_ili26rocblas_geam_ex_operation_.private_seg_size, 0
	.set _ZN12_GLOBAL__N_120geam_min_plus_kernelIDF16_Dv2_DF16_S1_Li8ELi32ELi64ELi128ELi4ELi4ELi64ELi64ELi4ELc84ELc84ELb1ELb1ELb0EDF16_KPKDF16_KPDF16_EEviiiT16_PT17_ilS9_ilS7_S9_ilPT18_ili26rocblas_geam_ex_operation_.uses_vcc, 1
	.set _ZN12_GLOBAL__N_120geam_min_plus_kernelIDF16_Dv2_DF16_S1_Li8ELi32ELi64ELi128ELi4ELi4ELi64ELi64ELi4ELc84ELc84ELb1ELb1ELb0EDF16_KPKDF16_KPDF16_EEviiiT16_PT17_ilS9_ilS7_S9_ilPT18_ili26rocblas_geam_ex_operation_.uses_flat_scratch, 0
	.set _ZN12_GLOBAL__N_120geam_min_plus_kernelIDF16_Dv2_DF16_S1_Li8ELi32ELi64ELi128ELi4ELi4ELi64ELi64ELi4ELc84ELc84ELb1ELb1ELb0EDF16_KPKDF16_KPDF16_EEviiiT16_PT17_ilS9_ilS7_S9_ilPT18_ili26rocblas_geam_ex_operation_.has_dyn_sized_stack, 0
	.set _ZN12_GLOBAL__N_120geam_min_plus_kernelIDF16_Dv2_DF16_S1_Li8ELi32ELi64ELi128ELi4ELi4ELi64ELi64ELi4ELc84ELc84ELb1ELb1ELb0EDF16_KPKDF16_KPDF16_EEviiiT16_PT17_ilS9_ilS7_S9_ilPT18_ili26rocblas_geam_ex_operation_.has_recursion, 0
	.set _ZN12_GLOBAL__N_120geam_min_plus_kernelIDF16_Dv2_DF16_S1_Li8ELi32ELi64ELi128ELi4ELi4ELi64ELi64ELi4ELc84ELc84ELb1ELb1ELb0EDF16_KPKDF16_KPDF16_EEviiiT16_PT17_ilS9_ilS7_S9_ilPT18_ili26rocblas_geam_ex_operation_.has_indirect_call, 0
	.section	.AMDGPU.csdata,"",@progbits
; Kernel info:
; codeLenInByte = 12012
; TotalNumSgprs: 28
; NumVgprs: 124
; ScratchSize: 0
; MemoryBound: 0
; FloatMode: 240
; IeeeMode: 1
; LDSByteSize: 3072 bytes/workgroup (compile time only)
; SGPRBlocks: 0
; VGPRBlocks: 15
; NumSGPRsForWavesPerEU: 28
; NumVGPRsForWavesPerEU: 124
; Occupancy: 8
; WaveLimiterHint : 1
; COMPUTE_PGM_RSRC2:SCRATCH_EN: 0
; COMPUTE_PGM_RSRC2:USER_SGPR: 6
; COMPUTE_PGM_RSRC2:TRAP_HANDLER: 0
; COMPUTE_PGM_RSRC2:TGID_X_EN: 1
; COMPUTE_PGM_RSRC2:TGID_Y_EN: 0
; COMPUTE_PGM_RSRC2:TGID_Z_EN: 1
; COMPUTE_PGM_RSRC2:TIDIG_COMP_CNT: 1
	.section	.text._ZN12_GLOBAL__N_120geam_min_plus_kernelIDF16_Dv2_DF16_S1_Li8ELi32ELi64ELi128ELi4ELi4ELi64ELi64ELi4ELc84ELc84ELb0ELb1ELb0EDF16_KPKDF16_KPDF16_EEviiiT16_PT17_ilS9_ilS7_S9_ilPT18_ili26rocblas_geam_ex_operation_,"axG",@progbits,_ZN12_GLOBAL__N_120geam_min_plus_kernelIDF16_Dv2_DF16_S1_Li8ELi32ELi64ELi128ELi4ELi4ELi64ELi64ELi4ELc84ELc84ELb0ELb1ELb0EDF16_KPKDF16_KPDF16_EEviiiT16_PT17_ilS9_ilS7_S9_ilPT18_ili26rocblas_geam_ex_operation_,comdat
	.globl	_ZN12_GLOBAL__N_120geam_min_plus_kernelIDF16_Dv2_DF16_S1_Li8ELi32ELi64ELi128ELi4ELi4ELi64ELi64ELi4ELc84ELc84ELb0ELb1ELb0EDF16_KPKDF16_KPDF16_EEviiiT16_PT17_ilS9_ilS7_S9_ilPT18_ili26rocblas_geam_ex_operation_ ; -- Begin function _ZN12_GLOBAL__N_120geam_min_plus_kernelIDF16_Dv2_DF16_S1_Li8ELi32ELi64ELi128ELi4ELi4ELi64ELi64ELi4ELc84ELc84ELb0ELb1ELb0EDF16_KPKDF16_KPDF16_EEviiiT16_PT17_ilS9_ilS7_S9_ilPT18_ili26rocblas_geam_ex_operation_
	.p2align	8
	.type	_ZN12_GLOBAL__N_120geam_min_plus_kernelIDF16_Dv2_DF16_S1_Li8ELi32ELi64ELi128ELi4ELi4ELi64ELi64ELi4ELc84ELc84ELb0ELb1ELb0EDF16_KPKDF16_KPDF16_EEviiiT16_PT17_ilS9_ilS7_S9_ilPT18_ili26rocblas_geam_ex_operation_,@function
_ZN12_GLOBAL__N_120geam_min_plus_kernelIDF16_Dv2_DF16_S1_Li8ELi32ELi64ELi128ELi4ELi4ELi64ELi64ELi4ELc84ELc84ELb0ELb1ELb0EDF16_KPKDF16_KPDF16_EEviiiT16_PT17_ilS9_ilS7_S9_ilPT18_ili26rocblas_geam_ex_operation_: ; @_ZN12_GLOBAL__N_120geam_min_plus_kernelIDF16_Dv2_DF16_S1_Li8ELi32ELi64ELi128ELi4ELi4ELi64ELi64ELi4ELc84ELc84ELb0ELb1ELb0EDF16_KPKDF16_KPDF16_EEviiiT16_PT17_ilS9_ilS7_S9_ilPT18_ili26rocblas_geam_ex_operation_
; %bb.0:
	s_clause 0x1
	s_load_dwordx4 s[12:15], s[4:5], 0x0
	s_load_dwordx4 s[0:3], s[4:5], 0x20
	s_mov_b32 s18, s7
	s_mov_b32 s19, 0
	s_waitcnt lgkmcnt(0)
	v_cmp_eq_f16_e64 s7, s15, 0
	v_cmp_neq_f16_e64 s24, s15, 0
	s_and_b32 vcc_lo, exec_lo, s7
	s_cbranch_vccnz .LBB254_3
; %bb.1:
	s_load_dwordx2 s[8:9], s[4:5], 0x10
	s_lshl_b64 s[10:11], s[18:19], 3
	s_waitcnt lgkmcnt(0)
	s_add_u32 s8, s8, s10
	s_addc_u32 s9, s9, s11
	s_lshl_b64 s[0:1], s[0:1], 1
	s_load_dwordx2 s[8:9], s[8:9], 0x0
	s_waitcnt lgkmcnt(0)
	s_add_u32 s16, s8, s0
	s_addc_u32 s17, s9, s1
	s_andn2_b32 vcc_lo, exec_lo, s7
	s_cbranch_vccnz .LBB254_4
.LBB254_2:
	s_mov_b32 s21, 0
	s_mov_b32 s20, s18
	;; [unrolled: 1-line block ×3, first 2 shown]
	s_mov_b64 s[10:11], 0
	s_andn2_b32 vcc_lo, exec_lo, s0
	s_mov_b64 s[8:9], 0
	s_cbranch_vccz .LBB254_5
	s_branch .LBB254_6
.LBB254_3:
	s_mov_b64 s[16:17], 0
	s_andn2_b32 vcc_lo, exec_lo, s7
	s_cbranch_vccz .LBB254_2
.LBB254_4:
	s_mov_b64 s[20:21], s[18:19]
	s_mov_b64 s[10:11], 0
	;; [unrolled: 1-line block ×3, first 2 shown]
.LBB254_5:
	s_lshl_b64 s[0:1], s[18:19], 3
	s_load_dwordx2 s[8:9], s[4:5], 0x38
	s_add_u32 s0, s2, s0
	s_addc_u32 s1, s3, s1
	s_load_dwordx2 s[0:1], s[0:1], 0x0
	s_waitcnt lgkmcnt(0)
	s_lshl_b64 s[2:3], s[8:9], 1
	s_add_u32 s8, s0, s2
	s_addc_u32 s9, s1, s3
.LBB254_6:
	s_clause 0x1
	s_load_dword s22, s[4:5], 0x40
	s_load_dwordx4 s[0:3], s[4:5], 0x58
	s_waitcnt lgkmcnt(0)
	v_cmp_eq_f16_e64 s7, s22, 0
	v_cmp_neq_f16_e64 s23, s22, 0
	s_and_b32 vcc_lo, exec_lo, s7
	s_cbranch_vccnz .LBB254_8
; %bb.7:
	s_load_dwordx2 s[10:11], s[4:5], 0x48
	s_lshl_b64 s[18:19], s[20:21], 3
	s_waitcnt lgkmcnt(0)
	s_add_u32 s10, s10, s18
	s_addc_u32 s11, s11, s19
	s_lshl_b64 s[0:1], s[0:1], 1
	s_load_dwordx2 s[10:11], s[10:11], 0x0
	s_waitcnt lgkmcnt(0)
	s_add_u32 s10, s10, s0
	s_addc_u32 s11, s11, s1
.LBB254_8:
	s_lshl_b64 s[0:1], s[20:21], 3
	s_load_dword s28, s[4:5], 0x18
	s_add_u32 s18, s2, s0
	s_addc_u32 s19, s3, s1
	s_add_i32 s0, s12, -1
	v_and_b32_e32 v30, 3, v0
	s_ashr_i32 s1, s0, 31
	v_mov_b32_e32 v10, 0
	s_lshr_b32 s1, s1, 26
	v_mov_b32_e32 v11, 0
	s_add_i32 s0, s0, s1
	v_lshlrev_b32_e32 v4, 1, v30
	s_ashr_i32 s0, s0, 6
	s_add_i32 s2, s0, 1
	s_not_b32 s0, s0
	v_cvt_f32_u32_e32 v2, s2
	v_rcp_iflag_f32_e32 v2, v2
	v_mul_f32_e32 v2, 0x4f7ffffe, v2
	v_cvt_u32_f32_e32 v2, v2
	v_readfirstlane_b32 s1, v2
	v_lshl_add_u32 v2, v1, 3, v0
	s_mul_i32 s0, s0, s1
	v_lshrrev_b32_e32 v9, 2, v2
	s_mul_hi_u32 s0, s1, s0
	s_add_i32 s1, s1, s0
	s_mul_hi_u32 s0, s6, s1
	s_mul_i32 s1, s0, s2
	s_add_i32 s3, s0, 1
	s_sub_i32 s1, s6, s1
	s_sub_i32 s7, s1, s2
	s_cmp_ge_u32 s1, s2
	s_cselect_b32 s0, s3, s0
	s_cselect_b32 s1, s7, s1
	s_add_i32 s3, s0, 1
	s_cmp_ge_u32 s1, s2
	s_cselect_b32 s1, s3, s0
	s_mul_i32 s0, s1, s2
	s_sub_i32 s0, s6, s0
	s_lshl_b32 s20, s0, 6
	v_cmp_gt_i32_e64 s0, s14, v30
	v_add_nc_u32_e32 v5, s20, v9
	v_cmp_gt_i32_e32 vcc_lo, s12, v5
	s_and_b32 s0, s0, vcc_lo
	s_and_b32 s0, s24, s0
	s_and_saveexec_b32 s2, s0
	s_cbranch_execz .LBB254_10
; %bb.9:
	s_waitcnt lgkmcnt(0)
	v_mad_i64_i32 v[6:7], null, v5, s28, 0
	v_lshlrev_b64 v[6:7], 1, v[6:7]
	v_add_co_u32 v3, s0, s16, v6
	v_add_co_ci_u32_e64 v7, null, s17, v7, s0
	v_add_co_u32 v6, s0, v3, v4
	v_add_co_ci_u32_e64 v7, null, 0, v7, s0
	flat_load_ushort v3, v[6:7]
	s_waitcnt vmcnt(0) lgkmcnt(0)
	v_mul_f16_e32 v11, s15, v3
.LBB254_10:
	s_or_b32 exec_lo, exec_lo, s2
	s_load_dword s25, s[4:5], 0x30
	v_lshrrev_b32_e32 v31, 6, v2
	s_add_i32 s26, s14, -1
	v_and_b32_e32 v12, 63, v2
	s_lshl_b32 s21, s1, 7
	s_xor_b32 s27, s24, -1
	v_min_i32_e32 v3, s26, v31
	v_cmp_le_i32_e64 s2, s14, v31
	v_or_b32_e32 v2, s21, v12
	v_cmp_le_i32_e64 s0, s13, v2
	s_or_b32 s3, s0, s2
	s_waitcnt lgkmcnt(0)
	v_mad_i64_i32 v[6:7], null, s25, v3, 0
	v_ashrrev_i32_e32 v3, 31, v2
	v_lshlrev_b64 v[7:8], 1, v[6:7]
	v_add_co_u32 v7, s1, s8, v7
	v_add_co_ci_u32_e64 v8, null, s9, v8, s1
	s_nor_b32 s1, s3, s27
	s_and_saveexec_b32 s3, s1
	s_cbranch_execz .LBB254_12
; %bb.11:
	v_lshlrev_b64 v[13:14], 1, v[2:3]
	v_add_co_u32 v13, s1, v7, v13
	v_add_co_ci_u32_e64 v14, null, v8, v14, s1
	flat_load_ushort v6, v[13:14]
	s_waitcnt vmcnt(0) lgkmcnt(0)
	v_mul_f16_e32 v10, s15, v6
.LBB254_12:
	s_or_b32 exec_lo, exec_lo, s3
	v_or_b32_e32 v6, 64, v2
	v_mov_b32_e32 v13, 0
	v_cmp_le_i32_e64 s1, s13, v6
	v_mov_b32_e32 v6, 0
	s_or_b32 s2, s1, s2
	s_nor_b32 s2, s2, s27
	s_and_saveexec_b32 s3, s2
	s_cbranch_execz .LBB254_14
; %bb.13:
	v_lshlrev_b64 v[13:14], 1, v[2:3]
	v_add_co_u32 v7, s2, v7, v13
	v_add_co_ci_u32_e64 v8, null, v8, v14, s2
	flat_load_ushort v7, v[7:8] offset:128
	s_waitcnt vmcnt(0) lgkmcnt(0)
	v_mul_f16_e32 v13, s15, v7
.LBB254_14:
	s_or_b32 exec_lo, exec_lo, s3
	v_or_b32_e32 v7, 4, v30
	v_cmp_gt_i32_e64 s2, s14, v7
	s_and_b32 s2, s2, vcc_lo
	s_and_b32 s2, s24, s2
	s_and_saveexec_b32 s3, s2
	s_cbranch_execz .LBB254_16
; %bb.15:
	v_mad_i64_i32 v[6:7], null, v5, s28, 0
	v_lshlrev_b64 v[6:7], 1, v[6:7]
	v_add_co_u32 v6, s2, s16, v6
	v_add_co_ci_u32_e64 v7, null, s17, v7, s2
	v_add_co_u32 v6, s2, v6, v4
	v_add_co_ci_u32_e64 v7, null, 0, v7, s2
	flat_load_ushort v6, v[6:7] offset:8
	s_waitcnt vmcnt(0) lgkmcnt(0)
	v_mul_f16_e32 v6, s15, v6
.LBB254_16:
	s_or_b32 exec_lo, exec_lo, s3
	v_add_nc_u32_e32 v16, 4, v31
	v_min_i32_e32 v7, s26, v16
	v_cmp_le_i32_e64 s2, s14, v16
	v_mad_i64_i32 v[7:8], null, s25, v7, 0
	v_lshlrev_b64 v[14:15], 1, v[7:8]
	v_mov_b32_e32 v7, 0
	v_mov_b32_e32 v8, 0
	v_add_co_u32 v14, s3, s8, v14
	v_add_co_ci_u32_e64 v15, null, s9, v15, s3
	s_or_b32 s3, s0, s2
	s_nor_b32 s3, s3, s27
	s_and_saveexec_b32 s6, s3
	s_cbranch_execz .LBB254_18
; %bb.17:
	v_lshlrev_b64 v[16:17], 1, v[2:3]
	v_add_co_u32 v16, s3, v14, v16
	v_add_co_ci_u32_e64 v17, null, v15, v17, s3
	flat_load_ushort v8, v[16:17]
	s_waitcnt vmcnt(0) lgkmcnt(0)
	v_mul_f16_e32 v8, s15, v8
.LBB254_18:
	s_or_b32 exec_lo, exec_lo, s6
	s_or_b32 s2, s1, s2
	s_nor_b32 s2, s2, s27
	s_and_saveexec_b32 s3, s2
	s_cbranch_execz .LBB254_20
; %bb.19:
	v_lshlrev_b64 v[16:17], 1, v[2:3]
	v_add_co_u32 v14, s2, v14, v16
	v_add_co_ci_u32_e64 v15, null, v15, v17, s2
	flat_load_ushort v7, v[14:15] offset:128
	s_waitcnt vmcnt(0) lgkmcnt(0)
	v_mul_f16_e32 v7, s15, v7
.LBB254_20:
	s_or_b32 exec_lo, exec_lo, s3
	v_lshlrev_b32_e32 v12, 3, v12
	v_lshlrev_b32_e32 v33, 3, v0
	v_lshl_or_b32 v9, v9, 3, v4
	v_lshlrev_b32_e32 v32, 3, v1
	s_load_dwordx2 s[6:7], s[18:19], 0x0
	v_lshl_add_u32 v34, v31, 1, v12
	v_add_nc_u32_e32 v35, 0x800, v33
	ds_write_b16 v9, v11 offset:2048
	s_mov_b32 s18, 0
	s_cmp_lt_i32 s14, 9
	ds_write_b16 v34, v10
	ds_write_b16 v34, v13 offset:512
	s_waitcnt lgkmcnt(0)
	s_barrier
	buffer_gl0_inv
	ds_read2_b64 v[10:13], v32 offset1:32
	ds_read2_b64 v[14:17], v35 offset0:48 offset1:56
	ds_read2_b64 v[18:21], v32 offset0:64 offset1:96
	ds_read2_b64 v[22:25], v35 offset1:8
	ds_read2_b64 v[26:29], v35 offset0:16 offset1:24
	ds_read2_b64 v[35:38], v35 offset0:32 offset1:40
	ds_write_b16 v9, v6 offset:2560
	ds_write_b16 v34, v8 offset:1024
	;; [unrolled: 1-line block ×3, first 2 shown]
	s_waitcnt lgkmcnt(0)
	s_barrier
	buffer_gl0_inv
	v_pk_max_f16 v10, v10, v10
	v_pk_max_f16 v16, v16, v16
	;; [unrolled: 1-line block ×6, first 2 shown]
	v_pk_min_f16 v39, v16, v10
	v_pk_max_f16 v22, v22, v22
	v_pk_max_f16 v20, v20, v20
	;; [unrolled: 1-line block ×4, first 2 shown]
	v_pk_min_f16 v40, v16, v12
	v_pk_max_f16 v28, v28, v28
	v_pk_max_f16 v35, v35, v35
	;; [unrolled: 1-line block ×5, first 2 shown]
	v_pk_add_f16 v39, v39, 0
	v_pk_min_f16 v50, v17, v11
	v_pk_min_f16 v41, v16, v18
	;; [unrolled: 1-line block ×19, first 2 shown]
	v_pk_max_f16 v19, v19, v19
	v_pk_max_f16 v21, v21, v21
	v_pk_min_f16 v56, v35, v12
	v_pk_min_f16 v59, v35, v18
	v_pk_max_f16 v23, v23, v23
	v_pk_min_f16 v35, v35, v20
	v_pk_min_f16 v60, v37, v10
	;; [unrolled: 1-line block ×10, first 2 shown]
	v_pk_add_f16 v68, v39, v50
	v_pk_add_f16 v20, v40, 0
	v_pk_min_f16 v39, v17, v13
	v_pk_max_f16 v25, v25, v25
	v_pk_add_f16 v40, v41, 0
	v_pk_min_f16 v41, v17, v19
	v_pk_add_f16 v42, v42, 0
	v_pk_min_f16 v57, v23, v11
	v_pk_min_f16 v63, v23, v13
	v_pk_add_f16 v44, v44, 0
	v_pk_min_f16 v64, v23, v19
	v_pk_add_f16 v58, v20, v39
	v_pk_add_f16 v20, v22, 0
	v_pk_min_f16 v23, v23, v21
	v_pk_add_f16 v50, v40, v41
	v_pk_add_f16 v41, v42, v57
	v_pk_add_f16 v57, v44, v64
	v_pk_add_f16 v22, v45, 0
	v_pk_add_f16 v44, v49, 0
	v_pk_add_f16 v49, v20, v23
	v_pk_min_f16 v20, v25, v11
	v_pk_add_f16 v40, v46, 0
	v_pk_max_f16 v27, v27, v27
	v_pk_add_f16 v43, v43, 0
	v_pk_add_f16 v42, v47, 0
	;; [unrolled: 1-line block ×3, first 2 shown]
	v_pk_min_f16 v20, v25, v13
	v_pk_add_f16 v24, v24, 0
	v_pk_max_f16 v29, v29, v29
	v_pk_add_f16 v66, v43, v63
	v_pk_add_f16 v43, v48, 0
	;; [unrolled: 1-line block ×3, first 2 shown]
	v_pk_min_f16 v20, v25, v19
	v_pk_min_f16 v25, v25, v21
	v_pk_add_f16 v23, v52, 0
	v_pk_add_f16 v52, v56, 0
	;; [unrolled: 1-line block ×5, first 2 shown]
	v_pk_min_f16 v20, v27, v11
	v_pk_min_f16 v24, v27, v13
	v_pk_add_f16 v26, v26, 0
	v_pk_add_f16 v25, v37, 0
	;; [unrolled: 1-line block ×5, first 2 shown]
	v_pk_min_f16 v20, v27, v19
	v_pk_min_f16 v24, v27, v21
	;; [unrolled: 1-line block ×3, first 2 shown]
	v_pk_add_f16 v51, v54, 0
	v_pk_add_f16 v28, v28, 0
	;; [unrolled: 1-line block ×8, first 2 shown]
	v_pk_min_f16 v20, v29, v13
	v_pk_min_f16 v23, v29, v19
	;; [unrolled: 1-line block ×3, first 2 shown]
	v_pk_max_f16 v26, v36, v36
	v_pk_max_f16 v27, v38, v38
	v_pk_add_f16 v63, v46, v20
	v_pk_add_f16 v54, v51, v23
	;; [unrolled: 1-line block ×3, first 2 shown]
	v_pk_min_f16 v20, v26, v11
	v_pk_min_f16 v23, v26, v13
	;; [unrolled: 1-line block ×3, first 2 shown]
	v_pk_max_f16 v15, v15, v15
	v_pk_add_f16 v40, v60, 0
	v_pk_add_f16 v60, v61, 0
	;; [unrolled: 1-line block ×8, first 2 shown]
	v_pk_min_f16 v26, v26, v21
	v_pk_add_f16 v36, v22, v20
	v_pk_add_f16 v62, v52, v23
	;; [unrolled: 1-line block ×3, first 2 shown]
	v_pk_min_f16 v20, v27, v11
	v_pk_min_f16 v22, v27, v13
	v_pk_min_f16 v23, v27, v19
	v_pk_min_f16 v24, v27, v21
	v_pk_min_f16 v11, v15, v11
	v_pk_min_f16 v13, v15, v13
	v_pk_min_f16 v19, v15, v19
	v_pk_min_f16 v15, v15, v21
	v_pk_min_f16 v17, v17, v21
	v_pk_add_f16 v45, v59, v26
	v_pk_add_f16 v38, v40, v20
	;; [unrolled: 1-line block ×10, first 2 shown]
	s_cbranch_scc1 .LBB254_35
; %bb.21:
	v_mad_i64_i32 v[5:6], null, s28, v5, 0
	v_lshlrev_b64 v[26:27], 1, v[2:3]
	v_add_nc_u32_e32 v59, 0x800, v9
	v_or_b32_e32 v67, 0x800, v33
	v_add_nc_u32_e32 v69, 0xa00, v9
	v_add_nc_u32_e32 v70, 0x400, v34
	v_lshl_add_u32 v71, v0, 3, 0xa00
	v_lshlrev_b64 v[5:6], 1, v[5:6]
	v_lshl_add_u32 v72, v1, 3, 0x400
	v_add_co_u32 v4, s2, v5, v4
	v_add_co_ci_u32_e64 v5, null, 0, v6, s2
	v_add_co_u32 v4, s2, s16, v4
	v_add_co_ci_u32_e64 v5, null, s17, v5, s2
	s_add_i32 s16, s14, -8
	v_add_co_u32 v28, s2, v4, 24
	v_add_co_ci_u32_e64 v29, null, 0, v5, s2
	s_branch .LBB254_23
.LBB254_22:                             ;   in Loop: Header=BB254_23 Depth=1
	s_or_b32 exec_lo, exec_lo, s3
	v_pk_max_f16 v22, v22, v22
	v_pk_max_f16 v24, v24, v24
	;; [unrolled: 1-line block ×14, first 2 shown]
	v_pk_min_f16 v82, v10, v22
	v_pk_max_f16 v12, v12, v12
	v_pk_max_f16 v11, v11, v11
	;; [unrolled: 1-line block ×7, first 2 shown]
	v_pk_min_f16 v83, v10, v24
	v_pk_max_f16 v2, v2, v2
	v_pk_max_f16 v5, v5, v5
	;; [unrolled: 1-line block ×3, first 2 shown]
	v_pk_min_f16 v84, v10, v18
	v_pk_min_f16 v10, v10, v20
	;; [unrolled: 1-line block ×62, first 2 shown]
	v_pk_add_f16 v3, v68, v94
	v_pk_add_f16 v5, v58, v95
	;; [unrolled: 1-line block ×17, first 2 shown]
	ds_read2_b64 v[2:5], v67 offset0:48 offset1:56
	ds_read2_b64 v[6:9], v32 offset1:32
	v_pk_add_f16 v64, v10, v11
	ds_read2_b64 v[10:13], v32 offset0:64 offset1:96
	v_pk_add_f16 v47, v63, v86
	v_pk_add_f16 v24, v60, v24
	;; [unrolled: 1-line block ×4, first 2 shown]
	ds_read2_b64 v[14:17], v67 offset1:8
	v_pk_add_f16 v41, v41, v76
	v_pk_add_f16 v58, v66, v77
	;; [unrolled: 1-line block ×9, first 2 shown]
	ds_read2_b64 v[18:21], v67 offset0:16 offset1:24
	v_pk_add_f16 v58, v58, v97
	s_waitcnt lgkmcnt(4)
	v_pk_max_f16 v4, v4, v4
	s_waitcnt lgkmcnt(3)
	v_pk_max_f16 v6, v6, v6
	v_pk_max_f16 v8, v8, v8
	s_waitcnt lgkmcnt(2)
	v_pk_max_f16 v10, v10, v10
	v_pk_add_f16 v57, v57, v98
	v_pk_max_f16 v12, v12, v12
	v_pk_min_f16 v22, v4, v6
	v_pk_min_f16 v23, v4, v8
	;; [unrolled: 1-line block ×3, first 2 shown]
	s_waitcnt lgkmcnt(1)
	v_pk_max_f16 v14, v14, v14
	v_pk_max_f16 v16, v16, v16
	v_pk_add_f16 v43, v43, v22
	v_pk_add_f16 v51, v51, v23
	;; [unrolled: 1-line block ×3, first 2 shown]
	v_pk_min_f16 v22, v14, v6
	v_pk_min_f16 v23, v14, v8
	;; [unrolled: 1-line block ×4, first 2 shown]
	v_pk_add_f16 v39, v39, v79
	v_pk_add_f16 v41, v41, v22
	;; [unrolled: 1-line block ×4, first 2 shown]
	ds_read2_b64 v[22:25], v67 offset0:32 offset1:40
	v_pk_add_f16 v37, v37, v82
	v_pk_add_f16 v49, v49, v100
	;; [unrolled: 1-line block ×3, first 2 shown]
	v_pk_min_f16 v60, v16, v8
	s_waitcnt lgkmcnt(1)
	v_pk_max_f16 v18, v18, v18
	v_pk_add_f16 v56, v56, v81
	v_pk_add_f16 v55, v55, v84
	v_pk_add_f16 v39, v39, v99
	v_pk_add_f16 v37, v37, v102
	v_pk_min_f16 v58, v16, v6
	v_pk_min_f16 v77, v16, v10
	;; [unrolled: 1-line block ×3, first 2 shown]
	v_pk_add_f16 v60, v49, v60
	v_pk_min_f16 v49, v18, v6
	v_pk_max_f16 v20, v20, v20
	v_pk_add_f16 v36, v36, v88
	v_pk_add_f16 v56, v56, v101
	;; [unrolled: 1-line block ×7, first 2 shown]
	v_pk_min_f16 v58, v18, v8
	v_pk_min_f16 v63, v18, v10
	v_pk_add_f16 v37, v37, v49
	v_pk_min_f16 v49, v20, v8
	s_waitcnt lgkmcnt(0)
	v_pk_max_f16 v22, v22, v22
	v_pk_add_f16 v35, v35, v85
	v_pk_add_f16 v62, v62, v89
	;; [unrolled: 1-line block ×7, first 2 shown]
	v_pk_min_f16 v48, v20, v6
	v_pk_min_f16 v58, v20, v10
	;; [unrolled: 1-line block ×3, first 2 shown]
	v_pk_add_f16 v63, v47, v49
	v_pk_min_f16 v47, v22, v6
	v_pk_add_f16 v35, v35, v105
	v_pk_add_f16 v62, v62, v110
	;; [unrolled: 1-line block ×4, first 2 shown]
	v_pk_min_f16 v46, v22, v8
	v_pk_max_f16 v24, v24, v24
	v_pk_add_f16 v36, v36, v47
	v_pk_min_f16 v47, v22, v10
	v_pk_min_f16 v22, v22, v12
	v_pk_max_f16 v2, v2, v2
	v_pk_max_f16 v5, v5, v5
	;; [unrolled: 1-line block ×3, first 2 shown]
	v_pk_add_f16 v54, v54, v87
	v_pk_add_f16 v40, v40, v117
	v_pk_min_f16 v18, v18, v12
	v_pk_add_f16 v35, v35, v48
	v_pk_add_f16 v62, v62, v46
	v_pk_min_f16 v46, v24, v6
	v_pk_min_f16 v48, v24, v8
	v_pk_add_f16 v22, v45, v22
	v_pk_min_f16 v45, v24, v10
	v_pk_min_f16 v24, v24, v12
	;; [unrolled: 1-line block ×6, first 2 shown]
	v_pk_max_f16 v9, v9, v9
	v_pk_min_f16 v4, v4, v12
	v_pk_max_f16 v11, v11, v11
	v_pk_min_f16 v12, v5, v7
	v_pk_add_f16 v54, v54, v107
	v_pk_add_f16 v10, v68, v10
	;; [unrolled: 1-line block ×3, first 2 shown]
	v_pk_min_f16 v40, v5, v9
	v_pk_add_f16 v4, v42, v4
	v_pk_min_f16 v42, v5, v11
	v_pk_max_f16 v15, v15, v15
	v_pk_add_f16 v68, v43, v12
	v_pk_max_f16 v12, v13, v13
	v_pk_add_f16 v61, v61, v92
	v_pk_add_f16 v54, v54, v58
	;; [unrolled: 1-line block ×4, first 2 shown]
	v_pk_min_f16 v13, v15, v7
	v_pk_min_f16 v40, v15, v9
	;; [unrolled: 1-line block ×4, first 2 shown]
	v_pk_max_f16 v17, v17, v17
	v_pk_add_f16 v53, v53, v90
	v_pk_add_f16 v61, v61, v114
	;; [unrolled: 1-line block ×4, first 2 shown]
	v_pk_min_f16 v13, v17, v7
	v_pk_min_f16 v14, v17, v9
	;; [unrolled: 1-line block ×4, first 2 shown]
	v_pk_max_f16 v19, v19, v19
	v_pk_add_f16 v38, v38, v91
	v_pk_add_f16 v53, v53, v111
	v_pk_add_f16 v18, v64, v18
	v_pk_add_f16 v61, v61, v48
	v_pk_add_f16 v6, v65, v6
	v_pk_add_f16 v39, v39, v13
	v_pk_add_f16 v65, v60, v14
	v_pk_add_f16 v56, v56, v15
	v_pk_add_f16 v48, v16, v17
	v_pk_min_f16 v13, v19, v7
	v_pk_min_f16 v14, v19, v9
	;; [unrolled: 1-line block ×4, first 2 shown]
	v_pk_max_f16 v17, v21, v21
	v_pk_add_f16 v52, v52, v93
	v_pk_add_f16 v38, v38, v113
	;; [unrolled: 1-line block ×7, first 2 shown]
	v_pk_min_f16 v13, v17, v7
	v_pk_min_f16 v14, v17, v9
	;; [unrolled: 1-line block ×4, first 2 shown]
	v_pk_max_f16 v17, v23, v23
	v_pk_add_f16 v52, v52, v115
	v_pk_add_f16 v44, v44, v116
	;; [unrolled: 1-line block ×7, first 2 shown]
	v_pk_min_f16 v13, v17, v7
	v_pk_min_f16 v14, v17, v9
	v_pk_min_f16 v15, v17, v11
	v_pk_min_f16 v16, v17, v12
	v_pk_max_f16 v17, v25, v25
	v_pk_max_f16 v3, v3, v3
	v_pk_add_f16 v52, v52, v45
	v_pk_add_f16 v24, v44, v24
	;; [unrolled: 1-line block ×7, first 2 shown]
	v_pk_min_f16 v13, v17, v7
	v_pk_min_f16 v14, v17, v9
	;; [unrolled: 1-line block ×9, first 2 shown]
	v_add_co_u32 v28, s2, v28, 16
	v_pk_add_f16 v66, v76, v40
	v_pk_add_f16 v57, v57, v42
	;; [unrolled: 1-line block ×11, first 2 shown]
	v_add_co_ci_u32_e64 v29, null, 0, v29, s2
	s_add_i32 s18, s18, 8
	ds_write_b16 v69, v73
	ds_write_b16 v70, v74
	ds_write_b16 v70, v75 offset:512
	s_cmp_ge_i32 s18, s16
	s_waitcnt lgkmcnt(0)
	s_barrier
	buffer_gl0_inv
	s_cbranch_scc1 .LBB254_35
.LBB254_23:                             ; =>This Inner Loop Header: Depth=1
	v_add_nc_u32_e32 v73, s18, v30
	v_mov_b32_e32 v74, 0
	v_add_nc_u32_e32 v2, 8, v73
	v_cmp_gt_i32_e64 s2, s14, v2
	s_and_b32 s2, s2, vcc_lo
	s_and_b32 s2, s24, s2
	s_and_saveexec_b32 s3, s2
	s_cbranch_execz .LBB254_25
; %bb.24:                               ;   in Loop: Header=BB254_23 Depth=1
	v_add_co_u32 v2, s2, -8, v28
	v_add_co_ci_u32_e64 v3, null, -1, v29, s2
	flat_load_ushort v2, v[2:3]
	s_waitcnt vmcnt(0) lgkmcnt(0)
	v_mul_f16_e32 v74, s15, v2
.LBB254_25:                             ;   in Loop: Header=BB254_23 Depth=1
	s_or_b32 exec_lo, exec_lo, s3
	v_add_nc_u32_e32 v75, s18, v31
	v_mov_b32_e32 v76, 0
	v_mov_b32_e32 v77, 0
	v_add_nc_u32_e32 v4, 8, v75
	v_min_i32_e32 v2, s26, v4
	v_cmp_le_i32_e64 s2, s14, v4
	v_mad_i64_i32 v[2:3], null, v2, s25, 0
	v_lshlrev_b64 v[2:3], 1, v[2:3]
	v_add_co_u32 v2, s3, s8, v2
	v_add_co_ci_u32_e64 v3, null, s9, v3, s3
	s_or_b32 s3, s0, s2
	s_nor_b32 s3, s3, s27
	s_and_saveexec_b32 s17, s3
	s_cbranch_execz .LBB254_27
; %bb.26:                               ;   in Loop: Header=BB254_23 Depth=1
	v_add_co_u32 v4, s3, v2, v26
	v_add_co_ci_u32_e64 v5, null, v3, v27, s3
	flat_load_ushort v4, v[4:5]
	s_waitcnt vmcnt(0) lgkmcnt(0)
	v_mul_f16_e32 v77, s15, v4
.LBB254_27:                             ;   in Loop: Header=BB254_23 Depth=1
	s_or_b32 exec_lo, exec_lo, s17
	s_or_b32 s2, s1, s2
	s_nor_b32 s2, s2, s27
	s_and_saveexec_b32 s3, s2
	s_cbranch_execz .LBB254_29
; %bb.28:                               ;   in Loop: Header=BB254_23 Depth=1
	v_add_co_u32 v2, s2, v2, v26
	v_add_co_ci_u32_e64 v3, null, v3, v27, s2
	flat_load_ushort v2, v[2:3] offset:128
	s_waitcnt vmcnt(0) lgkmcnt(0)
	v_mul_f16_e32 v76, s15, v2
.LBB254_29:                             ;   in Loop: Header=BB254_23 Depth=1
	s_or_b32 exec_lo, exec_lo, s3
	ds_read2_b64 v[2:5], v71 offset0:48 offset1:56
	ds_read2_b64 v[18:21], v72 offset0:64 offset1:96
	ds_read2_b64 v[22:25], v72 offset1:32
	ds_read2_b64 v[14:17], v71 offset1:8
	ds_read2_b64 v[10:13], v71 offset0:16 offset1:24
	ds_read2_b64 v[6:9], v71 offset0:32 offset1:40
	v_add_nc_u32_e32 v73, 12, v73
	ds_write_b16 v59, v74
	ds_write_b16 v34, v77
	v_mov_b32_e32 v74, 0
	ds_write_b16 v34, v76 offset:512
	s_waitcnt lgkmcnt(0)
	v_cmp_gt_i32_e64 s2, s14, v73
	v_mov_b32_e32 v73, 0
	s_barrier
	buffer_gl0_inv
	s_and_b32 s2, s2, vcc_lo
	s_and_b32 s2, s24, s2
	s_and_saveexec_b32 s3, s2
	s_xor_b32 s2, exec_lo, s3
	s_cbranch_execz .LBB254_31
; %bb.30:                               ;   in Loop: Header=BB254_23 Depth=1
	flat_load_ushort v73, v[28:29]
	s_waitcnt vmcnt(0) lgkmcnt(0)
	v_mul_f16_e32 v73, s15, v73
.LBB254_31:                             ;   in Loop: Header=BB254_23 Depth=1
	s_or_b32 exec_lo, exec_lo, s2
	v_add_nc_u32_e32 v78, 12, v75
	v_min_i32_e32 v75, s26, v78
	v_cmp_le_i32_e64 s2, s14, v78
	v_mad_i64_i32 v[75:76], null, v75, s25, 0
	v_lshlrev_b64 v[76:77], 1, v[75:76]
	v_add_co_u32 v76, s3, s8, v76
	v_add_co_ci_u32_e64 v77, null, s9, v77, s3
	s_or_b32 s3, s0, s2
	s_nor_b32 s3, s3, s27
	s_and_saveexec_b32 s17, s3
	s_cbranch_execz .LBB254_33
; %bb.32:                               ;   in Loop: Header=BB254_23 Depth=1
	v_add_co_u32 v74, s3, v76, v26
	v_add_co_ci_u32_e64 v75, null, v77, v27, s3
	flat_load_ushort v74, v[74:75]
	s_waitcnt vmcnt(0) lgkmcnt(0)
	v_mul_f16_e32 v74, s15, v74
.LBB254_33:                             ;   in Loop: Header=BB254_23 Depth=1
	s_or_b32 exec_lo, exec_lo, s17
	v_mov_b32_e32 v75, 0
	s_or_b32 s2, s1, s2
	s_nor_b32 s2, s2, s27
	s_and_saveexec_b32 s3, s2
	s_cbranch_execz .LBB254_22
; %bb.34:                               ;   in Loop: Header=BB254_23 Depth=1
	v_add_co_u32 v75, s2, v76, v26
	v_add_co_ci_u32_e64 v76, null, v77, v27, s2
	flat_load_ushort v75, v[75:76] offset:128
	s_waitcnt vmcnt(0) lgkmcnt(0)
	v_mul_f16_e32 v75, s15, v75
	s_branch .LBB254_22
.LBB254_35:
	s_clause 0x2
	s_load_dword s14, s[4:5], 0x50
	s_load_dword s9, s[4:5], 0x68
	s_load_dwordx2 s[2:3], s[4:5], 0x70
	v_add_nc_u32_e32 v67, s21, v1
	v_add_nc_u32_e32 v10, 0x800, v33
	ds_read2_b64 v[2:5], v32 offset0:192 offset1:224
	ds_read2_b64 v[22:25], v32 offset0:128 offset1:160
	v_add_nc_u32_e32 v0, s20, v0
	ds_read2_b64 v[6:9], v10 offset0:112 offset1:120
	ds_read2_b64 v[18:21], v10 offset0:64 offset1:72
	;; [unrolled: 1-line block ×4, first 2 shown]
	v_cmp_gt_i32_e64 s8, s13, v67
	v_cmp_gt_i32_e64 s0, s12, v0
	v_ashrrev_i32_e32 v1, 31, v0
	v_cndmask_b32_e64 v59, 0, 1, s23
	s_waitcnt lgkmcnt(0)
	v_mad_i64_i32 v[26:27], null, v67, s14, 0
	v_mad_i64_i32 v[28:29], null, v67, s9, 0
	s_lshl_b64 s[2:3], s[2:3], 1
	s_add_u32 s15, s6, s2
	s_addc_u32 s16, s7, s3
	v_lshlrev_b64 v[26:27], 1, v[26:27]
	s_and_b32 s1, s0, s8
	v_lshlrev_b64 v[28:29], 1, v[28:29]
	v_add_co_u32 v71, vcc_lo, s10, v26
	v_add_co_ci_u32_e64 v72, null, s11, v27, vcc_lo
	v_add_co_u32 v69, vcc_lo, s15, v28
	v_add_co_ci_u32_e64 v70, null, s16, v29, vcc_lo
	s_and_saveexec_b32 s2, s1
	s_xor_b32 s1, exec_lo, s2
	s_cbranch_execz .LBB254_40
; %bb.36:
	v_lshlrev_b64 v[26:27], 1, v[0:1]
	s_andn2_b32 vcc_lo, exec_lo, s23
	s_cbranch_vccnz .LBB254_38
; %bb.37:
	v_add_co_u32 v28, vcc_lo, v71, v26
	v_add_co_ci_u32_e64 v29, null, v72, v27, vcc_lo
	flat_load_ushort v28, v[28:29]
	s_waitcnt vmcnt(0) lgkmcnt(0)
	v_mul_f16_e32 v28, s22, v28
	s_branch .LBB254_39
.LBB254_38:
	v_mov_b32_e32 v28, 0
.LBB254_39:
	v_pk_max_f16 v29, v22, v22
	v_pk_max_f16 v30, v18, v18
	;; [unrolled: 1-line block ×4, first 2 shown]
	v_add_co_u32 v26, vcc_lo, v69, v26
	v_pk_min_f16 v29, v30, v29
	v_add_co_ci_u32_e64 v27, null, v70, v27, vcc_lo
	v_pk_min_f16 v30, v32, v31
	v_pk_add_f16 v29, v41, v29
	v_pk_add_f16 v29, v29, v30
	v_add_f16_sdwa v29, v29, v29 dst_sel:DWORD dst_unused:UNUSED_PAD src0_sel:DWORD src1_sel:WORD_1
	v_add_f16_e32 v28, v29, v28
	flat_store_short v[26:27], v28
.LBB254_40:
	s_or_b32 exec_lo, exec_lo, s1
	v_add_nc_u32_e32 v26, 8, v0
	v_cmp_gt_i32_e64 s1, s12, v26
	v_ashrrev_i32_e32 v27, 31, v26
	s_and_b32 s3, s1, s8
	s_and_saveexec_b32 s2, s3
	s_cbranch_execz .LBB254_45
; %bb.41:
	v_cmp_ne_u32_e32 vcc_lo, 1, v59
	v_lshlrev_b64 v[28:29], 1, v[26:27]
	s_cbranch_vccnz .LBB254_43
; %bb.42:
	v_add_co_u32 v30, vcc_lo, v71, v28
	v_add_co_ci_u32_e64 v31, null, v72, v29, vcc_lo
	flat_load_ushort v30, v[30:31]
	s_waitcnt vmcnt(0) lgkmcnt(0)
	v_mul_f16_e32 v30, s22, v30
	s_branch .LBB254_44
.LBB254_43:
	v_mov_b32_e32 v30, 0
.LBB254_44:
	v_pk_max_f16 v31, v22, v22
	v_pk_max_f16 v32, v20, v20
	v_pk_max_f16 v33, v23, v23
	v_pk_max_f16 v34, v21, v21
	v_add_co_u32 v28, vcc_lo, v69, v28
	v_pk_min_f16 v31, v32, v31
	v_add_co_ci_u32_e64 v29, null, v70, v29, vcc_lo
	v_pk_min_f16 v32, v34, v33
	v_pk_add_f16 v31, v39, v31
	v_pk_add_f16 v31, v31, v32
	v_add_f16_sdwa v31, v31, v31 dst_sel:DWORD dst_unused:UNUSED_PAD src0_sel:DWORD src1_sel:WORD_1
	v_add_f16_e32 v30, v31, v30
	flat_store_short v[28:29], v30
.LBB254_45:
	s_or_b32 exec_lo, exec_lo, s2
	v_add_nc_u32_e32 v28, 16, v0
	v_cmp_gt_i32_e64 s2, s12, v28
	v_ashrrev_i32_e32 v29, 31, v28
	s_and_b32 s4, s2, s8
	s_and_saveexec_b32 s3, s4
	s_cbranch_execz .LBB254_50
; %bb.46:
	v_cmp_ne_u32_e32 vcc_lo, 1, v59
	v_lshlrev_b64 v[30:31], 1, v[28:29]
	s_cbranch_vccnz .LBB254_48
; %bb.47:
	v_add_co_u32 v32, vcc_lo, v71, v30
	v_add_co_ci_u32_e64 v33, null, v72, v31, vcc_lo
	flat_load_ushort v32, v[32:33]
	s_waitcnt vmcnt(0) lgkmcnt(0)
	v_mul_f16_e32 v32, s22, v32
	s_branch .LBB254_49
.LBB254_48:
	v_mov_b32_e32 v32, 0
.LBB254_49:
	v_pk_max_f16 v33, v22, v22
	v_pk_max_f16 v34, v14, v14
	v_pk_max_f16 v39, v23, v23
	v_pk_max_f16 v41, v15, v15
	v_add_co_u32 v30, vcc_lo, v69, v30
	v_pk_min_f16 v33, v34, v33
	v_add_co_ci_u32_e64 v31, null, v70, v31, vcc_lo
	v_pk_min_f16 v34, v41, v39
	v_pk_add_f16 v33, v37, v33
	v_pk_add_f16 v33, v33, v34
	v_add_f16_sdwa v33, v33, v33 dst_sel:DWORD dst_unused:UNUSED_PAD src0_sel:DWORD src1_sel:WORD_1
	v_add_f16_e32 v32, v33, v32
	flat_store_short v[30:31], v32
.LBB254_50:
	;; [unrolled: 35-line block ×6, first 2 shown]
	s_or_b32 exec_lo, exec_lo, s7
	v_add_nc_u32_e32 v38, 56, v0
	v_cmp_gt_i32_e64 s7, s12, v38
	v_ashrrev_i32_e32 v39, 31, v38
	s_and_b32 s12, s7, s8
	s_and_saveexec_b32 s8, s12
	s_cbranch_execz .LBB254_75
; %bb.71:
	v_cmp_ne_u32_e32 vcc_lo, 1, v59
	v_lshlrev_b64 v[40:41], 1, v[38:39]
	s_cbranch_vccnz .LBB254_73
; %bb.72:
	v_add_co_u32 v71, vcc_lo, v71, v40
	v_add_co_ci_u32_e64 v72, null, v72, v41, vcc_lo
	flat_load_ushort v71, v[71:72]
	s_waitcnt vmcnt(0) lgkmcnt(0)
	v_mul_f16_e32 v71, s22, v71
	s_branch .LBB254_74
.LBB254_73:
	v_mov_b32_e32 v71, 0
.LBB254_74:
	v_pk_max_f16 v22, v22, v22
	v_pk_max_f16 v72, v8, v8
	;; [unrolled: 1-line block ×4, first 2 shown]
	v_pk_min_f16 v22, v72, v22
	v_pk_min_f16 v23, v73, v23
	v_pk_add_f16 v22, v68, v22
	v_pk_add_f16 v22, v22, v23
	v_add_f16_sdwa v22, v22, v22 dst_sel:DWORD dst_unused:UNUSED_PAD src0_sel:DWORD src1_sel:WORD_1
	v_add_f16_e32 v68, v22, v71
	v_add_co_u32 v22, vcc_lo, v69, v40
	v_add_co_ci_u32_e64 v23, null, v70, v41, vcc_lo
	flat_store_short v[22:23], v68
.LBB254_75:
	s_or_b32 exec_lo, exec_lo, s8
	v_add_nc_u32_e32 v68, 32, v67
	v_mad_i64_i32 v[22:23], null, v68, s14, 0
	v_mad_i64_i32 v[40:41], null, v68, s9, 0
	v_cmp_gt_i32_e64 s8, s13, v68
	v_lshlrev_b64 v[22:23], 1, v[22:23]
	s_and_b32 s17, s0, s8
	v_lshlrev_b64 v[40:41], 1, v[40:41]
	v_add_co_u32 v68, vcc_lo, s10, v22
	v_add_co_ci_u32_e64 v69, null, s11, v23, vcc_lo
	v_add_co_u32 v40, vcc_lo, s15, v40
	v_add_co_ci_u32_e64 v41, null, s16, v41, vcc_lo
	s_and_saveexec_b32 s12, s17
	s_cbranch_execnz .LBB254_83
; %bb.76:
	s_or_b32 exec_lo, exec_lo, s12
	s_and_b32 s17, s1, s8
	s_and_saveexec_b32 s12, s17
	s_cbranch_execnz .LBB254_87
.LBB254_77:
	s_or_b32 exec_lo, exec_lo, s12
	s_and_b32 s17, s2, s8
	s_and_saveexec_b32 s12, s17
	s_cbranch_execnz .LBB254_91
.LBB254_78:
	s_or_b32 exec_lo, exec_lo, s12
	s_and_b32 s17, s3, s8
	s_and_saveexec_b32 s12, s17
	s_cbranch_execnz .LBB254_95
.LBB254_79:
	s_or_b32 exec_lo, exec_lo, s12
	s_and_b32 s17, s4, s8
	s_and_saveexec_b32 s12, s17
	s_cbranch_execnz .LBB254_99
.LBB254_80:
	s_or_b32 exec_lo, exec_lo, s12
	s_and_b32 s17, s5, s8
	s_and_saveexec_b32 s12, s17
	s_cbranch_execnz .LBB254_103
.LBB254_81:
	s_or_b32 exec_lo, exec_lo, s12
	s_and_b32 s17, s6, s8
	s_and_saveexec_b32 s12, s17
	s_cbranch_execnz .LBB254_107
.LBB254_82:
	s_or_b32 exec_lo, exec_lo, s12
	s_and_b32 s12, s7, s8
	s_and_saveexec_b32 s8, s12
	s_cbranch_execnz .LBB254_111
	s_branch .LBB254_115
.LBB254_83:
	v_cmp_ne_u32_e32 vcc_lo, 1, v59
	v_lshlrev_b64 v[22:23], 1, v[0:1]
	s_cbranch_vccnz .LBB254_85
; %bb.84:
	v_add_co_u32 v70, vcc_lo, v68, v22
	v_add_co_ci_u32_e64 v71, null, v69, v23, vcc_lo
	flat_load_ushort v70, v[70:71]
	s_waitcnt vmcnt(0) lgkmcnt(0)
	v_mul_f16_e32 v70, s22, v70
	s_branch .LBB254_86
.LBB254_85:
	v_mov_b32_e32 v70, 0
.LBB254_86:
	v_pk_max_f16 v71, v24, v24
	v_pk_max_f16 v72, v18, v18
	;; [unrolled: 1-line block ×4, first 2 shown]
	v_add_co_u32 v22, vcc_lo, v40, v22
	v_pk_min_f16 v71, v72, v71
	v_add_co_ci_u32_e64 v23, null, v41, v23, vcc_lo
	v_pk_min_f16 v72, v74, v73
	v_pk_add_f16 v66, v66, v71
	v_pk_add_f16 v66, v66, v72
	v_add_f16_sdwa v66, v66, v66 dst_sel:DWORD dst_unused:UNUSED_PAD src0_sel:DWORD src1_sel:WORD_1
	v_add_f16_e32 v66, v66, v70
	flat_store_short v[22:23], v66
	s_or_b32 exec_lo, exec_lo, s12
	s_and_b32 s17, s1, s8
	s_and_saveexec_b32 s12, s17
	s_cbranch_execz .LBB254_77
.LBB254_87:
	v_cmp_ne_u32_e32 vcc_lo, 1, v59
	v_lshlrev_b64 v[22:23], 1, v[26:27]
	s_cbranch_vccnz .LBB254_89
; %bb.88:
	v_add_co_u32 v70, vcc_lo, v68, v22
	v_add_co_ci_u32_e64 v71, null, v69, v23, vcc_lo
	flat_load_ushort v66, v[70:71]
	s_waitcnt vmcnt(0) lgkmcnt(0)
	v_mul_f16_e32 v66, s22, v66
	s_branch .LBB254_90
.LBB254_89:
	v_mov_b32_e32 v66, 0
.LBB254_90:
	v_pk_max_f16 v70, v24, v24
	v_pk_max_f16 v71, v20, v20
	;; [unrolled: 1-line block ×4, first 2 shown]
	v_add_co_u32 v22, vcc_lo, v40, v22
	v_pk_min_f16 v70, v71, v70
	v_add_co_ci_u32_e64 v23, null, v41, v23, vcc_lo
	v_pk_min_f16 v71, v73, v72
	v_pk_add_f16 v65, v65, v70
	v_pk_add_f16 v65, v65, v71
	v_add_f16_sdwa v65, v65, v65 dst_sel:DWORD dst_unused:UNUSED_PAD src0_sel:DWORD src1_sel:WORD_1
	v_add_f16_e32 v65, v65, v66
	flat_store_short v[22:23], v65
	s_or_b32 exec_lo, exec_lo, s12
	s_and_b32 s17, s2, s8
	s_and_saveexec_b32 s12, s17
	s_cbranch_execz .LBB254_78
.LBB254_91:
	v_cmp_ne_u32_e32 vcc_lo, 1, v59
	v_lshlrev_b64 v[22:23], 1, v[28:29]
	s_cbranch_vccnz .LBB254_93
; %bb.92:
	v_add_co_u32 v65, vcc_lo, v68, v22
	v_add_co_ci_u32_e64 v66, null, v69, v23, vcc_lo
	flat_load_ushort v65, v[65:66]
	s_waitcnt vmcnt(0) lgkmcnt(0)
	v_mul_f16_e32 v65, s22, v65
	s_branch .LBB254_94
.LBB254_93:
	v_mov_b32_e32 v65, 0
.LBB254_94:
	v_pk_max_f16 v66, v24, v24
	v_pk_max_f16 v70, v14, v14
	;; [unrolled: 1-line block ×4, first 2 shown]
	v_add_co_u32 v22, vcc_lo, v40, v22
	v_pk_min_f16 v66, v70, v66
	v_add_co_ci_u32_e64 v23, null, v41, v23, vcc_lo
	v_pk_min_f16 v70, v72, v71
	v_pk_add_f16 v64, v64, v66
	v_pk_add_f16 v64, v64, v70
	v_add_f16_sdwa v64, v64, v64 dst_sel:DWORD dst_unused:UNUSED_PAD src0_sel:DWORD src1_sel:WORD_1
	v_add_f16_e32 v64, v64, v65
	flat_store_short v[22:23], v64
	s_or_b32 exec_lo, exec_lo, s12
	s_and_b32 s17, s3, s8
	s_and_saveexec_b32 s12, s17
	s_cbranch_execz .LBB254_79
.LBB254_95:
	v_cmp_ne_u32_e32 vcc_lo, 1, v59
	v_lshlrev_b64 v[22:23], 1, v[30:31]
	s_cbranch_vccnz .LBB254_97
; %bb.96:
	v_add_co_u32 v64, vcc_lo, v68, v22
	v_add_co_ci_u32_e64 v65, null, v69, v23, vcc_lo
	flat_load_ushort v64, v[64:65]
	s_waitcnt vmcnt(0) lgkmcnt(0)
	v_mul_f16_e32 v64, s22, v64
	s_branch .LBB254_98
.LBB254_97:
	v_mov_b32_e32 v64, 0
.LBB254_98:
	v_pk_max_f16 v65, v24, v24
	v_pk_max_f16 v66, v16, v16
	;; [unrolled: 1-line block ×4, first 2 shown]
	v_add_co_u32 v22, vcc_lo, v40, v22
	v_pk_min_f16 v65, v66, v65
	v_add_co_ci_u32_e64 v23, null, v41, v23, vcc_lo
	v_pk_min_f16 v66, v71, v70
	v_pk_add_f16 v63, v63, v65
	v_pk_add_f16 v63, v63, v66
	v_add_f16_sdwa v63, v63, v63 dst_sel:DWORD dst_unused:UNUSED_PAD src0_sel:DWORD src1_sel:WORD_1
	v_add_f16_e32 v63, v63, v64
	flat_store_short v[22:23], v63
	s_or_b32 exec_lo, exec_lo, s12
	s_and_b32 s17, s4, s8
	s_and_saveexec_b32 s12, s17
	s_cbranch_execz .LBB254_80
.LBB254_99:
	v_cmp_ne_u32_e32 vcc_lo, 1, v59
	v_lshlrev_b64 v[22:23], 1, v[32:33]
	s_cbranch_vccnz .LBB254_101
; %bb.100:
	v_add_co_u32 v63, vcc_lo, v68, v22
	v_add_co_ci_u32_e64 v64, null, v69, v23, vcc_lo
	flat_load_ushort v63, v[63:64]
	s_waitcnt vmcnt(0) lgkmcnt(0)
	v_mul_f16_e32 v63, s22, v63
	s_branch .LBB254_102
.LBB254_101:
	v_mov_b32_e32 v63, 0
.LBB254_102:
	v_pk_max_f16 v64, v24, v24
	v_pk_max_f16 v65, v10, v10
	;; [unrolled: 1-line block ×4, first 2 shown]
	v_add_co_u32 v22, vcc_lo, v40, v22
	v_pk_min_f16 v64, v65, v64
	v_add_co_ci_u32_e64 v23, null, v41, v23, vcc_lo
	v_pk_min_f16 v65, v70, v66
	v_pk_add_f16 v62, v62, v64
	v_pk_add_f16 v62, v62, v65
	v_add_f16_sdwa v62, v62, v62 dst_sel:DWORD dst_unused:UNUSED_PAD src0_sel:DWORD src1_sel:WORD_1
	v_add_f16_e32 v62, v62, v63
	flat_store_short v[22:23], v62
	s_or_b32 exec_lo, exec_lo, s12
	s_and_b32 s17, s5, s8
	s_and_saveexec_b32 s12, s17
	s_cbranch_execz .LBB254_81
.LBB254_103:
	v_cmp_ne_u32_e32 vcc_lo, 1, v59
	v_lshlrev_b64 v[22:23], 1, v[34:35]
	s_cbranch_vccnz .LBB254_105
; %bb.104:
	v_add_co_u32 v62, vcc_lo, v68, v22
	v_add_co_ci_u32_e64 v63, null, v69, v23, vcc_lo
	flat_load_ushort v62, v[62:63]
	s_waitcnt vmcnt(0) lgkmcnt(0)
	v_mul_f16_e32 v62, s22, v62
	s_branch .LBB254_106
.LBB254_105:
	v_mov_b32_e32 v62, 0
.LBB254_106:
	v_pk_max_f16 v63, v24, v24
	v_pk_max_f16 v64, v12, v12
	;; [unrolled: 1-line block ×4, first 2 shown]
	v_add_co_u32 v22, vcc_lo, v40, v22
	v_pk_min_f16 v63, v64, v63
	v_add_co_ci_u32_e64 v23, null, v41, v23, vcc_lo
	v_pk_min_f16 v64, v66, v65
	v_pk_add_f16 v61, v61, v63
	v_pk_add_f16 v61, v61, v64
	v_add_f16_sdwa v61, v61, v61 dst_sel:DWORD dst_unused:UNUSED_PAD src0_sel:DWORD src1_sel:WORD_1
	v_add_f16_e32 v61, v61, v62
	flat_store_short v[22:23], v61
	s_or_b32 exec_lo, exec_lo, s12
	s_and_b32 s17, s6, s8
	s_and_saveexec_b32 s12, s17
	s_cbranch_execz .LBB254_82
.LBB254_107:
	v_cmp_ne_u32_e32 vcc_lo, 1, v59
	v_lshlrev_b64 v[22:23], 1, v[36:37]
	s_cbranch_vccnz .LBB254_109
; %bb.108:
	v_add_co_u32 v61, vcc_lo, v68, v22
	v_add_co_ci_u32_e64 v62, null, v69, v23, vcc_lo
	flat_load_ushort v61, v[61:62]
	s_waitcnt vmcnt(0) lgkmcnt(0)
	v_mul_f16_e32 v61, s22, v61
	s_branch .LBB254_110
.LBB254_109:
	v_mov_b32_e32 v61, 0
.LBB254_110:
	v_pk_max_f16 v62, v24, v24
	v_pk_max_f16 v63, v6, v6
	;; [unrolled: 1-line block ×4, first 2 shown]
	v_add_co_u32 v22, vcc_lo, v40, v22
	v_pk_min_f16 v62, v63, v62
	v_add_co_ci_u32_e64 v23, null, v41, v23, vcc_lo
	v_pk_min_f16 v63, v65, v64
	v_pk_add_f16 v60, v60, v62
	v_pk_add_f16 v60, v60, v63
	v_add_f16_sdwa v60, v60, v60 dst_sel:DWORD dst_unused:UNUSED_PAD src0_sel:DWORD src1_sel:WORD_1
	v_add_f16_e32 v60, v60, v61
	flat_store_short v[22:23], v60
	s_or_b32 exec_lo, exec_lo, s12
	s_and_b32 s12, s7, s8
	s_and_saveexec_b32 s8, s12
	s_cbranch_execz .LBB254_115
.LBB254_111:
	v_cmp_ne_u32_e32 vcc_lo, 1, v59
	v_lshlrev_b64 v[22:23], 1, v[38:39]
	s_cbranch_vccnz .LBB254_113
; %bb.112:
	v_add_co_u32 v60, vcc_lo, v68, v22
	v_add_co_ci_u32_e64 v61, null, v69, v23, vcc_lo
	flat_load_ushort v60, v[60:61]
	s_waitcnt vmcnt(0) lgkmcnt(0)
	v_mul_f16_e32 v60, s22, v60
	s_branch .LBB254_114
.LBB254_113:
	v_mov_b32_e32 v60, 0
.LBB254_114:
	v_pk_max_f16 v24, v24, v24
	v_pk_max_f16 v61, v8, v8
	;; [unrolled: 1-line block ×4, first 2 shown]
	v_add_co_u32 v22, vcc_lo, v40, v22
	v_pk_min_f16 v24, v61, v24
	v_add_co_ci_u32_e64 v23, null, v41, v23, vcc_lo
	v_pk_min_f16 v25, v62, v25
	v_pk_add_f16 v24, v58, v24
	v_pk_add_f16 v24, v24, v25
	v_add_f16_sdwa v24, v24, v24 dst_sel:DWORD dst_unused:UNUSED_PAD src0_sel:DWORD src1_sel:WORD_1
	v_add_f16_e32 v24, v24, v60
	flat_store_short v[22:23], v24
.LBB254_115:
	s_or_b32 exec_lo, exec_lo, s8
	v_add_nc_u32_e32 v40, 64, v67
	v_mad_i64_i32 v[22:23], null, v40, s14, 0
	v_mad_i64_i32 v[24:25], null, v40, s9, 0
	v_cmp_gt_i32_e64 s8, s13, v40
	v_lshlrev_b64 v[22:23], 1, v[22:23]
	s_and_b32 s17, s0, s8
	v_lshlrev_b64 v[24:25], 1, v[24:25]
	v_add_co_u32 v40, vcc_lo, s10, v22
	v_add_co_ci_u32_e64 v41, null, s11, v23, vcc_lo
	v_add_co_u32 v24, vcc_lo, s15, v24
	v_add_co_ci_u32_e64 v25, null, s16, v25, vcc_lo
	s_and_saveexec_b32 s12, s17
	s_cbranch_execnz .LBB254_123
; %bb.116:
	s_or_b32 exec_lo, exec_lo, s12
	s_and_b32 s17, s1, s8
	s_and_saveexec_b32 s12, s17
	s_cbranch_execnz .LBB254_127
.LBB254_117:
	s_or_b32 exec_lo, exec_lo, s12
	s_and_b32 s17, s2, s8
	s_and_saveexec_b32 s12, s17
	s_cbranch_execnz .LBB254_131
.LBB254_118:
	s_or_b32 exec_lo, exec_lo, s12
	s_and_b32 s17, s3, s8
	s_and_saveexec_b32 s12, s17
	s_cbranch_execnz .LBB254_135
.LBB254_119:
	s_or_b32 exec_lo, exec_lo, s12
	s_and_b32 s17, s4, s8
	s_and_saveexec_b32 s12, s17
	s_cbranch_execnz .LBB254_139
.LBB254_120:
	s_or_b32 exec_lo, exec_lo, s12
	s_and_b32 s17, s5, s8
	s_and_saveexec_b32 s12, s17
	s_cbranch_execnz .LBB254_143
.LBB254_121:
	s_or_b32 exec_lo, exec_lo, s12
	s_and_b32 s17, s6, s8
	s_and_saveexec_b32 s12, s17
	s_cbranch_execnz .LBB254_147
.LBB254_122:
	s_or_b32 exec_lo, exec_lo, s12
	s_and_b32 s12, s7, s8
	s_and_saveexec_b32 s8, s12
	s_cbranch_execnz .LBB254_151
	s_branch .LBB254_155
.LBB254_123:
	v_cmp_ne_u32_e32 vcc_lo, 1, v59
	v_lshlrev_b64 v[22:23], 1, v[0:1]
	s_cbranch_vccnz .LBB254_125
; %bb.124:
	v_add_co_u32 v60, vcc_lo, v40, v22
	v_add_co_ci_u32_e64 v61, null, v41, v23, vcc_lo
	flat_load_ushort v58, v[60:61]
	s_waitcnt vmcnt(0) lgkmcnt(0)
	v_mul_f16_e32 v58, s22, v58
	s_branch .LBB254_126
.LBB254_125:
	v_mov_b32_e32 v58, 0
.LBB254_126:
	v_pk_max_f16 v60, v2, v2
	v_pk_max_f16 v61, v18, v18
	;; [unrolled: 1-line block ×4, first 2 shown]
	v_add_co_u32 v22, vcc_lo, v24, v22
	v_pk_min_f16 v60, v61, v60
	v_add_co_ci_u32_e64 v23, null, v25, v23, vcc_lo
	v_pk_min_f16 v61, v63, v62
	v_pk_add_f16 v57, v57, v60
	v_pk_add_f16 v57, v57, v61
	v_add_f16_sdwa v57, v57, v57 dst_sel:DWORD dst_unused:UNUSED_PAD src0_sel:DWORD src1_sel:WORD_1
	v_add_f16_e32 v57, v57, v58
	flat_store_short v[22:23], v57
	s_or_b32 exec_lo, exec_lo, s12
	s_and_b32 s17, s1, s8
	s_and_saveexec_b32 s12, s17
	s_cbranch_execz .LBB254_117
.LBB254_127:
	v_cmp_ne_u32_e32 vcc_lo, 1, v59
	v_lshlrev_b64 v[22:23], 1, v[26:27]
	s_cbranch_vccnz .LBB254_129
; %bb.128:
	v_add_co_u32 v57, vcc_lo, v40, v22
	v_add_co_ci_u32_e64 v58, null, v41, v23, vcc_lo
	flat_load_ushort v57, v[57:58]
	s_waitcnt vmcnt(0) lgkmcnt(0)
	v_mul_f16_e32 v57, s22, v57
	s_branch .LBB254_130
.LBB254_129:
	v_mov_b32_e32 v57, 0
.LBB254_130:
	v_pk_max_f16 v58, v2, v2
	v_pk_max_f16 v60, v20, v20
	v_pk_max_f16 v61, v3, v3
	v_pk_max_f16 v62, v21, v21
	v_add_co_u32 v22, vcc_lo, v24, v22
	v_pk_min_f16 v58, v60, v58
	v_add_co_ci_u32_e64 v23, null, v25, v23, vcc_lo
	v_pk_min_f16 v60, v62, v61
	v_pk_add_f16 v56, v56, v58
	v_pk_add_f16 v56, v56, v60
	v_add_f16_sdwa v56, v56, v56 dst_sel:DWORD dst_unused:UNUSED_PAD src0_sel:DWORD src1_sel:WORD_1
	v_add_f16_e32 v56, v56, v57
	flat_store_short v[22:23], v56
	s_or_b32 exec_lo, exec_lo, s12
	s_and_b32 s17, s2, s8
	s_and_saveexec_b32 s12, s17
	s_cbranch_execz .LBB254_118
.LBB254_131:
	v_cmp_ne_u32_e32 vcc_lo, 1, v59
	v_lshlrev_b64 v[22:23], 1, v[28:29]
	s_cbranch_vccnz .LBB254_133
; %bb.132:
	v_add_co_u32 v56, vcc_lo, v40, v22
	v_add_co_ci_u32_e64 v57, null, v41, v23, vcc_lo
	flat_load_ushort v56, v[56:57]
	s_waitcnt vmcnt(0) lgkmcnt(0)
	v_mul_f16_e32 v56, s22, v56
	s_branch .LBB254_134
.LBB254_133:
	v_mov_b32_e32 v56, 0
.LBB254_134:
	v_pk_max_f16 v57, v2, v2
	v_pk_max_f16 v58, v14, v14
	;; [unrolled: 1-line block ×4, first 2 shown]
	v_add_co_u32 v22, vcc_lo, v24, v22
	v_pk_min_f16 v57, v58, v57
	v_add_co_ci_u32_e64 v23, null, v25, v23, vcc_lo
	v_pk_min_f16 v58, v61, v60
	v_pk_add_f16 v55, v55, v57
	v_pk_add_f16 v55, v55, v58
	v_add_f16_sdwa v55, v55, v55 dst_sel:DWORD dst_unused:UNUSED_PAD src0_sel:DWORD src1_sel:WORD_1
	v_add_f16_e32 v55, v55, v56
	flat_store_short v[22:23], v55
	s_or_b32 exec_lo, exec_lo, s12
	s_and_b32 s17, s3, s8
	s_and_saveexec_b32 s12, s17
	s_cbranch_execz .LBB254_119
.LBB254_135:
	v_cmp_ne_u32_e32 vcc_lo, 1, v59
	v_lshlrev_b64 v[22:23], 1, v[30:31]
	s_cbranch_vccnz .LBB254_137
; %bb.136:
	v_add_co_u32 v55, vcc_lo, v40, v22
	v_add_co_ci_u32_e64 v56, null, v41, v23, vcc_lo
	flat_load_ushort v55, v[55:56]
	s_waitcnt vmcnt(0) lgkmcnt(0)
	v_mul_f16_e32 v55, s22, v55
	s_branch .LBB254_138
.LBB254_137:
	v_mov_b32_e32 v55, 0
.LBB254_138:
	v_pk_max_f16 v56, v2, v2
	v_pk_max_f16 v57, v16, v16
	;; [unrolled: 1-line block ×4, first 2 shown]
	v_add_co_u32 v22, vcc_lo, v24, v22
	v_pk_min_f16 v56, v57, v56
	v_add_co_ci_u32_e64 v23, null, v25, v23, vcc_lo
	v_pk_min_f16 v57, v60, v58
	v_pk_add_f16 v54, v54, v56
	v_pk_add_f16 v54, v54, v57
	v_add_f16_sdwa v54, v54, v54 dst_sel:DWORD dst_unused:UNUSED_PAD src0_sel:DWORD src1_sel:WORD_1
	v_add_f16_e32 v54, v54, v55
	flat_store_short v[22:23], v54
	s_or_b32 exec_lo, exec_lo, s12
	s_and_b32 s17, s4, s8
	s_and_saveexec_b32 s12, s17
	s_cbranch_execz .LBB254_120
.LBB254_139:
	v_cmp_ne_u32_e32 vcc_lo, 1, v59
	v_lshlrev_b64 v[22:23], 1, v[32:33]
	s_cbranch_vccnz .LBB254_141
; %bb.140:
	v_add_co_u32 v54, vcc_lo, v40, v22
	v_add_co_ci_u32_e64 v55, null, v41, v23, vcc_lo
	flat_load_ushort v54, v[54:55]
	s_waitcnt vmcnt(0) lgkmcnt(0)
	v_mul_f16_e32 v54, s22, v54
	s_branch .LBB254_142
.LBB254_141:
	v_mov_b32_e32 v54, 0
.LBB254_142:
	v_pk_max_f16 v55, v2, v2
	v_pk_max_f16 v56, v10, v10
	;; [unrolled: 1-line block ×4, first 2 shown]
	v_add_co_u32 v22, vcc_lo, v24, v22
	v_pk_min_f16 v55, v56, v55
	v_add_co_ci_u32_e64 v23, null, v25, v23, vcc_lo
	v_pk_min_f16 v56, v58, v57
	v_pk_add_f16 v53, v53, v55
	v_pk_add_f16 v53, v53, v56
	v_add_f16_sdwa v53, v53, v53 dst_sel:DWORD dst_unused:UNUSED_PAD src0_sel:DWORD src1_sel:WORD_1
	v_add_f16_e32 v53, v53, v54
	flat_store_short v[22:23], v53
	s_or_b32 exec_lo, exec_lo, s12
	s_and_b32 s17, s5, s8
	s_and_saveexec_b32 s12, s17
	s_cbranch_execz .LBB254_121
.LBB254_143:
	v_cmp_ne_u32_e32 vcc_lo, 1, v59
	v_lshlrev_b64 v[22:23], 1, v[34:35]
	s_cbranch_vccnz .LBB254_145
; %bb.144:
	v_add_co_u32 v53, vcc_lo, v40, v22
	v_add_co_ci_u32_e64 v54, null, v41, v23, vcc_lo
	flat_load_ushort v53, v[53:54]
	s_waitcnt vmcnt(0) lgkmcnt(0)
	v_mul_f16_e32 v53, s22, v53
	s_branch .LBB254_146
.LBB254_145:
	v_mov_b32_e32 v53, 0
.LBB254_146:
	v_pk_max_f16 v54, v2, v2
	v_pk_max_f16 v55, v12, v12
	;; [unrolled: 1-line block ×4, first 2 shown]
	v_add_co_u32 v22, vcc_lo, v24, v22
	v_pk_min_f16 v54, v55, v54
	v_add_co_ci_u32_e64 v23, null, v25, v23, vcc_lo
	v_pk_min_f16 v55, v57, v56
	v_pk_add_f16 v52, v52, v54
	v_pk_add_f16 v52, v52, v55
	v_add_f16_sdwa v52, v52, v52 dst_sel:DWORD dst_unused:UNUSED_PAD src0_sel:DWORD src1_sel:WORD_1
	v_add_f16_e32 v52, v52, v53
	flat_store_short v[22:23], v52
	s_or_b32 exec_lo, exec_lo, s12
	s_and_b32 s17, s6, s8
	s_and_saveexec_b32 s12, s17
	s_cbranch_execz .LBB254_122
.LBB254_147:
	v_cmp_ne_u32_e32 vcc_lo, 1, v59
	v_lshlrev_b64 v[22:23], 1, v[36:37]
	s_cbranch_vccnz .LBB254_149
; %bb.148:
	v_add_co_u32 v52, vcc_lo, v40, v22
	v_add_co_ci_u32_e64 v53, null, v41, v23, vcc_lo
	flat_load_ushort v52, v[52:53]
	s_waitcnt vmcnt(0) lgkmcnt(0)
	v_mul_f16_e32 v52, s22, v52
	s_branch .LBB254_150
.LBB254_149:
	v_mov_b32_e32 v52, 0
.LBB254_150:
	v_pk_max_f16 v53, v2, v2
	v_pk_max_f16 v54, v6, v6
	;; [unrolled: 1-line block ×4, first 2 shown]
	v_add_co_u32 v22, vcc_lo, v24, v22
	v_pk_min_f16 v53, v54, v53
	v_add_co_ci_u32_e64 v23, null, v25, v23, vcc_lo
	v_pk_min_f16 v54, v56, v55
	v_pk_add_f16 v51, v51, v53
	v_pk_add_f16 v51, v51, v54
	v_add_f16_sdwa v51, v51, v51 dst_sel:DWORD dst_unused:UNUSED_PAD src0_sel:DWORD src1_sel:WORD_1
	v_add_f16_e32 v51, v51, v52
	flat_store_short v[22:23], v51
	s_or_b32 exec_lo, exec_lo, s12
	s_and_b32 s12, s7, s8
	s_and_saveexec_b32 s8, s12
	s_cbranch_execz .LBB254_155
.LBB254_151:
	v_cmp_ne_u32_e32 vcc_lo, 1, v59
	v_lshlrev_b64 v[22:23], 1, v[38:39]
	s_cbranch_vccnz .LBB254_153
; %bb.152:
	v_add_co_u32 v40, vcc_lo, v40, v22
	v_add_co_ci_u32_e64 v41, null, v41, v23, vcc_lo
	flat_load_ushort v40, v[40:41]
	s_waitcnt vmcnt(0) lgkmcnt(0)
	v_mul_f16_e32 v40, s22, v40
	s_branch .LBB254_154
.LBB254_153:
	v_mov_b32_e32 v40, 0
.LBB254_154:
	v_pk_max_f16 v2, v2, v2
	v_pk_max_f16 v41, v8, v8
	;; [unrolled: 1-line block ×4, first 2 shown]
	v_pk_min_f16 v2, v41, v2
	v_pk_min_f16 v3, v51, v3
	v_pk_add_f16 v2, v50, v2
	v_pk_add_f16 v2, v2, v3
	v_add_f16_sdwa v2, v2, v2 dst_sel:DWORD dst_unused:UNUSED_PAD src0_sel:DWORD src1_sel:WORD_1
	v_add_f16_e32 v40, v2, v40
	v_add_co_u32 v2, vcc_lo, v24, v22
	v_add_co_ci_u32_e64 v3, null, v25, v23, vcc_lo
	flat_store_short v[2:3], v40
.LBB254_155:
	s_or_b32 exec_lo, exec_lo, s8
	v_add_nc_u32_e32 v24, 0x60, v67
	v_mad_i64_i32 v[2:3], null, v24, s14, 0
	v_mad_i64_i32 v[22:23], null, v24, s9, 0
	v_cmp_gt_i32_e64 s8, s13, v24
	v_lshlrev_b64 v[2:3], 1, v[2:3]
	s_and_b32 s9, s0, s8
	v_lshlrev_b64 v[24:25], 1, v[22:23]
	v_add_co_u32 v22, vcc_lo, s10, v2
	v_add_co_ci_u32_e64 v23, null, s11, v3, vcc_lo
	v_add_co_u32 v2, vcc_lo, s15, v24
	v_add_co_ci_u32_e64 v3, null, s16, v25, vcc_lo
	s_and_saveexec_b32 s0, s9
	s_cbranch_execnz .LBB254_164
; %bb.156:
	s_or_b32 exec_lo, exec_lo, s0
	s_and_b32 s1, s1, s8
	s_and_saveexec_b32 s0, s1
	s_cbranch_execnz .LBB254_168
.LBB254_157:
	s_or_b32 exec_lo, exec_lo, s0
	s_and_b32 s1, s2, s8
	s_and_saveexec_b32 s0, s1
	s_cbranch_execnz .LBB254_172
.LBB254_158:
	s_or_b32 exec_lo, exec_lo, s0
	s_and_b32 s1, s3, s8
	s_and_saveexec_b32 s0, s1
	s_cbranch_execnz .LBB254_176
.LBB254_159:
	s_or_b32 exec_lo, exec_lo, s0
	s_and_b32 s1, s4, s8
	s_and_saveexec_b32 s0, s1
	s_cbranch_execnz .LBB254_180
.LBB254_160:
	s_or_b32 exec_lo, exec_lo, s0
	s_and_b32 s1, s5, s8
	s_and_saveexec_b32 s0, s1
	s_cbranch_execnz .LBB254_184
.LBB254_161:
	s_or_b32 exec_lo, exec_lo, s0
	s_and_b32 s1, s6, s8
	s_and_saveexec_b32 s0, s1
	s_cbranch_execnz .LBB254_188
.LBB254_162:
	s_or_b32 exec_lo, exec_lo, s0
	s_and_b32 s0, s7, s8
	s_and_saveexec_b32 s1, s0
	s_cbranch_execnz .LBB254_192
.LBB254_163:
	s_endpgm
.LBB254_164:
	v_cmp_ne_u32_e32 vcc_lo, 1, v59
	v_lshlrev_b64 v[0:1], 1, v[0:1]
	s_cbranch_vccnz .LBB254_166
; %bb.165:
	v_add_co_u32 v24, vcc_lo, v22, v0
	v_add_co_ci_u32_e64 v25, null, v23, v1, vcc_lo
	flat_load_ushort v24, v[24:25]
	s_waitcnt vmcnt(0) lgkmcnt(0)
	v_mul_f16_e32 v24, s22, v24
	s_branch .LBB254_167
.LBB254_166:
	v_mov_b32_e32 v24, 0
.LBB254_167:
	v_pk_max_f16 v25, v4, v4
	v_pk_max_f16 v18, v18, v18
	;; [unrolled: 1-line block ×4, first 2 shown]
	v_add_co_u32 v0, vcc_lo, v2, v0
	v_pk_min_f16 v18, v18, v25
	v_add_co_ci_u32_e64 v1, null, v3, v1, vcc_lo
	v_pk_min_f16 v19, v19, v40
	v_pk_add_f16 v18, v49, v18
	v_pk_add_f16 v18, v18, v19
	v_add_f16_sdwa v18, v18, v18 dst_sel:DWORD dst_unused:UNUSED_PAD src0_sel:DWORD src1_sel:WORD_1
	v_add_f16_e32 v18, v18, v24
	flat_store_short v[0:1], v18
	s_or_b32 exec_lo, exec_lo, s0
	s_and_b32 s1, s1, s8
	s_and_saveexec_b32 s0, s1
	s_cbranch_execz .LBB254_157
.LBB254_168:
	v_cmp_ne_u32_e32 vcc_lo, 1, v59
	v_lshlrev_b64 v[0:1], 1, v[26:27]
	s_cbranch_vccnz .LBB254_170
; %bb.169:
	v_add_co_u32 v18, vcc_lo, v22, v0
	v_add_co_ci_u32_e64 v19, null, v23, v1, vcc_lo
	flat_load_ushort v18, v[18:19]
	s_waitcnt vmcnt(0) lgkmcnt(0)
	v_mul_f16_e32 v18, s22, v18
	s_branch .LBB254_171
.LBB254_170:
	v_mov_b32_e32 v18, 0
.LBB254_171:
	v_pk_max_f16 v19, v4, v4
	v_pk_max_f16 v20, v20, v20
	;; [unrolled: 1-line block ×4, first 2 shown]
	v_add_co_u32 v0, vcc_lo, v2, v0
	v_pk_min_f16 v19, v20, v19
	v_add_co_ci_u32_e64 v1, null, v3, v1, vcc_lo
	v_pk_min_f16 v20, v21, v24
	v_pk_add_f16 v19, v48, v19
	v_pk_add_f16 v19, v19, v20
	v_add_f16_sdwa v19, v19, v19 dst_sel:DWORD dst_unused:UNUSED_PAD src0_sel:DWORD src1_sel:WORD_1
	v_add_f16_e32 v18, v19, v18
	flat_store_short v[0:1], v18
	s_or_b32 exec_lo, exec_lo, s0
	s_and_b32 s1, s2, s8
	s_and_saveexec_b32 s0, s1
	s_cbranch_execz .LBB254_158
.LBB254_172:
	v_cmp_ne_u32_e32 vcc_lo, 1, v59
	v_lshlrev_b64 v[0:1], 1, v[28:29]
	s_cbranch_vccnz .LBB254_174
; %bb.173:
	v_add_co_u32 v18, vcc_lo, v22, v0
	v_add_co_ci_u32_e64 v19, null, v23, v1, vcc_lo
	flat_load_ushort v18, v[18:19]
	s_waitcnt vmcnt(0) lgkmcnt(0)
	v_mul_f16_e32 v18, s22, v18
	s_branch .LBB254_175
.LBB254_174:
	v_mov_b32_e32 v18, 0
.LBB254_175:
	v_pk_max_f16 v19, v4, v4
	v_pk_max_f16 v14, v14, v14
	;; [unrolled: 1-line block ×4, first 2 shown]
	v_add_co_u32 v0, vcc_lo, v2, v0
	v_pk_min_f16 v14, v14, v19
	v_add_co_ci_u32_e64 v1, null, v3, v1, vcc_lo
	v_pk_min_f16 v15, v15, v20
	v_pk_add_f16 v14, v47, v14
	v_pk_add_f16 v14, v14, v15
	v_add_f16_sdwa v14, v14, v14 dst_sel:DWORD dst_unused:UNUSED_PAD src0_sel:DWORD src1_sel:WORD_1
	v_add_f16_e32 v14, v14, v18
	flat_store_short v[0:1], v14
	s_or_b32 exec_lo, exec_lo, s0
	s_and_b32 s1, s3, s8
	s_and_saveexec_b32 s0, s1
	s_cbranch_execz .LBB254_159
.LBB254_176:
	v_cmp_ne_u32_e32 vcc_lo, 1, v59
	v_lshlrev_b64 v[0:1], 1, v[30:31]
	s_cbranch_vccnz .LBB254_178
; %bb.177:
	v_add_co_u32 v14, vcc_lo, v22, v0
	v_add_co_ci_u32_e64 v15, null, v23, v1, vcc_lo
	flat_load_ushort v14, v[14:15]
	s_waitcnt vmcnt(0) lgkmcnt(0)
	v_mul_f16_e32 v14, s22, v14
	s_branch .LBB254_179
.LBB254_178:
	v_mov_b32_e32 v14, 0
.LBB254_179:
	v_pk_max_f16 v15, v4, v4
	v_pk_max_f16 v16, v16, v16
	;; [unrolled: 1-line block ×4, first 2 shown]
	v_add_co_u32 v0, vcc_lo, v2, v0
	v_pk_min_f16 v15, v16, v15
	v_add_co_ci_u32_e64 v1, null, v3, v1, vcc_lo
	v_pk_min_f16 v16, v17, v18
	v_pk_add_f16 v15, v46, v15
	v_pk_add_f16 v15, v15, v16
	v_add_f16_sdwa v15, v15, v15 dst_sel:DWORD dst_unused:UNUSED_PAD src0_sel:DWORD src1_sel:WORD_1
	v_add_f16_e32 v14, v15, v14
	flat_store_short v[0:1], v14
	s_or_b32 exec_lo, exec_lo, s0
	s_and_b32 s1, s4, s8
	s_and_saveexec_b32 s0, s1
	s_cbranch_execz .LBB254_160
.LBB254_180:
	v_cmp_ne_u32_e32 vcc_lo, 1, v59
	v_lshlrev_b64 v[0:1], 1, v[32:33]
	s_cbranch_vccnz .LBB254_182
; %bb.181:
	v_add_co_u32 v14, vcc_lo, v22, v0
	v_add_co_ci_u32_e64 v15, null, v23, v1, vcc_lo
	flat_load_ushort v14, v[14:15]
	s_waitcnt vmcnt(0) lgkmcnt(0)
	v_mul_f16_e32 v14, s22, v14
	s_branch .LBB254_183
.LBB254_182:
	v_mov_b32_e32 v14, 0
.LBB254_183:
	v_pk_max_f16 v15, v4, v4
	v_pk_max_f16 v10, v10, v10
	;; [unrolled: 1-line block ×4, first 2 shown]
	v_add_co_u32 v0, vcc_lo, v2, v0
	v_pk_min_f16 v10, v10, v15
	v_add_co_ci_u32_e64 v1, null, v3, v1, vcc_lo
	v_pk_min_f16 v11, v11, v16
	v_pk_add_f16 v10, v45, v10
	v_pk_add_f16 v10, v10, v11
	v_add_f16_sdwa v10, v10, v10 dst_sel:DWORD dst_unused:UNUSED_PAD src0_sel:DWORD src1_sel:WORD_1
	v_add_f16_e32 v10, v10, v14
	flat_store_short v[0:1], v10
	s_or_b32 exec_lo, exec_lo, s0
	s_and_b32 s1, s5, s8
	s_and_saveexec_b32 s0, s1
	s_cbranch_execz .LBB254_161
.LBB254_184:
	v_cmp_ne_u32_e32 vcc_lo, 1, v59
	v_lshlrev_b64 v[0:1], 1, v[34:35]
	s_cbranch_vccnz .LBB254_186
; %bb.185:
	v_add_co_u32 v10, vcc_lo, v22, v0
	v_add_co_ci_u32_e64 v11, null, v23, v1, vcc_lo
	flat_load_ushort v10, v[10:11]
	s_waitcnt vmcnt(0) lgkmcnt(0)
	v_mul_f16_e32 v10, s22, v10
	s_branch .LBB254_187
.LBB254_186:
	v_mov_b32_e32 v10, 0
.LBB254_187:
	v_pk_max_f16 v11, v4, v4
	v_pk_max_f16 v12, v12, v12
	;; [unrolled: 1-line block ×4, first 2 shown]
	v_add_co_u32 v0, vcc_lo, v2, v0
	v_pk_min_f16 v11, v12, v11
	v_add_co_ci_u32_e64 v1, null, v3, v1, vcc_lo
	v_pk_min_f16 v12, v13, v14
	v_pk_add_f16 v11, v44, v11
	v_pk_add_f16 v11, v11, v12
	v_add_f16_sdwa v11, v11, v11 dst_sel:DWORD dst_unused:UNUSED_PAD src0_sel:DWORD src1_sel:WORD_1
	v_add_f16_e32 v10, v11, v10
	flat_store_short v[0:1], v10
	s_or_b32 exec_lo, exec_lo, s0
	s_and_b32 s1, s6, s8
	s_and_saveexec_b32 s0, s1
	s_cbranch_execz .LBB254_162
.LBB254_188:
	v_cmp_ne_u32_e32 vcc_lo, 1, v59
	v_lshlrev_b64 v[0:1], 1, v[36:37]
	s_cbranch_vccnz .LBB254_190
; %bb.189:
	v_add_co_u32 v10, vcc_lo, v22, v0
	v_add_co_ci_u32_e64 v11, null, v23, v1, vcc_lo
	flat_load_ushort v10, v[10:11]
	s_waitcnt vmcnt(0) lgkmcnt(0)
	v_mul_f16_e32 v10, s22, v10
	s_branch .LBB254_191
.LBB254_190:
	v_mov_b32_e32 v10, 0
.LBB254_191:
	v_pk_max_f16 v11, v4, v4
	v_pk_max_f16 v6, v6, v6
	v_pk_max_f16 v12, v5, v5
	v_pk_max_f16 v7, v7, v7
	v_add_co_u32 v0, vcc_lo, v2, v0
	v_pk_min_f16 v6, v6, v11
	v_add_co_ci_u32_e64 v1, null, v3, v1, vcc_lo
	v_pk_min_f16 v7, v7, v12
	v_pk_add_f16 v6, v43, v6
	v_pk_add_f16 v6, v6, v7
	v_add_f16_sdwa v6, v6, v6 dst_sel:DWORD dst_unused:UNUSED_PAD src0_sel:DWORD src1_sel:WORD_1
	v_add_f16_e32 v6, v6, v10
	flat_store_short v[0:1], v6
	s_or_b32 exec_lo, exec_lo, s0
	s_and_b32 s0, s7, s8
	s_and_saveexec_b32 s1, s0
	s_cbranch_execz .LBB254_163
.LBB254_192:
	v_cmp_ne_u32_e32 vcc_lo, 1, v59
	v_lshlrev_b64 v[0:1], 1, v[38:39]
	s_cbranch_vccnz .LBB254_194
; %bb.193:
	v_add_co_u32 v6, vcc_lo, v22, v0
	v_add_co_ci_u32_e64 v7, null, v23, v1, vcc_lo
	flat_load_ushort v6, v[6:7]
	s_waitcnt vmcnt(0) lgkmcnt(0)
	v_mul_f16_e32 v6, s22, v6
	s_branch .LBB254_195
.LBB254_194:
	v_mov_b32_e32 v6, 0
.LBB254_195:
	v_pk_max_f16 v4, v4, v4
	v_pk_max_f16 v7, v8, v8
	;; [unrolled: 1-line block ×4, first 2 shown]
	v_add_co_u32 v0, vcc_lo, v2, v0
	v_pk_min_f16 v4, v7, v4
	v_add_co_ci_u32_e64 v1, null, v3, v1, vcc_lo
	v_pk_min_f16 v5, v8, v5
	v_pk_add_f16 v4, v42, v4
	v_pk_add_f16 v4, v4, v5
	v_add_f16_sdwa v4, v4, v4 dst_sel:DWORD dst_unused:UNUSED_PAD src0_sel:DWORD src1_sel:WORD_1
	v_add_f16_e32 v4, v4, v6
	flat_store_short v[0:1], v4
	s_endpgm
	.section	.rodata,"a",@progbits
	.p2align	6, 0x0
	.amdhsa_kernel _ZN12_GLOBAL__N_120geam_min_plus_kernelIDF16_Dv2_DF16_S1_Li8ELi32ELi64ELi128ELi4ELi4ELi64ELi64ELi4ELc84ELc84ELb0ELb1ELb0EDF16_KPKDF16_KPDF16_EEviiiT16_PT17_ilS9_ilS7_S9_ilPT18_ili26rocblas_geam_ex_operation_
		.amdhsa_group_segment_fixed_size 3072
		.amdhsa_private_segment_fixed_size 0
		.amdhsa_kernarg_size 128
		.amdhsa_user_sgpr_count 6
		.amdhsa_user_sgpr_private_segment_buffer 1
		.amdhsa_user_sgpr_dispatch_ptr 0
		.amdhsa_user_sgpr_queue_ptr 0
		.amdhsa_user_sgpr_kernarg_segment_ptr 1
		.amdhsa_user_sgpr_dispatch_id 0
		.amdhsa_user_sgpr_flat_scratch_init 0
		.amdhsa_user_sgpr_private_segment_size 0
		.amdhsa_wavefront_size32 1
		.amdhsa_uses_dynamic_stack 0
		.amdhsa_system_sgpr_private_segment_wavefront_offset 0
		.amdhsa_system_sgpr_workgroup_id_x 1
		.amdhsa_system_sgpr_workgroup_id_y 0
		.amdhsa_system_sgpr_workgroup_id_z 1
		.amdhsa_system_sgpr_workgroup_info 0
		.amdhsa_system_vgpr_workitem_id 1
		.amdhsa_next_free_vgpr 118
		.amdhsa_next_free_sgpr 29
		.amdhsa_reserve_vcc 1
		.amdhsa_reserve_flat_scratch 0
		.amdhsa_float_round_mode_32 0
		.amdhsa_float_round_mode_16_64 0
		.amdhsa_float_denorm_mode_32 3
		.amdhsa_float_denorm_mode_16_64 3
		.amdhsa_dx10_clamp 1
		.amdhsa_ieee_mode 1
		.amdhsa_fp16_overflow 0
		.amdhsa_workgroup_processor_mode 1
		.amdhsa_memory_ordered 1
		.amdhsa_forward_progress 1
		.amdhsa_shared_vgpr_count 0
		.amdhsa_exception_fp_ieee_invalid_op 0
		.amdhsa_exception_fp_denorm_src 0
		.amdhsa_exception_fp_ieee_div_zero 0
		.amdhsa_exception_fp_ieee_overflow 0
		.amdhsa_exception_fp_ieee_underflow 0
		.amdhsa_exception_fp_ieee_inexact 0
		.amdhsa_exception_int_div_zero 0
	.end_amdhsa_kernel
	.section	.text._ZN12_GLOBAL__N_120geam_min_plus_kernelIDF16_Dv2_DF16_S1_Li8ELi32ELi64ELi128ELi4ELi4ELi64ELi64ELi4ELc84ELc84ELb0ELb1ELb0EDF16_KPKDF16_KPDF16_EEviiiT16_PT17_ilS9_ilS7_S9_ilPT18_ili26rocblas_geam_ex_operation_,"axG",@progbits,_ZN12_GLOBAL__N_120geam_min_plus_kernelIDF16_Dv2_DF16_S1_Li8ELi32ELi64ELi128ELi4ELi4ELi64ELi64ELi4ELc84ELc84ELb0ELb1ELb0EDF16_KPKDF16_KPDF16_EEviiiT16_PT17_ilS9_ilS7_S9_ilPT18_ili26rocblas_geam_ex_operation_,comdat
.Lfunc_end254:
	.size	_ZN12_GLOBAL__N_120geam_min_plus_kernelIDF16_Dv2_DF16_S1_Li8ELi32ELi64ELi128ELi4ELi4ELi64ELi64ELi4ELc84ELc84ELb0ELb1ELb0EDF16_KPKDF16_KPDF16_EEviiiT16_PT17_ilS9_ilS7_S9_ilPT18_ili26rocblas_geam_ex_operation_, .Lfunc_end254-_ZN12_GLOBAL__N_120geam_min_plus_kernelIDF16_Dv2_DF16_S1_Li8ELi32ELi64ELi128ELi4ELi4ELi64ELi64ELi4ELc84ELc84ELb0ELb1ELb0EDF16_KPKDF16_KPDF16_EEviiiT16_PT17_ilS9_ilS7_S9_ilPT18_ili26rocblas_geam_ex_operation_
                                        ; -- End function
	.set _ZN12_GLOBAL__N_120geam_min_plus_kernelIDF16_Dv2_DF16_S1_Li8ELi32ELi64ELi128ELi4ELi4ELi64ELi64ELi4ELc84ELc84ELb0ELb1ELb0EDF16_KPKDF16_KPDF16_EEviiiT16_PT17_ilS9_ilS7_S9_ilPT18_ili26rocblas_geam_ex_operation_.num_vgpr, 118
	.set _ZN12_GLOBAL__N_120geam_min_plus_kernelIDF16_Dv2_DF16_S1_Li8ELi32ELi64ELi128ELi4ELi4ELi64ELi64ELi4ELc84ELc84ELb0ELb1ELb0EDF16_KPKDF16_KPDF16_EEviiiT16_PT17_ilS9_ilS7_S9_ilPT18_ili26rocblas_geam_ex_operation_.num_agpr, 0
	.set _ZN12_GLOBAL__N_120geam_min_plus_kernelIDF16_Dv2_DF16_S1_Li8ELi32ELi64ELi128ELi4ELi4ELi64ELi64ELi4ELc84ELc84ELb0ELb1ELb0EDF16_KPKDF16_KPDF16_EEviiiT16_PT17_ilS9_ilS7_S9_ilPT18_ili26rocblas_geam_ex_operation_.numbered_sgpr, 29
	.set _ZN12_GLOBAL__N_120geam_min_plus_kernelIDF16_Dv2_DF16_S1_Li8ELi32ELi64ELi128ELi4ELi4ELi64ELi64ELi4ELc84ELc84ELb0ELb1ELb0EDF16_KPKDF16_KPDF16_EEviiiT16_PT17_ilS9_ilS7_S9_ilPT18_ili26rocblas_geam_ex_operation_.num_named_barrier, 0
	.set _ZN12_GLOBAL__N_120geam_min_plus_kernelIDF16_Dv2_DF16_S1_Li8ELi32ELi64ELi128ELi4ELi4ELi64ELi64ELi4ELc84ELc84ELb0ELb1ELb0EDF16_KPKDF16_KPDF16_EEviiiT16_PT17_ilS9_ilS7_S9_ilPT18_ili26rocblas_geam_ex_operation_.private_seg_size, 0
	.set _ZN12_GLOBAL__N_120geam_min_plus_kernelIDF16_Dv2_DF16_S1_Li8ELi32ELi64ELi128ELi4ELi4ELi64ELi64ELi4ELc84ELc84ELb0ELb1ELb0EDF16_KPKDF16_KPDF16_EEviiiT16_PT17_ilS9_ilS7_S9_ilPT18_ili26rocblas_geam_ex_operation_.uses_vcc, 1
	.set _ZN12_GLOBAL__N_120geam_min_plus_kernelIDF16_Dv2_DF16_S1_Li8ELi32ELi64ELi128ELi4ELi4ELi64ELi64ELi4ELc84ELc84ELb0ELb1ELb0EDF16_KPKDF16_KPDF16_EEviiiT16_PT17_ilS9_ilS7_S9_ilPT18_ili26rocblas_geam_ex_operation_.uses_flat_scratch, 0
	.set _ZN12_GLOBAL__N_120geam_min_plus_kernelIDF16_Dv2_DF16_S1_Li8ELi32ELi64ELi128ELi4ELi4ELi64ELi64ELi4ELc84ELc84ELb0ELb1ELb0EDF16_KPKDF16_KPDF16_EEviiiT16_PT17_ilS9_ilS7_S9_ilPT18_ili26rocblas_geam_ex_operation_.has_dyn_sized_stack, 0
	.set _ZN12_GLOBAL__N_120geam_min_plus_kernelIDF16_Dv2_DF16_S1_Li8ELi32ELi64ELi128ELi4ELi4ELi64ELi64ELi4ELc84ELc84ELb0ELb1ELb0EDF16_KPKDF16_KPDF16_EEviiiT16_PT17_ilS9_ilS7_S9_ilPT18_ili26rocblas_geam_ex_operation_.has_recursion, 0
	.set _ZN12_GLOBAL__N_120geam_min_plus_kernelIDF16_Dv2_DF16_S1_Li8ELi32ELi64ELi128ELi4ELi4ELi64ELi64ELi4ELc84ELc84ELb0ELb1ELb0EDF16_KPKDF16_KPDF16_EEviiiT16_PT17_ilS9_ilS7_S9_ilPT18_ili26rocblas_geam_ex_operation_.has_indirect_call, 0
	.section	.AMDGPU.csdata,"",@progbits
; Kernel info:
; codeLenInByte = 12136
; TotalNumSgprs: 31
; NumVgprs: 118
; ScratchSize: 0
; MemoryBound: 0
; FloatMode: 240
; IeeeMode: 1
; LDSByteSize: 3072 bytes/workgroup (compile time only)
; SGPRBlocks: 0
; VGPRBlocks: 14
; NumSGPRsForWavesPerEU: 31
; NumVGPRsForWavesPerEU: 118
; Occupancy: 8
; WaveLimiterHint : 1
; COMPUTE_PGM_RSRC2:SCRATCH_EN: 0
; COMPUTE_PGM_RSRC2:USER_SGPR: 6
; COMPUTE_PGM_RSRC2:TRAP_HANDLER: 0
; COMPUTE_PGM_RSRC2:TGID_X_EN: 1
; COMPUTE_PGM_RSRC2:TGID_Y_EN: 0
; COMPUTE_PGM_RSRC2:TGID_Z_EN: 1
; COMPUTE_PGM_RSRC2:TIDIG_COMP_CNT: 1
	.section	.text._ZN12_GLOBAL__N_120geam_ex_scale_kernelILi32ELi32EDF16_DF16_PKDF16_PDF16_EEviiT2_T3_lilT4_lil,"axG",@progbits,_ZN12_GLOBAL__N_120geam_ex_scale_kernelILi32ELi32EDF16_DF16_PKDF16_PDF16_EEviiT2_T3_lilT4_lil,comdat
	.globl	_ZN12_GLOBAL__N_120geam_ex_scale_kernelILi32ELi32EDF16_DF16_PKDF16_PDF16_EEviiT2_T3_lilT4_lil ; -- Begin function _ZN12_GLOBAL__N_120geam_ex_scale_kernelILi32ELi32EDF16_DF16_PKDF16_PDF16_EEviiT2_T3_lilT4_lil
	.p2align	8
	.type	_ZN12_GLOBAL__N_120geam_ex_scale_kernelILi32ELi32EDF16_DF16_PKDF16_PDF16_EEviiT2_T3_lilT4_lil,@function
_ZN12_GLOBAL__N_120geam_ex_scale_kernelILi32ELi32EDF16_DF16_PKDF16_PDF16_EEviiT2_T3_lilT4_lil: ; @_ZN12_GLOBAL__N_120geam_ex_scale_kernelILi32ELi32EDF16_DF16_PKDF16_PDF16_EEviiT2_T3_lilT4_lil
; %bb.0:
	s_clause 0x2
	s_load_dwordx4 s[8:11], s[4:5], 0x0
	s_load_dwordx4 s[0:3], s[4:5], 0x28
	s_load_dwordx2 s[12:13], s[4:5], 0x38
	s_waitcnt lgkmcnt(0)
	v_cmp_eq_f16_e64 s11, s10, 0
	s_and_b32 vcc_lo, exec_lo, s11
	s_cbranch_vccnz .LBB255_2
; %bb.1:
	s_load_dwordx4 s[16:19], s[4:5], 0x10
	s_mul_i32 s1, s1, s7
	s_mul_hi_u32 s14, s0, s7
	s_mul_i32 s0, s0, s7
	s_add_i32 s1, s14, s1
	s_lshl_b64 s[0:1], s[0:1], 1
	s_waitcnt lgkmcnt(0)
	s_add_u32 s14, s16, s0
	s_addc_u32 s15, s17, s1
	s_lshl_b64 s[0:1], s[18:19], 1
	s_add_u32 s14, s14, s0
	s_addc_u32 s15, s15, s1
	s_branch .LBB255_3
.LBB255_2:
	s_mov_b64 s[14:15], 0
.LBB255_3:
	s_add_i32 s0, s8, -1
	s_ashr_i32 s1, s0, 31
	s_lshr_b32 s1, s1, 27
	s_add_i32 s0, s0, s1
	s_ashr_i32 s0, s0, 5
	s_add_i32 s1, s0, 1
	s_not_b32 s0, s0
	v_cvt_f32_u32_e32 v2, s1
	v_rcp_iflag_f32_e32 v2, v2
	v_mul_f32_e32 v2, 0x4f7ffffe, v2
	v_cvt_u32_f32_e32 v2, v2
	v_readfirstlane_b32 s16, v2
	s_mul_i32 s0, s0, s16
	s_mul_hi_u32 s0, s16, s0
	s_add_i32 s16, s16, s0
	s_mul_hi_u32 s0, s6, s16
	s_mul_i32 s16, s0, s1
	s_add_i32 s17, s0, 1
	s_sub_i32 s16, s6, s16
	s_sub_i32 s18, s16, s1
	s_cmp_ge_u32 s16, s1
	s_cselect_b32 s0, s17, s0
	s_cselect_b32 s16, s18, s16
	s_add_i32 s17, s0, 1
	s_cmp_ge_u32 s16, s1
	s_cselect_b32 s0, s17, s0
	s_mul_i32 s1, s0, s1
	v_lshl_add_u32 v4, s0, 5, v1
	s_sub_i32 s1, s6, s1
	v_lshl_add_u32 v0, s1, 5, v0
	s_mov_b32 s1, -1
	v_cmp_gt_u32_e64 s0, s9, v4
	v_cmp_gt_u32_e32 vcc_lo, s8, v0
	s_and_b32 s0, vcc_lo, s0
	s_and_saveexec_b32 s6, s0
	s_cbranch_execz .LBB255_9
; %bb.4:
	v_mov_b32_e32 v1, 0
	s_andn2_b32 vcc_lo, exec_lo, s11
	v_mov_b32_e32 v3, v1
	v_mov_b32_e32 v2, v0
	s_cbranch_vccnz .LBB255_6
; %bb.5:
	v_mov_b32_e32 v3, 0
	v_mov_b32_e32 v2, v0
	s_mov_b32 s1, 0
.LBB255_6:
	s_andn2_b32 vcc_lo, exec_lo, s1
	s_cbranch_vccnz .LBB255_8
; %bb.7:
	s_load_dword s0, s[4:5], 0x20
	v_lshlrev_b64 v[0:1], 1, v[0:1]
	s_waitcnt lgkmcnt(0)
	v_mad_u64_u32 v[5:6], null, v4, s0, 0
	s_ashr_i32 s0, s0, 31
	v_mad_u64_u32 v[6:7], null, v4, s0, v[6:7]
	v_lshlrev_b64 v[5:6], 1, v[5:6]
	v_add_co_u32 v5, vcc_lo, s14, v5
	v_add_co_ci_u32_e64 v6, null, s15, v6, vcc_lo
	v_add_co_u32 v0, vcc_lo, v5, v0
	v_add_co_ci_u32_e64 v1, null, v6, v1, vcc_lo
	global_load_ushort v0, v[0:1], off
	s_waitcnt vmcnt(0)
	v_mul_f16_e32 v1, s10, v0
.LBB255_8:
	s_clause 0x1
	s_load_dwordx2 s[0:1], s[4:5], 0x48
	s_load_dword s4, s[4:5], 0x40
	v_lshlrev_b64 v[2:3], 1, v[2:3]
	s_waitcnt lgkmcnt(0)
	s_mul_i32 s1, s1, s7
	v_mad_u64_u32 v[5:6], null, v4, s4, 0
	s_mul_hi_u32 s5, s0, s7
	s_mul_i32 s0, s0, s7
	s_add_i32 s1, s5, s1
	s_lshl_b64 s[0:1], s[0:1], 1
	s_add_u32 s2, s2, s0
	s_addc_u32 s3, s3, s1
	s_lshl_b64 s[0:1], s[12:13], 1
	v_mov_b32_e32 v0, v6
	s_add_u32 s0, s2, s0
	s_addc_u32 s1, s3, s1
	s_ashr_i32 s2, s4, 31
	v_mad_u64_u32 v[6:7], null, v4, s2, v[0:1]
	v_lshlrev_b64 v[4:5], 1, v[5:6]
	v_add_co_u32 v0, vcc_lo, s0, v4
	v_add_co_ci_u32_e64 v4, null, s1, v5, vcc_lo
	v_add_co_u32 v2, vcc_lo, v0, v2
	v_add_co_ci_u32_e64 v3, null, v4, v3, vcc_lo
	global_store_short v[2:3], v1, off
.LBB255_9:
	s_endpgm
	.section	.rodata,"a",@progbits
	.p2align	6, 0x0
	.amdhsa_kernel _ZN12_GLOBAL__N_120geam_ex_scale_kernelILi32ELi32EDF16_DF16_PKDF16_PDF16_EEviiT2_T3_lilT4_lil
		.amdhsa_group_segment_fixed_size 0
		.amdhsa_private_segment_fixed_size 0
		.amdhsa_kernarg_size 80
		.amdhsa_user_sgpr_count 6
		.amdhsa_user_sgpr_private_segment_buffer 1
		.amdhsa_user_sgpr_dispatch_ptr 0
		.amdhsa_user_sgpr_queue_ptr 0
		.amdhsa_user_sgpr_kernarg_segment_ptr 1
		.amdhsa_user_sgpr_dispatch_id 0
		.amdhsa_user_sgpr_flat_scratch_init 0
		.amdhsa_user_sgpr_private_segment_size 0
		.amdhsa_wavefront_size32 1
		.amdhsa_uses_dynamic_stack 0
		.amdhsa_system_sgpr_private_segment_wavefront_offset 0
		.amdhsa_system_sgpr_workgroup_id_x 1
		.amdhsa_system_sgpr_workgroup_id_y 0
		.amdhsa_system_sgpr_workgroup_id_z 1
		.amdhsa_system_sgpr_workgroup_info 0
		.amdhsa_system_vgpr_workitem_id 1
		.amdhsa_next_free_vgpr 8
		.amdhsa_next_free_sgpr 20
		.amdhsa_reserve_vcc 1
		.amdhsa_reserve_flat_scratch 0
		.amdhsa_float_round_mode_32 0
		.amdhsa_float_round_mode_16_64 0
		.amdhsa_float_denorm_mode_32 3
		.amdhsa_float_denorm_mode_16_64 3
		.amdhsa_dx10_clamp 1
		.amdhsa_ieee_mode 1
		.amdhsa_fp16_overflow 0
		.amdhsa_workgroup_processor_mode 1
		.amdhsa_memory_ordered 1
		.amdhsa_forward_progress 1
		.amdhsa_shared_vgpr_count 0
		.amdhsa_exception_fp_ieee_invalid_op 0
		.amdhsa_exception_fp_denorm_src 0
		.amdhsa_exception_fp_ieee_div_zero 0
		.amdhsa_exception_fp_ieee_overflow 0
		.amdhsa_exception_fp_ieee_underflow 0
		.amdhsa_exception_fp_ieee_inexact 0
		.amdhsa_exception_int_div_zero 0
	.end_amdhsa_kernel
	.section	.text._ZN12_GLOBAL__N_120geam_ex_scale_kernelILi32ELi32EDF16_DF16_PKDF16_PDF16_EEviiT2_T3_lilT4_lil,"axG",@progbits,_ZN12_GLOBAL__N_120geam_ex_scale_kernelILi32ELi32EDF16_DF16_PKDF16_PDF16_EEviiT2_T3_lilT4_lil,comdat
.Lfunc_end255:
	.size	_ZN12_GLOBAL__N_120geam_ex_scale_kernelILi32ELi32EDF16_DF16_PKDF16_PDF16_EEviiT2_T3_lilT4_lil, .Lfunc_end255-_ZN12_GLOBAL__N_120geam_ex_scale_kernelILi32ELi32EDF16_DF16_PKDF16_PDF16_EEviiT2_T3_lilT4_lil
                                        ; -- End function
	.set _ZN12_GLOBAL__N_120geam_ex_scale_kernelILi32ELi32EDF16_DF16_PKDF16_PDF16_EEviiT2_T3_lilT4_lil.num_vgpr, 8
	.set _ZN12_GLOBAL__N_120geam_ex_scale_kernelILi32ELi32EDF16_DF16_PKDF16_PDF16_EEviiT2_T3_lilT4_lil.num_agpr, 0
	.set _ZN12_GLOBAL__N_120geam_ex_scale_kernelILi32ELi32EDF16_DF16_PKDF16_PDF16_EEviiT2_T3_lilT4_lil.numbered_sgpr, 20
	.set _ZN12_GLOBAL__N_120geam_ex_scale_kernelILi32ELi32EDF16_DF16_PKDF16_PDF16_EEviiT2_T3_lilT4_lil.num_named_barrier, 0
	.set _ZN12_GLOBAL__N_120geam_ex_scale_kernelILi32ELi32EDF16_DF16_PKDF16_PDF16_EEviiT2_T3_lilT4_lil.private_seg_size, 0
	.set _ZN12_GLOBAL__N_120geam_ex_scale_kernelILi32ELi32EDF16_DF16_PKDF16_PDF16_EEviiT2_T3_lilT4_lil.uses_vcc, 1
	.set _ZN12_GLOBAL__N_120geam_ex_scale_kernelILi32ELi32EDF16_DF16_PKDF16_PDF16_EEviiT2_T3_lilT4_lil.uses_flat_scratch, 0
	.set _ZN12_GLOBAL__N_120geam_ex_scale_kernelILi32ELi32EDF16_DF16_PKDF16_PDF16_EEviiT2_T3_lilT4_lil.has_dyn_sized_stack, 0
	.set _ZN12_GLOBAL__N_120geam_ex_scale_kernelILi32ELi32EDF16_DF16_PKDF16_PDF16_EEviiT2_T3_lilT4_lil.has_recursion, 0
	.set _ZN12_GLOBAL__N_120geam_ex_scale_kernelILi32ELi32EDF16_DF16_PKDF16_PDF16_EEviiT2_T3_lilT4_lil.has_indirect_call, 0
	.section	.AMDGPU.csdata,"",@progbits
; Kernel info:
; codeLenInByte = 552
; TotalNumSgprs: 22
; NumVgprs: 8
; ScratchSize: 0
; MemoryBound: 0
; FloatMode: 240
; IeeeMode: 1
; LDSByteSize: 0 bytes/workgroup (compile time only)
; SGPRBlocks: 0
; VGPRBlocks: 0
; NumSGPRsForWavesPerEU: 22
; NumVGPRsForWavesPerEU: 8
; Occupancy: 16
; WaveLimiterHint : 0
; COMPUTE_PGM_RSRC2:SCRATCH_EN: 0
; COMPUTE_PGM_RSRC2:USER_SGPR: 6
; COMPUTE_PGM_RSRC2:TRAP_HANDLER: 0
; COMPUTE_PGM_RSRC2:TGID_X_EN: 1
; COMPUTE_PGM_RSRC2:TGID_Y_EN: 0
; COMPUTE_PGM_RSRC2:TGID_Z_EN: 1
; COMPUTE_PGM_RSRC2:TIDIG_COMP_CNT: 1
	.section	.text._ZN12_GLOBAL__N_120geam_ex_scale_kernelILi32ELi32EDF16_PKDF16_S2_PDF16_EEviiT2_T3_lilT4_lil,"axG",@progbits,_ZN12_GLOBAL__N_120geam_ex_scale_kernelILi32ELi32EDF16_PKDF16_S2_PDF16_EEviiT2_T3_lilT4_lil,comdat
	.globl	_ZN12_GLOBAL__N_120geam_ex_scale_kernelILi32ELi32EDF16_PKDF16_S2_PDF16_EEviiT2_T3_lilT4_lil ; -- Begin function _ZN12_GLOBAL__N_120geam_ex_scale_kernelILi32ELi32EDF16_PKDF16_S2_PDF16_EEviiT2_T3_lilT4_lil
	.p2align	8
	.type	_ZN12_GLOBAL__N_120geam_ex_scale_kernelILi32ELi32EDF16_PKDF16_S2_PDF16_EEviiT2_T3_lilT4_lil,@function
_ZN12_GLOBAL__N_120geam_ex_scale_kernelILi32ELi32EDF16_PKDF16_S2_PDF16_EEviiT2_T3_lilT4_lil: ; @_ZN12_GLOBAL__N_120geam_ex_scale_kernelILi32ELi32EDF16_PKDF16_S2_PDF16_EEviiT2_T3_lilT4_lil
; %bb.0:
	s_clause 0x1
	s_load_dwordx4 s[0:3], s[4:5], 0x8
	s_load_dwordx4 s[8:11], s[4:5], 0x28
	v_mov_b32_e32 v2, 0
	s_load_dwordx2 s[12:13], s[4:5], 0x38
	s_waitcnt lgkmcnt(0)
	global_load_ushort v4, v2, s[0:1]
	s_waitcnt vmcnt(0)
	v_cmp_eq_f16_e64 s0, 0, v4
	s_and_b32 vcc_lo, exec_lo, s0
	s_cbranch_vccnz .LBB256_2
; %bb.1:
	s_load_dwordx2 s[14:15], s[4:5], 0x18
	s_mul_i32 s1, s9, s7
	s_mul_hi_u32 s9, s8, s7
	s_mul_i32 s8, s8, s7
	s_add_i32 s9, s9, s1
	s_lshl_b64 s[8:9], s[8:9], 1
	s_add_u32 s1, s2, s8
	s_addc_u32 s8, s3, s9
	s_waitcnt lgkmcnt(0)
	s_lshl_b64 s[2:3], s[14:15], 1
	s_add_u32 s2, s1, s2
	s_addc_u32 s3, s8, s3
	s_branch .LBB256_3
.LBB256_2:
	s_mov_b64 s[2:3], 0
.LBB256_3:
	s_load_dwordx2 s[8:9], s[4:5], 0x0
	s_waitcnt lgkmcnt(0)
	s_add_i32 s1, s8, -1
	s_ashr_i32 s14, s1, 31
	s_lshr_b32 s14, s14, 27
	s_add_i32 s1, s1, s14
	s_ashr_i32 s1, s1, 5
	s_add_i32 s14, s1, 1
	s_not_b32 s1, s1
	v_cvt_f32_u32_e32 v2, s14
	v_rcp_iflag_f32_e32 v2, v2
	v_mul_f32_e32 v2, 0x4f7ffffe, v2
	v_cvt_u32_f32_e32 v2, v2
	v_readfirstlane_b32 s15, v2
	s_mul_i32 s1, s1, s15
	s_mul_hi_u32 s1, s15, s1
	s_add_i32 s15, s15, s1
	s_mul_hi_u32 s1, s6, s15
	s_mul_i32 s15, s1, s14
	s_add_i32 s16, s1, 1
	s_sub_i32 s15, s6, s15
	s_sub_i32 s17, s15, s14
	s_cmp_ge_u32 s15, s14
	s_cselect_b32 s1, s16, s1
	s_cselect_b32 s15, s17, s15
	s_add_i32 s16, s1, 1
	s_cmp_ge_u32 s15, s14
	s_cselect_b32 s1, s16, s1
	s_mul_i32 s14, s1, s14
	v_lshl_add_u32 v5, s1, 5, v1
	s_sub_i32 s6, s6, s14
	v_lshl_add_u32 v0, s6, 5, v0
	s_mov_b32 s6, -1
	v_cmp_gt_u32_e64 s1, s9, v5
	v_cmp_gt_u32_e32 vcc_lo, s8, v0
	s_and_b32 s1, vcc_lo, s1
	s_and_saveexec_b32 s8, s1
	s_cbranch_execz .LBB256_9
; %bb.4:
	v_mov_b32_e32 v1, 0
	s_andn2_b32 vcc_lo, exec_lo, s0
	v_mov_b32_e32 v3, v1
	v_mov_b32_e32 v2, v0
	s_cbranch_vccnz .LBB256_6
; %bb.5:
	v_mov_b32_e32 v3, 0
	v_mov_b32_e32 v2, v0
	s_mov_b32 s6, 0
.LBB256_6:
	s_andn2_b32 vcc_lo, exec_lo, s6
	s_cbranch_vccnz .LBB256_8
; %bb.7:
	s_load_dword s0, s[4:5], 0x20
	v_lshlrev_b64 v[0:1], 1, v[0:1]
	s_waitcnt lgkmcnt(0)
	v_mad_u64_u32 v[6:7], null, v5, s0, 0
	s_ashr_i32 s0, s0, 31
	v_mad_u64_u32 v[7:8], null, v5, s0, v[7:8]
	v_lshlrev_b64 v[6:7], 1, v[6:7]
	v_add_co_u32 v6, vcc_lo, s2, v6
	v_add_co_ci_u32_e64 v7, null, s3, v7, vcc_lo
	v_add_co_u32 v0, vcc_lo, v6, v0
	v_add_co_ci_u32_e64 v1, null, v7, v1, vcc_lo
	global_load_ushort v0, v[0:1], off
	s_waitcnt vmcnt(0)
	v_mul_f16_e32 v1, v4, v0
.LBB256_8:
	s_clause 0x1
	s_load_dwordx2 s[0:1], s[4:5], 0x48
	s_load_dword s2, s[4:5], 0x40
	v_lshlrev_b64 v[2:3], 1, v[2:3]
	s_waitcnt lgkmcnt(0)
	s_mul_i32 s1, s1, s7
	v_mad_u64_u32 v[6:7], null, v5, s2, 0
	s_mul_hi_u32 s3, s0, s7
	s_mul_i32 s0, s0, s7
	s_add_i32 s1, s3, s1
	s_lshl_b64 s[0:1], s[0:1], 1
	s_add_u32 s3, s10, s0
	s_addc_u32 s4, s11, s1
	s_lshl_b64 s[0:1], s[12:13], 1
	v_mov_b32_e32 v0, v7
	s_add_u32 s0, s3, s0
	s_addc_u32 s1, s4, s1
	s_ashr_i32 s2, s2, 31
	v_mad_u64_u32 v[4:5], null, v5, s2, v[0:1]
	v_mov_b32_e32 v7, v4
	v_lshlrev_b64 v[4:5], 1, v[6:7]
	v_add_co_u32 v0, vcc_lo, s0, v4
	v_add_co_ci_u32_e64 v4, null, s1, v5, vcc_lo
	v_add_co_u32 v2, vcc_lo, v0, v2
	v_add_co_ci_u32_e64 v3, null, v4, v3, vcc_lo
	global_store_short v[2:3], v1, off
.LBB256_9:
	s_endpgm
	.section	.rodata,"a",@progbits
	.p2align	6, 0x0
	.amdhsa_kernel _ZN12_GLOBAL__N_120geam_ex_scale_kernelILi32ELi32EDF16_PKDF16_S2_PDF16_EEviiT2_T3_lilT4_lil
		.amdhsa_group_segment_fixed_size 0
		.amdhsa_private_segment_fixed_size 0
		.amdhsa_kernarg_size 80
		.amdhsa_user_sgpr_count 6
		.amdhsa_user_sgpr_private_segment_buffer 1
		.amdhsa_user_sgpr_dispatch_ptr 0
		.amdhsa_user_sgpr_queue_ptr 0
		.amdhsa_user_sgpr_kernarg_segment_ptr 1
		.amdhsa_user_sgpr_dispatch_id 0
		.amdhsa_user_sgpr_flat_scratch_init 0
		.amdhsa_user_sgpr_private_segment_size 0
		.amdhsa_wavefront_size32 1
		.amdhsa_uses_dynamic_stack 0
		.amdhsa_system_sgpr_private_segment_wavefront_offset 0
		.amdhsa_system_sgpr_workgroup_id_x 1
		.amdhsa_system_sgpr_workgroup_id_y 0
		.amdhsa_system_sgpr_workgroup_id_z 1
		.amdhsa_system_sgpr_workgroup_info 0
		.amdhsa_system_vgpr_workitem_id 1
		.amdhsa_next_free_vgpr 9
		.amdhsa_next_free_sgpr 18
		.amdhsa_reserve_vcc 1
		.amdhsa_reserve_flat_scratch 0
		.amdhsa_float_round_mode_32 0
		.amdhsa_float_round_mode_16_64 0
		.amdhsa_float_denorm_mode_32 3
		.amdhsa_float_denorm_mode_16_64 3
		.amdhsa_dx10_clamp 1
		.amdhsa_ieee_mode 1
		.amdhsa_fp16_overflow 0
		.amdhsa_workgroup_processor_mode 1
		.amdhsa_memory_ordered 1
		.amdhsa_forward_progress 1
		.amdhsa_shared_vgpr_count 0
		.amdhsa_exception_fp_ieee_invalid_op 0
		.amdhsa_exception_fp_denorm_src 0
		.amdhsa_exception_fp_ieee_div_zero 0
		.amdhsa_exception_fp_ieee_overflow 0
		.amdhsa_exception_fp_ieee_underflow 0
		.amdhsa_exception_fp_ieee_inexact 0
		.amdhsa_exception_int_div_zero 0
	.end_amdhsa_kernel
	.section	.text._ZN12_GLOBAL__N_120geam_ex_scale_kernelILi32ELi32EDF16_PKDF16_S2_PDF16_EEviiT2_T3_lilT4_lil,"axG",@progbits,_ZN12_GLOBAL__N_120geam_ex_scale_kernelILi32ELi32EDF16_PKDF16_S2_PDF16_EEviiT2_T3_lilT4_lil,comdat
.Lfunc_end256:
	.size	_ZN12_GLOBAL__N_120geam_ex_scale_kernelILi32ELi32EDF16_PKDF16_S2_PDF16_EEviiT2_T3_lilT4_lil, .Lfunc_end256-_ZN12_GLOBAL__N_120geam_ex_scale_kernelILi32ELi32EDF16_PKDF16_S2_PDF16_EEviiT2_T3_lilT4_lil
                                        ; -- End function
	.set _ZN12_GLOBAL__N_120geam_ex_scale_kernelILi32ELi32EDF16_PKDF16_S2_PDF16_EEviiT2_T3_lilT4_lil.num_vgpr, 9
	.set _ZN12_GLOBAL__N_120geam_ex_scale_kernelILi32ELi32EDF16_PKDF16_S2_PDF16_EEviiT2_T3_lilT4_lil.num_agpr, 0
	.set _ZN12_GLOBAL__N_120geam_ex_scale_kernelILi32ELi32EDF16_PKDF16_S2_PDF16_EEviiT2_T3_lilT4_lil.numbered_sgpr, 18
	.set _ZN12_GLOBAL__N_120geam_ex_scale_kernelILi32ELi32EDF16_PKDF16_S2_PDF16_EEviiT2_T3_lilT4_lil.num_named_barrier, 0
	.set _ZN12_GLOBAL__N_120geam_ex_scale_kernelILi32ELi32EDF16_PKDF16_S2_PDF16_EEviiT2_T3_lilT4_lil.private_seg_size, 0
	.set _ZN12_GLOBAL__N_120geam_ex_scale_kernelILi32ELi32EDF16_PKDF16_S2_PDF16_EEviiT2_T3_lilT4_lil.uses_vcc, 1
	.set _ZN12_GLOBAL__N_120geam_ex_scale_kernelILi32ELi32EDF16_PKDF16_S2_PDF16_EEviiT2_T3_lilT4_lil.uses_flat_scratch, 0
	.set _ZN12_GLOBAL__N_120geam_ex_scale_kernelILi32ELi32EDF16_PKDF16_S2_PDF16_EEviiT2_T3_lilT4_lil.has_dyn_sized_stack, 0
	.set _ZN12_GLOBAL__N_120geam_ex_scale_kernelILi32ELi32EDF16_PKDF16_S2_PDF16_EEviiT2_T3_lilT4_lil.has_recursion, 0
	.set _ZN12_GLOBAL__N_120geam_ex_scale_kernelILi32ELi32EDF16_PKDF16_S2_PDF16_EEviiT2_T3_lilT4_lil.has_indirect_call, 0
	.section	.AMDGPU.csdata,"",@progbits
; Kernel info:
; codeLenInByte = 584
; TotalNumSgprs: 20
; NumVgprs: 9
; ScratchSize: 0
; MemoryBound: 0
; FloatMode: 240
; IeeeMode: 1
; LDSByteSize: 0 bytes/workgroup (compile time only)
; SGPRBlocks: 0
; VGPRBlocks: 1
; NumSGPRsForWavesPerEU: 20
; NumVGPRsForWavesPerEU: 9
; Occupancy: 16
; WaveLimiterHint : 0
; COMPUTE_PGM_RSRC2:SCRATCH_EN: 0
; COMPUTE_PGM_RSRC2:USER_SGPR: 6
; COMPUTE_PGM_RSRC2:TRAP_HANDLER: 0
; COMPUTE_PGM_RSRC2:TGID_X_EN: 1
; COMPUTE_PGM_RSRC2:TGID_Y_EN: 0
; COMPUTE_PGM_RSRC2:TGID_Z_EN: 1
; COMPUTE_PGM_RSRC2:TIDIG_COMP_CNT: 1
	.section	.text._ZN12_GLOBAL__N_120geam_ex_round_kernelILi32ELi32EDF16_DF16_PKDF16_PDF16_EEviiT2_T3_lilT4_lil,"axG",@progbits,_ZN12_GLOBAL__N_120geam_ex_round_kernelILi32ELi32EDF16_DF16_PKDF16_PDF16_EEviiT2_T3_lilT4_lil,comdat
	.globl	_ZN12_GLOBAL__N_120geam_ex_round_kernelILi32ELi32EDF16_DF16_PKDF16_PDF16_EEviiT2_T3_lilT4_lil ; -- Begin function _ZN12_GLOBAL__N_120geam_ex_round_kernelILi32ELi32EDF16_DF16_PKDF16_PDF16_EEviiT2_T3_lilT4_lil
	.p2align	8
	.type	_ZN12_GLOBAL__N_120geam_ex_round_kernelILi32ELi32EDF16_DF16_PKDF16_PDF16_EEviiT2_T3_lilT4_lil,@function
_ZN12_GLOBAL__N_120geam_ex_round_kernelILi32ELi32EDF16_DF16_PKDF16_PDF16_EEviiT2_T3_lilT4_lil: ; @_ZN12_GLOBAL__N_120geam_ex_round_kernelILi32ELi32EDF16_DF16_PKDF16_PDF16_EEviiT2_T3_lilT4_lil
; %bb.0:
	s_clause 0x2
	s_load_dwordx4 s[8:11], s[4:5], 0x0
	s_load_dwordx4 s[0:3], s[4:5], 0x28
	s_load_dwordx2 s[12:13], s[4:5], 0x38
	s_waitcnt lgkmcnt(0)
	v_cmp_eq_f16_e64 s11, s10, 0
	s_and_b32 vcc_lo, exec_lo, s11
	s_cbranch_vccnz .LBB257_2
; %bb.1:
	s_load_dwordx4 s[16:19], s[4:5], 0x10
	s_mul_i32 s1, s1, s7
	s_mul_hi_u32 s14, s0, s7
	s_mul_i32 s0, s0, s7
	s_add_i32 s1, s14, s1
	s_lshl_b64 s[0:1], s[0:1], 1
	s_waitcnt lgkmcnt(0)
	s_add_u32 s14, s16, s0
	s_addc_u32 s15, s17, s1
	s_lshl_b64 s[0:1], s[18:19], 1
	s_add_u32 s14, s14, s0
	s_addc_u32 s15, s15, s1
	s_branch .LBB257_3
.LBB257_2:
	s_mov_b64 s[14:15], 0
.LBB257_3:
	s_add_i32 s0, s8, -1
	s_ashr_i32 s1, s0, 31
	s_lshr_b32 s1, s1, 27
	s_add_i32 s0, s0, s1
	s_ashr_i32 s0, s0, 5
	s_add_i32 s1, s0, 1
	s_not_b32 s0, s0
	v_cvt_f32_u32_e32 v2, s1
	v_rcp_iflag_f32_e32 v2, v2
	v_mul_f32_e32 v2, 0x4f7ffffe, v2
	v_cvt_u32_f32_e32 v2, v2
	v_readfirstlane_b32 s16, v2
	s_mul_i32 s0, s0, s16
	s_mul_hi_u32 s0, s16, s0
	s_add_i32 s16, s16, s0
	s_mul_hi_u32 s0, s6, s16
	s_mul_i32 s16, s0, s1
	s_add_i32 s17, s0, 1
	s_sub_i32 s16, s6, s16
	s_sub_i32 s18, s16, s1
	s_cmp_ge_u32 s16, s1
	s_cselect_b32 s0, s17, s0
	s_cselect_b32 s16, s18, s16
	s_add_i32 s17, s0, 1
	s_cmp_ge_u32 s16, s1
	s_cselect_b32 s0, s17, s0
	s_mul_i32 s1, s0, s1
	v_lshl_add_u32 v4, s0, 5, v1
	s_sub_i32 s1, s6, s1
	v_lshl_add_u32 v0, s1, 5, v0
	s_mov_b32 s1, -1
	v_cmp_gt_u32_e64 s0, s9, v4
	v_cmp_gt_u32_e32 vcc_lo, s8, v0
	s_and_b32 s0, vcc_lo, s0
	s_and_saveexec_b32 s6, s0
	s_cbranch_execz .LBB257_9
; %bb.4:
	v_mov_b32_e32 v1, 0
	s_andn2_b32 vcc_lo, exec_lo, s11
	v_mov_b32_e32 v3, v1
	v_mov_b32_e32 v2, v0
	s_cbranch_vccnz .LBB257_6
; %bb.5:
	v_mov_b32_e32 v3, 0
	v_mov_b32_e32 v2, v0
	s_mov_b32 s1, 0
.LBB257_6:
	s_andn2_b32 vcc_lo, exec_lo, s1
	s_cbranch_vccnz .LBB257_8
; %bb.7:
	s_load_dword s0, s[4:5], 0x20
	v_lshlrev_b64 v[0:1], 1, v[0:1]
	s_waitcnt lgkmcnt(0)
	v_mad_u64_u32 v[5:6], null, v4, s0, 0
	s_ashr_i32 s0, s0, 31
	v_mad_u64_u32 v[6:7], null, v4, s0, v[6:7]
	v_lshlrev_b64 v[5:6], 1, v[5:6]
	v_add_co_u32 v5, vcc_lo, s14, v5
	v_add_co_ci_u32_e64 v6, null, s15, v6, vcc_lo
	v_add_co_u32 v0, vcc_lo, v5, v0
	v_add_co_ci_u32_e64 v1, null, v6, v1, vcc_lo
	global_load_ushort v0, v[0:1], off
	s_waitcnt vmcnt(0)
	v_mul_f16_e32 v1, s10, v0
.LBB257_8:
	s_clause 0x1
	s_load_dwordx2 s[0:1], s[4:5], 0x48
	s_load_dword s4, s[4:5], 0x40
	v_lshlrev_b64 v[2:3], 1, v[2:3]
	s_waitcnt lgkmcnt(0)
	s_mul_i32 s1, s1, s7
	v_mad_u64_u32 v[5:6], null, v4, s4, 0
	s_mul_hi_u32 s5, s0, s7
	s_mul_i32 s0, s0, s7
	s_add_i32 s1, s5, s1
	s_lshl_b64 s[0:1], s[0:1], 1
	s_add_u32 s2, s2, s0
	s_addc_u32 s3, s3, s1
	s_lshl_b64 s[0:1], s[12:13], 1
	v_mov_b32_e32 v0, v6
	s_add_u32 s0, s2, s0
	s_addc_u32 s1, s3, s1
	s_ashr_i32 s2, s4, 31
	v_mad_u64_u32 v[6:7], null, v4, s2, v[0:1]
	v_lshlrev_b64 v[4:5], 1, v[5:6]
	v_add_co_u32 v0, vcc_lo, s0, v4
	v_add_co_ci_u32_e64 v4, null, s1, v5, vcc_lo
	v_add_co_u32 v2, vcc_lo, v0, v2
	v_add_co_ci_u32_e64 v3, null, v4, v3, vcc_lo
	v_cmp_nlt_f16_e32 vcc_lo, 0, v1
	v_cndmask_b32_e32 v0, 0, v1, vcc_lo
	global_store_short v[2:3], v0, off
.LBB257_9:
	s_endpgm
	.section	.rodata,"a",@progbits
	.p2align	6, 0x0
	.amdhsa_kernel _ZN12_GLOBAL__N_120geam_ex_round_kernelILi32ELi32EDF16_DF16_PKDF16_PDF16_EEviiT2_T3_lilT4_lil
		.amdhsa_group_segment_fixed_size 0
		.amdhsa_private_segment_fixed_size 0
		.amdhsa_kernarg_size 80
		.amdhsa_user_sgpr_count 6
		.amdhsa_user_sgpr_private_segment_buffer 1
		.amdhsa_user_sgpr_dispatch_ptr 0
		.amdhsa_user_sgpr_queue_ptr 0
		.amdhsa_user_sgpr_kernarg_segment_ptr 1
		.amdhsa_user_sgpr_dispatch_id 0
		.amdhsa_user_sgpr_flat_scratch_init 0
		.amdhsa_user_sgpr_private_segment_size 0
		.amdhsa_wavefront_size32 1
		.amdhsa_uses_dynamic_stack 0
		.amdhsa_system_sgpr_private_segment_wavefront_offset 0
		.amdhsa_system_sgpr_workgroup_id_x 1
		.amdhsa_system_sgpr_workgroup_id_y 0
		.amdhsa_system_sgpr_workgroup_id_z 1
		.amdhsa_system_sgpr_workgroup_info 0
		.amdhsa_system_vgpr_workitem_id 1
		.amdhsa_next_free_vgpr 8
		.amdhsa_next_free_sgpr 20
		.amdhsa_reserve_vcc 1
		.amdhsa_reserve_flat_scratch 0
		.amdhsa_float_round_mode_32 0
		.amdhsa_float_round_mode_16_64 0
		.amdhsa_float_denorm_mode_32 3
		.amdhsa_float_denorm_mode_16_64 3
		.amdhsa_dx10_clamp 1
		.amdhsa_ieee_mode 1
		.amdhsa_fp16_overflow 0
		.amdhsa_workgroup_processor_mode 1
		.amdhsa_memory_ordered 1
		.amdhsa_forward_progress 1
		.amdhsa_shared_vgpr_count 0
		.amdhsa_exception_fp_ieee_invalid_op 0
		.amdhsa_exception_fp_denorm_src 0
		.amdhsa_exception_fp_ieee_div_zero 0
		.amdhsa_exception_fp_ieee_overflow 0
		.amdhsa_exception_fp_ieee_underflow 0
		.amdhsa_exception_fp_ieee_inexact 0
		.amdhsa_exception_int_div_zero 0
	.end_amdhsa_kernel
	.section	.text._ZN12_GLOBAL__N_120geam_ex_round_kernelILi32ELi32EDF16_DF16_PKDF16_PDF16_EEviiT2_T3_lilT4_lil,"axG",@progbits,_ZN12_GLOBAL__N_120geam_ex_round_kernelILi32ELi32EDF16_DF16_PKDF16_PDF16_EEviiT2_T3_lilT4_lil,comdat
.Lfunc_end257:
	.size	_ZN12_GLOBAL__N_120geam_ex_round_kernelILi32ELi32EDF16_DF16_PKDF16_PDF16_EEviiT2_T3_lilT4_lil, .Lfunc_end257-_ZN12_GLOBAL__N_120geam_ex_round_kernelILi32ELi32EDF16_DF16_PKDF16_PDF16_EEviiT2_T3_lilT4_lil
                                        ; -- End function
	.set _ZN12_GLOBAL__N_120geam_ex_round_kernelILi32ELi32EDF16_DF16_PKDF16_PDF16_EEviiT2_T3_lilT4_lil.num_vgpr, 8
	.set _ZN12_GLOBAL__N_120geam_ex_round_kernelILi32ELi32EDF16_DF16_PKDF16_PDF16_EEviiT2_T3_lilT4_lil.num_agpr, 0
	.set _ZN12_GLOBAL__N_120geam_ex_round_kernelILi32ELi32EDF16_DF16_PKDF16_PDF16_EEviiT2_T3_lilT4_lil.numbered_sgpr, 20
	.set _ZN12_GLOBAL__N_120geam_ex_round_kernelILi32ELi32EDF16_DF16_PKDF16_PDF16_EEviiT2_T3_lilT4_lil.num_named_barrier, 0
	.set _ZN12_GLOBAL__N_120geam_ex_round_kernelILi32ELi32EDF16_DF16_PKDF16_PDF16_EEviiT2_T3_lilT4_lil.private_seg_size, 0
	.set _ZN12_GLOBAL__N_120geam_ex_round_kernelILi32ELi32EDF16_DF16_PKDF16_PDF16_EEviiT2_T3_lilT4_lil.uses_vcc, 1
	.set _ZN12_GLOBAL__N_120geam_ex_round_kernelILi32ELi32EDF16_DF16_PKDF16_PDF16_EEviiT2_T3_lilT4_lil.uses_flat_scratch, 0
	.set _ZN12_GLOBAL__N_120geam_ex_round_kernelILi32ELi32EDF16_DF16_PKDF16_PDF16_EEviiT2_T3_lilT4_lil.has_dyn_sized_stack, 0
	.set _ZN12_GLOBAL__N_120geam_ex_round_kernelILi32ELi32EDF16_DF16_PKDF16_PDF16_EEviiT2_T3_lilT4_lil.has_recursion, 0
	.set _ZN12_GLOBAL__N_120geam_ex_round_kernelILi32ELi32EDF16_DF16_PKDF16_PDF16_EEviiT2_T3_lilT4_lil.has_indirect_call, 0
	.section	.AMDGPU.csdata,"",@progbits
; Kernel info:
; codeLenInByte = 560
; TotalNumSgprs: 22
; NumVgprs: 8
; ScratchSize: 0
; MemoryBound: 0
; FloatMode: 240
; IeeeMode: 1
; LDSByteSize: 0 bytes/workgroup (compile time only)
; SGPRBlocks: 0
; VGPRBlocks: 0
; NumSGPRsForWavesPerEU: 22
; NumVGPRsForWavesPerEU: 8
; Occupancy: 16
; WaveLimiterHint : 0
; COMPUTE_PGM_RSRC2:SCRATCH_EN: 0
; COMPUTE_PGM_RSRC2:USER_SGPR: 6
; COMPUTE_PGM_RSRC2:TRAP_HANDLER: 0
; COMPUTE_PGM_RSRC2:TGID_X_EN: 1
; COMPUTE_PGM_RSRC2:TGID_Y_EN: 0
; COMPUTE_PGM_RSRC2:TGID_Z_EN: 1
; COMPUTE_PGM_RSRC2:TIDIG_COMP_CNT: 1
	.section	.text._ZN12_GLOBAL__N_120geam_min_plus_kernelIDF16_Dv2_DF16_S1_Li32ELi8ELi256ELi64ELi4ELi64ELi4ELi4ELi64ELc78ELc78ELb0ELb0ELb1EPKDF16_S2_DF16_EEviiiT16_PT17_ilS6_ilS4_S6_ilPT18_ili26rocblas_geam_ex_operation_,"axG",@progbits,_ZN12_GLOBAL__N_120geam_min_plus_kernelIDF16_Dv2_DF16_S1_Li32ELi8ELi256ELi64ELi4ELi64ELi4ELi4ELi64ELc78ELc78ELb0ELb0ELb1EPKDF16_S2_DF16_EEviiiT16_PT17_ilS6_ilS4_S6_ilPT18_ili26rocblas_geam_ex_operation_,comdat
	.globl	_ZN12_GLOBAL__N_120geam_min_plus_kernelIDF16_Dv2_DF16_S1_Li32ELi8ELi256ELi64ELi4ELi64ELi4ELi4ELi64ELc78ELc78ELb0ELb0ELb1EPKDF16_S2_DF16_EEviiiT16_PT17_ilS6_ilS4_S6_ilPT18_ili26rocblas_geam_ex_operation_ ; -- Begin function _ZN12_GLOBAL__N_120geam_min_plus_kernelIDF16_Dv2_DF16_S1_Li32ELi8ELi256ELi64ELi4ELi64ELi4ELi4ELi64ELc78ELc78ELb0ELb0ELb1EPKDF16_S2_DF16_EEviiiT16_PT17_ilS6_ilS4_S6_ilPT18_ili26rocblas_geam_ex_operation_
	.p2align	8
	.type	_ZN12_GLOBAL__N_120geam_min_plus_kernelIDF16_Dv2_DF16_S1_Li32ELi8ELi256ELi64ELi4ELi64ELi4ELi4ELi64ELc78ELc78ELb0ELb0ELb1EPKDF16_S2_DF16_EEviiiT16_PT17_ilS6_ilS4_S6_ilPT18_ili26rocblas_geam_ex_operation_,@function
_ZN12_GLOBAL__N_120geam_min_plus_kernelIDF16_Dv2_DF16_S1_Li32ELi8ELi256ELi64ELi4ELi64ELi4ELi4ELi64ELc78ELc78ELb0ELb0ELb1EPKDF16_S2_DF16_EEviiiT16_PT17_ilS6_ilS4_S6_ilPT18_ili26rocblas_geam_ex_operation_: ; @_ZN12_GLOBAL__N_120geam_min_plus_kernelIDF16_Dv2_DF16_S1_Li32ELi8ELi256ELi64ELi4ELi64ELi4ELi4ELi64ELc78ELc78ELb0ELb0ELb1EPKDF16_S2_DF16_EEviiiT16_PT17_ilS6_ilS4_S6_ilPT18_ili26rocblas_geam_ex_operation_
; %bb.0:
	s_clause 0x1
	s_load_dwordx4 s[0:3], s[4:5], 0x10
	s_load_dwordx4 s[8:11], s[4:5], 0x28
	s_mov_b32 s16, s7
	s_mov_b32 s17, 0
	v_mov_b32_e32 v2, 0
	s_lshl_b64 s[18:19], s[16:17], 1
	s_waitcnt lgkmcnt(0)
	s_add_u32 s0, s0, s18
	s_addc_u32 s1, s1, s19
	global_load_ushort v45, v2, s[0:1]
	s_clause 0x1
	s_load_dwordx4 s[12:15], s[4:5], 0x40
	s_load_dwordx2 s[20:21], s[4:5], 0x50
	s_waitcnt lgkmcnt(0)
	s_add_u32 s22, s14, s18
	s_addc_u32 s23, s15, s19
	s_mov_b64 s[18:19], 0
	s_mov_b64 s[14:15], 0
	s_waitcnt vmcnt(0)
	v_cmp_eq_f16_e32 vcc_lo, 0, v45
	v_cmp_neq_f16_e64 s0, 0, v45
	s_and_b32 s1, exec_lo, vcc_lo
	s_mov_b32 vcc_lo, s1
	s_cbranch_vccnz .LBB258_2
; %bb.1:
	s_mul_i32 s7, s9, s16
	s_mul_hi_u32 s9, s8, s16
	s_mul_i32 s8, s8, s16
	s_add_i32 s9, s9, s7
	s_lshl_b64 s[8:9], s[8:9], 1
	s_add_u32 s14, s2, s8
	s_addc_u32 s15, s3, s9
.LBB258_2:
	global_load_ushort v48, v2, s[22:23]
	v_cndmask_b32_e64 v2, 0, 1, s0
	s_andn2_b32 vcc_lo, exec_lo, s0
	v_cmp_ne_u32_e64 s2, 1, v2
	s_cbranch_vccnz .LBB258_4
; %bb.3:
	s_mul_i32 s0, s13, s16
	s_mul_hi_u32 s3, s12, s16
	s_mul_i32 s8, s12, s16
	s_add_i32 s9, s3, s0
	s_lshl_b64 s[8:9], s[8:9], 1
	s_add_u32 s18, s10, s8
	s_addc_u32 s19, s11, s9
.LBB258_4:
	s_load_dwordx4 s[8:11], s[4:5], 0x60
	s_waitcnt vmcnt(0)
	v_cmp_eq_f16_e32 vcc_lo, 0, v48
	s_and_b32 s0, exec_lo, vcc_lo
	s_mov_b32 vcc_lo, s0
	s_cbranch_vccnz .LBB258_6
; %bb.5:
	s_waitcnt lgkmcnt(0)
	s_mul_i32 s3, s9, s16
	s_mul_hi_u32 s7, s8, s16
	s_mul_i32 s8, s8, s16
	s_add_i32 s9, s7, s3
	s_lshl_b64 s[8:9], s[8:9], 1
	s_add_u32 s8, s20, s8
	s_addc_u32 s9, s21, s9
	s_branch .LBB258_7
.LBB258_6:
	s_waitcnt lgkmcnt(0)
	s_mov_b64 s[8:9], 0
.LBB258_7:
	s_clause 0x1
	s_load_dword s3, s[4:5], 0x0
	s_load_dword s12, s[4:5], 0x20
	v_lshl_add_u32 v6, v1, 5, v0
	v_lshrrev_b32_e32 v4, 6, v6
	v_and_b32_e32 v5, 63, v6
	s_waitcnt lgkmcnt(0)
	s_add_i32 s3, s3, -1
	s_ashr_i32 s7, s3, 31
	s_lshr_b32 s7, s7, 24
	s_add_i32 s3, s3, s7
	s_ashr_i32 s3, s3, 8
	s_add_i32 s7, s3, 1
	s_not_b32 s3, s3
	v_cvt_f32_u32_e32 v2, s7
	v_rcp_iflag_f32_e32 v2, v2
	v_mul_f32_e32 v2, 0x4f7ffffe, v2
	v_cvt_u32_f32_e32 v2, v2
	v_readfirstlane_b32 s13, v2
	v_mad_i64_i32 v[2:3], null, s12, v4, 0
	s_mul_i32 s3, s3, s13
	s_mul_hi_u32 s3, s13, s3
	v_lshlrev_b64 v[8:9], 1, v[2:3]
	s_add_i32 s13, s13, s3
	s_mul_hi_u32 s3, s6, s13
	s_mul_i32 s13, s3, s7
	s_add_i32 s17, s3, 1
	s_sub_i32 s13, s6, s13
	v_add_co_u32 v8, vcc_lo, s14, v8
	s_sub_i32 s20, s13, s7
	s_cmp_ge_u32 s13, s7
	v_add_co_ci_u32_e64 v9, null, s15, v9, vcc_lo
	s_cselect_b32 s3, s17, s3
	s_cselect_b32 s13, s20, s13
	s_add_i32 s17, s3, 1
	s_cmp_ge_u32 s13, s7
	s_mov_b32 s20, -1
	s_cselect_b32 s17, s17, s3
	s_and_b32 vcc_lo, exec_lo, s2
	s_mul_i32 s7, s17, s7
	s_sub_i32 s3, s6, s7
	s_lshl_b32 s3, s3, 8
	v_or_b32_e32 v2, s3, v5
	v_ashrrev_i32_e32 v3, 31, v2
	s_cbranch_vccnz .LBB258_9
; %bb.8:
	v_lshlrev_b64 v[10:11], 1, v[2:3]
	v_add_co_u32 v10, vcc_lo, v8, v10
	v_add_co_ci_u32_e64 v11, null, v9, v11, vcc_lo
	s_clause 0x1
	global_load_ushort v7, v[10:11], off
	global_load_ushort v10, v[10:11], off offset:128
	s_waitcnt vmcnt(1)
	v_mul_f16_e32 v11, v45, v7
	s_waitcnt vmcnt(0)
	v_mul_f16_e32 v7, v45, v10
	v_pack_b32_f16 v11, v11, 0
	s_branch .LBB258_10
.LBB258_9:
	v_mov_b32_e32 v11, 0
	v_mov_b32_e32 v7, 0
.LBB258_10:
	v_mov_b32_e32 v10, 0
	v_perm_b32 v37, v7, v11, 0x5040100
	s_ashr_i32 s13, s12, 31
	s_mov_b32 vcc_lo, s1
	s_cbranch_vccz .LBB258_12
; %bb.11:
	v_and_b32_e32 v38, 0xffff0000, v10
	s_mov_b32 s20, 0
.LBB258_12:
	v_mov_b32_e32 v11, 0
	v_mov_b32_e32 v7, 0
	s_andn2_b32 vcc_lo, exec_lo, s20
	s_cbranch_vccnz .LBB258_14
; %bb.13:
	v_lshlrev_b64 v[12:13], 1, v[2:3]
	v_add_co_u32 v7, vcc_lo, v8, v12
	v_add_co_ci_u32_e64 v8, null, v9, v13, vcc_lo
	s_clause 0x1
	global_load_ushort v9, v[7:8], off offset:256
	global_load_ushort v7, v[7:8], off offset:384
	s_waitcnt vmcnt(1)
	v_mul_f16_e32 v8, v45, v9
	s_waitcnt vmcnt(0)
	v_mul_f16_e32 v7, v45, v7
	v_bfi_b32 v38, 0xffff, v8, v10
.LBB258_14:
	s_load_dword s20, s[4:5], 0x38
	v_lshrrev_b32_e32 v12, 2, v6
	v_and_b32_e32 v6, 3, v0
	s_lshl_b32 s17, s17, 6
	s_and_b32 vcc_lo, exec_lo, s2
	v_add_nc_u32_e32 v8, s17, v12
	v_lshlrev_b32_e32 v6, 1, v6
	s_cbranch_vccnz .LBB258_16
; %bb.15:
	s_waitcnt lgkmcnt(0)
	v_mad_i64_i32 v[9:10], null, v8, s20, 0
	v_lshlrev_b64 v[9:10], 1, v[9:10]
	v_add_co_u32 v9, vcc_lo, s18, v9
	v_add_co_ci_u32_e64 v10, null, s19, v10, vcc_lo
	v_add_co_u32 v9, vcc_lo, v9, v6
	v_add_co_ci_u32_e64 v10, null, 0, v10, vcc_lo
	global_load_ushort v9, v[9:10], off
	s_waitcnt vmcnt(0)
	v_mul_f16_e32 v11, v45, v9
.LBB258_16:
	v_add_nc_u32_e32 v9, 4, v4
	v_mad_i64_i32 v[9:10], null, s12, v9, 0
	v_lshlrev_b64 v[9:10], 1, v[9:10]
	v_add_co_u32 v13, vcc_lo, s14, v9
	v_add_co_ci_u32_e64 v14, null, s15, v10, vcc_lo
	s_and_b32 vcc_lo, exec_lo, s2
	s_cbranch_vccnz .LBB258_19
; %bb.17:
	v_lshlrev_b64 v[9:10], 1, v[2:3]
	v_add_co_u32 v9, vcc_lo, v13, v9
	v_add_co_ci_u32_e64 v10, null, v14, v10, vcc_lo
	s_clause 0x1
	global_load_ushort v15, v[9:10], off
	global_load_ushort v9, v[9:10], off offset:128
	s_waitcnt vmcnt(1)
	v_mul_f16_e32 v10, v45, v15
	s_waitcnt vmcnt(0)
	v_mul_f16_e32 v9, v45, v9
	v_pack_b32_f16 v10, v10, 0
	v_mov_b32_e32 v15, 0
	v_perm_b32 v39, v9, v10, 0x5040100
	s_mov_b32 vcc_lo, s1
	s_cbranch_vccz .LBB258_20
.LBB258_18:
	v_and_b32_e32 v40, 0xffff0000, v15
	v_mov_b32_e32 v10, 0
	v_mov_b32_e32 v9, 0
	s_cbranch_execz .LBB258_21
	s_branch .LBB258_22
.LBB258_19:
	v_mov_b32_e32 v10, 0
	v_mov_b32_e32 v9, 0
	;; [unrolled: 1-line block ×3, first 2 shown]
	v_perm_b32 v39, v9, v10, 0x5040100
	s_mov_b32 vcc_lo, s1
	s_cbranch_vccnz .LBB258_18
.LBB258_20:
	v_mov_b32_e32 v10, 0
	v_mov_b32_e32 v9, 0
.LBB258_21:
	v_lshlrev_b64 v[2:3], 1, v[2:3]
	v_add_co_u32 v2, vcc_lo, v13, v2
	v_add_co_ci_u32_e64 v3, null, v14, v3, vcc_lo
	s_clause 0x1
	global_load_ushort v9, v[2:3], off offset:256
	global_load_ushort v2, v[2:3], off offset:384
	s_waitcnt vmcnt(1)
	v_mul_f16_e32 v3, v45, v9
	s_waitcnt vmcnt(0)
	v_mul_f16_e32 v9, v45, v2
	v_bfi_b32 v40, 0xffff, v3, v15
.LBB258_22:
	s_and_b32 vcc_lo, exec_lo, s2
	s_cbranch_vccnz .LBB258_24
; %bb.23:
	s_waitcnt lgkmcnt(0)
	v_mad_i64_i32 v[2:3], null, v8, s20, 0
	v_lshlrev_b64 v[2:3], 1, v[2:3]
	v_add_co_u32 v2, vcc_lo, s18, v2
	v_add_co_ci_u32_e64 v3, null, s19, v3, vcc_lo
	v_add_co_u32 v2, vcc_lo, v2, v6
	v_add_co_ci_u32_e64 v3, null, 0, v3, vcc_lo
	global_load_ushort v2, v[2:3], off offset:8
	s_waitcnt vmcnt(0)
	v_mul_f16_e32 v10, v45, v2
.LBB258_24:
	v_lshlrev_b32_e32 v3, 3, v5
	v_lshlrev_b32_e32 v85, 3, v1
	v_lshl_or_b32 v2, v12, 3, v6
	v_lshlrev_b32_e32 v89, 3, v0
	s_load_dword s21, s[4:5], 0x8
	v_lshl_add_u32 v46, v4, 1, v3
	v_add_nc_u32_e32 v3, 0x1000, v85
	ds_write_b16 v2, v11 offset:4096
	ds_write_b16 v46, v37
	ds_write_b16_d16_hi v46, v37 offset:512
	ds_write_b16 v46, v38 offset:1024
	ds_write_b16 v46, v7 offset:1536
	s_waitcnt lgkmcnt(0)
	s_barrier
	buffer_gl0_inv
	ds_read2_b64 v[11:14], v89 offset1:32
	ds_read2_b64 v[15:18], v3 offset1:8
	ds_read2_b64 v[19:22], v89 offset0:64 offset1:96
	ds_read2_b64 v[23:26], v89 offset0:128 offset1:160
	;; [unrolled: 1-line block ×4, first 2 shown]
	s_cmp_lt_i32 s21, 9
	s_waitcnt lgkmcnt(4)
	v_pk_add_f16 v35, v11, v15
	v_pk_add_f16 v36, v13, v15
	s_waitcnt lgkmcnt(3)
	v_pk_add_f16 v41, v19, v15
	v_pk_add_f16 v42, v21, v15
	;; [unrolled: 3-line block ×4, first 2 shown]
	v_pk_add_f16 v50, v11, v17
	v_pk_add_f16 v51, v13, v17
	;; [unrolled: 1-line block ×24, first 2 shown]
	s_waitcnt lgkmcnt(0)
	v_pk_add_f16 v74, v11, v31
	v_pk_add_f16 v75, v13, v31
	;; [unrolled: 1-line block ×13, first 2 shown]
	ds_read2_b64 v[15:18], v3 offset0:32 offset1:40
	v_pk_add_f16 v88, v25, v33
	v_pk_add_f16 v114, v27, v33
	;; [unrolled: 1-line block ×19, first 2 shown]
	ds_read2_b64 v[31:34], v3 offset0:48 offset1:56
	s_waitcnt lgkmcnt(1)
	v_pk_add_f16 v129, v11, v15
	v_pk_add_f16 v130, v13, v15
	;; [unrolled: 1-line block ×32, first 2 shown]
	s_waitcnt lgkmcnt(0)
	v_pk_add_f16 v156, v11, v31
	v_pk_add_f16 v157, v13, v31
	;; [unrolled: 1-line block ×31, first 2 shown]
	v_pk_min_f16 v35, 0x7c00, v35 op_sel_hi:[0,1]
	v_pk_add_f16 v30, v30, v34
	v_pk_min_f16 v34, 0x7c00, v36 op_sel_hi:[0,1]
	v_pk_min_f16 v36, 0x7c00, v41 op_sel_hi:[0,1]
	;; [unrolled: 1-line block ×3, first 2 shown]
	v_pk_min_f16 v123, v35, v58
	v_pk_min_f16 v35, 0x7c00, v43 op_sel_hi:[0,1]
	v_pk_min_f16 v118, v34, v59
	v_pk_min_f16 v34, 0x7c00, v44 op_sel_hi:[0,1]
	;; [unrolled: 2-line block ×17, first 2 shown]
	v_pk_min_f16 v15, 0x7c00, v15 op_sel_hi:[0,1]
	v_pk_min_f16 v102, v41, v71
	v_pk_min_f16 v95, v35, v94
	v_pk_min_f16 v35, 0x7c00, v82 op_sel_hi:[0,1]
	v_pk_min_f16 v94, v34, v116
	v_pk_min_f16 v34, 0x7c00, v83 op_sel_hi:[0,1]
	v_pk_min_f16 v41, 0x7c00, v76 op_sel_hi:[0,1]
	v_pk_min_f16 v98, v36, v91
	v_pk_min_f16 v91, v35, v120
	v_pk_min_f16 v35, 0x7c00, v84 op_sel_hi:[0,1]
	v_pk_min_f16 v90, v34, v121
	v_pk_min_f16 v34, 0x7c00, v88 op_sel_hi:[0,1]
	;; [unrolled: 2-line block ×3, first 2 shown]
	v_pk_min_f16 v3, 0x7c00, v3 op_sel_hi:[0,1]
	v_pk_min_f16 v97, v41, v92
	v_pk_min_f16 v36, 0x7c00, v80 op_sel_hi:[0,1]
	v_pk_min_f16 v41, 0x7c00, v81 op_sel_hi:[0,1]
	v_pk_min_f16 v88, v35, v122
	v_pk_min_f16 v35, 0x7c00, v114 op_sel_hi:[0,1]
	v_pk_min_f16 v83, v34, v126
	;; [unrolled: 2-line block ×5, first 2 shown]
	v_pk_min_f16 v92, v41, v119
	v_pk_min_f16 v36, 0x7c00, v86 op_sel_hi:[0,1]
	v_pk_min_f16 v41, 0x7c00, v87 op_sel_hi:[0,1]
	v_pk_min_f16 v82, v35, v127
	v_pk_min_f16 v35, 0x7c00, v131 op_sel_hi:[0,1]
	v_pk_min_f16 v81, v34, v128
	v_pk_min_f16 v34, 0x7c00, v132 op_sel_hi:[0,1]
	v_pk_min_f16 v16, 0x7c00, v138 op_sel_hi:[0,1]
	v_pk_min_f16 v66, v15, v155
	v_pk_min_f16 v15, 0x7c00, v160 op_sel_hi:[0,1]
	v_pk_min_f16 v63, v3, v159
	;; [unrolled: 2-line block ×3, first 2 shown]
	v_pk_min_f16 v84, v41, v125
	v_pk_min_f16 v36, 0x7c00, v129 op_sel_hi:[0,1]
	v_pk_min_f16 v41, 0x7c00, v130 op_sel_hi:[0,1]
	v_pk_min_f16 v78, v35, v144
	v_pk_min_f16 v35, 0x7c00, v133 op_sel_hi:[0,1]
	v_pk_min_f16 v77, v34, v145
	;; [unrolled: 2-line block ×3, first 2 shown]
	v_pk_min_f16 v16, 0x7c00, v17 op_sel_hi:[0,1]
	v_pk_min_f16 v17, 0x7c00, v156 op_sel_hi:[0,1]
	v_pk_min_f16 v62, v15, v162
	v_pk_min_f16 v15, 0x7c00, v168 op_sel_hi:[0,1]
	v_pk_min_f16 v61, v3, v163
	v_pk_min_f16 v3, 0x7c00, v31 op_sel_hi:[0,1]
	v_pk_min_f16 v11, 0x7c00, v11 op_sel_hi:[0,1]
	;; [unrolled: 1-line block ×3, first 2 shown]
	v_pk_min_f16 v80, v36, v142
	v_pk_min_f16 v79, v41, v143
	v_pk_min_f16 v36, 0x7c00, v134 op_sel_hi:[0,1]
	v_pk_min_f16 v41, 0x7c00, v135 op_sel_hi:[0,1]
	v_pk_min_f16 v76, v35, v146
	v_pk_min_f16 v35, 0x7c00, v139 op_sel_hi:[0,1]
	v_pk_min_f16 v72, v34, v149
	;; [unrolled: 2-line block ×3, first 2 shown]
	v_pk_min_f16 v64, v17, v158
	v_pk_min_f16 v16, 0x7c00, v164 op_sel_hi:[0,1]
	v_pk_min_f16 v17, 0x7c00, v165 op_sel_hi:[0,1]
	v_pk_min_f16 v58, v15, v33
	v_pk_min_f16 v15, 0x7c00, v19 op_sel_hi:[0,1]
	v_pk_min_f16 v57, v3, v32
	v_pk_min_f16 v56, v11, v12
	v_pk_min_f16 v55, v13, v14
	v_pk_min_f16 v3, 0x7c00, v21 op_sel_hi:[0,1]
	v_pk_min_f16 v11, 0x7c00, v23 op_sel_hi:[0,1]
	;; [unrolled: 1-line block ×5, first 2 shown]
	v_pk_min_f16 v75, v36, v147
	v_pk_min_f16 v74, v41, v148
	;; [unrolled: 1-line block ×12, first 2 shown]
	ds_write_b16 v2, v10 offset:4608
	ds_write_b16 v46, v39 offset:2048
	ds_write_b16_d16_hi v46, v39 offset:2560
	ds_write_b16 v46, v40 offset:3072
	ds_write_b16 v46, v9 offset:3584
	s_waitcnt lgkmcnt(0)
	s_barrier
	buffer_gl0_inv
	s_cbranch_scc1 .LBB258_47
; %bb.25:
	v_mad_i64_i32 v[10:11], null, s20, v8, 0
	v_add_nc_u32_e32 v47, 0x1000, v2
	v_add_nc_u32_e32 v115, 0x1200, v2
	v_perm_b32 v38, v7, v38, 0x5040100
	v_lshl_or_b32 v5, s6, 8, v5
	v_add_nc_u32_e32 v7, 12, v4
	v_add_nc_u32_e32 v4, 8, v4
	v_lshlrev_b64 v[2:3], 1, v[10:11]
	s_lshl_b32 s6, s7, 8
	v_perm_b32 v40, v9, v40, 0x5040100
	v_or_b32_e32 v87, 0x1000, v85
	v_or_b32_e32 v114, 0x800, v46
	v_lshl_or_b32 v116, v0, 3, 0x800
	v_add_co_u32 v8, vcc_lo, v2, v6
	v_add_co_ci_u32_e64 v3, null, 0, v3, vcc_lo
	v_subrev_nc_u32_e32 v2, s6, v5
	v_mad_i64_i32 v[5:6], null, v7, s12, 0
	v_add_co_u32 v9, vcc_lo, s18, v8
	v_mad_i64_i32 v[7:8], null, v4, s12, 0
	v_add_co_ci_u32_e64 v10, null, s19, v3, vcc_lo
	v_ashrrev_i32_e32 v3, 31, v2
	v_lshlrev_b64 v[4:5], 1, v[5:6]
	v_add_co_u32 v41, vcc_lo, v9, 16
	v_add_co_ci_u32_e64 v42, null, 0, v10, vcc_lo
	v_lshlrev_b64 v[43:44], 1, v[2:3]
	v_lshlrev_b64 v[2:3], 1, v[7:8]
	v_add_co_u32 v119, vcc_lo, s14, v4
	v_add_co_ci_u32_e64 v120, null, s15, v5, vcc_lo
	v_lshl_add_u32 v117, v1, 3, 0x1200
	v_add_co_u32 v121, vcc_lo, s14, v2
	v_add_co_ci_u32_e64 v122, null, s15, v3, vcc_lo
	s_add_i32 s14, s21, -8
	s_lshl_b64 s[6:7], s[12:13], 4
	s_mov_b32 s12, 0
	s_mov_b32 s13, -1
	s_mov_b32 vcc_lo, s1
                                        ; implicit-def: $vgpr2_vgpr3
	s_cbranch_vccz .LBB258_41
.LBB258_26:
	v_and_b32_e32 v2, 0xffff0000, v37
	v_mov_b32_e32 v3, v38
	v_mov_b32_e32 v4, 0
	s_cbranch_execz .LBB258_42
.LBB258_27:
	v_perm_b32 v37, v4, v2, 0x5040100
	s_mov_b32 s13, -1
	s_mov_b32 vcc_lo, s1
	s_cbranch_vccz .LBB258_43
.LBB258_28:
	v_and_b32_e32 v38, 0xffff0000, v3
	v_mov_b32_e32 v14, 0
	v_mov_b32_e32 v128, 0
	s_cbranch_execz .LBB258_44
.LBB258_29:
	s_and_b32 vcc_lo, exec_lo, s2
	s_cbranch_vccnz .LBB258_31
.LBB258_30:
	global_load_ushort v2, v[41:42], off
	s_waitcnt vmcnt(0)
	v_mul_f16_e32 v14, v45, v2
.LBB258_31:
	ds_read2_b64 v[10:13], v116 offset1:32
	ds_read2_b64 v[6:9], v116 offset0:64 offset1:96
	ds_read2_b64 v[2:5], v116 offset0:128 offset1:160
	;; [unrolled: 1-line block ×3, first 2 shown]
	ds_read2_b64 v[33:36], v117 offset1:8
	ds_read2_b64 v[29:32], v117 offset0:16 offset1:24
	ds_read2_b64 v[25:28], v117 offset0:32 offset1:40
	;; [unrolled: 1-line block ×3, first 2 shown]
	s_mov_b32 s13, -1
	s_mov_b32 vcc_lo, s1
	ds_write_b16 v46, v37
	ds_write_b16_d16_hi v46, v37 offset:512
	ds_write_b16 v46, v38 offset:1024
	ds_write_b16 v46, v128 offset:1536
	ds_write_b16 v47, v14
	s_waitcnt lgkmcnt(0)
	s_barrier
	buffer_gl0_inv
                                        ; implicit-def: $vgpr14_vgpr15
	s_cbranch_vccz .LBB258_33
; %bb.32:
	v_and_b32_e32 v14, 0xffff0000, v39
	v_mov_b32_e32 v15, v40
	v_mov_b32_e32 v16, 0
	s_cbranch_execnz .LBB258_35
	s_branch .LBB258_34
.LBB258_33:
	v_mov_b32_e32 v16, 0
	s_andn2_b32 vcc_lo, exec_lo, s13
	s_cbranch_vccnz .LBB258_35
.LBB258_34:
	v_add_co_u32 v14, vcc_lo, v119, v43
	v_add_co_ci_u32_e64 v15, null, v120, v44, vcc_lo
	s_clause 0x1
	global_load_ushort v16, v[14:15], off
	global_load_ushort v14, v[14:15], off offset:128
	s_waitcnt vmcnt(1)
	v_mul_f16_e32 v15, v45, v16
	s_waitcnt vmcnt(0)
	v_mul_f16_e32 v16, v45, v14
	v_bfi_b32 v39, 0xffff, v15, v39
	v_mov_b32_e32 v14, v39
	v_mov_b32_e32 v15, v40
.LBB258_35:
	v_perm_b32 v124, v16, v14, 0x5040100
	s_mov_b32 s13, -1
	s_mov_b32 vcc_lo, s1
                                        ; implicit-def: $vgpr125
	s_cbranch_vccz .LBB258_45
; %bb.36:
	v_and_b32_e32 v125, 0xffff0000, v15
	v_mov_b32_e32 v126, 0
	v_mov_b32_e32 v127, 0
	s_cbranch_execz .LBB258_46
.LBB258_37:
	s_and_b32 vcc_lo, exec_lo, s2
	s_cbranch_vccnz .LBB258_39
.LBB258_38:
	global_load_ushort v14, v[41:42], off offset:8
	s_waitcnt vmcnt(0)
	v_mul_f16_e32 v126, v45, v14
.LBB258_39:
	v_pk_add_f16 v14, v10, v33
	v_pk_max_f16 v15, v123, v123
	v_pk_add_f16 v16, v12, v33
	v_pk_max_f16 v39, v118, v118
	;; [unrolled: 2-line block ×3, first 2 shown]
	v_pk_min_f16 v14, v15, v14
	v_pk_max_f16 v111, v111, v111
	v_pk_min_f16 v15, v39, v16
	v_pk_add_f16 v39, v8, v33
	v_pk_min_f16 v16, v113, v40
	v_pk_max_f16 v40, v112, v112
	v_pk_add_f16 v112, v2, v33
	v_pk_add_f16 v113, v4, v33
	;; [unrolled: 1-line block ×4, first 2 shown]
	v_pk_max_f16 v108, v108, v108
	v_pk_max_f16 v110, v110, v110
	;; [unrolled: 1-line block ×3, first 2 shown]
	v_pk_min_f16 v39, v40, v39
	v_pk_min_f16 v40, v111, v112
	;; [unrolled: 1-line block ×3, first 2 shown]
	v_pk_add_f16 v108, v10, v35
	v_pk_max_f16 v107, v107, v107
	v_pk_add_f16 v111, v12, v35
	v_pk_max_f16 v106, v106, v106
	v_pk_min_f16 v110, v110, v113
	v_pk_min_f16 v109, v109, v118
	v_pk_add_f16 v112, v6, v35
	v_pk_max_f16 v105, v105, v105
	v_pk_add_f16 v113, v8, v35
	v_pk_max_f16 v104, v104, v104
	v_pk_add_f16 v118, v2, v35
	v_pk_min_f16 v107, v107, v108
	v_pk_min_f16 v106, v106, v111
	v_pk_add_f16 v108, v4, v35
	v_pk_max_f16 v102, v102, v102
	v_pk_add_f16 v111, v17, v35
	v_pk_add_f16 v35, v19, v35
	v_pk_max_f16 v100, v100, v100
	v_pk_min_f16 v105, v105, v112
	v_pk_min_f16 v104, v104, v113
	v_pk_max_f16 v101, v101, v101
	v_pk_add_f16 v112, v10, v29
	v_pk_max_f16 v99, v99, v99
	v_pk_add_f16 v113, v12, v29
	v_pk_max_f16 v98, v98, v98
	v_pk_min_f16 v102, v102, v108
	v_pk_min_f16 v35, v100, v35
	v_pk_add_f16 v100, v6, v29
	v_pk_max_f16 v97, v97, v97
	v_pk_add_f16 v108, v8, v29
	v_pk_max_f16 v96, v96, v96
	v_pk_min_f16 v101, v101, v111
	v_pk_min_f16 v99, v99, v112
	;; [unrolled: 1-line block ×3, first 2 shown]
	v_pk_add_f16 v111, v2, v29
	v_pk_max_f16 v95, v95, v95
	v_pk_add_f16 v112, v4, v29
	v_pk_max_f16 v94, v94, v94
	v_pk_add_f16 v113, v17, v29
	v_pk_min_f16 v97, v97, v100
	v_pk_min_f16 v96, v96, v108
	v_pk_add_f16 v29, v19, v29
	v_pk_max_f16 v92, v92, v92
	v_pk_add_f16 v100, v10, v31
	v_pk_max_f16 v91, v91, v91
	;; [unrolled: 2-line block ×3, first 2 shown]
	v_pk_min_f16 v95, v95, v111
	v_pk_min_f16 v94, v94, v112
	v_pk_add_f16 v111, v6, v31
	v_pk_max_f16 v88, v88, v88
	v_pk_add_f16 v112, v8, v31
	v_pk_min_f16 v29, v92, v29
	v_pk_min_f16 v91, v91, v100
	;; [unrolled: 1-line block ×3, first 2 shown]
	v_pk_add_f16 v92, v2, v31
	v_pk_max_f16 v84, v84, v84
	v_pk_add_f16 v100, v4, v31
	v_pk_max_f16 v83, v83, v83
	v_pk_add_f16 v108, v17, v31
	v_pk_add_f16 v31, v19, v31
	v_pk_max_f16 v81, v81, v81
	v_pk_min_f16 v88, v88, v111
	v_pk_max_f16 v82, v82, v82
	v_pk_add_f16 v111, v10, v25
	v_pk_max_f16 v80, v80, v80
	v_pk_min_f16 v84, v84, v92
	v_pk_min_f16 v83, v83, v100
	v_pk_min_f16 v31, v81, v31
	v_pk_add_f16 v81, v12, v25
	v_pk_max_f16 v79, v79, v79
	v_pk_add_f16 v92, v6, v25
	v_pk_max_f16 v78, v78, v78
	v_pk_add_f16 v100, v8, v25
	v_pk_max_f16 v77, v77, v77
	v_pk_min_f16 v82, v82, v108
	v_pk_min_f16 v80, v80, v111
	v_pk_add_f16 v108, v2, v25
	v_pk_max_f16 v76, v76, v76
	v_pk_add_f16 v111, v4, v25
	v_pk_min_f16 v79, v79, v81
	v_pk_min_f16 v78, v78, v92
	v_pk_min_f16 v77, v77, v100
	v_pk_add_f16 v81, v17, v25
	v_pk_max_f16 v74, v74, v74
	v_pk_add_f16 v25, v19, v25
	v_pk_max_f16 v73, v73, v73
	;; [unrolled: 2-line block ×4, first 2 shown]
	v_pk_min_f16 v76, v76, v108
	v_pk_add_f16 v108, v6, v27
	v_pk_min_f16 v74, v74, v81
	v_pk_min_f16 v25, v73, v25
	;; [unrolled: 1-line block ×4, first 2 shown]
	v_pk_add_f16 v73, v8, v27
	v_pk_max_f16 v69, v69, v69
	v_pk_add_f16 v81, v2, v27
	v_pk_add_f16 v92, v4, v27
	v_pk_max_f16 v67, v67, v67
	v_pk_add_f16 v100, v17, v27
	v_pk_max_f16 v66, v66, v66
	;; [unrolled: 2-line block ×3, first 2 shown]
	v_pk_min_f16 v69, v69, v73
	v_pk_min_f16 v67, v67, v92
	;; [unrolled: 1-line block ×3, first 2 shown]
	v_pk_max_f16 v64, v64, v64
	v_pk_min_f16 v27, v65, v27
	v_pk_add_f16 v65, v10, v21
	v_pk_add_f16 v73, v12, v21
	v_pk_max_f16 v63, v63, v63
	v_pk_add_f16 v92, v8, v21
	v_pk_max_f16 v61, v61, v61
	;; [unrolled: 2-line block ×3, first 2 shown]
	v_pk_max_f16 v86, v86, v86
	v_pk_max_f16 v75, v75, v75
	;; [unrolled: 1-line block ×3, first 2 shown]
	v_pk_min_f16 v64, v64, v65
	v_pk_min_f16 v63, v63, v73
	v_pk_min_f16 v65, v61, v92
	v_pk_min_f16 v73, v60, v100
	v_pk_add_f16 v60, v4, v21
	v_pk_add_f16 v61, v17, v21
	;; [unrolled: 1-line block ×3, first 2 shown]
	v_pk_max_f16 v53, v53, v53
	v_pk_add_f16 v2, v2, v23
	v_pk_max_f16 v52, v52, v52
	v_pk_add_f16 v4, v4, v23
	;; [unrolled: 2-line block ×3, first 2 shown]
	v_pk_max_f16 v50, v50, v50
	v_pk_max_f16 v103, v103, v103
	;; [unrolled: 1-line block ×3, first 2 shown]
	v_pk_min_f16 v86, v86, v112
	v_pk_min_f16 v75, v75, v111
	;; [unrolled: 1-line block ×7, first 2 shown]
	v_pk_add_f16 v2, v19, v23
	v_pk_max_f16 v4, v49, v49
	v_pk_add_f16 v8, v11, v34
	v_pk_add_f16 v17, v13, v34
	v_pk_min_f16 v103, v103, v118
	v_pk_min_f16 v93, v93, v113
	v_pk_min_f16 v113, v4, v2
	v_pk_min_f16 v118, v14, v8
	v_pk_min_f16 v123, v15, v17
	v_pk_add_f16 v2, v3, v34
	v_pk_add_f16 v4, v5, v34
	v_pk_add_f16 v8, v18, v34
	v_pk_add_f16 v14, v20, v34
	v_pk_add_f16 v15, v11, v36
	v_pk_min_f16 v134, v40, v2
	v_pk_min_f16 v110, v110, v4
	v_pk_min_f16 v109, v109, v8
	v_pk_min_f16 v135, v33, v14
	v_pk_min_f16 v107, v107, v15
	v_pk_add_f16 v2, v13, v36
	v_pk_add_f16 v4, v7, v36
	v_pk_add_f16 v8, v9, v36
	;; [unrolled: 10-line block ×5, first 2 shown]
	v_pk_add_f16 v14, v9, v32
	v_pk_add_f16 v15, v3, v32
	v_pk_max_f16 v68, v68, v68
	v_pk_min_f16 v91, v91, v2
	v_pk_min_f16 v90, v90, v4
	;; [unrolled: 1-line block ×5, first 2 shown]
	v_pk_add_f16 v2, v5, v32
	v_pk_add_f16 v4, v18, v32
	;; [unrolled: 1-line block ×5, first 2 shown]
	v_pk_min_f16 v68, v68, v81
	v_pk_add_f16 v81, v6, v21
	v_pk_max_f16 v62, v62, v62
	v_pk_max_f16 v59, v59, v59
	;; [unrolled: 1-line block ×3, first 2 shown]
	v_pk_min_f16 v83, v83, v2
	v_pk_min_f16 v82, v82, v4
	v_pk_min_f16 v138, v31, v8
	v_pk_min_f16 v80, v80, v14
	v_pk_min_f16 v79, v79, v15
	v_pk_add_f16 v2, v7, v26
	v_pk_add_f16 v4, v9, v26
	;; [unrolled: 1-line block ×5, first 2 shown]
	v_pk_min_f16 v62, v62, v81
	v_pk_add_f16 v21, v19, v21
	v_pk_max_f16 v57, v57, v57
	v_pk_add_f16 v10, v10, v23
	v_pk_max_f16 v56, v56, v56
	v_pk_add_f16 v12, v12, v23
	v_pk_max_f16 v55, v55, v55
	v_pk_min_f16 v81, v59, v60
	v_pk_min_f16 v92, v58, v61
	;; [unrolled: 1-line block ×7, first 2 shown]
	v_pk_add_f16 v2, v20, v26
	v_pk_add_f16 v4, v11, v28
	;; [unrolled: 1-line block ×5, first 2 shown]
	v_pk_min_f16 v21, v57, v21
	v_pk_min_f16 v10, v56, v10
	;; [unrolled: 1-line block ×3, first 2 shown]
	v_pk_add_f16 v6, v6, v23
	v_pk_max_f16 v54, v54, v54
	v_pk_min_f16 v59, v25, v2
	v_pk_min_f16 v57, v72, v4
	;; [unrolled: 1-line block ×5, first 2 shown]
	v_pk_add_f16 v2, v3, v28
	v_pk_add_f16 v4, v5, v28
	;; [unrolled: 1-line block ×5, first 2 shown]
	v_pk_min_f16 v6, v54, v6
	v_pk_add_f16 v19, v7, v34
	v_pk_min_f16 v54, v68, v2
	v_pk_min_f16 v52, v67, v4
	;; [unrolled: 1-line block ×5, first 2 shown]
	v_pk_add_f16 v2, v13, v22
	v_pk_add_f16 v4, v7, v22
	;; [unrolled: 1-line block ×5, first 2 shown]
	v_pk_min_f16 v132, v16, v19
	v_pk_min_f16 v49, v63, v2
	;; [unrolled: 1-line block ×6, first 2 shown]
	ds_read2_b64 v[14:17], v89 offset1:32
	ds_read2_b64 v[62:65], v87 offset1:8
	v_pk_add_f16 v23, v9, v34
	v_pk_add_f16 v8, v11, v24
	;; [unrolled: 1-line block ×5, first 2 shown]
	v_pk_min_f16 v133, v39, v23
	v_pk_min_f16 v25, v10, v8
	;; [unrolled: 1-line block ×3, first 2 shown]
	ds_read2_b64 v[10:13], v89 offset0:64 offset1:96
	v_pk_min_f16 v27, v21, v4
	v_pk_add_f16 v21, v3, v24
	v_pk_add_f16 v2, v18, v22
	v_pk_min_f16 v22, v6, v7
	v_pk_add_f16 v19, v9, v24
	ds_read2_b64 v[6:9], v89 offset0:128 offset1:160
	v_pk_add_f16 v26, v5, v24
	v_pk_min_f16 v32, v108, v21
	v_pk_max_f16 v108, v118, v118
	v_pk_add_f16 v20, v20, v24
	s_waitcnt lgkmcnt(2)
	v_pk_add_f16 v70, v14, v62
	v_pk_min_f16 v28, v111, v26
	v_pk_add_f16 v111, v15, v63
	v_pk_min_f16 v31, v92, v2
	ds_read2_b64 v[2:5], v89 offset0:192 offset1:224
	v_pk_min_f16 v70, v108, v70
	v_pk_add_f16 v18, v18, v24
	v_pk_min_f16 v24, v113, v20
	v_pk_max_f16 v113, v123, v123
	s_waitcnt lgkmcnt(2)
	v_pk_add_f16 v72, v10, v62
	v_pk_add_f16 v73, v12, v62
	v_pk_min_f16 v123, v70, v111
	v_pk_max_f16 v70, v132, v132
	v_pk_max_f16 v111, v133, v133
	v_pk_min_f16 v26, v112, v18
	v_pk_add_f16 v71, v16, v62
	v_pk_add_f16 v112, v11, v63
	;; [unrolled: 1-line block ×3, first 2 shown]
	v_pk_min_f16 v70, v70, v72
	v_pk_min_f16 v73, v111, v73
	s_waitcnt lgkmcnt(1)
	v_pk_add_f16 v75, v8, v62
	v_pk_min_f16 v71, v113, v71
	v_pk_add_f16 v74, v6, v62
	v_pk_min_f16 v113, v70, v112
	v_pk_min_f16 v112, v73, v148
	v_pk_max_f16 v73, v110, v110
	v_pk_add_f16 v150, v9, v63
	v_pk_max_f16 v70, v134, v134
	s_waitcnt lgkmcnt(0)
	v_pk_add_f16 v76, v2, v62
	v_pk_add_f16 v62, v4, v62
	v_pk_min_f16 v73, v73, v75
	v_pk_add_f16 v92, v16, v64
	v_pk_min_f16 v70, v70, v74
	v_pk_max_f16 v74, v109, v109
	v_pk_add_f16 v108, v17, v63
	v_pk_min_f16 v110, v73, v150
	v_pk_max_f16 v73, v135, v135
	v_pk_add_f16 v149, v7, v63
	v_pk_add_f16 v151, v3, v63
	v_pk_add_f16 v63, v5, v63
	v_pk_min_f16 v74, v74, v76
	v_pk_min_f16 v62, v73, v62
	v_pk_max_f16 v106, v106, v106
	v_pk_add_f16 v81, v14, v64
	v_pk_add_f16 v153, v17, v65
	v_pk_min_f16 v118, v71, v108
	v_pk_min_f16 v109, v74, v151
	v_pk_max_f16 v74, v107, v107
	v_pk_min_f16 v108, v62, v63
	v_pk_min_f16 v63, v106, v92
	v_pk_add_f16 v139, v12, v64
	v_pk_add_f16 v152, v15, v65
	v_pk_min_f16 v74, v74, v81
	v_pk_min_f16 v34, v100, v19
	;; [unrolled: 1-line block ×3, first 2 shown]
	v_pk_max_f16 v63, v104, v104
	ds_read2_b64 v[66:69], v87 offset0:16 offset1:24
	v_pk_add_f16 v100, v10, v64
	v_pk_add_f16 v155, v13, v65
	v_pk_min_f16 v107, v74, v152
	v_pk_max_f16 v74, v105, v105
	v_pk_min_f16 v63, v63, v139
	v_pk_add_f16 v140, v6, v64
	v_pk_add_f16 v141, v8, v64
	;; [unrolled: 1-line block ×3, first 2 shown]
	v_pk_min_f16 v74, v74, v100
	v_pk_max_f16 v81, v103, v103
	v_pk_min_f16 v104, v63, v155
	v_pk_max_f16 v63, v102, v102
	v_pk_add_f16 v142, v2, v64
	v_pk_add_f16 v64, v4, v64
	;; [unrolled: 1-line block ×4, first 2 shown]
	v_pk_min_f16 v105, v74, v154
	v_pk_min_f16 v74, v81, v140
	;; [unrolled: 1-line block ×3, first 2 shown]
	v_pk_max_f16 v81, v136, v136
	v_pk_add_f16 v158, v3, v65
	v_pk_add_f16 v65, v5, v65
	v_pk_min_f16 v103, v74, v156
	v_pk_max_f16 v74, v101, v101
	v_pk_min_f16 v102, v63, v157
	v_pk_min_f16 v63, v81, v64
	s_waitcnt lgkmcnt(0)
	v_pk_add_f16 v143, v14, v66
	v_pk_add_f16 v144, v16, v66
	v_pk_min_f16 v74, v74, v142
	v_pk_max_f16 v64, v99, v99
	v_pk_min_f16 v100, v63, v65
	v_pk_max_f16 v63, v98, v98
	v_pk_add_f16 v145, v10, v66
	v_pk_min_f16 v101, v74, v158
	v_pk_add_f16 v65, v15, v67
	v_pk_min_f16 v64, v64, v143
	v_pk_max_f16 v74, v97, v97
	v_pk_min_f16 v63, v63, v144
	v_pk_add_f16 v81, v17, v67
	v_perm_b32 v38, v128, v38, 0x5040100
	ds_read2_b64 v[128:131], v87 offset0:32 offset1:40
	ds_read2_b64 v[18:21], v87 offset0:48 offset1:56
	v_pk_add_f16 v146, v12, v66
	v_pk_min_f16 v99, v64, v65
	v_pk_add_f16 v64, v11, v67
	v_pk_min_f16 v65, v74, v145
	v_pk_min_f16 v98, v63, v81
	v_pk_max_f16 v63, v96, v96
	v_pk_add_f16 v147, v6, v66
	v_pk_add_f16 v159, v8, v66
	;; [unrolled: 1-line block ×3, first 2 shown]
	v_pk_min_f16 v97, v65, v64
	v_pk_max_f16 v64, v95, v95
	v_pk_min_f16 v63, v63, v146
	v_pk_max_f16 v65, v94, v94
	v_pk_max_f16 v74, v93, v93
	v_pk_add_f16 v81, v13, v67
	v_pk_min_f16 v64, v64, v147
	v_pk_add_f16 v92, v7, v67
	v_pk_min_f16 v65, v65, v159
	v_pk_min_f16 v74, v74, v160
	v_pk_add_f16 v93, v9, v67
	v_pk_min_f16 v96, v63, v81
	v_pk_add_f16 v63, v3, v67
	v_pk_add_f16 v66, v4, v66
	;; [unrolled: 1-line block ×3, first 2 shown]
	v_pk_min_f16 v95, v64, v92
	v_pk_max_f16 v64, v137, v137
	v_pk_min_f16 v94, v65, v93
	v_pk_min_f16 v93, v74, v63
	v_pk_max_f16 v63, v91, v91
	v_pk_add_f16 v161, v16, v68
	v_pk_add_f16 v72, v10, v68
	;; [unrolled: 1-line block ×7, first 2 shown]
	s_waitcnt lgkmcnt(1)
	v_pk_add_f16 v75, v14, v128
	v_pk_min_f16 v111, v70, v149
	v_pk_add_f16 v70, v16, v128
	v_pk_add_f16 v76, v10, v128
	;; [unrolled: 1-line block ×15, first 2 shown]
	s_waitcnt lgkmcnt(0)
	v_pk_add_f16 v155, v14, v18
	v_pk_add_f16 v141, v16, v18
	;; [unrolled: 1-line block ×14, first 2 shown]
	v_pk_min_f16 v64, v64, v66
	v_pk_add_f16 v2, v2, v20
	v_pk_max_f16 v66, v88, v88
	v_pk_min_f16 v63, v63, v132
	v_pk_add_f16 v67, v5, v67
	v_pk_add_f16 v74, v15, v69
	;; [unrolled: 1-line block ×3, first 2 shown]
	v_pk_max_f16 v20, v86, v86
	v_pk_min_f16 v66, v66, v72
	v_pk_min_f16 v92, v64, v67
	v_pk_add_f16 v64, v11, v69
	v_pk_min_f16 v91, v63, v74
	v_pk_add_f16 v63, v13, v69
	v_pk_min_f16 v20, v20, v71
	v_pk_max_f16 v65, v90, v90
	v_pk_min_f16 v88, v66, v64
	v_pk_max_f16 v64, v84, v84
	v_pk_add_f16 v66, v7, v69
	v_pk_min_f16 v86, v20, v63
	v_pk_max_f16 v20, v138, v138
	v_pk_add_f16 v63, v5, v69
	v_pk_min_f16 v64, v64, v133
	v_pk_max_f16 v58, v58, v58
	v_pk_min_f16 v65, v65, v161
	v_pk_min_f16 v20, v20, v68
	v_pk_add_f16 v72, v17, v69
	v_pk_min_f16 v84, v64, v66
	v_pk_max_f16 v64, v80, v80
	v_pk_add_f16 v66, v15, v129
	v_pk_min_f16 v81, v20, v63
	v_pk_max_f16 v20, v77, v77
	;; [unrolled: 3-line block ×3, first 2 shown]
	v_pk_min_f16 v58, v58, v150
	v_pk_min_f16 v20, v20, v135
	;; [unrolled: 1-line block ×4, first 2 shown]
	v_pk_add_f16 v66, v3, v129
	v_pk_max_f16 v65, v83, v83
	v_pk_min_f16 v77, v20, v63
	v_pk_max_f16 v20, v59, v59
	v_pk_add_f16 v72, v3, v69
	v_pk_min_f16 v67, v67, v148
	v_pk_max_f16 v60, v60, v60
	v_pk_min_f16 v74, v58, v66
	v_pk_add_f16 v58, v5, v129
	v_pk_min_f16 v20, v20, v62
	v_pk_add_f16 v71, v9, v69
	v_pk_min_f16 v65, v65, v134
	v_pk_min_f16 v82, v67, v72
	v_pk_max_f16 v67, v78, v78
	v_pk_min_f16 v60, v60, v73
	v_pk_min_f16 v73, v20, v58
	v_pk_max_f16 v20, v53, v53
	v_pk_min_f16 v83, v65, v71
	v_pk_max_f16 v65, v79, v79
	v_pk_add_f16 v69, v11, v129
	v_pk_min_f16 v67, v67, v76
	v_pk_add_f16 v53, v13, v131
	v_pk_min_f16 v20, v20, v153
	;; [unrolled: 2-line block ×3, first 2 shown]
	v_pk_min_f16 v78, v67, v69
	v_pk_max_f16 v61, v61, v61
	v_pk_max_f16 v57, v57, v57
	v_pk_min_f16 v69, v20, v53
	v_pk_max_f16 v20, v50, v50
	v_pk_min_f16 v79, v65, v68
	v_pk_add_f16 v64, v7, v129
	v_pk_min_f16 v61, v61, v149
	v_pk_add_f16 v65, v9, v129
	v_pk_max_f16 v56, v56, v56
	v_pk_add_f16 v59, v15, v131
	v_pk_max_f16 v55, v55, v55
	v_pk_min_f16 v57, v57, v128
	v_pk_max_f16 v51, v51, v51
	v_pk_add_f16 v50, v5, v131
	v_pk_min_f16 v20, v20, v130
	v_pk_min_f16 v76, v61, v64
	;; [unrolled: 1-line block ×3, first 2 shown]
	v_pk_add_f16 v60, v17, v131
	v_pk_min_f16 v56, v56, v151
	v_pk_add_f16 v61, v11, v131
	v_pk_min_f16 v55, v55, v152
	v_pk_min_f16 v72, v57, v59
	v_pk_max_f16 v54, v54, v54
	v_pk_max_f16 v52, v52, v52
	v_pk_add_f16 v57, v3, v131
	v_pk_min_f16 v51, v51, v140
	v_pk_min_f16 v65, v20, v50
	v_pk_max_f16 v20, v33, v33
	v_pk_max_f16 v25, v25, v25
	;; [unrolled: 1-line block ×3, first 2 shown]
	v_pk_min_f16 v71, v56, v60
	v_pk_min_f16 v70, v55, v61
	v_pk_add_f16 v55, v7, v131
	v_pk_min_f16 v54, v54, v139
	v_pk_add_f16 v56, v9, v131
	v_pk_min_f16 v52, v52, v154
	v_pk_min_f16 v66, v51, v57
	v_pk_add_f16 v51, v15, v19
	v_pk_add_f16 v53, v11, v19
	v_pk_add_f16 v33, v13, v19
	v_pk_min_f16 v20, v20, v142
	v_pk_add_f16 v15, v15, v21
	v_pk_min_f16 v14, v25, v14
	v_pk_add_f16 v11, v11, v21
	v_pk_min_f16 v10, v22, v10
	v_pk_min_f16 v68, v54, v55
	;; [unrolled: 1-line block ×3, first 2 shown]
	v_pk_max_f16 v35, v35, v35
	v_pk_max_f16 v49, v49, v49
	;; [unrolled: 1-line block ×3, first 2 shown]
	v_pk_min_f16 v61, v20, v33
	v_pk_max_f16 v20, v27, v27
	v_pk_min_f16 v56, v14, v15
	v_pk_max_f16 v14, v34, v34
	;; [unrolled: 2-line block ×3, first 2 shown]
	v_pk_min_f16 v35, v35, v155
	v_pk_add_f16 v52, v17, v19
	v_pk_min_f16 v49, v49, v141
	v_pk_min_f16 v36, v36, v136
	v_pk_max_f16 v30, v30, v30
	v_pk_max_f16 v29, v29, v29
	;; [unrolled: 1-line block ×3, first 2 shown]
	v_pk_min_f16 v18, v20, v18
	v_pk_max_f16 v20, v23, v23
	v_pk_add_f16 v11, v13, v21
	v_pk_min_f16 v12, v14, v12
	v_pk_max_f16 v13, v28, v28
	v_pk_min_f16 v6, v10, v6
	v_pk_max_f16 v10, v26, v26
	v_pk_max_f16 v14, v24, v24
	v_add_co_u32 v41, vcc_lo, v41, 16
	v_pk_min_f16 v64, v35, v51
	v_pk_min_f16 v63, v49, v52
	;; [unrolled: 1-line block ×3, first 2 shown]
	v_pk_add_f16 v35, v7, v19
	v_pk_min_f16 v30, v30, v156
	v_pk_add_f16 v36, v9, v19
	v_pk_min_f16 v29, v29, v157
	;; [unrolled: 2-line block ×3, first 2 shown]
	v_pk_add_f16 v19, v5, v19
	v_pk_add_f16 v17, v17, v21
	v_pk_min_f16 v16, v20, v16
	v_pk_add_f16 v7, v7, v21
	v_pk_add_f16 v9, v9, v21
	v_pk_min_f16 v8, v13, v8
	v_pk_add_f16 v3, v3, v21
	v_pk_min_f16 v2, v10, v2
	;; [unrolled: 2-line block ×3, first 2 shown]
	v_add_co_ci_u32_e64 v42, null, 0, v42, vcc_lo
	v_add_co_u32 v119, vcc_lo, v119, s6
	v_add_co_ci_u32_e64 v120, null, s7, v120, vcc_lo
	v_add_co_u32 v121, vcc_lo, v121, s6
	v_perm_b32 v40, v127, v125, 0x5040100
	v_pk_min_f16 v60, v30, v35
	v_pk_min_f16 v59, v29, v36
	;; [unrolled: 1-line block ×10, first 2 shown]
	v_add_co_ci_u32_e64 v122, null, s7, v122, vcc_lo
	s_add_i32 s12, s12, 8
	ds_write_b16 v114, v124
	ds_write_b16_d16_hi v114, v124 offset:512
	ds_write_b16 v114, v125 offset:1024
	ds_write_b16 v114, v127 offset:1536
	ds_write_b16 v115, v126
	s_cmp_ge_i32 s12, s14
	s_waitcnt lgkmcnt(0)
	s_barrier
	buffer_gl0_inv
	s_cbranch_scc1 .LBB258_47
; %bb.40:
	v_mov_b32_e32 v39, v124
	s_mov_b32 s13, -1
	s_mov_b32 vcc_lo, s1
                                        ; implicit-def: $vgpr2_vgpr3
	s_cbranch_vccnz .LBB258_26
.LBB258_41:
	v_mov_b32_e32 v4, 0
	s_andn2_b32 vcc_lo, exec_lo, s13
	s_cbranch_vccnz .LBB258_27
.LBB258_42:
	v_add_co_u32 v2, vcc_lo, v121, v43
	v_add_co_ci_u32_e64 v3, null, v122, v44, vcc_lo
	s_clause 0x1
	global_load_ushort v4, v[2:3], off
	global_load_ushort v2, v[2:3], off offset:128
	s_waitcnt vmcnt(1)
	v_mul_f16_e32 v3, v45, v4
	s_waitcnt vmcnt(0)
	v_mul_f16_e32 v4, v45, v2
	v_bfi_b32 v37, 0xffff, v3, v37
	v_mov_b32_e32 v2, v37
	v_mov_b32_e32 v3, v38
	v_perm_b32 v37, v4, v2, 0x5040100
	s_mov_b32 s13, -1
	s_mov_b32 vcc_lo, s1
	s_cbranch_vccnz .LBB258_28
.LBB258_43:
	v_mov_b32_e32 v14, 0
	v_mov_b32_e32 v128, 0
	s_andn2_b32 vcc_lo, exec_lo, s13
	s_cbranch_vccnz .LBB258_29
.LBB258_44:
	v_add_co_u32 v4, vcc_lo, v121, v43
	v_add_co_ci_u32_e64 v5, null, v122, v44, vcc_lo
	s_clause 0x1
	global_load_ushort v2, v[4:5], off offset:256
	global_load_ushort v4, v[4:5], off offset:384
	s_waitcnt vmcnt(1)
	v_mul_f16_e32 v2, v45, v2
	s_waitcnt vmcnt(0)
	v_mul_f16_e32 v128, v45, v4
	v_bfi_b32 v38, 0xffff, v2, v3
	s_and_b32 vcc_lo, exec_lo, s2
	s_cbranch_vccz .LBB258_30
	s_branch .LBB258_31
.LBB258_45:
	v_mov_b32_e32 v126, 0
	v_mov_b32_e32 v127, 0
	s_andn2_b32 vcc_lo, exec_lo, s13
	s_cbranch_vccnz .LBB258_37
.LBB258_46:
	v_add_co_u32 v39, vcc_lo, v119, v43
	v_add_co_ci_u32_e64 v40, null, v120, v44, vcc_lo
	s_clause 0x1
	global_load_ushort v14, v[39:40], off offset:256
	global_load_ushort v16, v[39:40], off offset:384
	s_waitcnt vmcnt(1)
	v_mul_f16_e32 v14, v45, v14
	s_waitcnt vmcnt(0)
	v_mul_f16_e32 v127, v45, v16
	v_bfi_b32 v125, 0xffff, v14, v15
	s_and_b32 vcc_lo, exec_lo, s2
	s_cbranch_vccz .LBB258_38
	s_branch .LBB258_39
.LBB258_47:
	s_load_dword s6, s[4:5], 0x58
	v_add_nc_u32_e32 v87, s17, v1
	ds_read_b64 v[30:31], v89 offset:2048
	ds_read_b64 v[46:47], v85 offset:4608
	v_add_nc_u32_e32 v44, s3, v0
	v_cmp_neq_f16_e64 s2, 0, v48
	v_mov_b32_e32 v34, 0
	v_mov_b32_e32 v32, 0
	v_ashrrev_i32_e32 v45, 31, v44
	s_and_b32 vcc_lo, exec_lo, s2
	v_lshlrev_b64 v[28:29], 1, v[44:45]
	s_waitcnt lgkmcnt(0)
	v_mad_i64_i32 v[1:2], null, v87, s6, 0
	v_lshlrev_b64 v[0:1], 1, v[1:2]
	v_add_co_u32 v114, s1, s8, v0
	v_add_co_ci_u32_e64 v115, null, s9, v1, s1
	s_cbranch_vccz .LBB258_49
; %bb.48:
	v_add_co_u32 v0, vcc_lo, v114, v28
	v_add_co_ci_u32_e64 v1, null, v115, v29, vcc_lo
	global_load_ushort v0, v[0:1], off
	s_waitcnt vmcnt(0)
	v_mul_f16_e32 v0, v48, v0
	v_cvt_f32_f16_e32 v32, v0
.LBB258_49:
	s_clause 0x1
	s_load_dwordx2 s[12:13], s[4:5], 0x78
	s_load_dword s3, s[4:5], 0x70
	v_pk_add_f16 v13, v30, v46
	v_pk_add_f16 v26, v31, v47
	v_max_f16_e32 v14, v123, v123
	v_lshrrev_b32_e32 v15, 16, v123
	v_add_nc_u32_e32 v0, 0x800, v89
	v_lshrrev_b32_e32 v27, 16, v13
	v_lshrrev_b32_e32 v33, 16, v26
	v_min_f16_e32 v37, v14, v13
	v_add_nc_u32_e32 v12, 0x1000, v85
	ds_read_b64 v[24:25], v89 offset:3840
	ds_read2_b64 v[8:11], v0 offset0:32 offset1:64
	ds_read2_b64 v[4:7], v0 offset0:96 offset1:128
	v_min3_f16 v27, v15, v27, v33
	ds_read2_b64 v[0:3], v0 offset0:160 offset1:192
	ds_read2_b64 v[20:23], v12 offset0:72 offset1:80
	;; [unrolled: 1-line block ×4, first 2 shown]
	v_max_f32_e32 v40, v32, v32
	v_min3_f16 v33, v37, v26, v27
	ds_read_b64 v[26:27], v85 offset:5056
	s_waitcnt lgkmcnt(0)
	s_mul_i32 s1, s13, s16
	v_mad_i64_i32 v[35:36], null, v87, s3, 0
	s_mul_hi_u32 s4, s12, s16
	v_cvt_f32_f16_e32 v39, v33
	s_add_i32 s5, s4, s1
	s_mul_i32 s4, s12, s16
	v_add_nc_u32_e32 v37, 32, v44
	s_lshl_b64 s[4:5], s[4:5], 1
	v_lshlrev_b64 v[32:33], 1, v[35:36]
	s_add_u32 s4, s10, s4
	s_addc_u32 s5, s11, s5
	v_min_f32_e32 v35, v40, v39
	v_ashrrev_i32_e32 v38, 31, v37
	v_cndmask_b32_e64 v36, 0, 1, s2
	v_add_co_u32 v85, vcc_lo, s4, v32
	v_add_co_ci_u32_e64 v89, null, s5, v33, vcc_lo
	v_cvt_f16_f32_e32 v39, v35
	v_add_co_u32 v35, vcc_lo, v85, v28
	v_lshlrev_b64 v[32:33], 1, v[37:38]
	v_cmp_ne_u32_e64 s1, 1, v36
	v_add_co_ci_u32_e64 v36, null, v89, v29, vcc_lo
	s_andn2_b32 vcc_lo, exec_lo, s2
	global_store_short v[35:36], v39, off
	s_cbranch_vccnz .LBB258_51
; %bb.50:
	v_add_co_u32 v34, vcc_lo, v114, v32
	v_add_co_ci_u32_e64 v35, null, v115, v33, vcc_lo
	global_load_ushort v34, v[34:35], off
	s_waitcnt vmcnt(0)
	v_mul_f16_e32 v34, v48, v34
	v_cvt_f32_f16_e32 v34, v34
.LBB258_51:
	v_pk_add_f16 v35, v8, v46
	v_pk_add_f16 v36, v9, v47
	v_max_f16_e32 v37, v118, v118
	v_lshrrev_b32_e32 v38, 16, v118
	v_max_f32_e32 v34, v34, v34
	v_lshrrev_b32_e32 v39, 16, v35
	v_lshrrev_b32_e32 v40, 16, v36
	v_min_f16_e32 v35, v37, v35
	v_min3_f16 v37, v38, v39, v40
	v_add_co_u32 v39, vcc_lo, v85, v32
	v_add_co_ci_u32_e64 v40, null, v89, v33, vcc_lo
	v_min3_f16 v36, v35, v36, v37
	v_add_nc_u32_e32 v35, 64, v44
	v_mov_b32_e32 v38, 0
	s_and_b32 vcc_lo, exec_lo, s1
	v_cvt_f32_f16_e32 v37, v36
	v_ashrrev_i32_e32 v36, 31, v35
	v_min_f32_e32 v34, v34, v37
	v_cvt_f16_f32_e32 v37, v34
	v_lshlrev_b64 v[34:35], 1, v[35:36]
	v_mov_b32_e32 v36, 0
	global_store_short v[39:40], v37, off
	s_cbranch_vccnz .LBB258_53
; %bb.52:
	v_add_co_u32 v36, vcc_lo, v114, v34
	v_add_co_ci_u32_e64 v37, null, v115, v35, vcc_lo
	global_load_ushort v36, v[36:37], off
	s_waitcnt vmcnt(0)
	v_mul_f16_e32 v36, v48, v36
	v_cvt_f32_f16_e32 v36, v36
.LBB258_53:
	v_pk_add_f16 v37, v10, v46
	v_pk_add_f16 v39, v11, v47
	v_max_f16_e32 v40, v113, v113
	v_lshrrev_b32_e32 v41, 16, v113
	v_max_f32_e32 v36, v36, v36
	v_lshrrev_b32_e32 v42, 16, v37
	v_lshrrev_b32_e32 v43, 16, v39
	v_min_f16_e32 v37, v40, v37
	v_min3_f16 v40, v41, v42, v43
	v_add_co_u32 v41, vcc_lo, v85, v34
	v_add_co_ci_u32_e64 v42, null, v89, v35, vcc_lo
	v_min3_f16 v37, v37, v39, v40
	v_add_nc_u32_e32 v39, 0x60, v44
	s_and_b32 vcc_lo, exec_lo, s1
	v_cvt_f32_f16_e32 v37, v37
	v_ashrrev_i32_e32 v40, 31, v39
	v_min_f32_e32 v36, v36, v37
	v_cvt_f16_f32_e32 v43, v36
	v_lshlrev_b64 v[36:37], 1, v[39:40]
	global_store_short v[41:42], v43, off
	s_cbranch_vccnz .LBB258_55
; %bb.54:
	v_add_co_u32 v38, vcc_lo, v114, v36
	v_add_co_ci_u32_e64 v39, null, v115, v37, vcc_lo
	global_load_ushort v38, v[38:39], off
	s_waitcnt vmcnt(0)
	v_mul_f16_e32 v38, v48, v38
	v_cvt_f32_f16_e32 v38, v38
.LBB258_55:
	v_pk_add_f16 v39, v4, v46
	v_pk_add_f16 v40, v5, v47
	v_max_f16_e32 v41, v112, v112
	v_lshrrev_b32_e32 v42, 16, v112
	v_max_f32_e32 v38, v38, v38
	v_lshrrev_b32_e32 v43, 16, v39
	v_lshrrev_b32_e32 v45, 16, v40
	v_min_f16_e32 v39, v41, v39
	v_add_co_u32 v112, vcc_lo, v85, v36
	v_add_co_ci_u32_e64 v113, null, v89, v37, vcc_lo
	v_min3_f16 v41, v42, v43, v45
	s_and_b32 vcc_lo, exec_lo, s1
	v_min3_f16 v40, v39, v40, v41
	v_add_nc_u32_e32 v39, 0x80, v44
	v_cvt_f32_f16_e32 v41, v40
	v_ashrrev_i32_e32 v40, 31, v39
	v_min_f32_e32 v41, v38, v41
	v_lshlrev_b64 v[42:43], 1, v[39:40]
	v_mov_b32_e32 v38, 0
	v_mov_b32_e32 v39, 0
	v_cvt_f16_f32_e32 v41, v41
	global_store_short v[112:113], v41, off
	s_cbranch_vccnz .LBB258_57
; %bb.56:
	v_add_co_u32 v39, vcc_lo, v114, v42
	v_add_co_ci_u32_e64 v40, null, v115, v43, vcc_lo
	global_load_ushort v39, v[39:40], off
	s_waitcnt vmcnt(0)
	v_mul_f16_e32 v39, v48, v39
	v_cvt_f32_f16_e32 v39, v39
.LBB258_57:
	v_pk_add_f16 v40, v6, v46
	v_pk_add_f16 v41, v7, v47
	v_max_f16_e32 v45, v111, v111
	v_lshrrev_b32_e32 v111, 16, v111
	v_max_f32_e32 v39, v39, v39
	v_lshrrev_b32_e32 v112, 16, v40
	v_lshrrev_b32_e32 v113, 16, v41
	v_min_f16_e32 v40, v45, v40
	v_min3_f16 v45, v111, v112, v113
	v_add_co_u32 v111, vcc_lo, v85, v42
	v_add_co_ci_u32_e64 v112, null, v89, v43, vcc_lo
	v_min3_f16 v41, v40, v41, v45
	v_add_nc_u32_e32 v40, 0xa0, v44
	s_and_b32 vcc_lo, exec_lo, s1
	v_cvt_f32_f16_e32 v45, v41
	v_ashrrev_i32_e32 v41, 31, v40
	v_min_f32_e32 v39, v39, v45
	v_lshlrev_b64 v[40:41], 1, v[40:41]
	v_cvt_f16_f32_e32 v39, v39
	global_store_short v[111:112], v39, off
	s_cbranch_vccnz .LBB258_59
; %bb.58:
	v_add_co_u32 v38, vcc_lo, v114, v40
	v_add_co_ci_u32_e64 v39, null, v115, v41, vcc_lo
	global_load_ushort v38, v[38:39], off
	s_waitcnt vmcnt(0)
	v_mul_f16_e32 v38, v48, v38
	v_cvt_f32_f16_e32 v38, v38
.LBB258_59:
	v_pk_add_f16 v39, v0, v46
	v_pk_add_f16 v45, v1, v47
	v_max_f16_e32 v111, v110, v110
	v_lshrrev_b32_e32 v110, 16, v110
	v_max_f32_e32 v38, v38, v38
	v_lshrrev_b32_e32 v112, 16, v39
	v_lshrrev_b32_e32 v113, 16, v45
	v_min_f16_e32 v39, v111, v39
	v_add_nc_u32_e32 v111, 0xc0, v44
	v_add_co_u32 v116, vcc_lo, v85, v40
	v_min3_f16 v110, v110, v112, v113
	v_add_co_ci_u32_e64 v117, null, v89, v41, vcc_lo
	v_ashrrev_i32_e32 v112, 31, v111
	s_and_b32 vcc_lo, exec_lo, s1
	v_min3_f16 v39, v39, v45, v110
	v_mov_b32_e32 v110, 0
	v_mov_b32_e32 v45, 0
	v_cvt_f32_f16_e32 v39, v39
	v_min_f32_e32 v38, v38, v39
	v_cvt_f16_f32_e32 v113, v38
	v_lshlrev_b64 v[38:39], 1, v[111:112]
	global_store_short v[116:117], v113, off
	s_cbranch_vccnz .LBB258_61
; %bb.60:
	v_add_co_u32 v111, vcc_lo, v114, v38
	v_add_co_ci_u32_e64 v112, null, v115, v39, vcc_lo
	global_load_ushort v45, v[111:112], off
	s_waitcnt vmcnt(0)
	v_mul_f16_e32 v45, v48, v45
	v_cvt_f32_f16_e32 v45, v45
.LBB258_61:
	v_pk_add_f16 v111, v2, v46
	v_pk_add_f16 v112, v3, v47
	v_max_f16_e32 v113, v109, v109
	v_lshrrev_b32_e32 v109, 16, v109
	v_add_nc_u32_e32 v44, 0xe0, v44
	v_lshrrev_b32_e32 v116, 16, v111
	v_lshrrev_b32_e32 v117, 16, v112
	v_min_f16_e32 v111, v113, v111
	v_min3_f16 v109, v109, v116, v117
	v_min3_f16 v109, v111, v112, v109
	v_max_f32_e32 v111, v45, v45
	v_ashrrev_i32_e32 v45, 31, v44
	v_cvt_f32_f16_e32 v109, v109
	v_lshlrev_b64 v[44:45], 1, v[44:45]
	v_min_f32_e32 v109, v111, v109
	v_add_co_u32 v111, vcc_lo, v85, v38
	v_add_co_ci_u32_e64 v112, null, v89, v39, vcc_lo
	v_cvt_f16_f32_e32 v109, v109
	s_and_b32 vcc_lo, exec_lo, s1
	global_store_short v[111:112], v109, off
	s_cbranch_vccnz .LBB258_63
; %bb.62:
	v_add_co_u32 v109, vcc_lo, v114, v44
	v_add_co_ci_u32_e64 v110, null, v115, v45, vcc_lo
	global_load_ushort v109, v[109:110], off
	s_waitcnt vmcnt(0)
	v_mul_f16_e32 v109, v48, v109
	v_cvt_f32_f16_e32 v110, v109
.LBB258_63:
	v_pk_add_f16 v46, v24, v46
	v_pk_add_f16 v111, v25, v47
	v_max_f16_e32 v47, v108, v108
	v_lshrrev_b32_e32 v108, 16, v108
	v_add_nc_u32_e32 v109, 8, v87
	v_lshrrev_b32_e32 v112, 16, v46
	v_lshrrev_b32_e32 v113, 16, v111
	v_min_f16_e32 v114, v47, v46
	v_mad_i64_i32 v[46:47], null, v109, s6, 0
	v_min3_f16 v108, v108, v112, v113
	v_max_f32_e32 v112, v110, v110
	v_add_co_u32 v110, vcc_lo, v85, v44
	v_min3_f16 v108, v114, v111, v108
	v_lshlrev_b64 v[46:47], 1, v[46:47]
	v_add_co_ci_u32_e64 v111, null, v89, v45, vcc_lo
	v_cvt_f32_f16_e32 v108, v108
	v_add_co_u32 v46, vcc_lo, s8, v46
	v_add_co_ci_u32_e64 v47, null, s9, v47, vcc_lo
	v_min_f32_e32 v85, v112, v108
	v_mov_b32_e32 v108, 0
	s_and_b32 vcc_lo, exec_lo, s1
	v_cvt_f16_f32_e32 v89, v85
	v_mov_b32_e32 v85, 0
	global_store_short v[110:111], v89, off
	s_cbranch_vccnz .LBB258_65
; %bb.64:
	v_add_co_u32 v110, vcc_lo, v46, v28
	v_add_co_ci_u32_e64 v111, null, v47, v29, vcc_lo
	global_load_ushort v85, v[110:111], off
	s_waitcnt vmcnt(0)
	v_mul_f16_e32 v85, v48, v85
	v_cvt_f32_f16_e32 v85, v85
.LBB258_65:
	v_pk_add_f16 v89, v30, v20
	v_pk_add_f16 v111, v31, v21
	v_max_f16_e32 v110, v107, v107
	v_lshrrev_b32_e32 v107, 16, v107
	v_max_f32_e32 v85, v85, v85
	v_lshrrev_b32_e32 v112, 16, v89
	v_lshrrev_b32_e32 v113, 16, v111
	v_min_f16_e32 v89, v110, v89
	v_mad_i64_i32 v[109:110], null, v109, s3, 0
	v_min3_f16 v107, v107, v112, v113
	v_lshlrev_b64 v[109:110], 1, v[109:110]
	v_min3_f16 v89, v89, v111, v107
	v_cvt_f32_f16_e32 v89, v89
	v_min_f32_e32 v107, v85, v89
	v_add_co_u32 v85, vcc_lo, s4, v109
	v_add_co_ci_u32_e64 v89, null, s5, v110, vcc_lo
	v_cvt_f16_f32_e32 v107, v107
	v_add_co_u32 v109, vcc_lo, v85, v28
	v_add_co_ci_u32_e64 v110, null, v89, v29, vcc_lo
	s_and_b32 vcc_lo, exec_lo, s1
	global_store_short v[109:110], v107, off
	s_cbranch_vccnz .LBB258_67
; %bb.66:
	v_add_co_u32 v107, vcc_lo, v46, v32
	v_add_co_ci_u32_e64 v108, null, v47, v33, vcc_lo
	global_load_ushort v107, v[107:108], off
	s_waitcnt vmcnt(0)
	v_mul_f16_e32 v107, v48, v107
	v_cvt_f32_f16_e32 v108, v107
.LBB258_67:
	v_pk_add_f16 v107, v8, v20
	v_pk_add_f16 v109, v9, v21
	v_max_f16_e32 v110, v106, v106
	v_lshrrev_b32_e32 v106, 16, v106
	v_lshrrev_b32_e32 v111, 16, v107
	v_lshrrev_b32_e32 v112, 16, v109
	v_min_f16_e32 v107, v110, v107
	v_min3_f16 v106, v106, v111, v112
	v_min3_f16 v106, v107, v109, v106
	v_max_f32_e32 v107, v108, v108
	v_add_co_u32 v108, vcc_lo, v85, v32
	v_add_co_ci_u32_e64 v109, null, v89, v33, vcc_lo
	v_cvt_f32_f16_e32 v106, v106
	s_and_b32 vcc_lo, exec_lo, s1
	v_min_f32_e32 v106, v107, v106
	v_mov_b32_e32 v107, 0
	v_cvt_f16_f32_e32 v110, v106
	v_mov_b32_e32 v106, 0
	global_store_short v[108:109], v110, off
	s_cbranch_vccnz .LBB258_69
; %bb.68:
	v_add_co_u32 v107, vcc_lo, v46, v34
	v_add_co_ci_u32_e64 v108, null, v47, v35, vcc_lo
	global_load_ushort v107, v[107:108], off
	s_waitcnt vmcnt(0)
	v_mul_f16_e32 v107, v48, v107
	v_cvt_f32_f16_e32 v107, v107
.LBB258_69:
	v_pk_add_f16 v108, v10, v20
	v_pk_add_f16 v109, v11, v21
	v_max_f16_e32 v110, v105, v105
	v_lshrrev_b32_e32 v105, 16, v105
	v_max_f32_e32 v107, v107, v107
	v_lshrrev_b32_e32 v111, 16, v108
	v_lshrrev_b32_e32 v112, 16, v109
	v_min_f16_e32 v108, v110, v108
	v_min3_f16 v105, v105, v111, v112
	v_min3_f16 v105, v108, v109, v105
	v_cvt_f32_f16_e32 v105, v105
	v_min_f32_e32 v105, v107, v105
	v_add_co_u32 v107, vcc_lo, v85, v34
	v_add_co_ci_u32_e64 v108, null, v89, v35, vcc_lo
	v_cvt_f16_f32_e32 v105, v105
	s_and_b32 vcc_lo, exec_lo, s1
	global_store_short v[107:108], v105, off
	s_cbranch_vccnz .LBB258_71
; %bb.70:
	v_add_co_u32 v105, vcc_lo, v46, v36
	v_add_co_ci_u32_e64 v106, null, v47, v37, vcc_lo
	global_load_ushort v105, v[105:106], off
	s_waitcnt vmcnt(0)
	v_mul_f16_e32 v105, v48, v105
	v_cvt_f32_f16_e32 v106, v105
.LBB258_71:
	v_pk_add_f16 v105, v4, v20
	v_pk_add_f16 v107, v5, v21
	v_max_f16_e32 v108, v104, v104
	v_lshrrev_b32_e32 v104, 16, v104
	v_lshrrev_b32_e32 v109, 16, v105
	v_lshrrev_b32_e32 v110, 16, v107
	v_min_f16_e32 v105, v108, v105
	v_min3_f16 v104, v104, v109, v110
	v_min3_f16 v104, v105, v107, v104
	v_max_f32_e32 v105, v106, v106
	v_add_co_u32 v106, vcc_lo, v85, v36
	v_add_co_ci_u32_e64 v107, null, v89, v37, vcc_lo
	v_cvt_f32_f16_e32 v104, v104
	s_and_b32 vcc_lo, exec_lo, s1
	v_min_f32_e32 v104, v105, v104
	v_mov_b32_e32 v105, 0
	v_cvt_f16_f32_e32 v108, v104
	v_mov_b32_e32 v104, 0
	global_store_short v[106:107], v108, off
	s_cbranch_vccnz .LBB258_73
; %bb.72:
	v_add_co_u32 v105, vcc_lo, v46, v42
	v_add_co_ci_u32_e64 v106, null, v47, v43, vcc_lo
	global_load_ushort v105, v[105:106], off
	s_waitcnt vmcnt(0)
	v_mul_f16_e32 v105, v48, v105
	v_cvt_f32_f16_e32 v105, v105
.LBB258_73:
	v_pk_add_f16 v106, v6, v20
	v_pk_add_f16 v107, v7, v21
	v_max_f16_e32 v108, v103, v103
	v_lshrrev_b32_e32 v103, 16, v103
	v_max_f32_e32 v105, v105, v105
	v_lshrrev_b32_e32 v109, 16, v106
	v_lshrrev_b32_e32 v110, 16, v107
	v_min_f16_e32 v106, v108, v106
	v_min3_f16 v103, v103, v109, v110
	v_min3_f16 v103, v106, v107, v103
	v_cvt_f32_f16_e32 v103, v103
	v_min_f32_e32 v103, v105, v103
	v_add_co_u32 v105, vcc_lo, v85, v42
	v_add_co_ci_u32_e64 v106, null, v89, v43, vcc_lo
	v_cvt_f16_f32_e32 v103, v103
	;; [unrolled: 54-line block ×3, first 2 shown]
	s_and_b32 vcc_lo, exec_lo, s1
	global_store_short v[103:104], v101, off
	s_cbranch_vccnz .LBB258_79
; %bb.78:
	v_add_co_u32 v46, vcc_lo, v46, v44
	v_add_co_ci_u32_e64 v47, null, v47, v45, vcc_lo
	global_load_ushort v46, v[46:47], off
	s_waitcnt vmcnt(0)
	v_mul_f16_e32 v46, v48, v46
	v_cvt_f32_f16_e32 v102, v46
.LBB258_79:
	v_pk_add_f16 v20, v24, v20
	v_pk_add_f16 v47, v25, v21
	v_max_f16_e32 v21, v100, v100
	v_lshrrev_b32_e32 v100, 16, v100
	v_add_nc_u32_e32 v46, 16, v87
	v_lshrrev_b32_e32 v101, 16, v20
	v_lshrrev_b32_e32 v103, 16, v47
	v_min_f16_e32 v104, v21, v20
	v_max_f32_e32 v102, v102, v102
	v_mad_i64_i32 v[20:21], null, v46, s6, 0
	v_min3_f16 v100, v100, v101, v103
	v_min3_f16 v47, v104, v47, v100
	v_lshlrev_b64 v[20:21], 1, v[20:21]
	v_add_co_u32 v100, vcc_lo, v85, v44
	v_add_co_ci_u32_e64 v101, null, v89, v45, vcc_lo
	v_cvt_f32_f16_e32 v47, v47
	v_add_co_u32 v20, vcc_lo, s8, v20
	v_add_co_ci_u32_e64 v21, null, s9, v21, vcc_lo
	v_min_f32_e32 v47, v102, v47
	v_mov_b32_e32 v85, 0
	s_and_b32 vcc_lo, exec_lo, s1
	v_cvt_f16_f32_e32 v89, v47
	v_mov_b32_e32 v47, 0
	global_store_short v[100:101], v89, off
	s_cbranch_vccnz .LBB258_81
; %bb.80:
	v_add_co_u32 v100, vcc_lo, v20, v28
	v_add_co_ci_u32_e64 v101, null, v21, v29, vcc_lo
	global_load_ushort v47, v[100:101], off
	s_waitcnt vmcnt(0)
	v_mul_f16_e32 v47, v48, v47
	v_cvt_f32_f16_e32 v47, v47
.LBB258_81:
	v_pk_add_f16 v89, v30, v22
	v_pk_add_f16 v101, v31, v23
	v_max_f16_e32 v100, v99, v99
	v_lshrrev_b32_e32 v99, 16, v99
	v_lshrrev_b32_e32 v102, 16, v89
	;; [unrolled: 1-line block ×3, first 2 shown]
	v_min_f16_e32 v89, v100, v89
	v_min3_f16 v102, v99, v102, v103
	v_mad_i64_i32 v[99:100], null, v46, s3, 0
	v_min3_f16 v46, v89, v101, v102
	v_max_f32_e32 v89, v47, v47
	v_cvt_f32_f16_e32 v101, v46
	v_lshlrev_b64 v[46:47], 1, v[99:100]
	v_min_f32_e32 v89, v89, v101
	v_add_co_u32 v46, vcc_lo, s4, v46
	v_add_co_ci_u32_e64 v47, null, s5, v47, vcc_lo
	v_cvt_f16_f32_e32 v89, v89
	v_add_co_u32 v99, vcc_lo, v46, v28
	v_add_co_ci_u32_e64 v100, null, v47, v29, vcc_lo
	s_and_b32 vcc_lo, exec_lo, s1
	global_store_short v[99:100], v89, off
	s_cbranch_vccnz .LBB258_83
; %bb.82:
	v_add_co_u32 v99, vcc_lo, v20, v32
	v_add_co_ci_u32_e64 v100, null, v21, v33, vcc_lo
	global_load_ushort v85, v[99:100], off
	s_waitcnt vmcnt(0)
	v_mul_f16_e32 v85, v48, v85
	v_cvt_f32_f16_e32 v85, v85
.LBB258_83:
	v_pk_add_f16 v89, v8, v22
	v_pk_add_f16 v99, v9, v23
	v_max_f16_e32 v100, v98, v98
	v_lshrrev_b32_e32 v98, 16, v98
	v_max_f32_e32 v85, v85, v85
	v_lshrrev_b32_e32 v101, 16, v89
	v_lshrrev_b32_e32 v102, 16, v99
	v_min_f16_e32 v89, v100, v89
	v_min3_f16 v98, v98, v101, v102
	v_min3_f16 v89, v89, v99, v98
	v_add_co_u32 v98, vcc_lo, v46, v32
	v_add_co_ci_u32_e64 v99, null, v47, v33, vcc_lo
	v_cvt_f32_f16_e32 v89, v89
	s_and_b32 vcc_lo, exec_lo, s1
	v_min_f32_e32 v85, v85, v89
	v_mov_b32_e32 v89, 0
	v_cvt_f16_f32_e32 v100, v85
	v_mov_b32_e32 v85, 0
	global_store_short v[98:99], v100, off
	s_cbranch_vccnz .LBB258_85
; %bb.84:
	v_add_co_u32 v98, vcc_lo, v20, v34
	v_add_co_ci_u32_e64 v99, null, v21, v35, vcc_lo
	global_load_ushort v89, v[98:99], off
	s_waitcnt vmcnt(0)
	v_mul_f16_e32 v89, v48, v89
	v_cvt_f32_f16_e32 v89, v89
.LBB258_85:
	v_pk_add_f16 v98, v10, v22
	v_pk_add_f16 v99, v11, v23
	v_max_f16_e32 v100, v97, v97
	v_lshrrev_b32_e32 v97, 16, v97
	v_max_f32_e32 v89, v89, v89
	v_lshrrev_b32_e32 v101, 16, v98
	v_lshrrev_b32_e32 v102, 16, v99
	v_min_f16_e32 v98, v100, v98
	v_min3_f16 v97, v97, v101, v102
	v_min3_f16 v97, v98, v99, v97
	v_cvt_f32_f16_e32 v97, v97
	v_min_f32_e32 v89, v89, v97
	v_add_co_u32 v97, vcc_lo, v46, v34
	v_add_co_ci_u32_e64 v98, null, v47, v35, vcc_lo
	v_cvt_f16_f32_e32 v89, v89
	s_and_b32 vcc_lo, exec_lo, s1
	global_store_short v[97:98], v89, off
	s_cbranch_vccnz .LBB258_87
; %bb.86:
	v_add_co_u32 v97, vcc_lo, v20, v36
	v_add_co_ci_u32_e64 v98, null, v21, v37, vcc_lo
	global_load_ushort v85, v[97:98], off
	s_waitcnt vmcnt(0)
	v_mul_f16_e32 v85, v48, v85
	v_cvt_f32_f16_e32 v85, v85
.LBB258_87:
	v_pk_add_f16 v89, v4, v22
	v_pk_add_f16 v97, v5, v23
	v_max_f16_e32 v98, v96, v96
	v_lshrrev_b32_e32 v96, 16, v96
	v_max_f32_e32 v85, v85, v85
	v_lshrrev_b32_e32 v99, 16, v89
	v_lshrrev_b32_e32 v100, 16, v97
	v_min_f16_e32 v89, v98, v89
	v_min3_f16 v96, v96, v99, v100
	v_min3_f16 v89, v89, v97, v96
	v_add_co_u32 v96, vcc_lo, v46, v36
	v_add_co_ci_u32_e64 v97, null, v47, v37, vcc_lo
	v_cvt_f32_f16_e32 v89, v89
	s_and_b32 vcc_lo, exec_lo, s1
	v_min_f32_e32 v85, v85, v89
	v_mov_b32_e32 v89, 0
	v_cvt_f16_f32_e32 v98, v85
	v_mov_b32_e32 v85, 0
	global_store_short v[96:97], v98, off
	s_cbranch_vccnz .LBB258_89
; %bb.88:
	v_add_co_u32 v96, vcc_lo, v20, v42
	v_add_co_ci_u32_e64 v97, null, v21, v43, vcc_lo
	global_load_ushort v89, v[96:97], off
	s_waitcnt vmcnt(0)
	v_mul_f16_e32 v89, v48, v89
	v_cvt_f32_f16_e32 v89, v89
.LBB258_89:
	v_pk_add_f16 v96, v6, v22
	v_pk_add_f16 v97, v7, v23
	v_max_f16_e32 v98, v95, v95
	v_lshrrev_b32_e32 v95, 16, v95
	v_max_f32_e32 v89, v89, v89
	v_lshrrev_b32_e32 v99, 16, v96
	v_lshrrev_b32_e32 v100, 16, v97
	v_min_f16_e32 v96, v98, v96
	v_min3_f16 v95, v95, v99, v100
	v_min3_f16 v95, v96, v97, v95
	v_cvt_f32_f16_e32 v95, v95
	v_min_f32_e32 v89, v89, v95
	v_add_co_u32 v95, vcc_lo, v46, v42
	v_add_co_ci_u32_e64 v96, null, v47, v43, vcc_lo
	v_cvt_f16_f32_e32 v89, v89
	;; [unrolled: 54-line block ×3, first 2 shown]
	s_and_b32 vcc_lo, exec_lo, s1
	global_store_short v[93:94], v89, off
	s_cbranch_vccnz .LBB258_95
; %bb.94:
	v_add_co_u32 v20, vcc_lo, v20, v44
	v_add_co_ci_u32_e64 v21, null, v21, v45, vcc_lo
	global_load_ushort v20, v[20:21], off
	s_waitcnt vmcnt(0)
	v_mul_f16_e32 v20, v48, v20
	v_cvt_f32_f16_e32 v85, v20
.LBB258_95:
	v_pk_add_f16 v20, v24, v22
	v_pk_add_f16 v23, v25, v23
	v_max_f16_e32 v21, v92, v92
	v_lshrrev_b32_e32 v89, 16, v92
	v_add_nc_u32_e32 v22, 24, v87
	v_lshrrev_b32_e32 v92, 16, v20
	v_lshrrev_b32_e32 v93, 16, v23
	v_min_f16_e32 v94, v21, v20
	v_max_f32_e32 v85, v85, v85
	v_mad_i64_i32 v[20:21], null, v22, s6, 0
	v_min3_f16 v89, v89, v92, v93
	v_add_co_u32 v92, vcc_lo, v46, v44
	v_add_co_ci_u32_e64 v93, null, v47, v45, vcc_lo
	v_min3_f16 v23, v94, v23, v89
	v_lshlrev_b64 v[20:21], 1, v[20:21]
	v_mov_b32_e32 v46, 0
	v_cvt_f32_f16_e32 v23, v23
	v_add_co_u32 v20, vcc_lo, s8, v20
	v_add_co_ci_u32_e64 v21, null, s9, v21, vcc_lo
	v_min_f32_e32 v23, v85, v23
	s_and_b32 vcc_lo, exec_lo, s1
	v_cvt_f16_f32_e32 v47, v23
	v_mov_b32_e32 v23, 0
	global_store_short v[92:93], v47, off
	s_cbranch_vccnz .LBB258_97
; %bb.96:
	v_add_co_u32 v92, vcc_lo, v20, v28
	v_add_co_ci_u32_e64 v93, null, v21, v29, vcc_lo
	global_load_ushort v23, v[92:93], off
	s_waitcnt vmcnt(0)
	v_mul_f16_e32 v23, v48, v23
	v_cvt_f32_f16_e32 v23, v23
.LBB258_97:
	v_pk_add_f16 v47, v30, v16
	v_pk_add_f16 v85, v31, v17
	v_max_f16_e32 v89, v91, v91
	v_lshrrev_b32_e32 v91, 16, v91
	v_lshrrev_b32_e32 v92, 16, v47
	;; [unrolled: 1-line block ×3, first 2 shown]
	v_min_f16_e32 v47, v89, v47
	v_min3_f16 v89, v91, v92, v93
	v_mad_i64_i32 v[91:92], null, v22, s3, 0
	v_min3_f16 v22, v47, v85, v89
	v_max_f32_e32 v47, v23, v23
	v_cvt_f32_f16_e32 v85, v22
	v_lshlrev_b64 v[22:23], 1, v[91:92]
	v_min_f32_e32 v47, v47, v85
	v_add_co_u32 v22, vcc_lo, s4, v22
	v_add_co_ci_u32_e64 v23, null, s5, v23, vcc_lo
	v_cvt_f16_f32_e32 v47, v47
	v_add_co_u32 v91, vcc_lo, v22, v28
	v_add_co_ci_u32_e64 v92, null, v23, v29, vcc_lo
	s_and_b32 vcc_lo, exec_lo, s1
	global_store_short v[91:92], v47, off
	s_cbranch_vccnz .LBB258_99
; %bb.98:
	v_add_co_u32 v46, vcc_lo, v20, v32
	v_add_co_ci_u32_e64 v47, null, v21, v33, vcc_lo
	global_load_ushort v46, v[46:47], off
	s_waitcnt vmcnt(0)
	v_mul_f16_e32 v46, v48, v46
	v_cvt_f32_f16_e32 v46, v46
.LBB258_99:
	v_pk_add_f16 v47, v8, v16
	v_pk_add_f16 v85, v9, v17
	v_max_f16_e32 v89, v90, v90
	v_lshrrev_b32_e32 v90, 16, v90
	v_max_f32_e32 v46, v46, v46
	v_lshrrev_b32_e32 v91, 16, v47
	v_lshrrev_b32_e32 v92, 16, v85
	v_min_f16_e32 v47, v89, v47
	v_min3_f16 v89, v90, v91, v92
	v_min3_f16 v47, v47, v85, v89
	v_add_co_u32 v89, vcc_lo, v22, v32
	v_add_co_ci_u32_e64 v90, null, v23, v33, vcc_lo
	v_cvt_f32_f16_e32 v47, v47
	s_and_b32 vcc_lo, exec_lo, s1
	v_min_f32_e32 v46, v46, v47
	v_mov_b32_e32 v47, 0
	v_cvt_f16_f32_e32 v85, v46
	v_mov_b32_e32 v46, 0
	global_store_short v[89:90], v85, off
	s_cbranch_vccnz .LBB258_101
; %bb.100:
	v_add_co_u32 v89, vcc_lo, v20, v34
	v_add_co_ci_u32_e64 v90, null, v21, v35, vcc_lo
	global_load_ushort v47, v[89:90], off
	s_waitcnt vmcnt(0)
	v_mul_f16_e32 v47, v48, v47
	v_cvt_f32_f16_e32 v47, v47
.LBB258_101:
	v_pk_add_f16 v85, v10, v16
	v_pk_add_f16 v89, v11, v17
	v_max_f16_e32 v90, v88, v88
	v_lshrrev_b32_e32 v88, 16, v88
	v_max_f32_e32 v47, v47, v47
	v_lshrrev_b32_e32 v91, 16, v85
	v_lshrrev_b32_e32 v92, 16, v89
	v_min_f16_e32 v85, v90, v85
	v_min3_f16 v88, v88, v91, v92
	v_min3_f16 v85, v85, v89, v88
	v_add_co_u32 v88, vcc_lo, v22, v34
	v_add_co_ci_u32_e64 v89, null, v23, v35, vcc_lo
	v_cvt_f32_f16_e32 v85, v85
	s_and_b32 vcc_lo, exec_lo, s1
	v_min_f32_e32 v47, v47, v85
	v_cvt_f16_f32_e32 v47, v47
	global_store_short v[88:89], v47, off
	s_cbranch_vccnz .LBB258_103
; %bb.102:
	v_add_co_u32 v46, vcc_lo, v20, v36
	v_add_co_ci_u32_e64 v47, null, v21, v37, vcc_lo
	global_load_ushort v46, v[46:47], off
	s_waitcnt vmcnt(0)
	v_mul_f16_e32 v46, v48, v46
	v_cvt_f32_f16_e32 v46, v46
.LBB258_103:
	v_pk_add_f16 v47, v4, v16
	v_pk_add_f16 v85, v5, v17
	v_max_f16_e32 v88, v86, v86
	v_lshrrev_b32_e32 v86, 16, v86
	v_max_f32_e32 v46, v46, v46
	v_lshrrev_b32_e32 v89, 16, v47
	v_lshrrev_b32_e32 v90, 16, v85
	v_min_f16_e32 v47, v88, v47
	v_min3_f16 v86, v86, v89, v90
	v_min3_f16 v47, v47, v85, v86
	v_add_co_u32 v85, vcc_lo, v22, v36
	v_add_co_ci_u32_e64 v86, null, v23, v37, vcc_lo
	v_cvt_f32_f16_e32 v47, v47
	s_and_b32 vcc_lo, exec_lo, s1
	v_min_f32_e32 v46, v46, v47
	v_mov_b32_e32 v47, 0
	v_cvt_f16_f32_e32 v88, v46
	v_mov_b32_e32 v46, 0
	global_store_short v[85:86], v88, off
	s_cbranch_vccnz .LBB258_105
; %bb.104:
	v_add_co_u32 v85, vcc_lo, v20, v42
	v_add_co_ci_u32_e64 v86, null, v21, v43, vcc_lo
	global_load_ushort v47, v[85:86], off
	s_waitcnt vmcnt(0)
	v_mul_f16_e32 v47, v48, v47
	v_cvt_f32_f16_e32 v47, v47
.LBB258_105:
	v_pk_add_f16 v85, v6, v16
	v_pk_add_f16 v86, v7, v17
	v_max_f16_e32 v88, v84, v84
	v_lshrrev_b32_e32 v84, 16, v84
	v_max_f32_e32 v47, v47, v47
	v_lshrrev_b32_e32 v89, 16, v85
	v_lshrrev_b32_e32 v90, 16, v86
	v_min_f16_e32 v85, v88, v85
	v_min3_f16 v84, v84, v89, v90
	v_min3_f16 v84, v85, v86, v84
	v_cvt_f32_f16_e32 v84, v84
	v_min_f32_e32 v47, v47, v84
	v_add_co_u32 v84, vcc_lo, v22, v42
	v_add_co_ci_u32_e64 v85, null, v23, v43, vcc_lo
	v_cvt_f16_f32_e32 v47, v47
	s_and_b32 vcc_lo, exec_lo, s1
	global_store_short v[84:85], v47, off
	s_cbranch_vccnz .LBB258_107
; %bb.106:
	v_add_co_u32 v46, vcc_lo, v20, v40
	v_add_co_ci_u32_e64 v47, null, v21, v41, vcc_lo
	global_load_ushort v46, v[46:47], off
	s_waitcnt vmcnt(0)
	v_mul_f16_e32 v46, v48, v46
	v_cvt_f32_f16_e32 v46, v46
.LBB258_107:
	v_pk_add_f16 v47, v0, v16
	v_pk_add_f16 v84, v1, v17
	v_max_f16_e32 v85, v83, v83
	v_lshrrev_b32_e32 v83, 16, v83
	v_max_f32_e32 v46, v46, v46
	v_lshrrev_b32_e32 v86, 16, v47
	v_lshrrev_b32_e32 v88, 16, v84
	v_min_f16_e32 v47, v85, v47
	v_min3_f16 v83, v83, v86, v88
	v_min3_f16 v47, v47, v84, v83
	v_add_co_u32 v83, vcc_lo, v22, v40
	v_add_co_ci_u32_e64 v84, null, v23, v41, vcc_lo
	v_cvt_f32_f16_e32 v47, v47
	s_and_b32 vcc_lo, exec_lo, s1
	v_min_f32_e32 v46, v46, v47
	v_mov_b32_e32 v47, 0
	v_cvt_f16_f32_e32 v85, v46
	v_mov_b32_e32 v46, 0
	global_store_short v[83:84], v85, off
	s_cbranch_vccnz .LBB258_109
; %bb.108:
	v_add_co_u32 v83, vcc_lo, v20, v38
	v_add_co_ci_u32_e64 v84, null, v21, v39, vcc_lo
	global_load_ushort v47, v[83:84], off
	s_waitcnt vmcnt(0)
	v_mul_f16_e32 v47, v48, v47
	v_cvt_f32_f16_e32 v47, v47
.LBB258_109:
	v_pk_add_f16 v83, v2, v16
	v_pk_add_f16 v84, v3, v17
	v_max_f16_e32 v85, v82, v82
	v_lshrrev_b32_e32 v82, 16, v82
	v_max_f32_e32 v47, v47, v47
	v_lshrrev_b32_e32 v86, 16, v83
	v_lshrrev_b32_e32 v88, 16, v84
	v_min_f16_e32 v83, v85, v83
	v_min3_f16 v82, v82, v86, v88
	v_min3_f16 v82, v83, v84, v82
	v_cvt_f32_f16_e32 v82, v82
	v_min_f32_e32 v47, v47, v82
	v_add_co_u32 v82, vcc_lo, v22, v38
	v_add_co_ci_u32_e64 v83, null, v23, v39, vcc_lo
	v_cvt_f16_f32_e32 v47, v47
	s_and_b32 vcc_lo, exec_lo, s1
	global_store_short v[82:83], v47, off
	s_cbranch_vccnz .LBB258_111
; %bb.110:
	v_add_co_u32 v20, vcc_lo, v20, v44
	v_add_co_ci_u32_e64 v21, null, v21, v45, vcc_lo
	global_load_ushort v20, v[20:21], off
	s_waitcnt vmcnt(0)
	v_mul_f16_e32 v20, v48, v20
	v_cvt_f32_f16_e32 v46, v20
.LBB258_111:
	v_pk_add_f16 v16, v24, v16
	v_pk_add_f16 v21, v25, v17
	v_max_f16_e32 v17, v81, v81
	v_lshrrev_b32_e32 v47, 16, v81
	v_add_nc_u32_e32 v20, 32, v87
	v_lshrrev_b32_e32 v81, 16, v16
	v_lshrrev_b32_e32 v82, 16, v21
	v_min_f16_e32 v83, v17, v16
	v_mad_i64_i32 v[16:17], null, v20, s6, 0
	v_min3_f16 v47, v47, v81, v82
	v_max_f32_e32 v81, v46, v46
	v_add_co_u32 v46, vcc_lo, v22, v44
	v_mov_b32_e32 v22, 0
	v_min3_f16 v21, v83, v21, v47
	v_lshlrev_b64 v[16:17], 1, v[16:17]
	v_add_co_ci_u32_e64 v47, null, v23, v45, vcc_lo
	v_cvt_f32_f16_e32 v21, v21
	v_add_co_u32 v16, vcc_lo, s8, v16
	v_add_co_ci_u32_e64 v17, null, s9, v17, vcc_lo
	v_min_f32_e32 v21, v81, v21
	s_and_b32 vcc_lo, exec_lo, s1
	v_cvt_f16_f32_e32 v23, v21
	v_mov_b32_e32 v21, 0
	global_store_short v[46:47], v23, off
	s_cbranch_vccnz .LBB258_113
; %bb.112:
	v_add_co_u32 v46, vcc_lo, v16, v28
	v_add_co_ci_u32_e64 v47, null, v17, v29, vcc_lo
	global_load_ushort v21, v[46:47], off
	s_waitcnt vmcnt(0)
	v_mul_f16_e32 v21, v48, v21
	v_cvt_f32_f16_e32 v21, v21
.LBB258_113:
	v_pk_add_f16 v23, v30, v18
	v_pk_add_f16 v81, v31, v19
	v_max_f16_e32 v46, v80, v80
	v_lshrrev_b32_e32 v47, 16, v80
	v_lshrrev_b32_e32 v80, 16, v23
	;; [unrolled: 1-line block ×3, first 2 shown]
	v_min_f16_e32 v23, v46, v23
	v_min3_f16 v80, v47, v80, v82
	v_mad_i64_i32 v[46:47], null, v20, s3, 0
	v_min3_f16 v20, v23, v81, v80
	v_max_f32_e32 v23, v21, v21
	v_cvt_f32_f16_e32 v80, v20
	v_lshlrev_b64 v[20:21], 1, v[46:47]
	v_min_f32_e32 v23, v23, v80
	v_add_co_u32 v20, vcc_lo, s4, v20
	v_add_co_ci_u32_e64 v21, null, s5, v21, vcc_lo
	v_cvt_f16_f32_e32 v23, v23
	v_add_co_u32 v46, vcc_lo, v20, v28
	v_add_co_ci_u32_e64 v47, null, v21, v29, vcc_lo
	s_and_b32 vcc_lo, exec_lo, s1
	global_store_short v[46:47], v23, off
	s_cbranch_vccnz .LBB258_115
; %bb.114:
	v_add_co_u32 v22, vcc_lo, v16, v32
	v_add_co_ci_u32_e64 v23, null, v17, v33, vcc_lo
	global_load_ushort v22, v[22:23], off
	s_waitcnt vmcnt(0)
	v_mul_f16_e32 v22, v48, v22
	v_cvt_f32_f16_e32 v22, v22
.LBB258_115:
	v_pk_add_f16 v23, v8, v18
	v_pk_add_f16 v46, v9, v19
	v_max_f16_e32 v47, v79, v79
	v_lshrrev_b32_e32 v79, 16, v79
	v_max_f32_e32 v22, v22, v22
	v_lshrrev_b32_e32 v80, 16, v23
	v_lshrrev_b32_e32 v81, 16, v46
	v_min_f16_e32 v23, v47, v23
	v_min3_f16 v47, v79, v80, v81
	v_min3_f16 v23, v23, v46, v47
	v_add_co_u32 v46, vcc_lo, v20, v32
	v_add_co_ci_u32_e64 v47, null, v21, v33, vcc_lo
	v_cvt_f32_f16_e32 v23, v23
	s_and_b32 vcc_lo, exec_lo, s1
	v_min_f32_e32 v22, v22, v23
	v_mov_b32_e32 v23, 0
	v_cvt_f16_f32_e32 v79, v22
	v_mov_b32_e32 v22, 0
	global_store_short v[46:47], v79, off
	s_cbranch_vccnz .LBB258_117
; %bb.116:
	v_add_co_u32 v46, vcc_lo, v16, v34
	v_add_co_ci_u32_e64 v47, null, v17, v35, vcc_lo
	global_load_ushort v23, v[46:47], off
	s_waitcnt vmcnt(0)
	v_mul_f16_e32 v23, v48, v23
	v_cvt_f32_f16_e32 v23, v23
.LBB258_117:
	v_pk_add_f16 v46, v10, v18
	v_pk_add_f16 v47, v11, v19
	v_max_f16_e32 v79, v78, v78
	v_lshrrev_b32_e32 v78, 16, v78
	v_max_f32_e32 v23, v23, v23
	v_lshrrev_b32_e32 v80, 16, v46
	v_lshrrev_b32_e32 v81, 16, v47
	v_min_f16_e32 v46, v79, v46
	v_min3_f16 v78, v78, v80, v81
	v_min3_f16 v46, v46, v47, v78
	v_cvt_f32_f16_e32 v46, v46
	v_min_f32_e32 v23, v23, v46
	v_add_co_u32 v46, vcc_lo, v20, v34
	v_add_co_ci_u32_e64 v47, null, v21, v35, vcc_lo
	v_cvt_f16_f32_e32 v23, v23
	s_and_b32 vcc_lo, exec_lo, s1
	global_store_short v[46:47], v23, off
	s_cbranch_vccnz .LBB258_119
; %bb.118:
	v_add_co_u32 v22, vcc_lo, v16, v36
	v_add_co_ci_u32_e64 v23, null, v17, v37, vcc_lo
	global_load_ushort v22, v[22:23], off
	s_waitcnt vmcnt(0)
	v_mul_f16_e32 v22, v48, v22
	v_cvt_f32_f16_e32 v22, v22
.LBB258_119:
	v_pk_add_f16 v23, v4, v18
	v_pk_add_f16 v46, v5, v19
	v_max_f16_e32 v47, v77, v77
	v_lshrrev_b32_e32 v77, 16, v77
	v_max_f32_e32 v22, v22, v22
	v_lshrrev_b32_e32 v78, 16, v23
	v_lshrrev_b32_e32 v79, 16, v46
	v_min_f16_e32 v23, v47, v23
	v_min3_f16 v47, v77, v78, v79
	v_min3_f16 v23, v23, v46, v47
	v_add_co_u32 v46, vcc_lo, v20, v36
	v_add_co_ci_u32_e64 v47, null, v21, v37, vcc_lo
	v_cvt_f32_f16_e32 v23, v23
	s_and_b32 vcc_lo, exec_lo, s1
	v_min_f32_e32 v22, v22, v23
	v_mov_b32_e32 v23, 0
	v_cvt_f16_f32_e32 v77, v22
	v_mov_b32_e32 v22, 0
	global_store_short v[46:47], v77, off
	s_cbranch_vccnz .LBB258_121
; %bb.120:
	v_add_co_u32 v46, vcc_lo, v16, v42
	v_add_co_ci_u32_e64 v47, null, v17, v43, vcc_lo
	global_load_ushort v23, v[46:47], off
	s_waitcnt vmcnt(0)
	v_mul_f16_e32 v23, v48, v23
	v_cvt_f32_f16_e32 v23, v23
.LBB258_121:
	v_pk_add_f16 v46, v6, v18
	v_pk_add_f16 v47, v7, v19
	v_max_f16_e32 v77, v76, v76
	v_lshrrev_b32_e32 v76, 16, v76
	v_max_f32_e32 v23, v23, v23
	v_lshrrev_b32_e32 v78, 16, v46
	v_lshrrev_b32_e32 v79, 16, v47
	v_min_f16_e32 v46, v77, v46
	v_min3_f16 v76, v76, v78, v79
	v_min3_f16 v46, v46, v47, v76
	v_cvt_f32_f16_e32 v46, v46
	v_min_f32_e32 v23, v23, v46
	v_add_co_u32 v46, vcc_lo, v20, v42
	v_add_co_ci_u32_e64 v47, null, v21, v43, vcc_lo
	v_cvt_f16_f32_e32 v23, v23
	;; [unrolled: 54-line block ×3, first 2 shown]
	s_and_b32 vcc_lo, exec_lo, s1
	global_store_short v[46:47], v23, off
	s_cbranch_vccnz .LBB258_127
; %bb.126:
	v_add_co_u32 v16, vcc_lo, v16, v44
	v_add_co_ci_u32_e64 v17, null, v17, v45, vcc_lo
	global_load_ushort v16, v[16:17], off
	s_waitcnt vmcnt(0)
	v_mul_f16_e32 v16, v48, v16
	v_cvt_f32_f16_e32 v22, v16
.LBB258_127:
	v_pk_add_f16 v16, v24, v18
	v_pk_add_f16 v19, v25, v19
	v_max_f16_e32 v17, v73, v73
	v_lshrrev_b32_e32 v23, 16, v73
	v_add_nc_u32_e32 v18, 40, v87
	v_lshrrev_b32_e32 v46, 16, v16
	v_lshrrev_b32_e32 v47, 16, v19
	v_min_f16_e32 v73, v17, v16
	v_mad_i64_i32 v[16:17], null, v18, s6, 0
	v_min3_f16 v23, v23, v46, v47
	v_max_f32_e32 v46, v22, v22
	v_add_co_u32 v22, vcc_lo, v20, v44
	v_mov_b32_e32 v20, 0
	v_min3_f16 v19, v73, v19, v23
	v_lshlrev_b64 v[16:17], 1, v[16:17]
	v_add_co_ci_u32_e64 v23, null, v21, v45, vcc_lo
	v_cvt_f32_f16_e32 v19, v19
	v_add_co_u32 v16, vcc_lo, s8, v16
	v_add_co_ci_u32_e64 v17, null, s9, v17, vcc_lo
	v_min_f32_e32 v19, v46, v19
	s_and_b32 vcc_lo, exec_lo, s1
	v_cvt_f16_f32_e32 v21, v19
	v_mov_b32_e32 v19, 0
	global_store_short v[22:23], v21, off
	s_cbranch_vccnz .LBB258_129
; %bb.128:
	v_add_co_u32 v21, vcc_lo, v16, v28
	v_add_co_ci_u32_e64 v22, null, v17, v29, vcc_lo
	global_load_ushort v19, v[21:22], off
	s_waitcnt vmcnt(0)
	v_mul_f16_e32 v19, v48, v19
	v_cvt_f32_f16_e32 v19, v19
.LBB258_129:
	v_pk_add_f16 v21, v30, v12
	v_pk_add_f16 v23, v31, v13
	v_max_f16_e32 v22, v72, v72
	v_lshrrev_b32_e32 v46, 16, v72
	v_lshrrev_b32_e32 v47, 16, v21
	;; [unrolled: 1-line block ×3, first 2 shown]
	v_min_f16_e32 v73, v22, v21
	v_mad_i64_i32 v[21:22], null, v18, s3, 0
	v_min3_f16 v46, v46, v47, v72
	v_min3_f16 v18, v73, v23, v46
	v_max_f32_e32 v23, v19, v19
	v_cvt_f32_f16_e32 v46, v18
	v_lshlrev_b64 v[18:19], 1, v[21:22]
	v_min_f32_e32 v21, v23, v46
	v_add_co_u32 v18, vcc_lo, s4, v18
	v_add_co_ci_u32_e64 v19, null, s5, v19, vcc_lo
	v_cvt_f16_f32_e32 v23, v21
	v_add_co_u32 v21, vcc_lo, v18, v28
	v_add_co_ci_u32_e64 v22, null, v19, v29, vcc_lo
	s_and_b32 vcc_lo, exec_lo, s1
	global_store_short v[21:22], v23, off
	s_cbranch_vccnz .LBB258_131
; %bb.130:
	v_add_co_u32 v20, vcc_lo, v16, v32
	v_add_co_ci_u32_e64 v21, null, v17, v33, vcc_lo
	global_load_ushort v20, v[20:21], off
	s_waitcnt vmcnt(0)
	v_mul_f16_e32 v20, v48, v20
	v_cvt_f32_f16_e32 v20, v20
.LBB258_131:
	v_pk_add_f16 v21, v8, v12
	v_pk_add_f16 v22, v9, v13
	v_max_f16_e32 v23, v71, v71
	v_lshrrev_b32_e32 v46, 16, v71
	v_max_f32_e32 v20, v20, v20
	v_lshrrev_b32_e32 v47, 16, v21
	v_lshrrev_b32_e32 v71, 16, v22
	v_min_f16_e32 v21, v23, v21
	v_min3_f16 v23, v46, v47, v71
	v_min3_f16 v21, v21, v22, v23
	v_add_co_u32 v22, vcc_lo, v18, v32
	v_add_co_ci_u32_e64 v23, null, v19, v33, vcc_lo
	v_cvt_f32_f16_e32 v21, v21
	s_and_b32 vcc_lo, exec_lo, s1
	v_min_f32_e32 v20, v20, v21
	v_mov_b32_e32 v21, 0
	v_cvt_f16_f32_e32 v46, v20
	v_mov_b32_e32 v20, 0
	global_store_short v[22:23], v46, off
	s_cbranch_vccnz .LBB258_133
; %bb.132:
	v_add_co_u32 v21, vcc_lo, v16, v34
	v_add_co_ci_u32_e64 v22, null, v17, v35, vcc_lo
	global_load_ushort v21, v[21:22], off
	s_waitcnt vmcnt(0)
	v_mul_f16_e32 v21, v48, v21
	v_cvt_f32_f16_e32 v21, v21
.LBB258_133:
	v_pk_add_f16 v22, v10, v12
	v_pk_add_f16 v23, v11, v13
	v_max_f16_e32 v46, v70, v70
	v_lshrrev_b32_e32 v47, 16, v70
	v_max_f32_e32 v21, v21, v21
	v_lshrrev_b32_e32 v70, 16, v22
	v_lshrrev_b32_e32 v71, 16, v23
	v_min_f16_e32 v22, v46, v22
	v_min3_f16 v46, v47, v70, v71
	v_min3_f16 v22, v22, v23, v46
	v_cvt_f32_f16_e32 v22, v22
	v_min_f32_e32 v21, v21, v22
	v_cvt_f16_f32_e32 v23, v21
	v_add_co_u32 v21, vcc_lo, v18, v34
	v_add_co_ci_u32_e64 v22, null, v19, v35, vcc_lo
	s_and_b32 vcc_lo, exec_lo, s1
	global_store_short v[21:22], v23, off
	s_cbranch_vccnz .LBB258_135
; %bb.134:
	v_add_co_u32 v20, vcc_lo, v16, v36
	v_add_co_ci_u32_e64 v21, null, v17, v37, vcc_lo
	global_load_ushort v20, v[20:21], off
	s_waitcnt vmcnt(0)
	v_mul_f16_e32 v20, v48, v20
	v_cvt_f32_f16_e32 v20, v20
.LBB258_135:
	v_pk_add_f16 v21, v4, v12
	v_pk_add_f16 v22, v5, v13
	v_max_f16_e32 v23, v69, v69
	v_lshrrev_b32_e32 v46, 16, v69
	v_max_f32_e32 v20, v20, v20
	v_lshrrev_b32_e32 v47, 16, v21
	v_lshrrev_b32_e32 v69, 16, v22
	v_min_f16_e32 v21, v23, v21
	v_min3_f16 v23, v46, v47, v69
	v_min3_f16 v21, v21, v22, v23
	v_add_co_u32 v22, vcc_lo, v18, v36
	v_add_co_ci_u32_e64 v23, null, v19, v37, vcc_lo
	v_cvt_f32_f16_e32 v21, v21
	s_and_b32 vcc_lo, exec_lo, s1
	v_min_f32_e32 v20, v20, v21
	v_mov_b32_e32 v21, 0
	v_cvt_f16_f32_e32 v46, v20
	v_mov_b32_e32 v20, 0
	global_store_short v[22:23], v46, off
	s_cbranch_vccnz .LBB258_137
; %bb.136:
	v_add_co_u32 v21, vcc_lo, v16, v42
	v_add_co_ci_u32_e64 v22, null, v17, v43, vcc_lo
	global_load_ushort v21, v[21:22], off
	s_waitcnt vmcnt(0)
	v_mul_f16_e32 v21, v48, v21
	v_cvt_f32_f16_e32 v21, v21
.LBB258_137:
	v_pk_add_f16 v22, v6, v12
	v_pk_add_f16 v23, v7, v13
	v_max_f16_e32 v46, v68, v68
	v_lshrrev_b32_e32 v47, 16, v68
	v_max_f32_e32 v21, v21, v21
	v_lshrrev_b32_e32 v68, 16, v22
	v_lshrrev_b32_e32 v69, 16, v23
	v_min_f16_e32 v22, v46, v22
	v_min3_f16 v46, v47, v68, v69
	v_min3_f16 v22, v22, v23, v46
	v_cvt_f32_f16_e32 v22, v22
	v_min_f32_e32 v21, v21, v22
	;; [unrolled: 54-line block ×3, first 2 shown]
	v_cvt_f16_f32_e32 v23, v21
	v_add_co_u32 v21, vcc_lo, v18, v38
	v_add_co_ci_u32_e64 v22, null, v19, v39, vcc_lo
	s_and_b32 vcc_lo, exec_lo, s1
	global_store_short v[21:22], v23, off
	s_cbranch_vccnz .LBB258_143
; %bb.142:
	v_add_co_u32 v16, vcc_lo, v16, v44
	v_add_co_ci_u32_e64 v17, null, v17, v45, vcc_lo
	global_load_ushort v16, v[16:17], off
	s_waitcnt vmcnt(0)
	v_mul_f16_e32 v16, v48, v16
	v_cvt_f32_f16_e32 v20, v16
.LBB258_143:
	v_pk_add_f16 v12, v24, v12
	v_pk_add_f16 v17, v25, v13
	v_max_f16_e32 v13, v65, v65
	v_lshrrev_b32_e32 v21, 16, v65
	v_add_nc_u32_e32 v16, 48, v87
	v_lshrrev_b32_e32 v22, 16, v12
	v_lshrrev_b32_e32 v23, 16, v17
	v_min_f16_e32 v46, v13, v12
	v_mad_i64_i32 v[12:13], null, v16, s6, 0
	v_min3_f16 v21, v21, v22, v23
	v_max_f32_e32 v22, v20, v20
	v_add_co_u32 v20, vcc_lo, v18, v44
	v_mov_b32_e32 v18, 0
	v_min3_f16 v17, v46, v17, v21
	v_lshlrev_b64 v[12:13], 1, v[12:13]
	v_add_co_ci_u32_e64 v21, null, v19, v45, vcc_lo
	v_cvt_f32_f16_e32 v17, v17
	v_add_co_u32 v12, vcc_lo, s8, v12
	v_add_co_ci_u32_e64 v13, null, s9, v13, vcc_lo
	v_min_f32_e32 v17, v22, v17
	s_and_b32 vcc_lo, exec_lo, s1
	v_cvt_f16_f32_e32 v19, v17
	v_mov_b32_e32 v17, 0
	global_store_short v[20:21], v19, off
	s_cbranch_vccnz .LBB258_145
; %bb.144:
	v_add_co_u32 v19, vcc_lo, v12, v28
	v_add_co_ci_u32_e64 v20, null, v13, v29, vcc_lo
	global_load_ushort v17, v[19:20], off
	s_waitcnt vmcnt(0)
	v_mul_f16_e32 v17, v48, v17
	v_cvt_f32_f16_e32 v17, v17
.LBB258_145:
	v_pk_add_f16 v19, v30, v14
	v_pk_add_f16 v21, v31, v15
	v_max_f16_e32 v20, v64, v64
	v_lshrrev_b32_e32 v22, 16, v64
	v_lshrrev_b32_e32 v23, 16, v19
	;; [unrolled: 1-line block ×3, first 2 shown]
	v_min_f16_e32 v47, v20, v19
	v_mad_i64_i32 v[19:20], null, v16, s3, 0
	v_min3_f16 v22, v22, v23, v46
	v_min3_f16 v16, v47, v21, v22
	v_max_f32_e32 v21, v17, v17
	v_cvt_f32_f16_e32 v22, v16
	v_lshlrev_b64 v[16:17], 1, v[19:20]
	v_min_f32_e32 v19, v21, v22
	v_add_co_u32 v16, vcc_lo, s4, v16
	v_add_co_ci_u32_e64 v17, null, s5, v17, vcc_lo
	v_cvt_f16_f32_e32 v21, v19
	v_add_co_u32 v19, vcc_lo, v16, v28
	v_add_co_ci_u32_e64 v20, null, v17, v29, vcc_lo
	s_and_b32 vcc_lo, exec_lo, s1
	global_store_short v[19:20], v21, off
	s_cbranch_vccnz .LBB258_147
; %bb.146:
	v_add_co_u32 v18, vcc_lo, v12, v32
	v_add_co_ci_u32_e64 v19, null, v13, v33, vcc_lo
	global_load_ushort v18, v[18:19], off
	s_waitcnt vmcnt(0)
	v_mul_f16_e32 v18, v48, v18
	v_cvt_f32_f16_e32 v18, v18
.LBB258_147:
	v_pk_add_f16 v19, v8, v14
	v_pk_add_f16 v20, v9, v15
	v_max_f16_e32 v21, v63, v63
	v_lshrrev_b32_e32 v22, 16, v63
	v_max_f32_e32 v18, v18, v18
	v_lshrrev_b32_e32 v23, 16, v19
	v_lshrrev_b32_e32 v46, 16, v20
	v_min_f16_e32 v19, v21, v19
	v_min3_f16 v21, v22, v23, v46
	v_min3_f16 v19, v19, v20, v21
	v_add_co_u32 v20, vcc_lo, v16, v32
	v_add_co_ci_u32_e64 v21, null, v17, v33, vcc_lo
	v_cvt_f32_f16_e32 v19, v19
	s_and_b32 vcc_lo, exec_lo, s1
	v_min_f32_e32 v18, v18, v19
	v_mov_b32_e32 v19, 0
	v_cvt_f16_f32_e32 v22, v18
	v_mov_b32_e32 v18, 0
	global_store_short v[20:21], v22, off
	s_cbranch_vccnz .LBB258_149
; %bb.148:
	v_add_co_u32 v19, vcc_lo, v12, v34
	v_add_co_ci_u32_e64 v20, null, v13, v35, vcc_lo
	global_load_ushort v19, v[19:20], off
	s_waitcnt vmcnt(0)
	v_mul_f16_e32 v19, v48, v19
	v_cvt_f32_f16_e32 v19, v19
.LBB258_149:
	v_pk_add_f16 v20, v10, v14
	v_pk_add_f16 v21, v11, v15
	v_max_f16_e32 v22, v62, v62
	v_lshrrev_b32_e32 v23, 16, v62
	v_max_f32_e32 v19, v19, v19
	v_lshrrev_b32_e32 v46, 16, v20
	v_lshrrev_b32_e32 v47, 16, v21
	v_min_f16_e32 v20, v22, v20
	v_min3_f16 v22, v23, v46, v47
	v_min3_f16 v20, v20, v21, v22
	v_cvt_f32_f16_e32 v20, v20
	v_min_f32_e32 v19, v19, v20
	v_cvt_f16_f32_e32 v21, v19
	v_add_co_u32 v19, vcc_lo, v16, v34
	v_add_co_ci_u32_e64 v20, null, v17, v35, vcc_lo
	s_and_b32 vcc_lo, exec_lo, s1
	global_store_short v[19:20], v21, off
	s_cbranch_vccnz .LBB258_151
; %bb.150:
	v_add_co_u32 v18, vcc_lo, v12, v36
	v_add_co_ci_u32_e64 v19, null, v13, v37, vcc_lo
	global_load_ushort v18, v[18:19], off
	s_waitcnt vmcnt(0)
	v_mul_f16_e32 v18, v48, v18
	v_cvt_f32_f16_e32 v18, v18
.LBB258_151:
	v_pk_add_f16 v19, v4, v14
	v_pk_add_f16 v20, v5, v15
	v_max_f16_e32 v21, v61, v61
	v_lshrrev_b32_e32 v22, 16, v61
	v_max_f32_e32 v18, v18, v18
	v_lshrrev_b32_e32 v23, 16, v19
	v_lshrrev_b32_e32 v46, 16, v20
	v_min_f16_e32 v19, v21, v19
	v_min3_f16 v21, v22, v23, v46
	v_min3_f16 v19, v19, v20, v21
	v_add_co_u32 v20, vcc_lo, v16, v36
	v_add_co_ci_u32_e64 v21, null, v17, v37, vcc_lo
	v_cvt_f32_f16_e32 v19, v19
	s_and_b32 vcc_lo, exec_lo, s1
	v_min_f32_e32 v18, v18, v19
	v_mov_b32_e32 v19, 0
	v_cvt_f16_f32_e32 v22, v18
	v_mov_b32_e32 v18, 0
	global_store_short v[20:21], v22, off
	s_cbranch_vccnz .LBB258_153
; %bb.152:
	v_add_co_u32 v19, vcc_lo, v12, v42
	v_add_co_ci_u32_e64 v20, null, v13, v43, vcc_lo
	global_load_ushort v19, v[19:20], off
	s_waitcnt vmcnt(0)
	v_mul_f16_e32 v19, v48, v19
	v_cvt_f32_f16_e32 v19, v19
.LBB258_153:
	v_pk_add_f16 v20, v6, v14
	v_pk_add_f16 v21, v7, v15
	v_max_f16_e32 v22, v60, v60
	v_lshrrev_b32_e32 v23, 16, v60
	v_max_f32_e32 v19, v19, v19
	v_lshrrev_b32_e32 v46, 16, v20
	v_lshrrev_b32_e32 v47, 16, v21
	v_min_f16_e32 v20, v22, v20
	v_min3_f16 v22, v23, v46, v47
	v_min3_f16 v20, v20, v21, v22
	v_cvt_f32_f16_e32 v20, v20
	v_min_f32_e32 v19, v19, v20
	;; [unrolled: 54-line block ×3, first 2 shown]
	v_cvt_f16_f32_e32 v21, v19
	v_add_co_u32 v19, vcc_lo, v16, v38
	v_add_co_ci_u32_e64 v20, null, v17, v39, vcc_lo
	s_and_b32 vcc_lo, exec_lo, s1
	global_store_short v[19:20], v21, off
	s_cbranch_vccnz .LBB258_159
; %bb.158:
	v_add_co_u32 v12, vcc_lo, v12, v44
	v_add_co_ci_u32_e64 v13, null, v13, v45, vcc_lo
	global_load_ushort v12, v[12:13], off
	s_waitcnt vmcnt(0)
	v_mul_f16_e32 v12, v48, v12
	v_cvt_f32_f16_e32 v18, v12
.LBB258_159:
	v_pk_add_f16 v12, v24, v14
	v_pk_add_f16 v15, v25, v15
	v_max_f16_e32 v13, v57, v57
	v_lshrrev_b32_e32 v19, 16, v57
	v_add_nc_u32_e32 v14, 56, v87
	v_lshrrev_b32_e32 v20, 16, v12
	v_lshrrev_b32_e32 v21, 16, v15
	v_min_f16_e32 v22, v13, v12
	v_mad_i64_i32 v[12:13], null, v14, s6, 0
	v_min3_f16 v19, v19, v20, v21
	v_max_f32_e32 v20, v18, v18
	v_add_co_u32 v18, vcc_lo, v16, v44
	v_mov_b32_e32 v16, 0
	v_min3_f16 v15, v22, v15, v19
	v_lshlrev_b64 v[12:13], 1, v[12:13]
	v_add_co_ci_u32_e64 v19, null, v17, v45, vcc_lo
	v_cvt_f32_f16_e32 v15, v15
	v_add_co_u32 v12, vcc_lo, s8, v12
	v_add_co_ci_u32_e64 v13, null, s9, v13, vcc_lo
	v_min_f32_e32 v15, v20, v15
	s_and_b32 vcc_lo, exec_lo, s1
	v_cvt_f16_f32_e32 v17, v15
	v_mov_b32_e32 v15, 0
	global_store_short v[18:19], v17, off
	s_cbranch_vccnz .LBB258_161
; %bb.160:
	v_add_co_u32 v17, vcc_lo, v12, v28
	v_add_co_ci_u32_e64 v18, null, v13, v29, vcc_lo
	global_load_ushort v15, v[17:18], off
	s_waitcnt vmcnt(0)
	v_mul_f16_e32 v15, v48, v15
	v_cvt_f32_f16_e32 v15, v15
.LBB258_161:
	v_pk_add_f16 v17, v30, v26
	v_pk_add_f16 v19, v31, v27
	v_max_f16_e32 v18, v56, v56
	v_lshrrev_b32_e32 v20, 16, v56
	v_lshrrev_b32_e32 v21, 16, v17
	;; [unrolled: 1-line block ×3, first 2 shown]
	v_min_f16_e32 v23, v18, v17
	v_mad_i64_i32 v[17:18], null, v14, s3, 0
	v_min3_f16 v20, v20, v21, v22
	v_min3_f16 v14, v23, v19, v20
	v_max_f32_e32 v19, v15, v15
	v_cvt_f32_f16_e32 v20, v14
	v_lshlrev_b64 v[14:15], 1, v[17:18]
	v_min_f32_e32 v17, v19, v20
	v_add_co_u32 v14, vcc_lo, s4, v14
	v_add_co_ci_u32_e64 v15, null, s5, v15, vcc_lo
	v_cvt_f16_f32_e32 v19, v17
	v_add_co_u32 v17, vcc_lo, v14, v28
	v_add_co_ci_u32_e64 v18, null, v15, v29, vcc_lo
	s_and_b32 vcc_lo, exec_lo, s1
	global_store_short v[17:18], v19, off
	s_cbranch_vccnz .LBB258_163
; %bb.162:
	v_add_co_u32 v16, vcc_lo, v12, v32
	v_add_co_ci_u32_e64 v17, null, v13, v33, vcc_lo
	global_load_ushort v16, v[16:17], off
	s_waitcnt vmcnt(0)
	v_mul_f16_e32 v16, v48, v16
	v_cvt_f32_f16_e32 v16, v16
.LBB258_163:
	v_pk_add_f16 v8, v8, v26
	v_pk_add_f16 v9, v9, v27
	v_max_f16_e32 v17, v55, v55
	v_lshrrev_b32_e32 v18, 16, v55
	v_lshrrev_b32_e32 v19, 16, v8
	;; [unrolled: 1-line block ×3, first 2 shown]
	v_min_f16_e32 v8, v17, v8
	v_min3_f16 v17, v18, v19, v20
	v_min3_f16 v8, v8, v9, v17
	v_max_f32_e32 v9, v16, v16
	v_add_co_u32 v16, vcc_lo, v14, v32
	v_add_co_ci_u32_e64 v17, null, v15, v33, vcc_lo
	v_cvt_f32_f16_e32 v8, v8
	s_and_b32 vcc_lo, exec_lo, s1
	v_min_f32_e32 v8, v9, v8
	v_mov_b32_e32 v9, 0
	v_cvt_f16_f32_e32 v18, v8
	v_mov_b32_e32 v8, 0
	global_store_short v[16:17], v18, off
	s_cbranch_vccnz .LBB258_165
; %bb.164:
	v_add_co_u32 v16, vcc_lo, v12, v34
	v_add_co_ci_u32_e64 v17, null, v13, v35, vcc_lo
	global_load_ushort v9, v[16:17], off
	s_waitcnt vmcnt(0)
	v_mul_f16_e32 v9, v48, v9
	v_cvt_f32_f16_e32 v9, v9
.LBB258_165:
	v_pk_add_f16 v10, v10, v26
	v_pk_add_f16 v11, v11, v27
	v_max_f16_e32 v16, v54, v54
	v_lshrrev_b32_e32 v17, 16, v54
	v_max_f32_e32 v9, v9, v9
	v_lshrrev_b32_e32 v18, 16, v10
	v_lshrrev_b32_e32 v19, 16, v11
	v_min_f16_e32 v10, v16, v10
	v_min3_f16 v16, v17, v18, v19
	v_min3_f16 v10, v10, v11, v16
	v_cvt_f32_f16_e32 v10, v10
	v_min_f32_e32 v9, v9, v10
	v_cvt_f16_f32_e32 v11, v9
	v_add_co_u32 v9, vcc_lo, v14, v34
	v_add_co_ci_u32_e64 v10, null, v15, v35, vcc_lo
	s_and_b32 vcc_lo, exec_lo, s1
	global_store_short v[9:10], v11, off
	s_cbranch_vccnz .LBB258_167
; %bb.166:
	v_add_co_u32 v8, vcc_lo, v12, v36
	v_add_co_ci_u32_e64 v9, null, v13, v37, vcc_lo
	global_load_ushort v8, v[8:9], off
	s_waitcnt vmcnt(0)
	v_mul_f16_e32 v8, v48, v8
	v_cvt_f32_f16_e32 v8, v8
.LBB258_167:
	v_pk_add_f16 v4, v4, v26
	v_pk_add_f16 v5, v5, v27
	v_max_f16_e32 v9, v53, v53
	v_lshrrev_b32_e32 v10, 16, v53
	v_lshrrev_b32_e32 v11, 16, v4
	;; [unrolled: 1-line block ×3, first 2 shown]
	v_min_f16_e32 v4, v9, v4
	v_min3_f16 v9, v10, v11, v16
	v_min3_f16 v4, v4, v5, v9
	v_max_f32_e32 v5, v8, v8
	v_add_co_u32 v8, vcc_lo, v14, v36
	v_add_co_ci_u32_e64 v9, null, v15, v37, vcc_lo
	v_cvt_f32_f16_e32 v4, v4
	s_and_b32 vcc_lo, exec_lo, s1
	v_min_f32_e32 v4, v5, v4
	v_mov_b32_e32 v5, 0
	v_cvt_f16_f32_e32 v10, v4
	v_mov_b32_e32 v4, 0
	global_store_short v[8:9], v10, off
	s_cbranch_vccnz .LBB258_169
; %bb.168:
	v_add_co_u32 v8, vcc_lo, v12, v42
	v_add_co_ci_u32_e64 v9, null, v13, v43, vcc_lo
	global_load_ushort v5, v[8:9], off
	s_waitcnt vmcnt(0)
	v_mul_f16_e32 v5, v48, v5
	v_cvt_f32_f16_e32 v5, v5
.LBB258_169:
	v_pk_add_f16 v6, v6, v26
	v_pk_add_f16 v7, v7, v27
	v_max_f16_e32 v8, v52, v52
	v_lshrrev_b32_e32 v9, 16, v52
	v_max_f32_e32 v5, v5, v5
	v_lshrrev_b32_e32 v10, 16, v6
	v_lshrrev_b32_e32 v11, 16, v7
	v_min_f16_e32 v6, v8, v6
	v_min3_f16 v8, v9, v10, v11
	v_min3_f16 v6, v6, v7, v8
	v_cvt_f32_f16_e32 v6, v6
	v_min_f32_e32 v5, v5, v6
	v_cvt_f16_f32_e32 v7, v5
	v_add_co_u32 v5, vcc_lo, v14, v42
	v_add_co_ci_u32_e64 v6, null, v15, v43, vcc_lo
	s_and_b32 vcc_lo, exec_lo, s1
	global_store_short v[5:6], v7, off
	s_cbranch_vccnz .LBB258_171
; %bb.170:
	v_add_co_u32 v4, vcc_lo, v12, v40
	v_add_co_ci_u32_e64 v5, null, v13, v41, vcc_lo
	global_load_ushort v4, v[4:5], off
	s_waitcnt vmcnt(0)
	v_mul_f16_e32 v4, v48, v4
	v_cvt_f32_f16_e32 v4, v4
.LBB258_171:
	v_pk_add_f16 v0, v0, v26
	v_pk_add_f16 v1, v1, v27
	v_max_f16_e32 v5, v51, v51
	v_lshrrev_b32_e32 v6, 16, v51
	v_pk_add_f16 v3, v3, v27
	v_lshrrev_b32_e32 v7, 16, v0
	v_lshrrev_b32_e32 v8, 16, v1
	v_min_f16_e32 v0, v5, v0
	s_mov_b32 s1, -1
	v_min3_f16 v5, v6, v7, v8
	v_lshrrev_b32_e32 v6, 16, v50
	v_lshrrev_b32_e32 v8, 16, v3
	v_min3_f16 v0, v0, v1, v5
	v_pk_add_f16 v5, v2, v26
	v_max_f32_e32 v1, v4, v4
	v_max_f16_e32 v4, v50, v50
	v_cvt_f32_f16_e32 v0, v0
	v_lshrrev_b32_e32 v7, 16, v5
	v_min_f16_e32 v4, v4, v5
	v_min_f32_e32 v0, v1, v0
	v_min3_f16 v5, v6, v7, v8
	v_add_co_u32 v1, vcc_lo, v14, v40
	v_add_co_ci_u32_e64 v2, null, v15, v41, vcc_lo
	v_cvt_f16_f32_e32 v6, v0
	v_min3_f16 v0, v4, v3, v5
	s_mov_b32 vcc_lo, s0
	global_store_short v[1:2], v6, off
	s_cbranch_vccz .LBB258_173
; %bb.172:
	v_cvt_f32_f16_e32 v1, v0
	s_mov_b32 s1, 0
	v_min_f32_e32 v1, 0, v1
	v_cvt_f16_f32_e32 v3, v1
	v_add_co_u32 v1, vcc_lo, v14, v38
	v_add_co_ci_u32_e64 v2, null, v15, v39, vcc_lo
	global_store_short v[1:2], v3, off
.LBB258_173:
	v_mov_b32_e32 v1, 0
	s_andn2_b32 vcc_lo, exec_lo, s1
	s_cbranch_vccnz .LBB258_175
; %bb.174:
	v_add_co_u32 v1, vcc_lo, v12, v38
	v_add_co_ci_u32_e64 v2, null, v13, v39, vcc_lo
	global_load_ushort v1, v[1:2], off
	v_max_f16_e32 v2, v0, v0
	v_add_co_u32 v0, vcc_lo, v14, v38
	s_waitcnt vmcnt(0)
	v_mul_f16_e32 v3, v48, v1
	v_add_co_ci_u32_e64 v1, null, v15, v39, vcc_lo
	v_min_f16_e32 v4, v3, v2
	v_add_co_u32 v2, vcc_lo, v12, v44
	v_add_co_ci_u32_e64 v3, null, v13, v45, vcc_lo
	global_store_short v[0:1], v4, off
	global_load_ushort v0, v[2:3], off
	s_waitcnt vmcnt(0)
	v_mul_f16_e32 v0, v48, v0
	v_cvt_f32_f16_e32 v1, v0
.LBB258_175:
	v_pk_add_f16 v0, v24, v26
	v_pk_add_f16 v2, v25, v27
	v_max_f16_e32 v3, v49, v49
	v_lshrrev_b32_e32 v4, 16, v49
	v_max_f32_e32 v1, v1, v1
	v_lshrrev_b32_e32 v5, 16, v0
	v_lshrrev_b32_e32 v6, 16, v2
	v_min_f16_e32 v0, v3, v0
	v_min3_f16 v3, v4, v5, v6
	v_min3_f16 v0, v0, v2, v3
	v_cvt_f32_f16_e32 v0, v0
	v_min_f32_e32 v0, v1, v0
	v_cvt_f16_f32_e32 v2, v0
	v_add_co_u32 v0, vcc_lo, v14, v44
	v_add_co_ci_u32_e64 v1, null, v15, v45, vcc_lo
	global_store_short v[0:1], v2, off
	s_endpgm
	.section	.rodata,"a",@progbits
	.p2align	6, 0x0
	.amdhsa_kernel _ZN12_GLOBAL__N_120geam_min_plus_kernelIDF16_Dv2_DF16_S1_Li32ELi8ELi256ELi64ELi4ELi64ELi4ELi4ELi64ELc78ELc78ELb0ELb0ELb1EPKDF16_S2_DF16_EEviiiT16_PT17_ilS6_ilS4_S6_ilPT18_ili26rocblas_geam_ex_operation_
		.amdhsa_group_segment_fixed_size 5120
		.amdhsa_private_segment_fixed_size 0
		.amdhsa_kernarg_size 136
		.amdhsa_user_sgpr_count 6
		.amdhsa_user_sgpr_private_segment_buffer 1
		.amdhsa_user_sgpr_dispatch_ptr 0
		.amdhsa_user_sgpr_queue_ptr 0
		.amdhsa_user_sgpr_kernarg_segment_ptr 1
		.amdhsa_user_sgpr_dispatch_id 0
		.amdhsa_user_sgpr_flat_scratch_init 0
		.amdhsa_user_sgpr_private_segment_size 0
		.amdhsa_wavefront_size32 1
		.amdhsa_uses_dynamic_stack 0
		.amdhsa_system_sgpr_private_segment_wavefront_offset 0
		.amdhsa_system_sgpr_workgroup_id_x 1
		.amdhsa_system_sgpr_workgroup_id_y 0
		.amdhsa_system_sgpr_workgroup_id_z 1
		.amdhsa_system_sgpr_workgroup_info 0
		.amdhsa_system_vgpr_workitem_id 1
		.amdhsa_next_free_vgpr 169
		.amdhsa_next_free_sgpr 24
		.amdhsa_reserve_vcc 1
		.amdhsa_reserve_flat_scratch 0
		.amdhsa_float_round_mode_32 0
		.amdhsa_float_round_mode_16_64 0
		.amdhsa_float_denorm_mode_32 3
		.amdhsa_float_denorm_mode_16_64 3
		.amdhsa_dx10_clamp 1
		.amdhsa_ieee_mode 1
		.amdhsa_fp16_overflow 0
		.amdhsa_workgroup_processor_mode 1
		.amdhsa_memory_ordered 1
		.amdhsa_forward_progress 1
		.amdhsa_shared_vgpr_count 0
		.amdhsa_exception_fp_ieee_invalid_op 0
		.amdhsa_exception_fp_denorm_src 0
		.amdhsa_exception_fp_ieee_div_zero 0
		.amdhsa_exception_fp_ieee_overflow 0
		.amdhsa_exception_fp_ieee_underflow 0
		.amdhsa_exception_fp_ieee_inexact 0
		.amdhsa_exception_int_div_zero 0
	.end_amdhsa_kernel
	.section	.text._ZN12_GLOBAL__N_120geam_min_plus_kernelIDF16_Dv2_DF16_S1_Li32ELi8ELi256ELi64ELi4ELi64ELi4ELi4ELi64ELc78ELc78ELb0ELb0ELb1EPKDF16_S2_DF16_EEviiiT16_PT17_ilS6_ilS4_S6_ilPT18_ili26rocblas_geam_ex_operation_,"axG",@progbits,_ZN12_GLOBAL__N_120geam_min_plus_kernelIDF16_Dv2_DF16_S1_Li32ELi8ELi256ELi64ELi4ELi64ELi4ELi4ELi64ELc78ELc78ELb0ELb0ELb1EPKDF16_S2_DF16_EEviiiT16_PT17_ilS6_ilS4_S6_ilPT18_ili26rocblas_geam_ex_operation_,comdat
.Lfunc_end258:
	.size	_ZN12_GLOBAL__N_120geam_min_plus_kernelIDF16_Dv2_DF16_S1_Li32ELi8ELi256ELi64ELi4ELi64ELi4ELi4ELi64ELc78ELc78ELb0ELb0ELb1EPKDF16_S2_DF16_EEviiiT16_PT17_ilS6_ilS4_S6_ilPT18_ili26rocblas_geam_ex_operation_, .Lfunc_end258-_ZN12_GLOBAL__N_120geam_min_plus_kernelIDF16_Dv2_DF16_S1_Li32ELi8ELi256ELi64ELi4ELi64ELi4ELi4ELi64ELc78ELc78ELb0ELb0ELb1EPKDF16_S2_DF16_EEviiiT16_PT17_ilS6_ilS4_S6_ilPT18_ili26rocblas_geam_ex_operation_
                                        ; -- End function
	.set _ZN12_GLOBAL__N_120geam_min_plus_kernelIDF16_Dv2_DF16_S1_Li32ELi8ELi256ELi64ELi4ELi64ELi4ELi4ELi64ELc78ELc78ELb0ELb0ELb1EPKDF16_S2_DF16_EEviiiT16_PT17_ilS6_ilS4_S6_ilPT18_ili26rocblas_geam_ex_operation_.num_vgpr, 169
	.set _ZN12_GLOBAL__N_120geam_min_plus_kernelIDF16_Dv2_DF16_S1_Li32ELi8ELi256ELi64ELi4ELi64ELi4ELi4ELi64ELc78ELc78ELb0ELb0ELb1EPKDF16_S2_DF16_EEviiiT16_PT17_ilS6_ilS4_S6_ilPT18_ili26rocblas_geam_ex_operation_.num_agpr, 0
	.set _ZN12_GLOBAL__N_120geam_min_plus_kernelIDF16_Dv2_DF16_S1_Li32ELi8ELi256ELi64ELi4ELi64ELi4ELi4ELi64ELc78ELc78ELb0ELb0ELb1EPKDF16_S2_DF16_EEviiiT16_PT17_ilS6_ilS4_S6_ilPT18_ili26rocblas_geam_ex_operation_.numbered_sgpr, 24
	.set _ZN12_GLOBAL__N_120geam_min_plus_kernelIDF16_Dv2_DF16_S1_Li32ELi8ELi256ELi64ELi4ELi64ELi4ELi4ELi64ELc78ELc78ELb0ELb0ELb1EPKDF16_S2_DF16_EEviiiT16_PT17_ilS6_ilS4_S6_ilPT18_ili26rocblas_geam_ex_operation_.num_named_barrier, 0
	.set _ZN12_GLOBAL__N_120geam_min_plus_kernelIDF16_Dv2_DF16_S1_Li32ELi8ELi256ELi64ELi4ELi64ELi4ELi4ELi64ELc78ELc78ELb0ELb0ELb1EPKDF16_S2_DF16_EEviiiT16_PT17_ilS6_ilS4_S6_ilPT18_ili26rocblas_geam_ex_operation_.private_seg_size, 0
	.set _ZN12_GLOBAL__N_120geam_min_plus_kernelIDF16_Dv2_DF16_S1_Li32ELi8ELi256ELi64ELi4ELi64ELi4ELi4ELi64ELc78ELc78ELb0ELb0ELb1EPKDF16_S2_DF16_EEviiiT16_PT17_ilS6_ilS4_S6_ilPT18_ili26rocblas_geam_ex_operation_.uses_vcc, 1
	.set _ZN12_GLOBAL__N_120geam_min_plus_kernelIDF16_Dv2_DF16_S1_Li32ELi8ELi256ELi64ELi4ELi64ELi4ELi4ELi64ELc78ELc78ELb0ELb0ELb1EPKDF16_S2_DF16_EEviiiT16_PT17_ilS6_ilS4_S6_ilPT18_ili26rocblas_geam_ex_operation_.uses_flat_scratch, 0
	.set _ZN12_GLOBAL__N_120geam_min_plus_kernelIDF16_Dv2_DF16_S1_Li32ELi8ELi256ELi64ELi4ELi64ELi4ELi4ELi64ELc78ELc78ELb0ELb0ELb1EPKDF16_S2_DF16_EEviiiT16_PT17_ilS6_ilS4_S6_ilPT18_ili26rocblas_geam_ex_operation_.has_dyn_sized_stack, 0
	.set _ZN12_GLOBAL__N_120geam_min_plus_kernelIDF16_Dv2_DF16_S1_Li32ELi8ELi256ELi64ELi4ELi64ELi4ELi4ELi64ELc78ELc78ELb0ELb0ELb1EPKDF16_S2_DF16_EEviiiT16_PT17_ilS6_ilS4_S6_ilPT18_ili26rocblas_geam_ex_operation_.has_recursion, 0
	.set _ZN12_GLOBAL__N_120geam_min_plus_kernelIDF16_Dv2_DF16_S1_Li32ELi8ELi256ELi64ELi4ELi64ELi4ELi4ELi64ELc78ELc78ELb0ELb0ELb1EPKDF16_S2_DF16_EEviiiT16_PT17_ilS6_ilS4_S6_ilPT18_ili26rocblas_geam_ex_operation_.has_indirect_call, 0
	.section	.AMDGPU.csdata,"",@progbits
; Kernel info:
; codeLenInByte = 19908
; TotalNumSgprs: 26
; NumVgprs: 169
; ScratchSize: 0
; MemoryBound: 0
; FloatMode: 240
; IeeeMode: 1
; LDSByteSize: 5120 bytes/workgroup (compile time only)
; SGPRBlocks: 0
; VGPRBlocks: 21
; NumSGPRsForWavesPerEU: 26
; NumVGPRsForWavesPerEU: 169
; Occupancy: 5
; WaveLimiterHint : 1
; COMPUTE_PGM_RSRC2:SCRATCH_EN: 0
; COMPUTE_PGM_RSRC2:USER_SGPR: 6
; COMPUTE_PGM_RSRC2:TRAP_HANDLER: 0
; COMPUTE_PGM_RSRC2:TGID_X_EN: 1
; COMPUTE_PGM_RSRC2:TGID_Y_EN: 0
; COMPUTE_PGM_RSRC2:TGID_Z_EN: 1
; COMPUTE_PGM_RSRC2:TIDIG_COMP_CNT: 1
	.section	.text._ZN12_GLOBAL__N_120geam_min_plus_kernelIDF16_Dv2_DF16_S1_Li32ELi8ELi256ELi64ELi4ELi64ELi4ELi4ELi64ELc78ELc78ELb1ELb0ELb1EDF16_KDF16_DF16_EEviiiT16_PT17_ilS5_ilS3_S5_ilPT18_ili26rocblas_geam_ex_operation_,"axG",@progbits,_ZN12_GLOBAL__N_120geam_min_plus_kernelIDF16_Dv2_DF16_S1_Li32ELi8ELi256ELi64ELi4ELi64ELi4ELi4ELi64ELc78ELc78ELb1ELb0ELb1EDF16_KDF16_DF16_EEviiiT16_PT17_ilS5_ilS3_S5_ilPT18_ili26rocblas_geam_ex_operation_,comdat
	.globl	_ZN12_GLOBAL__N_120geam_min_plus_kernelIDF16_Dv2_DF16_S1_Li32ELi8ELi256ELi64ELi4ELi64ELi4ELi4ELi64ELc78ELc78ELb1ELb0ELb1EDF16_KDF16_DF16_EEviiiT16_PT17_ilS5_ilS3_S5_ilPT18_ili26rocblas_geam_ex_operation_ ; -- Begin function _ZN12_GLOBAL__N_120geam_min_plus_kernelIDF16_Dv2_DF16_S1_Li32ELi8ELi256ELi64ELi4ELi64ELi4ELi4ELi64ELc78ELc78ELb1ELb0ELb1EDF16_KDF16_DF16_EEviiiT16_PT17_ilS5_ilS3_S5_ilPT18_ili26rocblas_geam_ex_operation_
	.p2align	8
	.type	_ZN12_GLOBAL__N_120geam_min_plus_kernelIDF16_Dv2_DF16_S1_Li32ELi8ELi256ELi64ELi4ELi64ELi4ELi4ELi64ELc78ELc78ELb1ELb0ELb1EDF16_KDF16_DF16_EEviiiT16_PT17_ilS5_ilS3_S5_ilPT18_ili26rocblas_geam_ex_operation_,@function
_ZN12_GLOBAL__N_120geam_min_plus_kernelIDF16_Dv2_DF16_S1_Li32ELi8ELi256ELi64ELi4ELi64ELi4ELi4ELi64ELc78ELc78ELb1ELb0ELb1EDF16_KDF16_DF16_EEviiiT16_PT17_ilS5_ilS3_S5_ilPT18_ili26rocblas_geam_ex_operation_: ; @_ZN12_GLOBAL__N_120geam_min_plus_kernelIDF16_Dv2_DF16_S1_Li32ELi8ELi256ELi64ELi4ELi64ELi4ELi4ELi64ELc78ELc78ELb1ELb0ELb1EDF16_KDF16_DF16_EEviiiT16_PT17_ilS5_ilS3_S5_ilPT18_ili26rocblas_geam_ex_operation_
; %bb.0:
	s_mov_b64 s[26:27], s[2:3]
	s_mov_b64 s[24:25], s[0:1]
	s_clause 0x1
	s_load_dwordx2 s[14:15], s[4:5], 0x8
	s_load_dwordx4 s[0:3], s[4:5], 0x20
	s_add_u32 s24, s24, s8
	s_addc_u32 s25, s25, 0
	s_waitcnt lgkmcnt(0)
	v_cmp_eq_f16_e64 s8, s15, 0
	s_and_b32 vcc_lo, exec_lo, s8
	s_cbranch_vccnz .LBB259_140
; %bb.1:
	s_load_dwordx2 s[10:11], s[4:5], 0x10
	s_mul_i32 s1, s1, s7
	s_mul_hi_u32 s9, s0, s7
	s_mul_i32 s0, s0, s7
	s_add_i32 s1, s9, s1
	s_lshl_b64 s[0:1], s[0:1], 1
	s_waitcnt lgkmcnt(0)
	s_add_u32 s16, s10, s0
	s_addc_u32 s17, s11, s1
	s_andn2_b32 vcc_lo, exec_lo, s8
	s_mov_b32 s0, -1
	s_cbranch_vccnz .LBB259_3
.LBB259_2:
	s_mov_b32 s0, 0
.LBB259_3:
	s_mov_b64 s[12:13], 0
	s_andn2_b32 vcc_lo, exec_lo, s0
	s_mov_b64 s[18:19], 0
	s_cbranch_vccnz .LBB259_5
; %bb.4:
	s_load_dwordx2 s[0:1], s[4:5], 0x38
	s_waitcnt lgkmcnt(0)
	s_mul_i32 s1, s1, s7
	s_mul_hi_u32 s8, s0, s7
	s_mul_i32 s0, s0, s7
	s_add_i32 s1, s8, s1
	s_lshl_b64 s[0:1], s[0:1], 1
	s_add_u32 s18, s2, s0
	s_addc_u32 s19, s3, s1
.LBB259_5:
	s_clause 0x1
	s_load_dword s15, s[4:5], 0x40
	s_load_dwordx4 s[8:11], s[4:5], 0x58
	s_waitcnt lgkmcnt(0)
	v_cmp_eq_f16_e64 s0, s15, 0
	s_and_b32 s0, exec_lo, s0
	s_mov_b32 vcc_lo, s0
	s_cbranch_vccnz .LBB259_7
; %bb.6:
	s_load_dwordx2 s[2:3], s[4:5], 0x48
	s_mul_i32 s1, s9, s7
	s_mul_hi_u32 s9, s8, s7
	s_mul_i32 s8, s8, s7
	s_add_i32 s9, s9, s1
	s_lshl_b64 s[8:9], s[8:9], 1
	s_waitcnt lgkmcnt(0)
	s_add_u32 s12, s2, s8
	s_addc_u32 s13, s3, s9
.LBB259_7:
	s_clause 0x2
	s_load_dword s1, s[4:5], 0x0
	s_load_dword s2, s[4:5], 0x18
	;; [unrolled: 1-line block ×3, first 2 shown]
	v_lshl_add_u32 v6, v1, 5, v0
	v_and_b32_e32 v3, 3, v0
	v_lshlrev_b32_e32 v128, 3, v1
	v_lshlrev_b32_e32 v187, 3, v0
	v_lshrrev_b32_e32 v13, 2, v6
	v_lshrrev_b32_e32 v4, 6, v6
	v_and_b32_e32 v14, 63, v6
	v_lshlrev_b32_e32 v126, 1, v3
	v_add_nc_u32_e32 v41, 0x1000, v128
	v_add_nc_u32_e32 v8, 4, v4
	v_lshl_or_b32 v127, v13, 3, v126
	s_waitcnt lgkmcnt(0)
	s_add_i32 s1, s1, -1
	v_mad_i64_i32 v[9:10], null, s2, v4, 0
	s_ashr_i32 s8, s1, 31
	v_mad_i64_i32 v[11:12], null, s2, v8, 0
	s_lshr_b32 s8, s8, 24
	s_add_i32 s1, s1, s8
	v_lshlrev_b64 v[9:10], 1, v[9:10]
	s_ashr_i32 s1, s1, 8
	s_add_i32 s9, s1, 1
	s_not_b32 s1, s1
	v_cvt_f32_u32_e32 v2, s9
	v_rcp_iflag_f32_e32 v2, v2
	v_mul_f32_e32 v2, 0x4f7ffffe, v2
	v_cvt_u32_f32_e32 v2, v2
	v_readfirstlane_b32 s8, v2
	s_mul_i32 s1, s1, s8
	s_mul_hi_u32 s1, s8, s1
	s_add_i32 s8, s8, s1
	s_mul_hi_u32 s1, s6, s8
	s_mul_i32 s8, s1, s9
	s_add_i32 s20, s1, 1
	s_sub_i32 s8, s6, s8
	s_sub_i32 s21, s8, s9
	s_cmp_ge_u32 s8, s9
	s_cselect_b32 s1, s20, s1
	s_cselect_b32 s8, s21, s8
	s_add_i32 s20, s1, 1
	s_cmp_ge_u32 s8, s9
	s_cselect_b32 s1, s20, s1
	s_lshl_b32 s8, s1, 6
	s_mul_i32 s1, s1, s9
	v_add_nc_u32_e32 v5, s8, v13
	s_sub_i32 s1, s6, s1
	s_lshl_b32 s1, s1, 8
	s_cmp_lt_i32 s14, 9
	v_mad_i64_i32 v[5:6], null, v5, s3, 0
	v_or_b32_e32 v7, s1, v14
	v_ashrrev_i32_e32 v8, 31, v7
	v_lshlrev_b64 v[2:3], 1, v[5:6]
	v_add_co_u32 v5, vcc_lo, s16, v9
	v_add_co_ci_u32_e64 v6, null, s17, v10, vcc_lo
	v_lshlrev_b64 v[170:171], 1, v[7:8]
	v_add_co_u32 v7, vcc_lo, s18, v2
	v_add_co_ci_u32_e64 v8, null, s19, v3, vcc_lo
	v_add_co_u32 v5, vcc_lo, v5, v170
	v_add_co_ci_u32_e64 v6, null, v6, v171, vcc_lo
	;; [unrolled: 2-line block ×3, first 2 shown]
	s_clause 0x3
	global_load_ushort v9, v[5:6], off
	global_load_ushort v10, v[5:6], off offset:128
	global_load_ushort v15, v[5:6], off offset:256
	;; [unrolled: 1-line block ×3, first 2 shown]
	global_load_ushort v17, v[7:8], off
	v_lshlrev_b64 v[5:6], 1, v[11:12]
	v_add_co_u32 v5, vcc_lo, s16, v5
	v_add_co_ci_u32_e64 v6, null, s17, v6, vcc_lo
	v_add_co_u32 v5, vcc_lo, v5, v170
	v_add_co_ci_u32_e64 v6, null, v6, v171, vcc_lo
	s_clause 0x3
	global_load_ushort v36, v[5:6], off
	global_load_ushort v37, v[5:6], off offset:128
	global_load_ushort v38, v[5:6], off offset:256
	;; [unrolled: 1-line block ×4, first 2 shown]
	v_lshlrev_b32_e32 v6, 3, v14
	v_lshl_add_u32 v34, v4, 1, v6
	s_waitcnt vmcnt(9)
	ds_write_b16 v34, v9
	s_waitcnt vmcnt(8)
	ds_write_b16 v34, v10 offset:512
	s_waitcnt vmcnt(7)
	ds_write_b16 v34, v15 offset:1024
	;; [unrolled: 2-line block ×4, first 2 shown]
	s_waitcnt vmcnt(0) lgkmcnt(0)
	s_barrier
	buffer_gl0_inv
	ds_read2_b64 v[6:9], v187 offset1:32
	ds_read2_b64 v[10:13], v41 offset1:8
	ds_read2_b64 v[14:17], v187 offset0:64 offset1:96
	ds_read2_b64 v[18:21], v187 offset0:128 offset1:160
	;; [unrolled: 1-line block ×6, first 2 shown]
	ds_write_b16 v34, v36 offset:2048
	ds_write_b16 v34, v37 offset:2560
	;; [unrolled: 1-line block ×4, first 2 shown]
	s_waitcnt lgkmcnt(10)
	v_pk_add_f16 v36, v6, v10
	v_pk_add_f16 v37, v8, v10
	s_waitcnt lgkmcnt(9)
	v_pk_add_f16 v38, v14, v10
	v_pk_add_f16 v45, v16, v10
	;; [unrolled: 3-line block ×4, first 2 shown]
	v_pk_add_f16 v49, v6, v12
	v_pk_add_f16 v50, v8, v12
	v_pk_add_f16 v51, v14, v12
	v_pk_add_f16 v52, v16, v12
	v_pk_add_f16 v53, v18, v12
	v_pk_add_f16 v54, v20, v12
	v_pk_add_f16 v55, v22, v12
	v_pk_add_f16 v12, v24, v12
	s_waitcnt lgkmcnt(6)
	v_pk_add_f16 v70, v6, v26
	v_pk_add_f16 v71, v8, v26
	v_pk_add_f16 v72, v14, v26
	v_pk_add_f16 v73, v16, v26
	v_pk_add_f16 v74, v18, v26
	v_pk_add_f16 v75, v20, v26
	v_pk_add_f16 v76, v22, v26
	v_pk_add_f16 v26, v24, v26
	v_pk_add_f16 v77, v6, v28
	v_pk_add_f16 v78, v8, v28
	v_pk_add_f16 v79, v14, v28
	v_pk_add_f16 v80, v16, v28
	v_pk_add_f16 v81, v18, v28
	v_pk_add_f16 v82, v20, v28
	v_pk_add_f16 v83, v22, v28
	v_pk_add_f16 v28, v24, v28
	s_waitcnt lgkmcnt(5)
	v_pk_add_f16 v90, v6, v30
	v_pk_add_f16 v91, v8, v30
	v_pk_add_f16 v92, v14, v30
	v_pk_add_f16 v93, v16, v30
	v_pk_add_f16 v94, v18, v30
	v_pk_add_f16 v95, v20, v30
	v_pk_add_f16 v96, v22, v30
	v_pk_add_f16 v30, v24, v30
	v_pk_add_f16 v97, v6, v32
	v_pk_add_f16 v98, v8, v32
	v_pk_add_f16 v99, v14, v32
	v_pk_add_f16 v100, v16, v32
	v_pk_add_f16 v101, v18, v32
	v_pk_add_f16 v102, v20, v32
	v_pk_add_f16 v103, v22, v32
	v_pk_add_f16 v32, v24, v32
	s_waitcnt lgkmcnt(4)
	v_pk_add_f16 v104, v6, v41
	v_pk_add_f16 v105, v8, v41
	v_pk_add_f16 v6, v6, v43
	v_pk_add_f16 v8, v8, v43
	v_pk_add_f16 v106, v14, v41
	v_pk_add_f16 v107, v16, v41
	v_pk_add_f16 v14, v14, v43
	v_pk_add_f16 v16, v16, v43
	v_pk_add_f16 v108, v18, v41
	v_pk_add_f16 v135, v20, v41
	;; [unrolled: 1-line block ×8, first 2 shown]
	buffer_store_dword v34, off, s[24:27], 0 offset:132 ; 4-byte Folded Spill
	v_pk_add_f16 v56, v7, v11
	v_pk_add_f16 v57, v9, v11
	;; [unrolled: 1-line block ×64, first 2 shown]
	v_pk_min_f16 v36, 0x7c00, v36 op_sel_hi:[0,1]
	v_pk_min_f16 v37, 0x7c00, v37 op_sel_hi:[0,1]
	;; [unrolled: 1-line block ×64, first 2 shown]
	v_pk_min_f16 v36, v36, v56
	v_pk_min_f16 v80, v37, v57
	;; [unrolled: 1-line block ×64, first 2 shown]
	ds_write_b16 v127, v5 offset:4608
	s_waitcnt lgkmcnt(0)
	s_waitcnt_vscnt null, 0x0
	s_barrier
	buffer_gl0_inv
	s_cbranch_scc1 .LBB259_11
; %bb.8:
	v_add_nc_u32_e32 v5, 0x1000, v127
	v_add_nc_u32_e32 v6, 0x1200, v127
	v_add_co_u32 v2, vcc_lo, v2, v126
	v_add_co_ci_u32_e64 v3, null, 0, v3, vcc_lo
	buffer_store_dword v5, off, s[24:27], 0 offset:136 ; 4-byte Folded Spill
	buffer_store_dword v128, off, s[24:27], 0 offset:168 ; 4-byte Folded Spill
	v_or_b32_e32 v5, 0x1000, v128
	v_mov_b32_e32 v46, v36
	v_mov_b32_e32 v137, v41
	;; [unrolled: 1-line block ×4, first 2 shown]
	buffer_store_dword v5, off, s[24:27], 0 offset:140 ; 4-byte Folded Spill
	buffer_load_dword v5, off, s[24:27], 0 offset:132 ; 4-byte Folded Reload
	v_mov_b32_e32 v140, v80
	s_ashr_i32 s3, s2, 31
	s_add_i32 s6, s14, -8
	s_mov_b32 s9, 0
	s_waitcnt vmcnt(0)
	v_add_nc_u32_e32 v5, 0x800, v5
	buffer_store_dword v5, off, s[24:27], 0 offset:144 ; 4-byte Folded Spill
	buffer_store_dword v6, off, s[24:27], 0 offset:148 ; 4-byte Folded Spill
	buffer_store_dword v0, off, s[24:27], 0 offset:160 ; 4-byte Folded Spill
	v_lshl_or_b32 v0, v0, 3, 0x800
	v_add_nc_u32_e32 v5, 12, v4
	buffer_store_dword v0, off, s[24:27], 0 offset:152 ; 4-byte Folded Spill
	buffer_store_dword v1, off, s[24:27], 0 offset:164 ; 4-byte Folded Spill
	v_lshl_add_u32 v0, v1, 3, 0x1200
	v_add_nc_u32_e32 v1, 8, v4
	v_mad_i64_i32 v[5:6], null, v5, s2, 0
	v_add_co_u32 v4, vcc_lo, s18, v2
	buffer_store_dword v0, off, s[24:27], 0 offset:156 ; 4-byte Folded Spill
	v_mad_i64_i32 v[0:1], null, v1, s2, 0
	v_add_co_ci_u32_e64 v7, null, s19, v3, vcc_lo
	v_lshlrev_b64 v[2:3], 1, v[5:6]
	v_add_co_u32 v36, vcc_lo, v4, 16
	v_add_co_ci_u32_e64 v37, null, 0, v7, vcc_lo
	v_lshlrev_b64 v[0:1], 1, v[0:1]
	v_add_co_u32 v136, vcc_lo, s16, v2
	v_add_co_ci_u32_e64 v112, null, s17, v3, vcc_lo
	s_lshl_b64 s[2:3], s[2:3], 4
	v_add_co_u32 v113, vcc_lo, s16, v0
	v_add_co_ci_u32_e64 v114, null, s17, v1, vcc_lo
.LBB259_9:                              ; =>This Inner Loop Header: Depth=1
	v_add_co_u32 v0, vcc_lo, v113, v170
	v_add_co_ci_u32_e64 v1, null, v114, v171, vcc_lo
	buffer_store_dword v74, off, s[24:27], 0 offset:84 ; 4-byte Folded Spill
	buffer_store_dword v65, off, s[24:27], 0 offset:76 ; 4-byte Folded Spill
	;; [unrolled: 1-line block ×5, first 2 shown]
	v_mov_b32_e32 v141, v12
	v_mov_b32_e32 v131, v241
	s_clause 0x3
	global_load_ushort v3, v[0:1], off
	global_load_ushort v4, v[0:1], off offset:128
	global_load_ushort v5, v[0:1], off offset:256
	;; [unrolled: 1-line block ×3, first 2 shown]
	global_load_ushort v2, v[36:37], off
	buffer_load_dword v0, off, s[24:27], 0 offset:152 ; 4-byte Folded Reload
	v_mov_b32_e32 v42, v212
	v_mov_b32_e32 v123, v169
	;; [unrolled: 1-line block ×21, first 2 shown]
	s_add_i32 s9, s9, 8
	s_cmp_ge_i32 s9, s6
	s_waitcnt vmcnt(0)
	ds_read2_b64 v[7:10], v0 offset1:32
	ds_read2_b64 v[11:14], v0 offset0:64 offset1:96
	ds_read2_b64 v[15:18], v0 offset0:128 offset1:160
	;; [unrolled: 1-line block ×3, first 2 shown]
	buffer_load_dword v0, off, s[24:27], 0 offset:156 ; 4-byte Folded Reload
	s_waitcnt vmcnt(0)
	ds_read2_b64 v[23:26], v0 offset1:8
	ds_read2_b64 v[27:30], v0 offset0:16 offset1:24
	ds_read2_b64 v[47:50], v0 offset0:32 offset1:40
	;; [unrolled: 1-line block ×3, first 2 shown]
	s_waitcnt lgkmcnt(3)
	v_pk_add_f16 v138, v7, v23
	v_pk_add_f16 v241, v7, v25
	s_waitcnt lgkmcnt(1)
	v_pk_add_f16 v1, v19, v49
	v_pk_add_f16 v212, v7, v27
	;; [unrolled: 1-line block ×5, first 2 shown]
	buffer_store_dword v1, off, s[24:27], 0 offset:124 ; 4-byte Folded Spill
	v_pk_add_f16 v1, v21, v49
	v_pk_add_f16 v38, v11, v23
	;; [unrolled: 1-line block ×5, first 2 shown]
	buffer_store_dword v1, off, s[24:27], 0 offset:116 ; 4-byte Folded Spill
	s_waitcnt lgkmcnt(0)
	v_pk_add_f16 v1, v7, v51
	v_pk_add_f16 v244, v19, v23
	v_pk_add_f16 v243, v21, v23
	v_pk_add_f16 v236, v11, v25
	v_pk_add_f16 v233, v13, v25
	buffer_store_dword v1, off, s[24:27], 0 offset:104 ; 4-byte Folded Spill
	v_pk_add_f16 v1, v9, v51
	v_pk_add_f16 v230, v15, v25
	v_pk_add_f16 v227, v17, v25
	v_pk_add_f16 v224, v19, v25
	v_pk_add_f16 v221, v21, v25
	buffer_store_dword v1, off, s[24:27], 0 offset:100 ; 4-byte Folded Spill
	;; [unrolled: 6-line block ×9, first 2 shown]
	buffer_store_dword v7, off, s[24:27], 0 offset:128 ; 4-byte Folded Spill
	v_pk_add_f16 v7, v16, v54
	v_pk_add_f16 v1, v9, v53
	v_pk_add_f16 v110, v10, v26
	v_pk_add_f16 v45, v12, v26
	v_pk_add_f16 v255, v16, v26
	buffer_store_dword v7, off, s[24:27], 0 offset:120 ; 4-byte Folded Spill
	v_pk_add_f16 v7, v18, v54
	buffer_store_dword v1, off, s[24:27], 0 offset:52 ; 4-byte Folded Spill
	v_pk_add_f16 v1, v11, v53
	v_pk_add_f16 v252, v18, v26
	v_pk_add_f16 v249, v20, v26
	buffer_store_dword v7, off, s[24:27], 0 offset:112 ; 4-byte Folded Spill
	v_pk_add_f16 v7, v20, v54
	buffer_store_dword v1, off, s[24:27], 0 offset:44 ; 4-byte Folded Spill
	v_pk_add_f16 v1, v13, v53
	v_pk_add_f16 v240, v10, v28
	v_pk_add_f16 v237, v12, v28
	;; [unrolled: 6-line block ×3, first 2 shown]
	buffer_store_dword v7, off, s[24:27], 0 offset:24 ; 4-byte Folded Spill
	buffer_load_dword v7, off, s[24:27], 0 offset:132 ; 4-byte Folded Reload
	buffer_store_dword v1, off, s[24:27], 0 offset:36 ; 4-byte Folded Spill
	v_pk_add_f16 v1, v17, v53
	v_pk_add_f16 v228, v18, v28
	v_pk_add_f16 v225, v20, v28
	v_pk_add_f16 v217, v10, v30
	v_pk_add_f16 v215, v12, v30
	buffer_store_dword v1, off, s[24:27], 0 offset:32 ; 4-byte Folded Spill
	v_pk_add_f16 v1, v19, v53
	v_pk_add_f16 v213, v14, v30
	v_pk_add_f16 v210, v16, v30
	v_pk_add_f16 v207, v18, v30
	v_pk_add_f16 v204, v20, v30
	;; [unrolled: 6-line block ×4, first 2 shown]
	v_pk_add_f16 v174, v12, v50
	v_pk_add_f16 v172, v14, v50
	;; [unrolled: 1-line block ×34, first 2 shown]
	s_waitcnt vmcnt(0)
	ds_write_b16 v7, v3
	ds_write_b16 v7, v4 offset:512
	ds_write_b16 v7, v5 offset:1024
	;; [unrolled: 1-line block ×3, first 2 shown]
	buffer_load_dword v3, off, s[24:27], 0 offset:136 ; 4-byte Folded Reload
	s_waitcnt vmcnt(0)
	ds_write_b16 v3, v2
	v_add_co_u32 v2, vcc_lo, v136, v170
	v_add_co_ci_u32_e64 v3, null, v112, v171, vcc_lo
	s_waitcnt lgkmcnt(0)
	s_waitcnt_vscnt null, 0x0
	s_barrier
	buffer_gl0_inv
	global_load_ushort v4, v[2:3], off
	s_waitcnt vmcnt(0)
	buffer_store_dword v4, off, s[24:27], 0 offset:4 ; 4-byte Folded Spill
	global_load_ushort v4, v[2:3], off offset:128
	s_waitcnt vmcnt(0)
	buffer_store_dword v4, off, s[24:27], 0 offset:8 ; 4-byte Folded Spill
	s_clause 0x1
	global_load_ushort v4, v[2:3], off offset:256
	global_load_ushort v2, v[2:3], off offset:384
	s_waitcnt vmcnt(1)
	buffer_store_dword v4, off, s[24:27], 0 offset:12 ; 4-byte Folded Spill
	s_waitcnt vmcnt(0)
	buffer_store_dword v2, off, s[24:27], 0 offset:16 ; 4-byte Folded Spill
	global_load_ushort v2, v[36:37], off offset:8
	v_add_co_u32 v36, vcc_lo, v36, 16
	v_add_co_ci_u32_e64 v37, null, 0, v37, vcc_lo
	v_add_co_u32 v136, vcc_lo, v136, s2
	v_add_co_ci_u32_e64 v112, null, s3, v112, vcc_lo
	;; [unrolled: 2-line block ×3, first 2 shown]
	s_waitcnt vmcnt(0)
	buffer_store_dword v2, off, s[24:27], 0 ; 4-byte Folded Spill
	ds_read2_b64 v[18:21], v187 offset1:32
	ds_read2_b64 v[14:17], v187 offset0:64 offset1:96
	ds_read2_b64 v[10:13], v187 offset0:128 offset1:160
	;; [unrolled: 1-line block ×3, first 2 shown]
	buffer_load_dword v6, off, s[24:27], 0 offset:140 ; 4-byte Folded Reload
	s_waitcnt vmcnt(0)
	ds_read2_b64 v[30:33], v6 offset1:8
	ds_read2_b64 v[26:29], v6 offset0:16 offset1:24
	ds_read2_b64 v[22:25], v6 offset0:32 offset1:40
	;; [unrolled: 1-line block ×3, first 2 shown]
	s_waitcnt lgkmcnt(3)
	v_pk_add_f16 v66, v18, v30
	v_pk_add_f16 v67, v20, v30
	v_pk_add_f16 v68, v14, v30
	v_pk_add_f16 v69, v16, v30
	v_pk_add_f16 v70, v10, v30
	v_pk_add_f16 v71, v12, v30
	v_pk_add_f16 v72, v2, v30
	v_pk_add_f16 v73, v4, v30
	v_pk_add_f16 v74, v18, v32
	v_pk_add_f16 v75, v20, v32
	v_pk_add_f16 v76, v14, v32
	v_pk_add_f16 v77, v16, v32
	v_pk_add_f16 v115, v10, v32
	v_pk_add_f16 v116, v12, v32
	v_pk_add_f16 v117, v2, v32
	v_pk_add_f16 v118, v4, v32
	s_waitcnt lgkmcnt(2)
	v_pk_add_f16 v64, v18, v26
	v_pk_add_f16 v62, v20, v26
	v_pk_add_f16 v60, v14, v26
	v_pk_add_f16 v58, v16, v26
	v_pk_add_f16 v56, v10, v26
	v_pk_add_f16 v54, v12, v26
	v_pk_add_f16 v52, v2, v26
	v_pk_add_f16 v50, v4, v26
	v_pk_add_f16 v48, v18, v28
	v_pk_add_f16 v109, v20, v28
	v_pk_add_f16 v47, v14, v28
	v_pk_add_f16 v44, v16, v28
	v_pk_add_f16 v254, v10, v28
	v_pk_add_f16 v251, v12, v28
	v_pk_add_f16 v248, v2, v28
	v_pk_add_f16 v245, v4, v28
	;; [unrolled: 17-line block ×4, first 2 shown]
	v_pk_max_f16 v8, v46, v46
	v_pk_add_f16 v4, v19, v31
	v_pk_min_f16 v8, v8, v138
	v_pk_min_f16 v8, v8, v65
	v_pk_min_f16 v8, v8, v66
	v_pk_min_f16 v46, v8, v4
	v_pk_max_f16 v8, v140, v140
	v_pk_add_f16 v4, v21, v31
	v_pk_min_f16 v0, v8, v0
	v_pk_min_f16 v0, v0, v63
	v_pk_min_f16 v0, v0, v67
	v_pk_min_f16 v140, v0, v4
	;; [unrolled: 6-line block ×11, first 2 shown]
	v_pk_max_f16 v4, v131, v131
	v_pk_add_f16 v0, v17, v33
	v_pk_min_f16 v4, v4, v233
	v_pk_min_f16 v1, v4, v1
	buffer_load_dword v4, off, s[24:27], 0 offset:124 ; 4-byte Folded Reload
	v_pk_min_f16 v1, v1, v77
	v_pk_min_f16 v241, v1, v0
	v_pk_max_f16 v1, v130, v130
	v_pk_add_f16 v0, v11, v33
	v_pk_min_f16 v1, v1, v230
	v_pk_min_f16 v1, v1, v255
	v_pk_min_f16 v1, v1, v115
	v_pk_min_f16 v239, v1, v0
	v_pk_max_f16 v1, v40, v40
	v_pk_add_f16 v0, v13, v33
	v_pk_min_f16 v1, v1, v227
	v_pk_min_f16 v1, v1, v252
	;; [unrolled: 6-line block ×34, first 2 shown]
	v_pk_min_f16 v1, v1, v202
	v_pk_min_f16 v93, v1, v0
	v_pk_max_f16 v1, v92, v92
	v_pk_add_f16 v0, v3, v25
	s_waitcnt vmcnt(0)
	v_pk_min_f16 v1, v1, v4
	buffer_load_dword v4, off, s[24:27], 0 offset:116 ; 4-byte Folded Reload
	v_pk_min_f16 v1, v1, v168
	v_pk_min_f16 v1, v1, v199
	v_pk_min_f16 v92, v1, v0
	v_pk_max_f16 v1, v91, v91
	v_pk_add_f16 v0, v5, v25
	s_waitcnt vmcnt(0)
	v_pk_min_f16 v1, v1, v4
	buffer_load_dword v4, off, s[24:27], 0 offset:104 ; 4-byte Folded Reload
	v_pk_min_f16 v1, v1, v166
	;; [unrolled: 8-line block ×10, first 2 shown]
	v_pk_min_f16 v1, v1, v24
	v_pk_min_f16 v83, v1, v0
	buffer_load_dword v1, off, s[24:27], 0 offset:76 ; 4-byte Folded Reload
	v_pk_add_f16 v0, v19, v9
	s_waitcnt vmcnt(0)
	v_pk_max_f16 v1, v1, v1
	v_pk_min_f16 v1, v1, v4
	buffer_load_dword v4, off, s[24:27], 0 offset:52 ; 4-byte Folded Reload
	v_pk_min_f16 v1, v1, v148
	v_pk_min_f16 v1, v1, v22
	;; [unrolled: 1-line block ×3, first 2 shown]
	v_pk_max_f16 v1, v90, v90
	v_pk_add_f16 v0, v21, v9
	s_waitcnt vmcnt(0)
	v_pk_min_f16 v1, v1, v4
	buffer_load_dword v4, off, s[24:27], 0 offset:44 ; 4-byte Folded Reload
	v_pk_min_f16 v1, v1, v146
	v_pk_min_f16 v1, v1, v20
	;; [unrolled: 1-line block ×3, first 2 shown]
	buffer_load_dword v1, off, s[24:27], 0 offset:64 ; 4-byte Folded Reload
	v_pk_add_f16 v0, v15, v9
	s_waitcnt vmcnt(0)
	v_pk_max_f16 v1, v1, v1
	v_pk_min_f16 v1, v1, v4
	buffer_load_dword v4, off, s[24:27], 0 offset:40 ; 4-byte Folded Reload
	v_pk_min_f16 v1, v1, v144
	v_pk_min_f16 v1, v1, v18
	;; [unrolled: 1-line block ×3, first 2 shown]
	v_pk_max_f16 v1, v120, v120
	v_pk_add_f16 v0, v17, v9
	s_waitcnt vmcnt(0)
	v_pk_min_f16 v1, v1, v4
	buffer_load_dword v4, off, s[24:27], 0 offset:128 ; 4-byte Folded Reload
	s_waitcnt vmcnt(0)
	v_pk_min_f16 v1, v1, v4
	buffer_load_dword v4, off, s[24:27], 0 offset:36 ; 4-byte Folded Reload
	v_pk_min_f16 v1, v1, v16
	v_pk_min_f16 v120, v1, v0
	buffer_load_dword v1, off, s[24:27], 0 offset:60 ; 4-byte Folded Reload
	v_pk_add_f16 v0, v11, v9
	s_waitcnt vmcnt(0)
	v_pk_max_f16 v1, v1, v1
	v_pk_min_f16 v1, v1, v4
	buffer_load_dword v4, off, s[24:27], 0 offset:120 ; 4-byte Folded Reload
	s_waitcnt vmcnt(0)
	v_pk_min_f16 v1, v1, v4
	buffer_load_dword v4, off, s[24:27], 0 offset:32 ; 4-byte Folded Reload
	v_pk_min_f16 v1, v1, v14
	v_pk_min_f16 v61, v1, v0
	v_pk_max_f16 v1, v122, v122
	v_pk_add_f16 v0, v13, v9
	s_waitcnt vmcnt(0)
	v_pk_min_f16 v1, v1, v4
	buffer_load_dword v4, off, s[24:27], 0 offset:112 ; 4-byte Folded Reload
	s_waitcnt vmcnt(0)
	v_pk_min_f16 v1, v1, v4
	v_pk_min_f16 v1, v1, v10
	;; [unrolled: 1-line block ×3, first 2 shown]
	buffer_load_dword v1, off, s[24:27], 0 offset:48 ; 4-byte Folded Reload
	v_pk_add_f16 v0, v3, v9
	buffer_load_dword v3, off, s[24:27], 0 offset:28 ; 4-byte Folded Reload
	s_waitcnt vmcnt(1)
	v_pk_max_f16 v1, v1, v1
	s_waitcnt vmcnt(0)
	v_pk_min_f16 v1, v1, v3
	buffer_load_dword v3, off, s[24:27], 0 offset:108 ; 4-byte Folded Reload
	s_waitcnt vmcnt(0)
	v_pk_min_f16 v1, v1, v3
	v_pk_add_f16 v3, v5, v9
	v_pk_min_f16 v1, v1, v6
	v_pk_min_f16 v59, v1, v0
	s_clause 0x1
	buffer_load_dword v0, off, s[24:27], 0 offset:84
	buffer_load_dword v1, off, s[24:27], 0 offset:20
	s_waitcnt vmcnt(1)
	v_pk_max_f16 v0, v0, v0
	s_waitcnt vmcnt(0)
	v_pk_min_f16 v0, v0, v1
	buffer_load_dword v1, off, s[24:27], 0 offset:24 ; 4-byte Folded Reload
	s_waitcnt vmcnt(0)
	v_pk_min_f16 v0, v0, v1
	v_pk_min_f16 v0, v0, v2
	;; [unrolled: 1-line block ×3, first 2 shown]
	s_clause 0x1
	buffer_load_dword v0, off, s[24:27], 0 offset:144
	buffer_load_dword v1, off, s[24:27], 0 offset:4
	s_waitcnt vmcnt(0)
	ds_write_b16 v0, v1
	buffer_load_dword v1, off, s[24:27], 0 offset:8 ; 4-byte Folded Reload
	s_waitcnt vmcnt(0)
	ds_write_b16 v0, v1 offset:512
	buffer_load_dword v1, off, s[24:27], 0 offset:12 ; 4-byte Folded Reload
	s_waitcnt vmcnt(0)
	ds_write_b16 v0, v1 offset:1024
	;; [unrolled: 3-line block ×3, first 2 shown]
	s_clause 0x1
	buffer_load_dword v0, off, s[24:27], 0 offset:148
	buffer_load_dword v1, off, s[24:27], 0
	s_waitcnt vmcnt(0)
	ds_write_b16 v0, v1
	s_waitcnt lgkmcnt(0)
	s_waitcnt_vscnt null, 0x0
	s_barrier
	buffer_gl0_inv
	s_cbranch_scc0 .LBB259_9
; %bb.10:
	s_clause 0x2
	buffer_load_dword v0, off, s[24:27], 0 offset:160
	buffer_load_dword v1, off, s[24:27], 0 offset:164
	;; [unrolled: 1-line block ×3, first 2 shown]
	v_mov_b32_e32 v41, v137
	v_mov_b32_e32 v42, v142
	;; [unrolled: 1-line block ×5, first 2 shown]
.LBB259_11:
	s_load_dword s2, s[4:5], 0x50
	s_waitcnt vmcnt(1)
	v_add_nc_u32_e32 v109, s8, v1
	ds_read_b64 v[30:31], v187 offset:2048
	s_waitcnt vmcnt(0)
	ds_read_b64 v[46:47], v128 offset:4608
	v_add_nc_u32_e32 v44, s1, v0
	v_cmp_neq_f16_e64 s6, s15, 0
	v_mov_b32_e32 v78, v12
	v_mov_b32_e32 v34, 0
	;; [unrolled: 1-line block ×3, first 2 shown]
	v_ashrrev_i32_e32 v45, 31, v44
	s_and_b32 vcc_lo, exec_lo, s6
	v_lshlrev_b64 v[28:29], 1, v[44:45]
	s_waitcnt lgkmcnt(0)
	v_mad_i64_i32 v[1:2], null, v109, s2, 0
	v_lshlrev_b64 v[0:1], 1, v[1:2]
	v_add_co_u32 v48, s1, s12, v0
	v_add_co_ci_u32_e64 v49, null, s13, v1, s1
	s_cbranch_vccz .LBB259_13
; %bb.12:
	v_add_co_u32 v0, vcc_lo, v48, v28
	v_add_co_ci_u32_e64 v1, null, v49, v29, vcc_lo
	global_load_ushort v0, v[0:1], off
	s_waitcnt vmcnt(0)
	v_mul_f16_e32 v0, s15, v0
	v_cvt_f32_f16_e32 v32, v0
.LBB259_13:
	s_clause 0x1
	s_load_dwordx2 s[8:9], s[4:5], 0x70
	s_load_dword s3, s[4:5], 0x68
	v_pk_add_f16 v13, v30, v46
	v_pk_add_f16 v26, v31, v47
	v_max_f16_e32 v14, v36, v36
	v_lshrrev_b32_e32 v15, 16, v36
	v_add_nc_u32_e32 v0, 0x800, v187
	v_lshrrev_b32_e32 v27, 16, v13
	v_lshrrev_b32_e32 v33, 16, v26
	v_min_f16_e32 v37, v14, v13
	v_add_nc_u32_e32 v12, 0x1000, v128
	ds_read_b64 v[24:25], v187 offset:3840
	ds_read2_b64 v[8:11], v0 offset0:32 offset1:64
	ds_read2_b64 v[4:7], v0 offset0:96 offset1:128
	v_min3_f16 v27, v15, v27, v33
	ds_read2_b64 v[0:3], v0 offset0:160 offset1:192
	ds_read2_b64 v[20:23], v12 offset0:72 offset1:80
	;; [unrolled: 1-line block ×4, first 2 shown]
	v_max_f32_e32 v40, v32, v32
	v_min3_f16 v33, v37, v26, v27
	ds_read_b64 v[26:27], v128 offset:5056
	s_waitcnt lgkmcnt(0)
	s_mul_i32 s1, s9, s7
	v_mad_i64_i32 v[35:36], null, v109, s3, 0
	s_mul_hi_u32 s4, s8, s7
	v_cvt_f32_f16_e32 v39, v33
	s_add_i32 s5, s4, s1
	s_mul_i32 s4, s8, s7
	v_add_nc_u32_e32 v37, 32, v44
	s_lshl_b64 s[4:5], s[4:5], 1
	v_lshlrev_b64 v[32:33], 1, v[35:36]
	s_add_u32 s4, s10, s4
	s_addc_u32 s5, s11, s5
	v_min_f32_e32 v35, v40, v39
	v_ashrrev_i32_e32 v38, 31, v37
	v_cndmask_b32_e64 v36, 0, 1, s6
	v_add_co_u32 v50, vcc_lo, s4, v32
	v_add_co_ci_u32_e64 v51, null, s5, v33, vcc_lo
	v_cvt_f16_f32_e32 v39, v35
	v_add_co_u32 v35, vcc_lo, v50, v28
	v_lshlrev_b64 v[32:33], 1, v[37:38]
	v_cmp_ne_u32_e64 s1, 1, v36
	v_add_co_ci_u32_e64 v36, null, v51, v29, vcc_lo
	s_andn2_b32 vcc_lo, exec_lo, s6
	global_store_short v[35:36], v39, off
	s_cbranch_vccnz .LBB259_15
; %bb.14:
	v_add_co_u32 v34, vcc_lo, v48, v32
	v_add_co_ci_u32_e64 v35, null, v49, v33, vcc_lo
	global_load_ushort v34, v[34:35], off
	s_waitcnt vmcnt(0)
	v_mul_f16_e32 v34, s15, v34
	v_cvt_f32_f16_e32 v34, v34
.LBB259_15:
	v_pk_add_f16 v35, v8, v46
	v_pk_add_f16 v36, v9, v47
	v_max_f16_e32 v37, v80, v80
	v_lshrrev_b32_e32 v38, 16, v80
	v_max_f32_e32 v34, v34, v34
	v_lshrrev_b32_e32 v39, 16, v35
	v_lshrrev_b32_e32 v40, 16, v36
	v_min_f16_e32 v35, v37, v35
	v_min3_f16 v37, v38, v39, v40
	v_add_co_u32 v39, vcc_lo, v50, v32
	v_add_co_ci_u32_e64 v40, null, v51, v33, vcc_lo
	v_min3_f16 v36, v35, v36, v37
	v_add_nc_u32_e32 v35, 64, v44
	v_mov_b32_e32 v38, 0
	s_and_b32 vcc_lo, exec_lo, s1
	v_cvt_f32_f16_e32 v37, v36
	v_ashrrev_i32_e32 v36, 31, v35
	v_min_f32_e32 v34, v34, v37
	v_cvt_f16_f32_e32 v37, v34
	v_lshlrev_b64 v[34:35], 1, v[35:36]
	v_mov_b32_e32 v36, 0
	global_store_short v[39:40], v37, off
	s_cbranch_vccnz .LBB259_17
; %bb.16:
	v_add_co_u32 v36, vcc_lo, v48, v34
	v_add_co_ci_u32_e64 v37, null, v49, v35, vcc_lo
	global_load_ushort v36, v[36:37], off
	s_waitcnt vmcnt(0)
	v_mul_f16_e32 v36, s15, v36
	v_cvt_f32_f16_e32 v36, v36
.LBB259_17:
	v_pk_add_f16 v37, v10, v46
	v_pk_add_f16 v39, v11, v47
	v_max_f16_e32 v40, v56, v56
	v_lshrrev_b32_e32 v43, 16, v56
	v_max_f32_e32 v36, v36, v36
	v_lshrrev_b32_e32 v45, 16, v37
	v_lshrrev_b32_e32 v52, 16, v39
	v_min_f16_e32 v37, v40, v37
	v_min3_f16 v40, v43, v45, v52
	v_add_co_u32 v52, vcc_lo, v50, v34
	v_add_co_ci_u32_e64 v53, null, v51, v35, vcc_lo
	v_min3_f16 v37, v37, v39, v40
	v_add_nc_u32_e32 v39, 0x60, v44
	s_and_b32 vcc_lo, exec_lo, s1
	v_cvt_f32_f16_e32 v37, v37
	v_ashrrev_i32_e32 v40, 31, v39
	v_min_f32_e32 v36, v36, v37
	v_cvt_f16_f32_e32 v43, v36
	v_lshlrev_b64 v[36:37], 1, v[39:40]
	global_store_short v[52:53], v43, off
	s_cbranch_vccnz .LBB259_19
; %bb.18:
	v_add_co_u32 v38, vcc_lo, v48, v36
	v_add_co_ci_u32_e64 v39, null, v49, v37, vcc_lo
	global_load_ushort v38, v[38:39], off
	s_waitcnt vmcnt(0)
	v_mul_f16_e32 v38, s15, v38
	v_cvt_f32_f16_e32 v38, v38
.LBB259_19:
	v_pk_add_f16 v39, v4, v46
	v_pk_add_f16 v40, v5, v47
	v_max_f16_e32 v43, v42, v42
	v_lshrrev_b32_e32 v42, 16, v42
	v_max_f32_e32 v38, v38, v38
	v_lshrrev_b32_e32 v45, 16, v39
	v_lshrrev_b32_e32 v52, 16, v40
	v_min_f16_e32 v39, v43, v39
	v_min3_f16 v42, v42, v45, v52
	v_add_co_u32 v52, vcc_lo, v50, v36
	v_add_co_ci_u32_e64 v53, null, v51, v37, vcc_lo
	v_min3_f16 v40, v39, v40, v42
	v_add_nc_u32_e32 v39, 0x80, v44
	s_and_b32 vcc_lo, exec_lo, s1
	v_cvt_f32_f16_e32 v42, v40
	v_ashrrev_i32_e32 v40, 31, v39
	v_min_f32_e32 v42, v38, v42
	v_mov_b32_e32 v38, 0
	v_cvt_f16_f32_e32 v45, v42
	v_lshlrev_b64 v[42:43], 1, v[39:40]
	v_mov_b32_e32 v39, 0
	global_store_short v[52:53], v45, off
	s_cbranch_vccnz .LBB259_21
; %bb.20:
	v_add_co_u32 v39, vcc_lo, v48, v42
	v_add_co_ci_u32_e64 v40, null, v49, v43, vcc_lo
	global_load_ushort v39, v[39:40], off
	s_waitcnt vmcnt(0)
	v_mul_f16_e32 v39, s15, v39
	v_cvt_f32_f16_e32 v39, v39
.LBB259_21:
	v_pk_add_f16 v40, v6, v46
	v_pk_add_f16 v45, v7, v47
	v_max_f16_e32 v52, v41, v41
	v_lshrrev_b32_e32 v41, 16, v41
	v_max_f32_e32 v39, v39, v39
	v_lshrrev_b32_e32 v53, 16, v40
	v_lshrrev_b32_e32 v54, 16, v45
	v_min_f16_e32 v40, v52, v40
	v_add_co_u32 v52, vcc_lo, v50, v42
	v_min3_f16 v41, v41, v53, v54
	v_add_co_ci_u32_e64 v53, null, v51, v43, vcc_lo
	s_and_b32 vcc_lo, exec_lo, s1
	v_min3_f16 v41, v40, v45, v41
	v_add_nc_u32_e32 v40, 0xa0, v44
	v_cvt_f32_f16_e32 v45, v41
	v_ashrrev_i32_e32 v41, 31, v40
	v_min_f32_e32 v39, v39, v45
	v_lshlrev_b64 v[40:41], 1, v[40:41]
	v_cvt_f16_f32_e32 v39, v39
	global_store_short v[52:53], v39, off
	s_cbranch_vccnz .LBB259_23
; %bb.22:
	v_add_co_u32 v38, vcc_lo, v48, v40
	v_add_co_ci_u32_e64 v39, null, v49, v41, vcc_lo
	global_load_ushort v38, v[38:39], off
	s_waitcnt vmcnt(0)
	v_mul_f16_e32 v38, s15, v38
	v_cvt_f32_f16_e32 v38, v38
.LBB259_23:
	v_pk_add_f16 v39, v0, v46
	v_pk_add_f16 v45, v1, v47
	v_max_f16_e32 v52, v57, v57
	v_lshrrev_b32_e32 v53, 16, v57
	v_max_f32_e32 v38, v38, v38
	v_lshrrev_b32_e32 v54, 16, v39
	v_lshrrev_b32_e32 v55, 16, v45
	v_min_f16_e32 v39, v52, v39
	v_min3_f16 v52, v53, v54, v55
	v_add_nc_u32_e32 v53, 0xc0, v44
	v_add_co_u32 v55, vcc_lo, v50, v40
	v_add_co_ci_u32_e64 v56, null, v51, v41, vcc_lo
	v_min3_f16 v39, v39, v45, v52
	v_ashrrev_i32_e32 v54, 31, v53
	v_mov_b32_e32 v52, 0
	v_mov_b32_e32 v45, 0
	s_and_b32 vcc_lo, exec_lo, s1
	v_cvt_f32_f16_e32 v39, v39
	v_min_f32_e32 v38, v38, v39
	v_cvt_f16_f32_e32 v57, v38
	v_lshlrev_b64 v[38:39], 1, v[53:54]
	global_store_short v[55:56], v57, off
	s_cbranch_vccnz .LBB259_25
; %bb.24:
	v_add_co_u32 v53, vcc_lo, v48, v38
	v_add_co_ci_u32_e64 v54, null, v49, v39, vcc_lo
	global_load_ushort v45, v[53:54], off
	s_waitcnt vmcnt(0)
	v_mul_f16_e32 v45, s15, v45
	v_cvt_f32_f16_e32 v45, v45
.LBB259_25:
	v_pk_add_f16 v53, v2, v46
	v_pk_add_f16 v54, v3, v47
	v_max_f16_e32 v55, v253, v253
	v_lshrrev_b32_e32 v56, 16, v253
	v_add_nc_u32_e32 v44, 0xe0, v44
	v_lshrrev_b32_e32 v57, 16, v53
	v_lshrrev_b32_e32 v58, 16, v54
	v_min_f16_e32 v53, v55, v53
	v_min3_f16 v55, v56, v57, v58
	v_min3_f16 v53, v53, v54, v55
	v_max_f32_e32 v54, v45, v45
	v_ashrrev_i32_e32 v45, 31, v44
	v_cvt_f32_f16_e32 v53, v53
	v_lshlrev_b64 v[44:45], 1, v[44:45]
	v_min_f32_e32 v55, v54, v53
	v_add_co_u32 v53, vcc_lo, v50, v38
	v_add_co_ci_u32_e64 v54, null, v51, v39, vcc_lo
	v_cvt_f16_f32_e32 v55, v55
	s_and_b32 vcc_lo, exec_lo, s1
	global_store_short v[53:54], v55, off
	s_cbranch_vccnz .LBB259_27
; %bb.26:
	v_add_co_u32 v48, vcc_lo, v48, v44
	v_add_co_ci_u32_e64 v49, null, v49, v45, vcc_lo
	global_load_ushort v48, v[48:49], off
	s_waitcnt vmcnt(0)
	v_mul_f16_e32 v48, s15, v48
	v_cvt_f32_f16_e32 v52, v48
.LBB259_27:
	v_pk_add_f16 v46, v24, v46
	v_pk_add_f16 v49, v25, v47
	v_max_f16_e32 v47, v82, v82
	v_lshrrev_b32_e32 v53, 16, v82
	v_add_nc_u32_e32 v48, 8, v109
	v_lshrrev_b32_e32 v54, 16, v46
	v_lshrrev_b32_e32 v55, 16, v49
	v_min_f16_e32 v56, v47, v46
	v_mad_i64_i32 v[46:47], null, v48, s2, 0
	v_min3_f16 v53, v53, v54, v55
	v_max_f32_e32 v54, v52, v52
	v_add_co_u32 v52, vcc_lo, v50, v44
	v_mov_b32_e32 v50, 0
	v_min3_f16 v49, v56, v49, v53
	v_lshlrev_b64 v[46:47], 1, v[46:47]
	v_add_co_ci_u32_e64 v53, null, v51, v45, vcc_lo
	v_cvt_f32_f16_e32 v49, v49
	v_add_co_u32 v46, vcc_lo, s12, v46
	v_add_co_ci_u32_e64 v47, null, s13, v47, vcc_lo
	v_min_f32_e32 v49, v54, v49
	s_and_b32 vcc_lo, exec_lo, s1
	v_cvt_f16_f32_e32 v51, v49
	v_mov_b32_e32 v49, 0
	global_store_short v[52:53], v51, off
	s_cbranch_vccnz .LBB259_29
; %bb.28:
	v_add_co_u32 v51, vcc_lo, v46, v28
	v_add_co_ci_u32_e64 v52, null, v47, v29, vcc_lo
	global_load_ushort v49, v[51:52], off
	s_waitcnt vmcnt(0)
	v_mul_f16_e32 v49, s15, v49
	v_cvt_f32_f16_e32 v49, v49
.LBB259_29:
	v_pk_add_f16 v51, v30, v20
	v_pk_add_f16 v53, v31, v21
	v_max_f16_e32 v52, v247, v247
	v_lshrrev_b32_e32 v54, 16, v247
	v_lshrrev_b32_e32 v55, 16, v51
	;; [unrolled: 1-line block ×3, first 2 shown]
	v_min_f16_e32 v57, v52, v51
	v_mad_i64_i32 v[51:52], null, v48, s3, 0
	v_min3_f16 v54, v54, v55, v56
	v_min3_f16 v48, v57, v53, v54
	v_max_f32_e32 v53, v49, v49
	v_cvt_f32_f16_e32 v54, v48
	v_lshlrev_b64 v[48:49], 1, v[51:52]
	v_min_f32_e32 v51, v53, v54
	v_add_co_u32 v48, vcc_lo, s4, v48
	v_add_co_ci_u32_e64 v49, null, s5, v49, vcc_lo
	v_cvt_f16_f32_e32 v53, v51
	v_add_co_u32 v51, vcc_lo, v48, v28
	v_add_co_ci_u32_e64 v52, null, v49, v29, vcc_lo
	s_and_b32 vcc_lo, exec_lo, s1
	global_store_short v[51:52], v53, off
	s_cbranch_vccnz .LBB259_31
; %bb.30:
	v_add_co_u32 v50, vcc_lo, v46, v32
	v_add_co_ci_u32_e64 v51, null, v47, v33, vcc_lo
	global_load_ushort v50, v[50:51], off
	s_waitcnt vmcnt(0)
	v_mul_f16_e32 v50, s15, v50
	v_cvt_f32_f16_e32 v50, v50
.LBB259_31:
	v_pk_add_f16 v51, v8, v20
	v_pk_add_f16 v52, v9, v21
	v_max_f16_e32 v53, v133, v133
	v_lshrrev_b32_e32 v54, 16, v133
	v_max_f32_e32 v50, v50, v50
	v_lshrrev_b32_e32 v55, 16, v51
	v_lshrrev_b32_e32 v56, 16, v52
	v_min_f16_e32 v51, v53, v51
	v_min3_f16 v53, v54, v55, v56
	v_min3_f16 v51, v51, v52, v53
	v_add_co_u32 v52, vcc_lo, v48, v32
	v_add_co_ci_u32_e64 v53, null, v49, v33, vcc_lo
	v_cvt_f32_f16_e32 v51, v51
	s_and_b32 vcc_lo, exec_lo, s1
	v_min_f32_e32 v50, v50, v51
	v_mov_b32_e32 v51, 0
	v_cvt_f16_f32_e32 v54, v50
	v_mov_b32_e32 v50, 0
	global_store_short v[52:53], v54, off
	s_cbranch_vccnz .LBB259_33
; %bb.32:
	v_add_co_u32 v51, vcc_lo, v46, v34
	v_add_co_ci_u32_e64 v52, null, v47, v35, vcc_lo
	global_load_ushort v51, v[51:52], off
	s_waitcnt vmcnt(0)
	v_mul_f16_e32 v51, s15, v51
	v_cvt_f32_f16_e32 v51, v51
.LBB259_33:
	v_pk_add_f16 v52, v10, v20
	v_pk_add_f16 v53, v11, v21
	v_max_f16_e32 v54, v243, v243
	v_lshrrev_b32_e32 v55, 16, v243
	v_max_f32_e32 v51, v51, v51
	v_lshrrev_b32_e32 v56, 16, v52
	v_lshrrev_b32_e32 v57, 16, v53
	v_min_f16_e32 v52, v54, v52
	v_min3_f16 v54, v55, v56, v57
	v_min3_f16 v52, v52, v53, v54
	v_cvt_f32_f16_e32 v52, v52
	v_min_f32_e32 v51, v51, v52
	v_cvt_f16_f32_e32 v53, v51
	v_add_co_u32 v51, vcc_lo, v48, v34
	v_add_co_ci_u32_e64 v52, null, v49, v35, vcc_lo
	s_and_b32 vcc_lo, exec_lo, s1
	global_store_short v[51:52], v53, off
	s_cbranch_vccnz .LBB259_35
; %bb.34:
	v_add_co_u32 v50, vcc_lo, v46, v36
	v_add_co_ci_u32_e64 v51, null, v47, v37, vcc_lo
	global_load_ushort v50, v[50:51], off
	s_waitcnt vmcnt(0)
	v_mul_f16_e32 v50, s15, v50
	v_cvt_f32_f16_e32 v50, v50
.LBB259_35:
	v_pk_add_f16 v51, v4, v20
	v_pk_add_f16 v52, v5, v21
	v_max_f16_e32 v53, v241, v241
	v_lshrrev_b32_e32 v54, 16, v241
	v_max_f32_e32 v50, v50, v50
	v_lshrrev_b32_e32 v55, 16, v51
	v_lshrrev_b32_e32 v56, 16, v52
	v_min_f16_e32 v51, v53, v51
	v_min3_f16 v53, v54, v55, v56
	v_min3_f16 v51, v51, v52, v53
	v_add_co_u32 v52, vcc_lo, v48, v36
	v_add_co_ci_u32_e64 v53, null, v49, v37, vcc_lo
	v_cvt_f32_f16_e32 v51, v51
	s_and_b32 vcc_lo, exec_lo, s1
	v_min_f32_e32 v50, v50, v51
	v_mov_b32_e32 v51, 0
	v_cvt_f16_f32_e32 v54, v50
	v_mov_b32_e32 v50, 0
	global_store_short v[52:53], v54, off
	s_cbranch_vccnz .LBB259_37
; %bb.36:
	v_add_co_u32 v51, vcc_lo, v46, v42
	v_add_co_ci_u32_e64 v52, null, v47, v43, vcc_lo
	global_load_ushort v51, v[51:52], off
	s_waitcnt vmcnt(0)
	v_mul_f16_e32 v51, s15, v51
	v_cvt_f32_f16_e32 v51, v51
.LBB259_37:
	v_pk_add_f16 v52, v6, v20
	v_pk_add_f16 v53, v7, v21
	v_max_f16_e32 v54, v239, v239
	v_lshrrev_b32_e32 v55, 16, v239
	v_max_f32_e32 v51, v51, v51
	v_lshrrev_b32_e32 v56, 16, v52
	v_lshrrev_b32_e32 v57, 16, v53
	v_min_f16_e32 v52, v54, v52
	v_min3_f16 v54, v55, v56, v57
	v_min3_f16 v52, v52, v53, v54
	v_cvt_f32_f16_e32 v52, v52
	v_min_f32_e32 v51, v51, v52
	;; [unrolled: 54-line block ×3, first 2 shown]
	v_cvt_f16_f32_e32 v53, v51
	v_add_co_u32 v51, vcc_lo, v48, v38
	v_add_co_ci_u32_e64 v52, null, v49, v39, vcc_lo
	s_and_b32 vcc_lo, exec_lo, s1
	global_store_short v[51:52], v53, off
	s_cbranch_vccnz .LBB259_43
; %bb.42:
	v_add_co_u32 v46, vcc_lo, v46, v44
	v_add_co_ci_u32_e64 v47, null, v47, v45, vcc_lo
	global_load_ushort v46, v[46:47], off
	s_waitcnt vmcnt(0)
	v_mul_f16_e32 v46, s15, v46
	v_cvt_f32_f16_e32 v50, v46
.LBB259_43:
	v_pk_add_f16 v20, v24, v20
	v_pk_add_f16 v47, v25, v21
	v_max_f16_e32 v21, v108, v108
	v_lshrrev_b32_e32 v51, 16, v108
	v_add_nc_u32_e32 v46, 16, v109
	v_lshrrev_b32_e32 v52, 16, v20
	v_lshrrev_b32_e32 v53, 16, v47
	v_min_f16_e32 v54, v21, v20
	v_mad_i64_i32 v[20:21], null, v46, s2, 0
	v_min3_f16 v51, v51, v52, v53
	v_max_f32_e32 v52, v50, v50
	v_add_co_u32 v50, vcc_lo, v48, v44
	v_mov_b32_e32 v48, 0
	v_min3_f16 v47, v54, v47, v51
	v_lshlrev_b64 v[20:21], 1, v[20:21]
	v_add_co_ci_u32_e64 v51, null, v49, v45, vcc_lo
	v_cvt_f32_f16_e32 v47, v47
	v_add_co_u32 v20, vcc_lo, s12, v20
	v_add_co_ci_u32_e64 v21, null, s13, v21, vcc_lo
	v_min_f32_e32 v47, v52, v47
	s_and_b32 vcc_lo, exec_lo, s1
	v_cvt_f16_f32_e32 v49, v47
	v_mov_b32_e32 v47, 0
	global_store_short v[50:51], v49, off
	s_cbranch_vccnz .LBB259_45
; %bb.44:
	v_add_co_u32 v49, vcc_lo, v20, v28
	v_add_co_ci_u32_e64 v50, null, v21, v29, vcc_lo
	global_load_ushort v47, v[49:50], off
	s_waitcnt vmcnt(0)
	v_mul_f16_e32 v47, s15, v47
	v_cvt_f32_f16_e32 v47, v47
.LBB259_45:
	v_pk_add_f16 v49, v30, v22
	v_pk_add_f16 v51, v31, v23
	v_max_f16_e32 v50, v227, v227
	v_lshrrev_b32_e32 v52, 16, v227
	v_lshrrev_b32_e32 v53, 16, v49
	;; [unrolled: 1-line block ×3, first 2 shown]
	v_min_f16_e32 v55, v50, v49
	v_mad_i64_i32 v[49:50], null, v46, s3, 0
	v_min3_f16 v52, v52, v53, v54
	v_min3_f16 v46, v55, v51, v52
	v_max_f32_e32 v51, v47, v47
	v_cvt_f32_f16_e32 v52, v46
	v_lshlrev_b64 v[46:47], 1, v[49:50]
	v_min_f32_e32 v49, v51, v52
	v_add_co_u32 v46, vcc_lo, s4, v46
	v_add_co_ci_u32_e64 v47, null, s5, v47, vcc_lo
	v_cvt_f16_f32_e32 v51, v49
	v_add_co_u32 v49, vcc_lo, v46, v28
	v_add_co_ci_u32_e64 v50, null, v47, v29, vcc_lo
	s_and_b32 vcc_lo, exec_lo, s1
	global_store_short v[49:50], v51, off
	s_cbranch_vccnz .LBB259_47
; %bb.46:
	v_add_co_u32 v48, vcc_lo, v20, v32
	v_add_co_ci_u32_e64 v49, null, v21, v33, vcc_lo
	global_load_ushort v48, v[48:49], off
	s_waitcnt vmcnt(0)
	v_mul_f16_e32 v48, s15, v48
	v_cvt_f32_f16_e32 v48, v48
.LBB259_47:
	v_pk_add_f16 v49, v8, v22
	v_pk_add_f16 v50, v9, v23
	v_max_f16_e32 v51, v107, v107
	v_lshrrev_b32_e32 v52, 16, v107
	v_max_f32_e32 v48, v48, v48
	v_lshrrev_b32_e32 v53, 16, v49
	v_lshrrev_b32_e32 v54, 16, v50
	v_min_f16_e32 v49, v51, v49
	v_min3_f16 v51, v52, v53, v54
	v_min3_f16 v49, v49, v50, v51
	v_add_co_u32 v50, vcc_lo, v46, v32
	v_add_co_ci_u32_e64 v51, null, v47, v33, vcc_lo
	v_cvt_f32_f16_e32 v49, v49
	s_and_b32 vcc_lo, exec_lo, s1
	v_min_f32_e32 v48, v48, v49
	v_mov_b32_e32 v49, 0
	v_cvt_f16_f32_e32 v52, v48
	v_mov_b32_e32 v48, 0
	global_store_short v[50:51], v52, off
	s_cbranch_vccnz .LBB259_49
; %bb.48:
	v_add_co_u32 v49, vcc_lo, v20, v34
	v_add_co_ci_u32_e64 v50, null, v21, v35, vcc_lo
	global_load_ushort v49, v[49:50], off
	s_waitcnt vmcnt(0)
	v_mul_f16_e32 v49, s15, v49
	v_cvt_f32_f16_e32 v49, v49
.LBB259_49:
	v_pk_add_f16 v50, v10, v22
	v_pk_add_f16 v51, v11, v23
	v_max_f16_e32 v52, v221, v221
	v_lshrrev_b32_e32 v53, 16, v221
	v_max_f32_e32 v49, v49, v49
	v_lshrrev_b32_e32 v54, 16, v50
	v_lshrrev_b32_e32 v55, 16, v51
	v_min_f16_e32 v50, v52, v50
	v_min3_f16 v52, v53, v54, v55
	v_min3_f16 v50, v50, v51, v52
	v_cvt_f32_f16_e32 v50, v50
	v_min_f32_e32 v49, v49, v50
	v_cvt_f16_f32_e32 v51, v49
	v_add_co_u32 v49, vcc_lo, v46, v34
	v_add_co_ci_u32_e64 v50, null, v47, v35, vcc_lo
	s_and_b32 vcc_lo, exec_lo, s1
	global_store_short v[49:50], v51, off
	s_cbranch_vccnz .LBB259_51
; %bb.50:
	v_add_co_u32 v48, vcc_lo, v20, v36
	v_add_co_ci_u32_e64 v49, null, v21, v37, vcc_lo
	global_load_ushort v48, v[48:49], off
	s_waitcnt vmcnt(0)
	v_mul_f16_e32 v48, s15, v48
	v_cvt_f32_f16_e32 v48, v48
.LBB259_51:
	v_pk_add_f16 v49, v4, v22
	v_pk_add_f16 v50, v5, v23
	v_max_f16_e32 v51, v212, v212
	v_lshrrev_b32_e32 v52, 16, v212
	v_max_f32_e32 v48, v48, v48
	v_lshrrev_b32_e32 v53, 16, v49
	v_lshrrev_b32_e32 v54, 16, v50
	v_min_f16_e32 v49, v51, v49
	v_min3_f16 v51, v52, v53, v54
	v_min3_f16 v49, v49, v50, v51
	v_add_co_u32 v50, vcc_lo, v46, v36
	v_add_co_ci_u32_e64 v51, null, v47, v37, vcc_lo
	v_cvt_f32_f16_e32 v49, v49
	s_and_b32 vcc_lo, exec_lo, s1
	v_min_f32_e32 v48, v48, v49
	v_mov_b32_e32 v49, 0
	v_cvt_f16_f32_e32 v52, v48
	v_mov_b32_e32 v48, 0
	global_store_short v[50:51], v52, off
	s_cbranch_vccnz .LBB259_53
; %bb.52:
	v_add_co_u32 v49, vcc_lo, v20, v42
	v_add_co_ci_u32_e64 v50, null, v21, v43, vcc_lo
	global_load_ushort v49, v[49:50], off
	s_waitcnt vmcnt(0)
	v_mul_f16_e32 v49, s15, v49
	v_cvt_f32_f16_e32 v49, v49
.LBB259_53:
	v_pk_add_f16 v50, v6, v22
	v_pk_add_f16 v51, v7, v23
	v_max_f16_e32 v52, v209, v209
	v_lshrrev_b32_e32 v53, 16, v209
	v_max_f32_e32 v49, v49, v49
	v_lshrrev_b32_e32 v54, 16, v50
	v_lshrrev_b32_e32 v55, 16, v51
	v_min_f16_e32 v50, v52, v50
	v_min3_f16 v52, v53, v54, v55
	v_min3_f16 v50, v50, v51, v52
	v_cvt_f32_f16_e32 v50, v50
	v_min_f32_e32 v49, v49, v50
	;; [unrolled: 54-line block ×3, first 2 shown]
	v_cvt_f16_f32_e32 v51, v49
	v_add_co_u32 v49, vcc_lo, v46, v38
	v_add_co_ci_u32_e64 v50, null, v47, v39, vcc_lo
	s_and_b32 vcc_lo, exec_lo, s1
	global_store_short v[49:50], v51, off
	s_cbranch_vccnz .LBB259_59
; %bb.58:
	v_add_co_u32 v20, vcc_lo, v20, v44
	v_add_co_ci_u32_e64 v21, null, v21, v45, vcc_lo
	global_load_ushort v20, v[20:21], off
	s_waitcnt vmcnt(0)
	v_mul_f16_e32 v20, s15, v20
	v_cvt_f32_f16_e32 v48, v20
.LBB259_59:
	v_pk_add_f16 v20, v24, v22
	v_pk_add_f16 v23, v25, v23
	v_max_f16_e32 v21, v203, v203
	v_lshrrev_b32_e32 v49, 16, v203
	v_add_nc_u32_e32 v22, 24, v109
	v_lshrrev_b32_e32 v50, 16, v20
	v_lshrrev_b32_e32 v51, 16, v23
	v_min_f16_e32 v52, v21, v20
	v_mad_i64_i32 v[20:21], null, v22, s2, 0
	v_min3_f16 v49, v49, v50, v51
	v_max_f32_e32 v50, v48, v48
	v_add_co_u32 v48, vcc_lo, v46, v44
	v_mov_b32_e32 v46, 0
	v_min3_f16 v23, v52, v23, v49
	v_lshlrev_b64 v[20:21], 1, v[20:21]
	v_add_co_ci_u32_e64 v49, null, v47, v45, vcc_lo
	v_cvt_f32_f16_e32 v23, v23
	v_add_co_u32 v20, vcc_lo, s12, v20
	v_add_co_ci_u32_e64 v21, null, s13, v21, vcc_lo
	v_min_f32_e32 v23, v50, v23
	s_and_b32 vcc_lo, exec_lo, s1
	v_cvt_f16_f32_e32 v47, v23
	v_mov_b32_e32 v23, 0
	global_store_short v[48:49], v47, off
	s_cbranch_vccnz .LBB259_61
; %bb.60:
	v_add_co_u32 v47, vcc_lo, v20, v28
	v_add_co_ci_u32_e64 v48, null, v21, v29, vcc_lo
	global_load_ushort v23, v[47:48], off
	s_waitcnt vmcnt(0)
	v_mul_f16_e32 v23, s15, v23
	v_cvt_f32_f16_e32 v23, v23
.LBB259_61:
	v_pk_add_f16 v47, v30, v16
	v_pk_add_f16 v49, v31, v17
	v_max_f16_e32 v48, v106, v106
	v_lshrrev_b32_e32 v50, 16, v106
	v_lshrrev_b32_e32 v51, 16, v47
	;; [unrolled: 1-line block ×3, first 2 shown]
	v_min_f16_e32 v53, v48, v47
	v_mad_i64_i32 v[47:48], null, v22, s3, 0
	v_min3_f16 v50, v50, v51, v52
	v_min3_f16 v22, v53, v49, v50
	v_max_f32_e32 v49, v23, v23
	v_cvt_f32_f16_e32 v50, v22
	v_lshlrev_b64 v[22:23], 1, v[47:48]
	v_min_f32_e32 v47, v49, v50
	v_add_co_u32 v22, vcc_lo, s4, v22
	v_add_co_ci_u32_e64 v23, null, s5, v23, vcc_lo
	v_cvt_f16_f32_e32 v49, v47
	v_add_co_u32 v47, vcc_lo, v22, v28
	v_add_co_ci_u32_e64 v48, null, v23, v29, vcc_lo
	s_and_b32 vcc_lo, exec_lo, s1
	global_store_short v[47:48], v49, off
	s_cbranch_vccnz .LBB259_63
; %bb.62:
	v_add_co_u32 v46, vcc_lo, v20, v32
	v_add_co_ci_u32_e64 v47, null, v21, v33, vcc_lo
	global_load_ushort v46, v[46:47], off
	s_waitcnt vmcnt(0)
	v_mul_f16_e32 v46, s15, v46
	v_cvt_f32_f16_e32 v46, v46
.LBB259_63:
	v_pk_add_f16 v47, v8, v16
	v_pk_add_f16 v48, v9, v17
	v_max_f16_e32 v49, v197, v197
	v_lshrrev_b32_e32 v50, 16, v197
	v_max_f32_e32 v46, v46, v46
	v_lshrrev_b32_e32 v51, 16, v47
	v_lshrrev_b32_e32 v52, 16, v48
	v_min_f16_e32 v47, v49, v47
	v_min3_f16 v49, v50, v51, v52
	v_min3_f16 v47, v47, v48, v49
	v_add_co_u32 v48, vcc_lo, v22, v32
	v_add_co_ci_u32_e64 v49, null, v23, v33, vcc_lo
	v_cvt_f32_f16_e32 v47, v47
	s_and_b32 vcc_lo, exec_lo, s1
	v_min_f32_e32 v46, v46, v47
	v_mov_b32_e32 v47, 0
	v_cvt_f16_f32_e32 v50, v46
	v_mov_b32_e32 v46, 0
	global_store_short v[48:49], v50, off
	s_cbranch_vccnz .LBB259_65
; %bb.64:
	v_add_co_u32 v47, vcc_lo, v20, v34
	v_add_co_ci_u32_e64 v48, null, v21, v35, vcc_lo
	global_load_ushort v47, v[47:48], off
	s_waitcnt vmcnt(0)
	v_mul_f16_e32 v47, s15, v47
	v_cvt_f32_f16_e32 v47, v47
.LBB259_65:
	v_pk_add_f16 v48, v10, v16
	v_pk_add_f16 v49, v11, v17
	v_max_f16_e32 v50, v194, v194
	v_lshrrev_b32_e32 v51, 16, v194
	v_max_f32_e32 v47, v47, v47
	v_lshrrev_b32_e32 v52, 16, v48
	v_lshrrev_b32_e32 v53, 16, v49
	v_min_f16_e32 v48, v50, v48
	v_min3_f16 v50, v51, v52, v53
	v_min3_f16 v48, v48, v49, v50
	v_cvt_f32_f16_e32 v48, v48
	v_min_f32_e32 v47, v47, v48
	v_cvt_f16_f32_e32 v49, v47
	v_add_co_u32 v47, vcc_lo, v22, v34
	v_add_co_ci_u32_e64 v48, null, v23, v35, vcc_lo
	s_and_b32 vcc_lo, exec_lo, s1
	global_store_short v[47:48], v49, off
	s_cbranch_vccnz .LBB259_67
; %bb.66:
	v_add_co_u32 v46, vcc_lo, v20, v36
	v_add_co_ci_u32_e64 v47, null, v21, v37, vcc_lo
	global_load_ushort v46, v[46:47], off
	s_waitcnt vmcnt(0)
	v_mul_f16_e32 v46, s15, v46
	v_cvt_f32_f16_e32 v46, v46
.LBB259_67:
	v_pk_add_f16 v47, v4, v16
	v_pk_add_f16 v48, v5, v17
	v_max_f16_e32 v49, v192, v192
	v_lshrrev_b32_e32 v50, 16, v192
	v_max_f32_e32 v46, v46, v46
	v_lshrrev_b32_e32 v51, 16, v47
	v_lshrrev_b32_e32 v52, 16, v48
	v_min_f16_e32 v47, v49, v47
	v_min3_f16 v49, v50, v51, v52
	v_min3_f16 v47, v47, v48, v49
	v_add_co_u32 v48, vcc_lo, v22, v36
	v_add_co_ci_u32_e64 v49, null, v23, v37, vcc_lo
	v_cvt_f32_f16_e32 v47, v47
	s_and_b32 vcc_lo, exec_lo, s1
	v_min_f32_e32 v46, v46, v47
	v_mov_b32_e32 v47, 0
	v_cvt_f16_f32_e32 v50, v46
	v_mov_b32_e32 v46, 0
	global_store_short v[48:49], v50, off
	s_cbranch_vccnz .LBB259_69
; %bb.68:
	v_add_co_u32 v47, vcc_lo, v20, v42
	v_add_co_ci_u32_e64 v48, null, v21, v43, vcc_lo
	global_load_ushort v47, v[47:48], off
	s_waitcnt vmcnt(0)
	v_mul_f16_e32 v47, s15, v47
	v_cvt_f32_f16_e32 v47, v47
.LBB259_69:
	v_pk_add_f16 v48, v6, v16
	v_pk_add_f16 v49, v7, v17
	v_max_f16_e32 v50, v105, v105
	v_lshrrev_b32_e32 v51, 16, v105
	v_max_f32_e32 v47, v47, v47
	v_lshrrev_b32_e32 v52, 16, v48
	v_lshrrev_b32_e32 v53, 16, v49
	v_min_f16_e32 v48, v50, v48
	v_min3_f16 v50, v51, v52, v53
	v_min3_f16 v48, v48, v49, v50
	v_cvt_f32_f16_e32 v48, v48
	v_min_f32_e32 v47, v47, v48
	;; [unrolled: 54-line block ×3, first 2 shown]
	v_cvt_f16_f32_e32 v49, v47
	v_add_co_u32 v47, vcc_lo, v22, v38
	v_add_co_ci_u32_e64 v48, null, v23, v39, vcc_lo
	s_and_b32 vcc_lo, exec_lo, s1
	global_store_short v[47:48], v49, off
	s_cbranch_vccnz .LBB259_75
; %bb.74:
	v_add_co_u32 v20, vcc_lo, v20, v44
	v_add_co_ci_u32_e64 v21, null, v21, v45, vcc_lo
	global_load_ushort v20, v[20:21], off
	s_waitcnt vmcnt(0)
	v_mul_f16_e32 v20, s15, v20
	v_cvt_f32_f16_e32 v46, v20
.LBB259_75:
	v_pk_add_f16 v16, v24, v16
	v_pk_add_f16 v21, v25, v17
	v_max_f16_e32 v17, v181, v181
	v_lshrrev_b32_e32 v47, 16, v181
	v_add_nc_u32_e32 v20, 32, v109
	v_lshrrev_b32_e32 v48, 16, v16
	v_lshrrev_b32_e32 v49, 16, v21
	v_min_f16_e32 v50, v17, v16
	v_mad_i64_i32 v[16:17], null, v20, s2, 0
	v_min3_f16 v47, v47, v48, v49
	v_max_f32_e32 v48, v46, v46
	v_add_co_u32 v46, vcc_lo, v22, v44
	v_mov_b32_e32 v22, 0
	v_min3_f16 v21, v50, v21, v47
	v_lshlrev_b64 v[16:17], 1, v[16:17]
	v_add_co_ci_u32_e64 v47, null, v23, v45, vcc_lo
	v_cvt_f32_f16_e32 v21, v21
	v_add_co_u32 v16, vcc_lo, s12, v16
	v_add_co_ci_u32_e64 v17, null, s13, v17, vcc_lo
	v_min_f32_e32 v21, v48, v21
	s_and_b32 vcc_lo, exec_lo, s1
	v_cvt_f16_f32_e32 v23, v21
	v_mov_b32_e32 v21, 0
	global_store_short v[46:47], v23, off
	s_cbranch_vccnz .LBB259_77
; %bb.76:
	v_add_co_u32 v46, vcc_lo, v16, v28
	v_add_co_ci_u32_e64 v47, null, v17, v29, vcc_lo
	global_load_ushort v21, v[46:47], off
	s_waitcnt vmcnt(0)
	v_mul_f16_e32 v21, s15, v21
	v_cvt_f32_f16_e32 v21, v21
.LBB259_77:
	v_pk_add_f16 v23, v30, v18
	v_pk_add_f16 v48, v31, v19
	v_max_f16_e32 v46, v103, v103
	v_lshrrev_b32_e32 v47, 16, v103
	v_lshrrev_b32_e32 v49, 16, v23
	;; [unrolled: 1-line block ×3, first 2 shown]
	v_min_f16_e32 v23, v46, v23
	v_min3_f16 v49, v47, v49, v50
	v_mad_i64_i32 v[46:47], null, v20, s3, 0
	v_min3_f16 v20, v23, v48, v49
	v_max_f32_e32 v23, v21, v21
	v_cvt_f32_f16_e32 v48, v20
	v_lshlrev_b64 v[20:21], 1, v[46:47]
	v_min_f32_e32 v23, v23, v48
	v_add_co_u32 v20, vcc_lo, s4, v20
	v_add_co_ci_u32_e64 v21, null, s5, v21, vcc_lo
	v_cvt_f16_f32_e32 v23, v23
	v_add_co_u32 v46, vcc_lo, v20, v28
	v_add_co_ci_u32_e64 v47, null, v21, v29, vcc_lo
	s_and_b32 vcc_lo, exec_lo, s1
	global_store_short v[46:47], v23, off
	s_cbranch_vccnz .LBB259_79
; %bb.78:
	v_add_co_u32 v22, vcc_lo, v16, v32
	v_add_co_ci_u32_e64 v23, null, v17, v33, vcc_lo
	global_load_ushort v22, v[22:23], off
	s_waitcnt vmcnt(0)
	v_mul_f16_e32 v22, s15, v22
	v_cvt_f32_f16_e32 v22, v22
.LBB259_79:
	v_pk_add_f16 v23, v8, v18
	v_pk_add_f16 v46, v9, v19
	v_max_f16_e32 v47, v102, v102
	v_lshrrev_b32_e32 v48, 16, v102
	v_max_f32_e32 v22, v22, v22
	v_lshrrev_b32_e32 v49, 16, v23
	v_lshrrev_b32_e32 v50, 16, v46
	v_min_f16_e32 v23, v47, v23
	v_min3_f16 v47, v48, v49, v50
	v_min3_f16 v23, v23, v46, v47
	v_add_co_u32 v46, vcc_lo, v20, v32
	v_add_co_ci_u32_e64 v47, null, v21, v33, vcc_lo
	v_cvt_f32_f16_e32 v23, v23
	s_and_b32 vcc_lo, exec_lo, s1
	v_min_f32_e32 v22, v22, v23
	v_mov_b32_e32 v23, 0
	v_cvt_f16_f32_e32 v48, v22
	v_mov_b32_e32 v22, 0
	global_store_short v[46:47], v48, off
	s_cbranch_vccnz .LBB259_81
; %bb.80:
	v_add_co_u32 v46, vcc_lo, v16, v34
	v_add_co_ci_u32_e64 v47, null, v17, v35, vcc_lo
	global_load_ushort v23, v[46:47], off
	s_waitcnt vmcnt(0)
	v_mul_f16_e32 v23, s15, v23
	v_cvt_f32_f16_e32 v23, v23
.LBB259_81:
	v_pk_add_f16 v46, v10, v18
	v_pk_add_f16 v47, v11, v19
	v_max_f16_e32 v48, v175, v175
	v_lshrrev_b32_e32 v49, 16, v175
	v_max_f32_e32 v23, v23, v23
	v_lshrrev_b32_e32 v50, 16, v46
	v_lshrrev_b32_e32 v51, 16, v47
	v_min_f16_e32 v46, v48, v46
	v_min3_f16 v48, v49, v50, v51
	v_min3_f16 v46, v46, v47, v48
	v_cvt_f32_f16_e32 v46, v46
	v_min_f32_e32 v23, v23, v46
	v_add_co_u32 v46, vcc_lo, v20, v34
	v_add_co_ci_u32_e64 v47, null, v21, v35, vcc_lo
	v_cvt_f16_f32_e32 v23, v23
	s_and_b32 vcc_lo, exec_lo, s1
	global_store_short v[46:47], v23, off
	s_cbranch_vccnz .LBB259_83
; %bb.82:
	v_add_co_u32 v22, vcc_lo, v16, v36
	v_add_co_ci_u32_e64 v23, null, v17, v37, vcc_lo
	global_load_ushort v22, v[22:23], off
	s_waitcnt vmcnt(0)
	v_mul_f16_e32 v22, s15, v22
	v_cvt_f32_f16_e32 v22, v22
.LBB259_83:
	v_pk_add_f16 v23, v4, v18
	v_pk_add_f16 v46, v5, v19
	v_max_f16_e32 v47, v101, v101
	v_lshrrev_b32_e32 v48, 16, v101
	v_max_f32_e32 v22, v22, v22
	v_lshrrev_b32_e32 v49, 16, v23
	v_lshrrev_b32_e32 v50, 16, v46
	v_min_f16_e32 v23, v47, v23
	v_min3_f16 v47, v48, v49, v50
	v_min3_f16 v23, v23, v46, v47
	v_add_co_u32 v46, vcc_lo, v20, v36
	v_add_co_ci_u32_e64 v47, null, v21, v37, vcc_lo
	v_cvt_f32_f16_e32 v23, v23
	s_and_b32 vcc_lo, exec_lo, s1
	v_min_f32_e32 v22, v22, v23
	v_mov_b32_e32 v23, 0
	v_cvt_f16_f32_e32 v48, v22
	v_mov_b32_e32 v22, 0
	global_store_short v[46:47], v48, off
	s_cbranch_vccnz .LBB259_85
; %bb.84:
	v_add_co_u32 v46, vcc_lo, v16, v42
	v_add_co_ci_u32_e64 v47, null, v17, v43, vcc_lo
	global_load_ushort v23, v[46:47], off
	s_waitcnt vmcnt(0)
	v_mul_f16_e32 v23, s15, v23
	v_cvt_f32_f16_e32 v23, v23
.LBB259_85:
	v_pk_add_f16 v46, v6, v18
	v_pk_add_f16 v47, v7, v19
	v_max_f16_e32 v48, v169, v169
	v_lshrrev_b32_e32 v49, 16, v169
	v_max_f32_e32 v23, v23, v23
	v_lshrrev_b32_e32 v50, 16, v46
	v_lshrrev_b32_e32 v51, 16, v47
	v_min_f16_e32 v46, v48, v46
	v_min3_f16 v48, v49, v50, v51
	v_min3_f16 v46, v46, v47, v48
	v_cvt_f32_f16_e32 v46, v46
	v_min_f32_e32 v23, v23, v46
	v_add_co_u32 v46, vcc_lo, v20, v42
	v_add_co_ci_u32_e64 v47, null, v21, v43, vcc_lo
	v_cvt_f16_f32_e32 v23, v23
	;; [unrolled: 54-line block ×3, first 2 shown]
	s_and_b32 vcc_lo, exec_lo, s1
	global_store_short v[46:47], v23, off
	s_cbranch_vccnz .LBB259_91
; %bb.90:
	v_add_co_u32 v16, vcc_lo, v16, v44
	v_add_co_ci_u32_e64 v17, null, v17, v45, vcc_lo
	global_load_ushort v16, v[16:17], off
	s_waitcnt vmcnt(0)
	v_mul_f16_e32 v16, s15, v16
	v_cvt_f32_f16_e32 v22, v16
.LBB259_91:
	v_pk_add_f16 v16, v24, v18
	v_pk_add_f16 v19, v25, v19
	v_max_f16_e32 v17, v163, v163
	v_lshrrev_b32_e32 v23, 16, v163
	v_add_nc_u32_e32 v18, 40, v109
	v_lshrrev_b32_e32 v46, 16, v16
	v_lshrrev_b32_e32 v47, 16, v19
	v_min_f16_e32 v48, v17, v16
	v_mad_i64_i32 v[16:17], null, v18, s2, 0
	v_min3_f16 v23, v23, v46, v47
	v_max_f32_e32 v46, v22, v22
	v_add_co_u32 v22, vcc_lo, v20, v44
	v_mov_b32_e32 v20, 0
	v_min3_f16 v19, v48, v19, v23
	v_lshlrev_b64 v[16:17], 1, v[16:17]
	v_add_co_ci_u32_e64 v23, null, v21, v45, vcc_lo
	v_cvt_f32_f16_e32 v19, v19
	v_add_co_u32 v16, vcc_lo, s12, v16
	v_add_co_ci_u32_e64 v17, null, s13, v17, vcc_lo
	v_min_f32_e32 v19, v46, v19
	s_and_b32 vcc_lo, exec_lo, s1
	v_cvt_f16_f32_e32 v21, v19
	v_mov_b32_e32 v19, 0
	global_store_short v[22:23], v21, off
	s_cbranch_vccnz .LBB259_93
; %bb.92:
	v_add_co_u32 v21, vcc_lo, v16, v28
	v_add_co_ci_u32_e64 v22, null, v17, v29, vcc_lo
	global_load_ushort v19, v[21:22], off
	s_waitcnt vmcnt(0)
	v_mul_f16_e32 v19, s15, v19
	v_cvt_f32_f16_e32 v19, v19
.LBB259_93:
	v_pk_add_f16 v21, v30, v12
	v_pk_add_f16 v23, v31, v13
	v_max_f16_e32 v22, v98, v98
	v_lshrrev_b32_e32 v46, 16, v98
	v_lshrrev_b32_e32 v47, 16, v21
	v_lshrrev_b32_e32 v48, 16, v23
	v_min_f16_e32 v49, v22, v21
	v_mad_i64_i32 v[21:22], null, v18, s3, 0
	v_min3_f16 v46, v46, v47, v48
	v_min3_f16 v18, v49, v23, v46
	v_max_f32_e32 v23, v19, v19
	v_cvt_f32_f16_e32 v46, v18
	v_lshlrev_b64 v[18:19], 1, v[21:22]
	v_min_f32_e32 v21, v23, v46
	v_add_co_u32 v18, vcc_lo, s4, v18
	v_add_co_ci_u32_e64 v19, null, s5, v19, vcc_lo
	v_cvt_f16_f32_e32 v23, v21
	v_add_co_u32 v21, vcc_lo, v18, v28
	v_add_co_ci_u32_e64 v22, null, v19, v29, vcc_lo
	s_and_b32 vcc_lo, exec_lo, s1
	global_store_short v[21:22], v23, off
	s_cbranch_vccnz .LBB259_95
; %bb.94:
	v_add_co_u32 v20, vcc_lo, v16, v32
	v_add_co_ci_u32_e64 v21, null, v17, v33, vcc_lo
	global_load_ushort v20, v[20:21], off
	s_waitcnt vmcnt(0)
	v_mul_f16_e32 v20, s15, v20
	v_cvt_f32_f16_e32 v20, v20
.LBB259_95:
	v_pk_add_f16 v21, v8, v12
	v_pk_add_f16 v22, v9, v13
	v_max_f16_e32 v23, v97, v97
	v_lshrrev_b32_e32 v46, 16, v97
	v_max_f32_e32 v20, v20, v20
	v_lshrrev_b32_e32 v47, 16, v21
	v_lshrrev_b32_e32 v48, 16, v22
	v_min_f16_e32 v21, v23, v21
	v_min3_f16 v23, v46, v47, v48
	v_min3_f16 v21, v21, v22, v23
	v_add_co_u32 v22, vcc_lo, v18, v32
	v_add_co_ci_u32_e64 v23, null, v19, v33, vcc_lo
	v_cvt_f32_f16_e32 v21, v21
	s_and_b32 vcc_lo, exec_lo, s1
	v_min_f32_e32 v20, v20, v21
	v_mov_b32_e32 v21, 0
	v_cvt_f16_f32_e32 v46, v20
	v_mov_b32_e32 v20, 0
	global_store_short v[22:23], v46, off
	s_cbranch_vccnz .LBB259_97
; %bb.96:
	v_add_co_u32 v21, vcc_lo, v16, v34
	v_add_co_ci_u32_e64 v22, null, v17, v35, vcc_lo
	global_load_ushort v21, v[21:22], off
	s_waitcnt vmcnt(0)
	v_mul_f16_e32 v21, s15, v21
	v_cvt_f32_f16_e32 v21, v21
.LBB259_97:
	v_pk_add_f16 v22, v10, v12
	v_pk_add_f16 v23, v11, v13
	v_max_f16_e32 v46, v96, v96
	v_lshrrev_b32_e32 v47, 16, v96
	v_max_f32_e32 v21, v21, v21
	v_lshrrev_b32_e32 v48, 16, v22
	v_lshrrev_b32_e32 v49, 16, v23
	v_min_f16_e32 v22, v46, v22
	v_min3_f16 v46, v47, v48, v49
	v_min3_f16 v22, v22, v23, v46
	v_cvt_f32_f16_e32 v22, v22
	v_min_f32_e32 v21, v21, v22
	v_cvt_f16_f32_e32 v23, v21
	v_add_co_u32 v21, vcc_lo, v18, v34
	v_add_co_ci_u32_e64 v22, null, v19, v35, vcc_lo
	s_and_b32 vcc_lo, exec_lo, s1
	global_store_short v[21:22], v23, off
	s_cbranch_vccnz .LBB259_99
; %bb.98:
	v_add_co_u32 v20, vcc_lo, v16, v36
	v_add_co_ci_u32_e64 v21, null, v17, v37, vcc_lo
	global_load_ushort v20, v[20:21], off
	s_waitcnt vmcnt(0)
	v_mul_f16_e32 v20, s15, v20
	v_cvt_f32_f16_e32 v20, v20
.LBB259_99:
	v_pk_add_f16 v21, v4, v12
	v_pk_add_f16 v22, v5, v13
	v_max_f16_e32 v23, v95, v95
	v_lshrrev_b32_e32 v46, 16, v95
	v_max_f32_e32 v20, v20, v20
	v_lshrrev_b32_e32 v47, 16, v21
	v_lshrrev_b32_e32 v48, 16, v22
	v_min_f16_e32 v21, v23, v21
	v_min3_f16 v23, v46, v47, v48
	v_min3_f16 v21, v21, v22, v23
	v_add_co_u32 v22, vcc_lo, v18, v36
	v_add_co_ci_u32_e64 v23, null, v19, v37, vcc_lo
	v_cvt_f32_f16_e32 v21, v21
	s_and_b32 vcc_lo, exec_lo, s1
	v_min_f32_e32 v20, v20, v21
	v_mov_b32_e32 v21, 0
	v_cvt_f16_f32_e32 v46, v20
	v_mov_b32_e32 v20, 0
	global_store_short v[22:23], v46, off
	s_cbranch_vccnz .LBB259_101
; %bb.100:
	v_add_co_u32 v21, vcc_lo, v16, v42
	v_add_co_ci_u32_e64 v22, null, v17, v43, vcc_lo
	global_load_ushort v21, v[21:22], off
	s_waitcnt vmcnt(0)
	v_mul_f16_e32 v21, s15, v21
	v_cvt_f32_f16_e32 v21, v21
.LBB259_101:
	v_pk_add_f16 v22, v6, v12
	v_pk_add_f16 v23, v7, v13
	v_max_f16_e32 v46, v94, v94
	v_lshrrev_b32_e32 v47, 16, v94
	v_max_f32_e32 v21, v21, v21
	v_lshrrev_b32_e32 v48, 16, v22
	v_lshrrev_b32_e32 v49, 16, v23
	v_min_f16_e32 v22, v46, v22
	v_min3_f16 v46, v47, v48, v49
	v_min3_f16 v22, v22, v23, v46
	v_cvt_f32_f16_e32 v22, v22
	v_min_f32_e32 v21, v21, v22
	;; [unrolled: 54-line block ×3, first 2 shown]
	v_cvt_f16_f32_e32 v23, v21
	v_add_co_u32 v21, vcc_lo, v18, v38
	v_add_co_ci_u32_e64 v22, null, v19, v39, vcc_lo
	s_and_b32 vcc_lo, exec_lo, s1
	global_store_short v[21:22], v23, off
	s_cbranch_vccnz .LBB259_107
; %bb.106:
	v_add_co_u32 v16, vcc_lo, v16, v44
	v_add_co_ci_u32_e64 v17, null, v17, v45, vcc_lo
	global_load_ushort v16, v[16:17], off
	s_waitcnt vmcnt(0)
	v_mul_f16_e32 v16, s15, v16
	v_cvt_f32_f16_e32 v20, v16
.LBB259_107:
	v_pk_add_f16 v12, v24, v12
	v_pk_add_f16 v17, v25, v13
	v_max_f16_e32 v13, v91, v91
	v_lshrrev_b32_e32 v21, 16, v91
	v_add_nc_u32_e32 v16, 48, v109
	v_lshrrev_b32_e32 v22, 16, v12
	v_lshrrev_b32_e32 v23, 16, v17
	v_min_f16_e32 v46, v13, v12
	v_mad_i64_i32 v[12:13], null, v16, s2, 0
	v_min3_f16 v21, v21, v22, v23
	v_max_f32_e32 v22, v20, v20
	v_add_co_u32 v20, vcc_lo, v18, v44
	v_mov_b32_e32 v18, 0
	v_min3_f16 v17, v46, v17, v21
	v_lshlrev_b64 v[12:13], 1, v[12:13]
	v_add_co_ci_u32_e64 v21, null, v19, v45, vcc_lo
	v_cvt_f32_f16_e32 v17, v17
	v_add_co_u32 v12, vcc_lo, s12, v12
	v_add_co_ci_u32_e64 v13, null, s13, v13, vcc_lo
	v_min_f32_e32 v17, v22, v17
	s_and_b32 vcc_lo, exec_lo, s1
	v_cvt_f16_f32_e32 v19, v17
	v_mov_b32_e32 v17, 0
	global_store_short v[20:21], v19, off
	s_cbranch_vccnz .LBB259_109
; %bb.108:
	v_add_co_u32 v19, vcc_lo, v12, v28
	v_add_co_ci_u32_e64 v20, null, v13, v29, vcc_lo
	global_load_ushort v17, v[19:20], off
	s_waitcnt vmcnt(0)
	v_mul_f16_e32 v17, s15, v17
	v_cvt_f32_f16_e32 v17, v17
.LBB259_109:
	v_pk_add_f16 v19, v30, v14
	v_pk_add_f16 v21, v31, v15
	v_max_f16_e32 v20, v89, v89
	v_lshrrev_b32_e32 v22, 16, v89
	v_lshrrev_b32_e32 v23, 16, v19
	v_lshrrev_b32_e32 v46, 16, v21
	v_min_f16_e32 v47, v20, v19
	v_mad_i64_i32 v[19:20], null, v16, s3, 0
	v_min3_f16 v22, v22, v23, v46
	v_min3_f16 v16, v47, v21, v22
	v_max_f32_e32 v21, v17, v17
	v_cvt_f32_f16_e32 v22, v16
	v_lshlrev_b64 v[16:17], 1, v[19:20]
	v_min_f32_e32 v19, v21, v22
	v_add_co_u32 v16, vcc_lo, s4, v16
	v_add_co_ci_u32_e64 v17, null, s5, v17, vcc_lo
	v_cvt_f16_f32_e32 v21, v19
	v_add_co_u32 v19, vcc_lo, v16, v28
	v_add_co_ci_u32_e64 v20, null, v17, v29, vcc_lo
	s_and_b32 vcc_lo, exec_lo, s1
	global_store_short v[19:20], v21, off
	s_cbranch_vccnz .LBB259_111
; %bb.110:
	v_add_co_u32 v18, vcc_lo, v12, v32
	v_add_co_ci_u32_e64 v19, null, v13, v33, vcc_lo
	global_load_ushort v18, v[18:19], off
	s_waitcnt vmcnt(0)
	v_mul_f16_e32 v18, s15, v18
	v_cvt_f32_f16_e32 v18, v18
.LBB259_111:
	v_pk_add_f16 v19, v8, v14
	v_pk_add_f16 v20, v9, v15
	v_max_f16_e32 v21, v88, v88
	v_lshrrev_b32_e32 v22, 16, v88
	v_max_f32_e32 v18, v18, v18
	v_lshrrev_b32_e32 v23, 16, v19
	v_lshrrev_b32_e32 v46, 16, v20
	v_min_f16_e32 v19, v21, v19
	v_min3_f16 v21, v22, v23, v46
	v_min3_f16 v19, v19, v20, v21
	v_add_co_u32 v20, vcc_lo, v16, v32
	v_add_co_ci_u32_e64 v21, null, v17, v33, vcc_lo
	v_cvt_f32_f16_e32 v19, v19
	s_and_b32 vcc_lo, exec_lo, s1
	v_min_f32_e32 v18, v18, v19
	v_mov_b32_e32 v19, 0
	v_cvt_f16_f32_e32 v22, v18
	v_mov_b32_e32 v18, 0
	global_store_short v[20:21], v22, off
	s_cbranch_vccnz .LBB259_113
; %bb.112:
	v_add_co_u32 v19, vcc_lo, v12, v34
	v_add_co_ci_u32_e64 v20, null, v13, v35, vcc_lo
	global_load_ushort v19, v[19:20], off
	s_waitcnt vmcnt(0)
	v_mul_f16_e32 v19, s15, v19
	v_cvt_f32_f16_e32 v19, v19
.LBB259_113:
	v_pk_add_f16 v20, v10, v14
	v_pk_add_f16 v21, v11, v15
	v_max_f16_e32 v22, v121, v121
	v_lshrrev_b32_e32 v23, 16, v121
	v_max_f32_e32 v19, v19, v19
	v_lshrrev_b32_e32 v46, 16, v20
	v_lshrrev_b32_e32 v47, 16, v21
	v_min_f16_e32 v20, v22, v20
	v_min3_f16 v22, v23, v46, v47
	v_min3_f16 v20, v20, v21, v22
	v_cvt_f32_f16_e32 v20, v20
	v_min_f32_e32 v19, v19, v20
	v_cvt_f16_f32_e32 v21, v19
	v_add_co_u32 v19, vcc_lo, v16, v34
	v_add_co_ci_u32_e64 v20, null, v17, v35, vcc_lo
	s_and_b32 vcc_lo, exec_lo, s1
	global_store_short v[19:20], v21, off
	s_cbranch_vccnz .LBB259_115
; %bb.114:
	v_add_co_u32 v18, vcc_lo, v12, v36
	v_add_co_ci_u32_e64 v19, null, v13, v37, vcc_lo
	global_load_ushort v18, v[18:19], off
	s_waitcnt vmcnt(0)
	v_mul_f16_e32 v18, s15, v18
	v_cvt_f32_f16_e32 v18, v18
.LBB259_115:
	v_pk_add_f16 v19, v4, v14
	v_pk_add_f16 v20, v5, v15
	v_max_f16_e32 v21, v87, v87
	v_lshrrev_b32_e32 v22, 16, v87
	v_max_f32_e32 v18, v18, v18
	v_lshrrev_b32_e32 v23, 16, v19
	v_lshrrev_b32_e32 v46, 16, v20
	v_min_f16_e32 v19, v21, v19
	v_min3_f16 v21, v22, v23, v46
	v_min3_f16 v19, v19, v20, v21
	v_add_co_u32 v20, vcc_lo, v16, v36
	v_add_co_ci_u32_e64 v21, null, v17, v37, vcc_lo
	v_cvt_f32_f16_e32 v19, v19
	s_and_b32 vcc_lo, exec_lo, s1
	v_min_f32_e32 v18, v18, v19
	v_mov_b32_e32 v19, 0
	v_cvt_f16_f32_e32 v22, v18
	v_mov_b32_e32 v18, 0
	global_store_short v[20:21], v22, off
	s_cbranch_vccnz .LBB259_117
; %bb.116:
	v_add_co_u32 v19, vcc_lo, v12, v42
	v_add_co_ci_u32_e64 v20, null, v13, v43, vcc_lo
	global_load_ushort v19, v[19:20], off
	s_waitcnt vmcnt(0)
	v_mul_f16_e32 v19, s15, v19
	v_cvt_f32_f16_e32 v19, v19
.LBB259_117:
	v_pk_add_f16 v20, v6, v14
	v_pk_add_f16 v21, v7, v15
	v_max_f16_e32 v22, v86, v86
	v_lshrrev_b32_e32 v23, 16, v86
	v_max_f32_e32 v19, v19, v19
	v_lshrrev_b32_e32 v46, 16, v20
	v_lshrrev_b32_e32 v47, 16, v21
	v_min_f16_e32 v20, v22, v20
	v_min3_f16 v22, v23, v46, v47
	v_min3_f16 v20, v20, v21, v22
	v_cvt_f32_f16_e32 v20, v20
	v_min_f32_e32 v19, v19, v20
	;; [unrolled: 54-line block ×3, first 2 shown]
	v_cvt_f16_f32_e32 v21, v19
	v_add_co_u32 v19, vcc_lo, v16, v38
	v_add_co_ci_u32_e64 v20, null, v17, v39, vcc_lo
	s_and_b32 vcc_lo, exec_lo, s1
	global_store_short v[19:20], v21, off
	s_cbranch_vccnz .LBB259_123
; %bb.122:
	v_add_co_u32 v12, vcc_lo, v12, v44
	v_add_co_ci_u32_e64 v13, null, v13, v45, vcc_lo
	global_load_ushort v12, v[12:13], off
	s_waitcnt vmcnt(0)
	v_mul_f16_e32 v12, s15, v12
	v_cvt_f32_f16_e32 v18, v12
.LBB259_123:
	v_pk_add_f16 v12, v24, v14
	v_pk_add_f16 v15, v25, v15
	v_max_f16_e32 v13, v83, v83
	v_lshrrev_b32_e32 v19, 16, v83
	v_add_nc_u32_e32 v14, 56, v109
	v_lshrrev_b32_e32 v20, 16, v12
	v_lshrrev_b32_e32 v21, 16, v15
	v_min_f16_e32 v22, v13, v12
	v_mad_i64_i32 v[12:13], null, v14, s2, 0
	v_min3_f16 v19, v19, v20, v21
	v_max_f32_e32 v20, v18, v18
	v_add_co_u32 v18, vcc_lo, v16, v44
	v_mov_b32_e32 v16, 0
	v_min3_f16 v15, v22, v15, v19
	v_lshlrev_b64 v[12:13], 1, v[12:13]
	v_add_co_ci_u32_e64 v19, null, v17, v45, vcc_lo
	v_cvt_f32_f16_e32 v15, v15
	v_add_co_u32 v12, vcc_lo, s12, v12
	v_add_co_ci_u32_e64 v13, null, s13, v13, vcc_lo
	v_min_f32_e32 v15, v20, v15
	s_and_b32 vcc_lo, exec_lo, s1
	v_cvt_f16_f32_e32 v17, v15
	v_mov_b32_e32 v15, 0
	global_store_short v[18:19], v17, off
	s_cbranch_vccnz .LBB259_125
; %bb.124:
	v_add_co_u32 v17, vcc_lo, v12, v28
	v_add_co_ci_u32_e64 v18, null, v13, v29, vcc_lo
	global_load_ushort v15, v[17:18], off
	s_waitcnt vmcnt(0)
	v_mul_f16_e32 v15, s15, v15
	v_cvt_f32_f16_e32 v15, v15
.LBB259_125:
	v_pk_add_f16 v17, v30, v26
	v_pk_add_f16 v19, v31, v27
	v_max_f16_e32 v18, v65, v65
	v_lshrrev_b32_e32 v20, 16, v65
	v_lshrrev_b32_e32 v21, 16, v17
	;; [unrolled: 1-line block ×3, first 2 shown]
	v_min_f16_e32 v23, v18, v17
	v_mad_i64_i32 v[17:18], null, v14, s3, 0
	v_min3_f16 v20, v20, v21, v22
	v_min3_f16 v14, v23, v19, v20
	v_max_f32_e32 v19, v15, v15
	v_cvt_f32_f16_e32 v20, v14
	v_lshlrev_b64 v[14:15], 1, v[17:18]
	v_min_f32_e32 v17, v19, v20
	v_add_co_u32 v14, vcc_lo, s4, v14
	v_add_co_ci_u32_e64 v15, null, s5, v15, vcc_lo
	v_cvt_f16_f32_e32 v19, v17
	v_add_co_u32 v17, vcc_lo, v14, v28
	v_add_co_ci_u32_e64 v18, null, v15, v29, vcc_lo
	s_and_b32 vcc_lo, exec_lo, s1
	global_store_short v[17:18], v19, off
	s_cbranch_vccnz .LBB259_127
; %bb.126:
	v_add_co_u32 v16, vcc_lo, v12, v32
	v_add_co_ci_u32_e64 v17, null, v13, v33, vcc_lo
	global_load_ushort v16, v[16:17], off
	s_waitcnt vmcnt(0)
	v_mul_f16_e32 v16, s15, v16
	v_cvt_f32_f16_e32 v16, v16
.LBB259_127:
	v_pk_add_f16 v8, v8, v26
	v_pk_add_f16 v9, v9, v27
	v_max_f16_e32 v17, v90, v90
	v_lshrrev_b32_e32 v18, 16, v90
	v_lshrrev_b32_e32 v19, 16, v8
	;; [unrolled: 1-line block ×3, first 2 shown]
	v_min_f16_e32 v8, v17, v8
	v_min3_f16 v17, v18, v19, v20
	v_min3_f16 v8, v8, v9, v17
	v_max_f32_e32 v9, v16, v16
	v_add_co_u32 v16, vcc_lo, v14, v32
	v_add_co_ci_u32_e64 v17, null, v15, v33, vcc_lo
	v_cvt_f32_f16_e32 v8, v8
	s_and_b32 vcc_lo, exec_lo, s1
	v_min_f32_e32 v8, v9, v8
	v_mov_b32_e32 v9, 0
	v_cvt_f16_f32_e32 v18, v8
	v_mov_b32_e32 v8, 0
	global_store_short v[16:17], v18, off
	s_cbranch_vccnz .LBB259_129
; %bb.128:
	v_add_co_u32 v16, vcc_lo, v12, v34
	v_add_co_ci_u32_e64 v17, null, v13, v35, vcc_lo
	global_load_ushort v9, v[16:17], off
	s_waitcnt vmcnt(0)
	v_mul_f16_e32 v9, s15, v9
	v_cvt_f32_f16_e32 v9, v9
.LBB259_129:
	v_pk_add_f16 v10, v10, v26
	v_pk_add_f16 v11, v11, v27
	v_max_f16_e32 v16, v63, v63
	v_lshrrev_b32_e32 v17, 16, v63
	v_max_f32_e32 v9, v9, v9
	v_lshrrev_b32_e32 v18, 16, v10
	v_lshrrev_b32_e32 v19, 16, v11
	v_min_f16_e32 v10, v16, v10
	v_min3_f16 v16, v17, v18, v19
	v_min3_f16 v10, v10, v11, v16
	v_cvt_f32_f16_e32 v10, v10
	v_min_f32_e32 v9, v9, v10
	v_cvt_f16_f32_e32 v11, v9
	v_add_co_u32 v9, vcc_lo, v14, v34
	v_add_co_ci_u32_e64 v10, null, v15, v35, vcc_lo
	s_and_b32 vcc_lo, exec_lo, s1
	global_store_short v[9:10], v11, off
	s_cbranch_vccnz .LBB259_131
; %bb.130:
	v_add_co_u32 v8, vcc_lo, v12, v36
	v_add_co_ci_u32_e64 v9, null, v13, v37, vcc_lo
	global_load_ushort v8, v[8:9], off
	s_waitcnt vmcnt(0)
	v_mul_f16_e32 v8, s15, v8
	v_cvt_f32_f16_e32 v8, v8
.LBB259_131:
	v_pk_add_f16 v4, v4, v26
	v_pk_add_f16 v5, v5, v27
	v_max_f16_e32 v9, v120, v120
	v_lshrrev_b32_e32 v10, 16, v120
	v_lshrrev_b32_e32 v11, 16, v4
	;; [unrolled: 1-line block ×3, first 2 shown]
	v_min_f16_e32 v4, v9, v4
	v_min3_f16 v9, v10, v11, v16
	v_min3_f16 v4, v4, v5, v9
	v_max_f32_e32 v5, v8, v8
	v_add_co_u32 v8, vcc_lo, v14, v36
	v_add_co_ci_u32_e64 v9, null, v15, v37, vcc_lo
	v_cvt_f32_f16_e32 v4, v4
	s_and_b32 vcc_lo, exec_lo, s1
	v_min_f32_e32 v4, v5, v4
	v_mov_b32_e32 v5, 0
	v_cvt_f16_f32_e32 v10, v4
	v_mov_b32_e32 v4, 0
	global_store_short v[8:9], v10, off
	s_cbranch_vccnz .LBB259_133
; %bb.132:
	v_add_co_u32 v8, vcc_lo, v12, v42
	v_add_co_ci_u32_e64 v9, null, v13, v43, vcc_lo
	global_load_ushort v5, v[8:9], off
	s_waitcnt vmcnt(0)
	v_mul_f16_e32 v5, s15, v5
	v_cvt_f32_f16_e32 v5, v5
.LBB259_133:
	v_pk_add_f16 v6, v6, v26
	v_pk_add_f16 v7, v7, v27
	v_max_f16_e32 v8, v61, v61
	v_lshrrev_b32_e32 v9, 16, v61
	v_max_f32_e32 v5, v5, v5
	v_lshrrev_b32_e32 v10, 16, v6
	v_lshrrev_b32_e32 v11, 16, v7
	v_min_f16_e32 v6, v8, v6
	v_min3_f16 v8, v9, v10, v11
	v_min3_f16 v6, v6, v7, v8
	v_cvt_f32_f16_e32 v6, v6
	v_min_f32_e32 v5, v5, v6
	v_cvt_f16_f32_e32 v7, v5
	v_add_co_u32 v5, vcc_lo, v14, v42
	v_add_co_ci_u32_e64 v6, null, v15, v43, vcc_lo
	s_and_b32 vcc_lo, exec_lo, s1
	global_store_short v[5:6], v7, off
	s_cbranch_vccnz .LBB259_135
; %bb.134:
	v_add_co_u32 v4, vcc_lo, v12, v40
	v_add_co_ci_u32_e64 v5, null, v13, v41, vcc_lo
	global_load_ushort v4, v[4:5], off
	s_waitcnt vmcnt(0)
	v_mul_f16_e32 v4, s15, v4
	v_cvt_f32_f16_e32 v4, v4
.LBB259_135:
	v_pk_add_f16 v0, v0, v26
	v_pk_add_f16 v1, v1, v27
	v_max_f16_e32 v5, v122, v122
	v_lshrrev_b32_e32 v6, 16, v122
	v_pk_add_f16 v3, v3, v27
	v_lshrrev_b32_e32 v7, 16, v0
	v_lshrrev_b32_e32 v8, 16, v1
	v_min_f16_e32 v0, v5, v0
	s_mov_b32 s1, -1
	v_min3_f16 v5, v6, v7, v8
	v_lshrrev_b32_e32 v6, 16, v59
	v_lshrrev_b32_e32 v8, 16, v3
	v_min3_f16 v0, v0, v1, v5
	v_pk_add_f16 v5, v2, v26
	v_max_f32_e32 v1, v4, v4
	v_max_f16_e32 v4, v59, v59
	v_cvt_f32_f16_e32 v0, v0
	v_lshrrev_b32_e32 v7, 16, v5
	v_min_f16_e32 v4, v4, v5
	v_min_f32_e32 v0, v1, v0
	v_min3_f16 v5, v6, v7, v8
	v_add_co_u32 v1, vcc_lo, v14, v40
	v_add_co_ci_u32_e64 v2, null, v15, v41, vcc_lo
	v_cvt_f16_f32_e32 v6, v0
	v_min3_f16 v0, v4, v3, v5
	s_mov_b32 vcc_lo, s0
	global_store_short v[1:2], v6, off
	s_cbranch_vccz .LBB259_137
; %bb.136:
	v_cvt_f32_f16_e32 v1, v0
	s_mov_b32 s1, 0
	v_min_f32_e32 v1, 0, v1
	v_cvt_f16_f32_e32 v3, v1
	v_add_co_u32 v1, vcc_lo, v14, v38
	v_add_co_ci_u32_e64 v2, null, v15, v39, vcc_lo
	global_store_short v[1:2], v3, off
.LBB259_137:
	v_mov_b32_e32 v1, 0
	s_andn2_b32 vcc_lo, exec_lo, s1
	s_cbranch_vccnz .LBB259_139
; %bb.138:
	v_add_co_u32 v1, vcc_lo, v12, v38
	v_add_co_ci_u32_e64 v2, null, v13, v39, vcc_lo
	global_load_ushort v1, v[1:2], off
	v_max_f16_e32 v2, v0, v0
	v_add_co_u32 v0, vcc_lo, v14, v38
	s_waitcnt vmcnt(0)
	v_mul_f16_e32 v3, s15, v1
	v_add_co_ci_u32_e64 v1, null, v15, v39, vcc_lo
	v_min_f16_e32 v4, v3, v2
	v_add_co_u32 v2, vcc_lo, v12, v44
	v_add_co_ci_u32_e64 v3, null, v13, v45, vcc_lo
	global_store_short v[0:1], v4, off
	global_load_ushort v0, v[2:3], off
	s_waitcnt vmcnt(0)
	v_mul_f16_e32 v0, s15, v0
	v_cvt_f32_f16_e32 v1, v0
.LBB259_139:
	v_pk_add_f16 v0, v24, v26
	v_pk_add_f16 v2, v25, v27
	v_max_f16_e32 v3, v74, v74
	v_lshrrev_b32_e32 v4, 16, v74
	v_max_f32_e32 v1, v1, v1
	v_lshrrev_b32_e32 v5, 16, v0
	v_lshrrev_b32_e32 v6, 16, v2
	v_min_f16_e32 v0, v3, v0
	v_min3_f16 v3, v4, v5, v6
	v_min3_f16 v0, v0, v2, v3
	v_cvt_f32_f16_e32 v0, v0
	v_min_f32_e32 v0, v1, v0
	v_cvt_f16_f32_e32 v2, v0
	v_add_co_u32 v0, vcc_lo, v14, v44
	v_add_co_ci_u32_e64 v1, null, v15, v45, vcc_lo
	global_store_short v[0:1], v2, off
	s_endpgm
.LBB259_140:
	s_mov_b64 s[16:17], 0
	s_andn2_b32 vcc_lo, exec_lo, s8
	s_mov_b32 s0, -1
	s_cbranch_vccz .LBB259_2
	s_branch .LBB259_3
	.section	.rodata,"a",@progbits
	.p2align	6, 0x0
	.amdhsa_kernel _ZN12_GLOBAL__N_120geam_min_plus_kernelIDF16_Dv2_DF16_S1_Li32ELi8ELi256ELi64ELi4ELi64ELi4ELi4ELi64ELc78ELc78ELb1ELb0ELb1EDF16_KDF16_DF16_EEviiiT16_PT17_ilS5_ilS3_S5_ilPT18_ili26rocblas_geam_ex_operation_
		.amdhsa_group_segment_fixed_size 5120
		.amdhsa_private_segment_fixed_size 176
		.amdhsa_kernarg_size 128
		.amdhsa_user_sgpr_count 6
		.amdhsa_user_sgpr_private_segment_buffer 1
		.amdhsa_user_sgpr_dispatch_ptr 0
		.amdhsa_user_sgpr_queue_ptr 0
		.amdhsa_user_sgpr_kernarg_segment_ptr 1
		.amdhsa_user_sgpr_dispatch_id 0
		.amdhsa_user_sgpr_flat_scratch_init 0
		.amdhsa_user_sgpr_private_segment_size 0
		.amdhsa_wavefront_size32 1
		.amdhsa_uses_dynamic_stack 0
		.amdhsa_system_sgpr_private_segment_wavefront_offset 1
		.amdhsa_system_sgpr_workgroup_id_x 1
		.amdhsa_system_sgpr_workgroup_id_y 0
		.amdhsa_system_sgpr_workgroup_id_z 1
		.amdhsa_system_sgpr_workgroup_info 0
		.amdhsa_system_vgpr_workitem_id 1
		.amdhsa_next_free_vgpr 256
		.amdhsa_next_free_sgpr 28
		.amdhsa_reserve_vcc 1
		.amdhsa_reserve_flat_scratch 0
		.amdhsa_float_round_mode_32 0
		.amdhsa_float_round_mode_16_64 0
		.amdhsa_float_denorm_mode_32 3
		.amdhsa_float_denorm_mode_16_64 3
		.amdhsa_dx10_clamp 1
		.amdhsa_ieee_mode 1
		.amdhsa_fp16_overflow 0
		.amdhsa_workgroup_processor_mode 1
		.amdhsa_memory_ordered 1
		.amdhsa_forward_progress 1
		.amdhsa_shared_vgpr_count 0
		.amdhsa_exception_fp_ieee_invalid_op 0
		.amdhsa_exception_fp_denorm_src 0
		.amdhsa_exception_fp_ieee_div_zero 0
		.amdhsa_exception_fp_ieee_overflow 0
		.amdhsa_exception_fp_ieee_underflow 0
		.amdhsa_exception_fp_ieee_inexact 0
		.amdhsa_exception_int_div_zero 0
	.end_amdhsa_kernel
	.section	.text._ZN12_GLOBAL__N_120geam_min_plus_kernelIDF16_Dv2_DF16_S1_Li32ELi8ELi256ELi64ELi4ELi64ELi4ELi4ELi64ELc78ELc78ELb1ELb0ELb1EDF16_KDF16_DF16_EEviiiT16_PT17_ilS5_ilS3_S5_ilPT18_ili26rocblas_geam_ex_operation_,"axG",@progbits,_ZN12_GLOBAL__N_120geam_min_plus_kernelIDF16_Dv2_DF16_S1_Li32ELi8ELi256ELi64ELi4ELi64ELi4ELi4ELi64ELc78ELc78ELb1ELb0ELb1EDF16_KDF16_DF16_EEviiiT16_PT17_ilS5_ilS3_S5_ilPT18_ili26rocblas_geam_ex_operation_,comdat
.Lfunc_end259:
	.size	_ZN12_GLOBAL__N_120geam_min_plus_kernelIDF16_Dv2_DF16_S1_Li32ELi8ELi256ELi64ELi4ELi64ELi4ELi4ELi64ELc78ELc78ELb1ELb0ELb1EDF16_KDF16_DF16_EEviiiT16_PT17_ilS5_ilS3_S5_ilPT18_ili26rocblas_geam_ex_operation_, .Lfunc_end259-_ZN12_GLOBAL__N_120geam_min_plus_kernelIDF16_Dv2_DF16_S1_Li32ELi8ELi256ELi64ELi4ELi64ELi4ELi4ELi64ELc78ELc78ELb1ELb0ELb1EDF16_KDF16_DF16_EEviiiT16_PT17_ilS5_ilS3_S5_ilPT18_ili26rocblas_geam_ex_operation_
                                        ; -- End function
	.set _ZN12_GLOBAL__N_120geam_min_plus_kernelIDF16_Dv2_DF16_S1_Li32ELi8ELi256ELi64ELi4ELi64ELi4ELi4ELi64ELc78ELc78ELb1ELb0ELb1EDF16_KDF16_DF16_EEviiiT16_PT17_ilS5_ilS3_S5_ilPT18_ili26rocblas_geam_ex_operation_.num_vgpr, 256
	.set _ZN12_GLOBAL__N_120geam_min_plus_kernelIDF16_Dv2_DF16_S1_Li32ELi8ELi256ELi64ELi4ELi64ELi4ELi4ELi64ELc78ELc78ELb1ELb0ELb1EDF16_KDF16_DF16_EEviiiT16_PT17_ilS5_ilS3_S5_ilPT18_ili26rocblas_geam_ex_operation_.num_agpr, 0
	.set _ZN12_GLOBAL__N_120geam_min_plus_kernelIDF16_Dv2_DF16_S1_Li32ELi8ELi256ELi64ELi4ELi64ELi4ELi4ELi64ELc78ELc78ELb1ELb0ELb1EDF16_KDF16_DF16_EEviiiT16_PT17_ilS5_ilS3_S5_ilPT18_ili26rocblas_geam_ex_operation_.numbered_sgpr, 28
	.set _ZN12_GLOBAL__N_120geam_min_plus_kernelIDF16_Dv2_DF16_S1_Li32ELi8ELi256ELi64ELi4ELi64ELi4ELi4ELi64ELc78ELc78ELb1ELb0ELb1EDF16_KDF16_DF16_EEviiiT16_PT17_ilS5_ilS3_S5_ilPT18_ili26rocblas_geam_ex_operation_.num_named_barrier, 0
	.set _ZN12_GLOBAL__N_120geam_min_plus_kernelIDF16_Dv2_DF16_S1_Li32ELi8ELi256ELi64ELi4ELi64ELi4ELi4ELi64ELc78ELc78ELb1ELb0ELb1EDF16_KDF16_DF16_EEviiiT16_PT17_ilS5_ilS3_S5_ilPT18_ili26rocblas_geam_ex_operation_.private_seg_size, 176
	.set _ZN12_GLOBAL__N_120geam_min_plus_kernelIDF16_Dv2_DF16_S1_Li32ELi8ELi256ELi64ELi4ELi64ELi4ELi4ELi64ELc78ELc78ELb1ELb0ELb1EDF16_KDF16_DF16_EEviiiT16_PT17_ilS5_ilS3_S5_ilPT18_ili26rocblas_geam_ex_operation_.uses_vcc, 1
	.set _ZN12_GLOBAL__N_120geam_min_plus_kernelIDF16_Dv2_DF16_S1_Li32ELi8ELi256ELi64ELi4ELi64ELi4ELi4ELi64ELc78ELc78ELb1ELb0ELb1EDF16_KDF16_DF16_EEviiiT16_PT17_ilS5_ilS3_S5_ilPT18_ili26rocblas_geam_ex_operation_.uses_flat_scratch, 0
	.set _ZN12_GLOBAL__N_120geam_min_plus_kernelIDF16_Dv2_DF16_S1_Li32ELi8ELi256ELi64ELi4ELi64ELi4ELi4ELi64ELc78ELc78ELb1ELb0ELb1EDF16_KDF16_DF16_EEviiiT16_PT17_ilS5_ilS3_S5_ilPT18_ili26rocblas_geam_ex_operation_.has_dyn_sized_stack, 0
	.set _ZN12_GLOBAL__N_120geam_min_plus_kernelIDF16_Dv2_DF16_S1_Li32ELi8ELi256ELi64ELi4ELi64ELi4ELi4ELi64ELc78ELc78ELb1ELb0ELb1EDF16_KDF16_DF16_EEviiiT16_PT17_ilS5_ilS3_S5_ilPT18_ili26rocblas_geam_ex_operation_.has_recursion, 0
	.set _ZN12_GLOBAL__N_120geam_min_plus_kernelIDF16_Dv2_DF16_S1_Li32ELi8ELi256ELi64ELi4ELi64ELi4ELi4ELi64ELc78ELc78ELb1ELb0ELb1EDF16_KDF16_DF16_EEviiiT16_PT17_ilS5_ilS3_S5_ilPT18_ili26rocblas_geam_ex_operation_.has_indirect_call, 0
	.section	.AMDGPU.csdata,"",@progbits
; Kernel info:
; codeLenInByte = 19432
; TotalNumSgprs: 30
; NumVgprs: 256
; ScratchSize: 176
; MemoryBound: 0
; FloatMode: 240
; IeeeMode: 1
; LDSByteSize: 5120 bytes/workgroup (compile time only)
; SGPRBlocks: 0
; VGPRBlocks: 31
; NumSGPRsForWavesPerEU: 30
; NumVGPRsForWavesPerEU: 256
; Occupancy: 4
; WaveLimiterHint : 1
; COMPUTE_PGM_RSRC2:SCRATCH_EN: 1
; COMPUTE_PGM_RSRC2:USER_SGPR: 6
; COMPUTE_PGM_RSRC2:TRAP_HANDLER: 0
; COMPUTE_PGM_RSRC2:TGID_X_EN: 1
; COMPUTE_PGM_RSRC2:TGID_Y_EN: 0
; COMPUTE_PGM_RSRC2:TGID_Z_EN: 1
; COMPUTE_PGM_RSRC2:TIDIG_COMP_CNT: 1
	.section	.text._ZN12_GLOBAL__N_120geam_min_plus_kernelIDF16_Dv2_DF16_S1_Li32ELi8ELi256ELi64ELi4ELi64ELi4ELi4ELi64ELc78ELc78ELb0ELb0ELb1EDF16_KDF16_DF16_EEviiiT16_PT17_ilS5_ilS3_S5_ilPT18_ili26rocblas_geam_ex_operation_,"axG",@progbits,_ZN12_GLOBAL__N_120geam_min_plus_kernelIDF16_Dv2_DF16_S1_Li32ELi8ELi256ELi64ELi4ELi64ELi4ELi4ELi64ELc78ELc78ELb0ELb0ELb1EDF16_KDF16_DF16_EEviiiT16_PT17_ilS5_ilS3_S5_ilPT18_ili26rocblas_geam_ex_operation_,comdat
	.globl	_ZN12_GLOBAL__N_120geam_min_plus_kernelIDF16_Dv2_DF16_S1_Li32ELi8ELi256ELi64ELi4ELi64ELi4ELi4ELi64ELc78ELc78ELb0ELb0ELb1EDF16_KDF16_DF16_EEviiiT16_PT17_ilS5_ilS3_S5_ilPT18_ili26rocblas_geam_ex_operation_ ; -- Begin function _ZN12_GLOBAL__N_120geam_min_plus_kernelIDF16_Dv2_DF16_S1_Li32ELi8ELi256ELi64ELi4ELi64ELi4ELi4ELi64ELc78ELc78ELb0ELb0ELb1EDF16_KDF16_DF16_EEviiiT16_PT17_ilS5_ilS3_S5_ilPT18_ili26rocblas_geam_ex_operation_
	.p2align	8
	.type	_ZN12_GLOBAL__N_120geam_min_plus_kernelIDF16_Dv2_DF16_S1_Li32ELi8ELi256ELi64ELi4ELi64ELi4ELi4ELi64ELc78ELc78ELb0ELb0ELb1EDF16_KDF16_DF16_EEviiiT16_PT17_ilS5_ilS3_S5_ilPT18_ili26rocblas_geam_ex_operation_,@function
_ZN12_GLOBAL__N_120geam_min_plus_kernelIDF16_Dv2_DF16_S1_Li32ELi8ELi256ELi64ELi4ELi64ELi4ELi4ELi64ELc78ELc78ELb0ELb0ELb1EDF16_KDF16_DF16_EEviiiT16_PT17_ilS5_ilS3_S5_ilPT18_ili26rocblas_geam_ex_operation_: ; @_ZN12_GLOBAL__N_120geam_min_plus_kernelIDF16_Dv2_DF16_S1_Li32ELi8ELi256ELi64ELi4ELi64ELi4ELi4ELi64ELc78ELc78ELb0ELb0ELb1EDF16_KDF16_DF16_EEviiiT16_PT17_ilS5_ilS3_S5_ilPT18_ili26rocblas_geam_ex_operation_
; %bb.0:
	s_clause 0x1
	s_load_dwordx2 s[14:15], s[4:5], 0x8
	s_load_dwordx4 s[8:11], s[4:5], 0x20
	s_waitcnt lgkmcnt(0)
	v_cmp_eq_f16_e64 s0, s15, 0
	s_and_b32 s1, exec_lo, s0
	s_mov_b32 vcc_lo, s1
	s_cbranch_vccnz .LBB260_9
; %bb.1:
	s_load_dwordx2 s[2:3], s[4:5], 0x10
	s_mul_i32 s9, s9, s7
	s_mul_hi_u32 s12, s8, s7
	s_mul_i32 s8, s8, s7
	s_add_i32 s9, s12, s9
	s_lshl_b64 s[8:9], s[8:9], 1
	s_waitcnt lgkmcnt(0)
	s_add_u32 s16, s2, s8
	s_addc_u32 s17, s3, s9
	s_andn2_b32 vcc_lo, exec_lo, s0
	s_mov_b32 s0, -1
	s_cbranch_vccnz .LBB260_3
.LBB260_2:
	s_mov_b32 s0, 0
.LBB260_3:
	s_mov_b64 s[12:13], 0
	s_andn2_b32 vcc_lo, exec_lo, s0
	s_mov_b64 s[18:19], 0
	s_cbranch_vccnz .LBB260_5
; %bb.4:
	s_load_dwordx2 s[2:3], s[4:5], 0x38
	s_waitcnt lgkmcnt(0)
	s_mul_i32 s0, s3, s7
	s_mul_hi_u32 s3, s2, s7
	s_mul_i32 s2, s2, s7
	s_add_i32 s3, s3, s0
	s_lshl_b64 s[2:3], s[2:3], 1
	s_add_u32 s18, s10, s2
	s_addc_u32 s19, s11, s3
.LBB260_5:
	s_clause 0x1
	s_load_dword s3, s[4:5], 0x40
	s_load_dwordx4 s[8:11], s[4:5], 0x58
	v_cmp_neq_f16_e64 s23, s15, 0
	s_waitcnt lgkmcnt(0)
	v_cmp_eq_f16_e64 s0, s3, 0
	s_and_b32 s0, exec_lo, s0
	s_mov_b32 vcc_lo, s0
	s_cbranch_vccnz .LBB260_7
; %bb.6:
	s_load_dwordx2 s[12:13], s[4:5], 0x48
	s_mul_i32 s2, s9, s7
	s_mul_hi_u32 s9, s8, s7
	s_mul_i32 s8, s8, s7
	s_add_i32 s9, s9, s2
	s_lshl_b64 s[8:9], s[8:9], 1
	s_waitcnt lgkmcnt(0)
	s_add_u32 s12, s12, s8
	s_addc_u32 s13, s13, s9
.LBB260_7:
	s_clause 0x1
	s_load_dword s2, s[4:5], 0x0
	s_load_dword s8, s[4:5], 0x18
	v_lshl_add_u32 v6, v1, 5, v0
	v_cndmask_b32_e64 v7, 0, 1, s23
	v_lshrrev_b32_e32 v4, 6, v6
	v_and_b32_e32 v5, 63, v6
	s_waitcnt lgkmcnt(0)
	s_add_i32 s2, s2, -1
	s_ashr_i32 s9, s2, 31
	s_lshr_b32 s9, s9, 24
	s_add_i32 s2, s2, s9
	s_ashr_i32 s2, s2, 8
	s_add_i32 s9, s2, 1
	s_not_b32 s2, s2
	v_cvt_f32_u32_e32 v2, s9
	v_rcp_iflag_f32_e32 v2, v2
	v_mul_f32_e32 v2, 0x4f7ffffe, v2
	v_cvt_u32_f32_e32 v2, v2
	v_readfirstlane_b32 s20, v2
	v_mad_i64_i32 v[2:3], null, s8, v4, 0
	s_mul_i32 s2, s2, s20
	s_mul_hi_u32 s2, s20, s2
	v_lshlrev_b64 v[8:9], 1, v[2:3]
	s_add_i32 s20, s20, s2
	s_mul_hi_u32 s2, s6, s20
	s_mul_i32 s20, s2, s9
	s_add_i32 s21, s2, 1
	s_sub_i32 s20, s6, s20
	v_add_co_u32 v8, vcc_lo, s16, v8
	s_sub_i32 s22, s20, s9
	s_cmp_ge_u32 s20, s9
	v_add_co_ci_u32_e64 v9, null, s17, v9, vcc_lo
	s_cselect_b32 s2, s21, s2
	s_cselect_b32 s20, s22, s20
	s_add_i32 s21, s2, 1
	s_cmp_ge_u32 s20, s9
	s_cselect_b32 s21, s21, s2
	s_andn2_b32 vcc_lo, exec_lo, s23
	s_mul_i32 s22, s21, s9
	s_mov_b32 s23, -1
	s_sub_i32 s2, s6, s22
	s_lshl_b32 s20, s2, 8
	v_cmp_ne_u32_e64 s2, 1, v7
	v_or_b32_e32 v2, s20, v5
	v_ashrrev_i32_e32 v3, 31, v2
	s_cbranch_vccnz .LBB260_10
; %bb.8:
	v_lshlrev_b64 v[10:11], 1, v[2:3]
	v_add_co_u32 v10, vcc_lo, v8, v10
	v_add_co_ci_u32_e64 v11, null, v9, v11, vcc_lo
	s_clause 0x1
	global_load_ushort v7, v[10:11], off
	global_load_ushort v10, v[10:11], off offset:128
	s_waitcnt vmcnt(1)
	v_mul_f16_e32 v11, s15, v7
	s_waitcnt vmcnt(0)
	v_mul_f16_e32 v7, s15, v10
	v_pack_b32_f16 v11, v11, 0
	s_branch .LBB260_11
.LBB260_9:
	s_mov_b64 s[16:17], 0
	s_andn2_b32 vcc_lo, exec_lo, s0
	s_mov_b32 s0, -1
	s_cbranch_vccz .LBB260_2
	s_branch .LBB260_3
.LBB260_10:
	v_mov_b32_e32 v11, 0
	v_mov_b32_e32 v7, 0
.LBB260_11:
	v_mov_b32_e32 v10, 0
	v_perm_b32 v37, v7, v11, 0x5040100
	s_ashr_i32 s9, s8, 31
	s_mov_b32 vcc_lo, s1
	s_cbranch_vccz .LBB260_13
; %bb.12:
	v_and_b32_e32 v38, 0xffff0000, v10
	s_mov_b32 s23, 0
.LBB260_13:
	v_mov_b32_e32 v11, 0
	v_mov_b32_e32 v7, 0
	s_andn2_b32 vcc_lo, exec_lo, s23
	s_cbranch_vccnz .LBB260_15
; %bb.14:
	v_lshlrev_b64 v[12:13], 1, v[2:3]
	v_add_co_u32 v7, vcc_lo, v8, v12
	v_add_co_ci_u32_e64 v8, null, v9, v13, vcc_lo
	s_clause 0x1
	global_load_ushort v9, v[7:8], off offset:256
	global_load_ushort v7, v[7:8], off offset:384
	s_waitcnt vmcnt(1)
	v_mul_f16_e32 v8, s15, v9
	s_waitcnt vmcnt(0)
	v_mul_f16_e32 v7, s15, v7
	v_bfi_b32 v38, 0xffff, v8, v10
.LBB260_15:
	s_load_dword s23, s[4:5], 0x30
	v_lshrrev_b32_e32 v12, 2, v6
	v_and_b32_e32 v6, 3, v0
	s_lshl_b32 s21, s21, 6
	s_and_b32 vcc_lo, exec_lo, s2
	v_add_nc_u32_e32 v8, s21, v12
	v_lshlrev_b32_e32 v6, 1, v6
	s_cbranch_vccnz .LBB260_17
; %bb.16:
	s_waitcnt lgkmcnt(0)
	v_mad_i64_i32 v[9:10], null, v8, s23, 0
	v_lshlrev_b64 v[9:10], 1, v[9:10]
	v_add_co_u32 v9, vcc_lo, s18, v9
	v_add_co_ci_u32_e64 v10, null, s19, v10, vcc_lo
	v_add_co_u32 v9, vcc_lo, v9, v6
	v_add_co_ci_u32_e64 v10, null, 0, v10, vcc_lo
	global_load_ushort v9, v[9:10], off
	s_waitcnt vmcnt(0)
	v_mul_f16_e32 v11, s15, v9
.LBB260_17:
	v_add_nc_u32_e32 v9, 4, v4
	v_mad_i64_i32 v[9:10], null, s8, v9, 0
	v_lshlrev_b64 v[9:10], 1, v[9:10]
	v_add_co_u32 v13, vcc_lo, s16, v9
	v_add_co_ci_u32_e64 v14, null, s17, v10, vcc_lo
	s_and_b32 vcc_lo, exec_lo, s2
	s_cbranch_vccnz .LBB260_20
; %bb.18:
	v_lshlrev_b64 v[9:10], 1, v[2:3]
	v_add_co_u32 v9, vcc_lo, v13, v9
	v_add_co_ci_u32_e64 v10, null, v14, v10, vcc_lo
	s_clause 0x1
	global_load_ushort v15, v[9:10], off
	global_load_ushort v9, v[9:10], off offset:128
	s_waitcnt vmcnt(1)
	v_mul_f16_e32 v10, s15, v15
	s_waitcnt vmcnt(0)
	v_mul_f16_e32 v9, s15, v9
	v_pack_b32_f16 v10, v10, 0
	v_mov_b32_e32 v15, 0
	v_perm_b32 v39, v9, v10, 0x5040100
	s_mov_b32 vcc_lo, s1
	s_cbranch_vccz .LBB260_21
.LBB260_19:
	v_and_b32_e32 v40, 0xffff0000, v15
	v_mov_b32_e32 v10, 0
	v_mov_b32_e32 v9, 0
	s_cbranch_execz .LBB260_22
	s_branch .LBB260_23
.LBB260_20:
	v_mov_b32_e32 v10, 0
	v_mov_b32_e32 v9, 0
	;; [unrolled: 1-line block ×3, first 2 shown]
	v_perm_b32 v39, v9, v10, 0x5040100
	s_mov_b32 vcc_lo, s1
	s_cbranch_vccnz .LBB260_19
.LBB260_21:
	v_mov_b32_e32 v10, 0
	v_mov_b32_e32 v9, 0
.LBB260_22:
	v_lshlrev_b64 v[2:3], 1, v[2:3]
	v_add_co_u32 v2, vcc_lo, v13, v2
	v_add_co_ci_u32_e64 v3, null, v14, v3, vcc_lo
	s_clause 0x1
	global_load_ushort v9, v[2:3], off offset:256
	global_load_ushort v2, v[2:3], off offset:384
	s_waitcnt vmcnt(1)
	v_mul_f16_e32 v3, s15, v9
	s_waitcnt vmcnt(0)
	v_mul_f16_e32 v9, s15, v2
	v_bfi_b32 v40, 0xffff, v3, v15
.LBB260_23:
	s_and_b32 vcc_lo, exec_lo, s2
	s_cbranch_vccnz .LBB260_25
; %bb.24:
	s_waitcnt lgkmcnt(0)
	v_mad_i64_i32 v[2:3], null, v8, s23, 0
	v_lshlrev_b64 v[2:3], 1, v[2:3]
	v_add_co_u32 v2, vcc_lo, s18, v2
	v_add_co_ci_u32_e64 v3, null, s19, v3, vcc_lo
	v_add_co_u32 v2, vcc_lo, v2, v6
	v_add_co_ci_u32_e64 v3, null, 0, v3, vcc_lo
	global_load_ushort v2, v[2:3], off offset:8
	s_waitcnt vmcnt(0)
	v_mul_f16_e32 v10, s15, v2
.LBB260_25:
	v_lshlrev_b32_e32 v3, 3, v5
	v_lshlrev_b32_e32 v84, 3, v1
	v_lshl_or_b32 v2, v12, 3, v6
	v_lshlrev_b32_e32 v88, 3, v0
	s_cmp_lt_i32 s14, 9
	v_lshl_add_u32 v45, v4, 1, v3
	v_add_nc_u32_e32 v3, 0x1000, v84
	ds_write_b16 v2, v11 offset:4096
	ds_write_b16 v45, v37
	ds_write_b16_d16_hi v45, v37 offset:512
	ds_write_b16 v45, v38 offset:1024
	ds_write_b16 v45, v7 offset:1536
	s_waitcnt lgkmcnt(0)
	s_barrier
	buffer_gl0_inv
	ds_read2_b64 v[11:14], v88 offset1:32
	ds_read2_b64 v[15:18], v3 offset1:8
	ds_read2_b64 v[19:22], v88 offset0:64 offset1:96
	ds_read2_b64 v[23:26], v88 offset0:128 offset1:160
	;; [unrolled: 1-line block ×4, first 2 shown]
	s_waitcnt lgkmcnt(4)
	v_pk_add_f16 v35, v11, v15
	v_pk_add_f16 v36, v13, v15
	s_waitcnt lgkmcnt(3)
	v_pk_add_f16 v41, v19, v15
	v_pk_add_f16 v42, v21, v15
	;; [unrolled: 3-line block ×4, first 2 shown]
	v_pk_add_f16 v48, v11, v17
	v_pk_add_f16 v49, v13, v17
	;; [unrolled: 1-line block ×24, first 2 shown]
	s_waitcnt lgkmcnt(0)
	v_pk_add_f16 v72, v11, v31
	v_pk_add_f16 v73, v13, v31
	;; [unrolled: 1-line block ×13, first 2 shown]
	ds_read2_b64 v[15:18], v3 offset0:32 offset1:40
	v_pk_add_f16 v86, v25, v33
	v_pk_add_f16 v112, v27, v33
	;; [unrolled: 1-line block ×19, first 2 shown]
	ds_read2_b64 v[31:34], v3 offset0:48 offset1:56
	s_waitcnt lgkmcnt(1)
	v_pk_add_f16 v127, v11, v15
	v_pk_add_f16 v128, v13, v15
	;; [unrolled: 1-line block ×32, first 2 shown]
	s_waitcnt lgkmcnt(0)
	v_pk_add_f16 v154, v11, v31
	v_pk_add_f16 v155, v13, v31
	;; [unrolled: 1-line block ×31, first 2 shown]
	v_pk_min_f16 v35, 0x7c00, v35 op_sel_hi:[0,1]
	v_pk_min_f16 v36, 0x7c00, v36 op_sel_hi:[0,1]
	;; [unrolled: 1-line block ×3, first 2 shown]
	v_pk_add_f16 v30, v30, v34
	v_pk_min_f16 v34, 0x7c00, v43 op_sel_hi:[0,1]
	v_pk_min_f16 v42, 0x7c00, v42 op_sel_hi:[0,1]
	v_pk_min_f16 v121, v35, v56
	v_pk_min_f16 v116, v36, v57
	v_pk_min_f16 v113, v41, v58
	v_pk_min_f16 v35, 0x7c00, v44 op_sel_hi:[0,1]
	v_pk_min_f16 v36, 0x7c00, v46 op_sel_hi:[0,1]
	v_pk_min_f16 v41, 0x7c00, v47 op_sel_hi:[0,1]
	v_pk_min_f16 v110, v34, v60
	v_pk_min_f16 v34, 0x7c00, v49 op_sel_hi:[0,1]
	v_pk_min_f16 v111, v42, v59
	v_pk_min_f16 v42, 0x7c00, v48 op_sel_hi:[0,1]
	v_pk_min_f16 v109, v35, v61
	v_pk_min_f16 v108, v36, v62
	v_pk_min_f16 v107, v41, v63
	v_pk_min_f16 v35, 0x7c00, v50 op_sel_hi:[0,1]
	v_pk_min_f16 v36, 0x7c00, v51 op_sel_hi:[0,1]
	v_pk_min_f16 v41, 0x7c00, v52 op_sel_hi:[0,1]
	v_pk_min_f16 v105, v34, v65
	v_pk_min_f16 v34, 0x7c00, v54 op_sel_hi:[0,1]
	v_pk_min_f16 v106, v42, v64
	;; [unrolled: 10-line block ×4, first 2 shown]
	v_pk_min_f16 v42, 0x7c00, v79 op_sel_hi:[0,1]
	v_pk_min_f16 v94, v35, v92
	v_pk_min_f16 v93, v36, v93
	;; [unrolled: 1-line block ×3, first 2 shown]
	v_pk_min_f16 v35, 0x7c00, v81 op_sel_hi:[0,1]
	v_pk_min_f16 v36, 0x7c00, v82 op_sel_hi:[0,1]
	;; [unrolled: 1-line block ×3, first 2 shown]
	v_pk_min_f16 v90, v34, v118
	v_pk_min_f16 v34, 0x7c00, v86 op_sel_hi:[0,1]
	v_pk_min_f16 v15, 0x7c00, v15 op_sel_hi:[0,1]
	;; [unrolled: 1-line block ×3, first 2 shown]
	v_pk_min_f16 v91, v42, v117
	v_pk_min_f16 v42, 0x7c00, v85 op_sel_hi:[0,1]
	v_pk_min_f16 v89, v35, v119
	v_pk_min_f16 v87, v36, v120
	;; [unrolled: 1-line block ×3, first 2 shown]
	v_pk_min_f16 v35, 0x7c00, v112 op_sel_hi:[0,1]
	v_pk_min_f16 v36, 0x7c00, v114 op_sel_hi:[0,1]
	v_pk_min_f16 v41, 0x7c00, v127 op_sel_hi:[0,1]
	v_pk_min_f16 v82, v34, v124
	v_pk_min_f16 v34, 0x7c00, v129 op_sel_hi:[0,1]
	v_pk_min_f16 v72, v15, v16
	v_pk_min_f16 v15, 0x7c00, v138 op_sel_hi:[0,1]
	v_pk_min_f16 v16, 0x7c00, v139 op_sel_hi:[0,1]
	v_pk_min_f16 v66, v3, v152
	v_pk_min_f16 v3, 0x7c00, v155 op_sel_hi:[0,1]
	v_pk_min_f16 v83, v42, v123
	;; [unrolled: 2-line block ×3, first 2 shown]
	v_pk_min_f16 v80, v36, v126
	v_pk_min_f16 v79, v41, v140
	v_pk_min_f16 v35, 0x7c00, v130 op_sel_hi:[0,1]
	v_pk_min_f16 v36, 0x7c00, v131 op_sel_hi:[0,1]
	;; [unrolled: 1-line block ×3, first 2 shown]
	v_pk_min_f16 v77, v34, v142
	v_pk_min_f16 v34, 0x7c00, v134 op_sel_hi:[0,1]
	v_pk_min_f16 v17, 0x7c00, v17 op_sel_hi:[0,1]
	v_pk_min_f16 v67, v15, v151
	v_pk_min_f16 v65, v16, v153
	v_pk_min_f16 v15, 0x7c00, v158 op_sel_hi:[0,1]
	v_pk_min_f16 v16, 0x7c00, v159 op_sel_hi:[0,1]
	v_pk_min_f16 v62, v3, v157
	v_pk_min_f16 v3, 0x7c00, v166 op_sel_hi:[0,1]
	v_pk_min_f16 v11, 0x7c00, v11 op_sel_hi:[0,1]
	;; [unrolled: 1-line block ×3, first 2 shown]
	v_pk_min_f16 v78, v42, v141
	v_pk_min_f16 v42, 0x7c00, v133 op_sel_hi:[0,1]
	v_pk_min_f16 v76, v35, v143
	v_pk_min_f16 v75, v36, v144
	;; [unrolled: 1-line block ×3, first 2 shown]
	v_pk_min_f16 v35, 0x7c00, v135 op_sel_hi:[0,1]
	v_pk_min_f16 v36, 0x7c00, v136 op_sel_hi:[0,1]
	;; [unrolled: 1-line block ×3, first 2 shown]
	v_pk_min_f16 v71, v34, v147
	v_pk_min_f16 v34, 0x7c00, v154 op_sel_hi:[0,1]
	v_pk_min_f16 v64, v17, v18
	v_pk_min_f16 v17, 0x7c00, v162 op_sel_hi:[0,1]
	v_pk_min_f16 v18, 0x7c00, v163 op_sel_hi:[0,1]
	v_pk_min_f16 v61, v15, v160
	v_pk_min_f16 v60, v16, v161
	v_pk_min_f16 v15, 0x7c00, v31 op_sel_hi:[0,1]
	v_pk_min_f16 v16, 0x7c00, v19 op_sel_hi:[0,1]
	v_pk_min_f16 v57, v3, v33
	v_pk_min_f16 v55, v11, v12
	;; [unrolled: 1-line block ×3, first 2 shown]
	v_pk_min_f16 v3, 0x7c00, v21 op_sel_hi:[0,1]
	v_pk_min_f16 v11, 0x7c00, v23 op_sel_hi:[0,1]
	;; [unrolled: 1-line block ×5, first 2 shown]
	v_pk_min_f16 v73, v42, v146
	v_pk_min_f16 v70, v35, v148
	;; [unrolled: 1-line block ×14, first 2 shown]
	ds_write_b16 v2, v10 offset:4608
	ds_write_b16 v45, v39 offset:2048
	ds_write_b16_d16_hi v45, v39 offset:2560
	ds_write_b16 v45, v40 offset:3072
	ds_write_b16 v45, v9 offset:3584
	s_waitcnt lgkmcnt(0)
	s_barrier
	buffer_gl0_inv
	s_cbranch_scc1 .LBB260_48
; %bb.26:
	v_mad_i64_i32 v[10:11], null, s23, v8, 0
	v_add_nc_u32_e32 v46, 0x1000, v2
	v_add_nc_u32_e32 v112, 0x1200, v2
	v_perm_b32 v38, v7, v38, 0x5040100
	v_lshl_or_b32 v5, s6, 8, v5
	v_add_nc_u32_e32 v7, 12, v4
	v_add_nc_u32_e32 v4, 8, v4
	v_lshlrev_b64 v[2:3], 1, v[10:11]
	s_lshl_b32 s6, s22, 8
	v_perm_b32 v40, v9, v40, 0x5040100
	v_or_b32_e32 v47, 0x1000, v84
	v_or_b32_e32 v86, 0x800, v45
	v_lshl_or_b32 v114, v0, 3, 0x800
	v_add_co_u32 v8, vcc_lo, v2, v6
	v_add_co_ci_u32_e64 v3, null, 0, v3, vcc_lo
	v_subrev_nc_u32_e32 v2, s6, v5
	v_mad_i64_i32 v[5:6], null, v7, s8, 0
	v_add_co_u32 v9, vcc_lo, s18, v8
	v_mad_i64_i32 v[7:8], null, v4, s8, 0
	v_add_co_ci_u32_e64 v10, null, s19, v3, vcc_lo
	v_ashrrev_i32_e32 v3, 31, v2
	v_lshlrev_b64 v[4:5], 1, v[5:6]
	v_add_co_u32 v41, vcc_lo, v9, 16
	v_add_co_ci_u32_e64 v42, null, 0, v10, vcc_lo
	v_lshlrev_b64 v[43:44], 1, v[2:3]
	v_lshlrev_b64 v[2:3], 1, v[7:8]
	v_add_co_u32 v117, vcc_lo, s16, v4
	v_add_co_ci_u32_e64 v118, null, s17, v5, vcc_lo
	v_lshl_add_u32 v115, v1, 3, 0x1200
	v_add_co_u32 v119, vcc_lo, s16, v2
	v_add_co_ci_u32_e64 v120, null, s17, v3, vcc_lo
	s_add_i32 s6, s14, -8
	s_lshl_b64 s[8:9], s[8:9], 4
	s_mov_b32 s14, 0
	s_mov_b32 s16, -1
	s_mov_b32 vcc_lo, s1
                                        ; implicit-def: $vgpr2_vgpr3
	s_cbranch_vccz .LBB260_42
.LBB260_27:
	v_and_b32_e32 v2, 0xffff0000, v37
	v_mov_b32_e32 v3, v38
	v_mov_b32_e32 v4, 0
	s_cbranch_execz .LBB260_43
.LBB260_28:
	v_perm_b32 v37, v4, v2, 0x5040100
	s_mov_b32 s16, -1
	s_mov_b32 vcc_lo, s1
	s_cbranch_vccz .LBB260_44
.LBB260_29:
	v_and_b32_e32 v38, 0xffff0000, v3
	v_mov_b32_e32 v14, 0
	v_mov_b32_e32 v126, 0
	s_cbranch_execz .LBB260_45
.LBB260_30:
	s_and_b32 vcc_lo, exec_lo, s2
	s_cbranch_vccnz .LBB260_32
.LBB260_31:
	global_load_ushort v2, v[41:42], off
	s_waitcnt vmcnt(0)
	v_mul_f16_e32 v14, s15, v2
.LBB260_32:
	ds_read2_b64 v[10:13], v114 offset1:32
	ds_read2_b64 v[6:9], v114 offset0:64 offset1:96
	ds_read2_b64 v[2:5], v114 offset0:128 offset1:160
	;; [unrolled: 1-line block ×3, first 2 shown]
	ds_read2_b64 v[33:36], v115 offset1:8
	ds_read2_b64 v[29:32], v115 offset0:16 offset1:24
	ds_read2_b64 v[25:28], v115 offset0:32 offset1:40
	;; [unrolled: 1-line block ×3, first 2 shown]
	s_mov_b32 s16, -1
	s_mov_b32 vcc_lo, s1
	ds_write_b16 v45, v37
	ds_write_b16_d16_hi v45, v37 offset:512
	ds_write_b16 v45, v38 offset:1024
	ds_write_b16 v45, v126 offset:1536
	ds_write_b16 v46, v14
	s_waitcnt lgkmcnt(0)
	s_barrier
	buffer_gl0_inv
                                        ; implicit-def: $vgpr14_vgpr15
	s_cbranch_vccz .LBB260_34
; %bb.33:
	v_and_b32_e32 v14, 0xffff0000, v39
	v_mov_b32_e32 v15, v40
	v_mov_b32_e32 v16, 0
	s_cbranch_execnz .LBB260_36
	s_branch .LBB260_35
.LBB260_34:
	v_mov_b32_e32 v16, 0
	s_andn2_b32 vcc_lo, exec_lo, s16
	s_cbranch_vccnz .LBB260_36
.LBB260_35:
	v_add_co_u32 v14, vcc_lo, v117, v43
	v_add_co_ci_u32_e64 v15, null, v118, v44, vcc_lo
	s_clause 0x1
	global_load_ushort v16, v[14:15], off
	global_load_ushort v14, v[14:15], off offset:128
	s_waitcnt vmcnt(1)
	v_mul_f16_e32 v15, s15, v16
	s_waitcnt vmcnt(0)
	v_mul_f16_e32 v16, s15, v14
	v_bfi_b32 v39, 0xffff, v15, v39
	v_mov_b32_e32 v14, v39
	v_mov_b32_e32 v15, v40
.LBB260_36:
	v_perm_b32 v122, v16, v14, 0x5040100
	s_mov_b32 s16, -1
	s_mov_b32 vcc_lo, s1
                                        ; implicit-def: $vgpr123
	s_cbranch_vccz .LBB260_46
; %bb.37:
	v_and_b32_e32 v123, 0xffff0000, v15
	v_mov_b32_e32 v124, 0
	v_mov_b32_e32 v125, 0
	s_cbranch_execz .LBB260_47
.LBB260_38:
	s_and_b32 vcc_lo, exec_lo, s2
	s_cbranch_vccnz .LBB260_40
.LBB260_39:
	global_load_ushort v14, v[41:42], off offset:8
	s_waitcnt vmcnt(0)
	v_mul_f16_e32 v124, s15, v14
.LBB260_40:
	v_pk_add_f16 v14, v10, v33
	v_pk_max_f16 v15, v121, v121
	v_pk_add_f16 v16, v12, v33
	v_pk_max_f16 v39, v116, v116
	;; [unrolled: 2-line block ×3, first 2 shown]
	v_pk_min_f16 v14, v15, v14
	v_pk_max_f16 v110, v110, v110
	v_pk_min_f16 v15, v39, v16
	v_pk_add_f16 v39, v8, v33
	v_pk_min_f16 v16, v113, v40
	v_pk_max_f16 v40, v111, v111
	v_pk_add_f16 v111, v2, v33
	v_pk_add_f16 v113, v4, v33
	;; [unrolled: 1-line block ×4, first 2 shown]
	v_pk_max_f16 v107, v107, v107
	v_pk_max_f16 v109, v109, v109
	;; [unrolled: 1-line block ×3, first 2 shown]
	v_pk_min_f16 v39, v40, v39
	v_pk_min_f16 v40, v110, v111
	;; [unrolled: 1-line block ×3, first 2 shown]
	v_pk_add_f16 v107, v10, v35
	v_pk_max_f16 v106, v106, v106
	v_pk_add_f16 v110, v12, v35
	v_pk_max_f16 v105, v105, v105
	v_pk_min_f16 v109, v109, v113
	v_pk_min_f16 v108, v108, v116
	v_pk_add_f16 v111, v6, v35
	v_pk_max_f16 v104, v104, v104
	v_pk_add_f16 v113, v8, v35
	v_pk_max_f16 v103, v103, v103
	v_pk_add_f16 v116, v2, v35
	v_pk_min_f16 v106, v106, v107
	v_pk_min_f16 v105, v105, v110
	v_pk_add_f16 v107, v4, v35
	v_pk_max_f16 v101, v101, v101
	v_pk_add_f16 v110, v17, v35
	v_pk_add_f16 v35, v19, v35
	v_pk_max_f16 v99, v99, v99
	v_pk_min_f16 v104, v104, v111
	v_pk_min_f16 v103, v103, v113
	v_pk_max_f16 v100, v100, v100
	v_pk_add_f16 v111, v10, v29
	v_pk_max_f16 v98, v98, v98
	v_pk_add_f16 v113, v12, v29
	v_pk_max_f16 v97, v97, v97
	v_pk_min_f16 v101, v101, v107
	v_pk_min_f16 v35, v99, v35
	v_pk_add_f16 v99, v6, v29
	v_pk_max_f16 v96, v96, v96
	v_pk_add_f16 v107, v8, v29
	v_pk_max_f16 v95, v95, v95
	v_pk_min_f16 v100, v100, v110
	v_pk_min_f16 v98, v98, v111
	;; [unrolled: 1-line block ×3, first 2 shown]
	v_pk_add_f16 v110, v2, v29
	v_pk_max_f16 v94, v94, v94
	v_pk_add_f16 v111, v4, v29
	v_pk_max_f16 v93, v93, v93
	v_pk_add_f16 v113, v17, v29
	v_pk_min_f16 v96, v96, v99
	v_pk_min_f16 v95, v95, v107
	v_pk_add_f16 v29, v19, v29
	v_pk_max_f16 v91, v91, v91
	v_pk_add_f16 v99, v10, v31
	v_pk_max_f16 v90, v90, v90
	;; [unrolled: 2-line block ×3, first 2 shown]
	v_pk_min_f16 v94, v94, v110
	v_pk_min_f16 v93, v93, v111
	v_pk_add_f16 v110, v6, v31
	v_pk_max_f16 v87, v87, v87
	v_pk_add_f16 v111, v8, v31
	v_pk_min_f16 v29, v91, v29
	v_pk_min_f16 v90, v90, v99
	;; [unrolled: 1-line block ×3, first 2 shown]
	v_pk_add_f16 v91, v2, v31
	v_pk_max_f16 v83, v83, v83
	v_pk_add_f16 v99, v4, v31
	v_pk_max_f16 v82, v82, v82
	v_pk_add_f16 v107, v17, v31
	v_pk_add_f16 v31, v19, v31
	v_pk_max_f16 v80, v80, v80
	v_pk_min_f16 v87, v87, v110
	v_pk_max_f16 v81, v81, v81
	v_pk_add_f16 v110, v10, v25
	v_pk_max_f16 v79, v79, v79
	v_pk_min_f16 v83, v83, v91
	v_pk_min_f16 v82, v82, v99
	;; [unrolled: 1-line block ×3, first 2 shown]
	v_pk_add_f16 v80, v12, v25
	v_pk_max_f16 v78, v78, v78
	v_pk_add_f16 v91, v6, v25
	v_pk_max_f16 v77, v77, v77
	;; [unrolled: 2-line block ×3, first 2 shown]
	v_pk_min_f16 v81, v81, v107
	v_pk_min_f16 v79, v79, v110
	v_pk_add_f16 v107, v2, v25
	v_pk_max_f16 v75, v75, v75
	v_pk_add_f16 v110, v4, v25
	v_pk_min_f16 v78, v78, v80
	v_pk_min_f16 v77, v77, v91
	;; [unrolled: 1-line block ×3, first 2 shown]
	v_pk_add_f16 v80, v17, v25
	v_pk_max_f16 v73, v73, v73
	v_pk_add_f16 v25, v19, v25
	v_pk_max_f16 v72, v72, v72
	;; [unrolled: 2-line block ×4, first 2 shown]
	v_pk_min_f16 v75, v75, v107
	v_pk_add_f16 v107, v6, v27
	v_pk_min_f16 v73, v73, v80
	v_pk_min_f16 v25, v72, v25
	;; [unrolled: 1-line block ×4, first 2 shown]
	v_pk_add_f16 v72, v8, v27
	v_pk_max_f16 v68, v68, v68
	v_pk_add_f16 v80, v2, v27
	v_pk_add_f16 v91, v4, v27
	v_pk_max_f16 v66, v66, v66
	v_pk_add_f16 v99, v17, v27
	v_pk_max_f16 v65, v65, v65
	;; [unrolled: 2-line block ×3, first 2 shown]
	v_pk_min_f16 v68, v68, v72
	v_pk_min_f16 v66, v66, v91
	;; [unrolled: 1-line block ×3, first 2 shown]
	v_pk_max_f16 v63, v63, v63
	v_pk_min_f16 v27, v64, v27
	v_pk_add_f16 v64, v10, v21
	v_pk_add_f16 v72, v12, v21
	v_pk_max_f16 v62, v62, v62
	v_pk_add_f16 v91, v8, v21
	v_pk_max_f16 v60, v60, v60
	;; [unrolled: 2-line block ×3, first 2 shown]
	v_pk_max_f16 v85, v85, v85
	v_pk_max_f16 v74, v74, v74
	;; [unrolled: 1-line block ×3, first 2 shown]
	v_pk_min_f16 v63, v63, v64
	v_pk_min_f16 v62, v62, v72
	v_pk_min_f16 v64, v60, v91
	v_pk_min_f16 v72, v59, v99
	v_pk_add_f16 v59, v4, v21
	v_pk_add_f16 v60, v17, v21
	;; [unrolled: 1-line block ×3, first 2 shown]
	v_pk_max_f16 v52, v52, v52
	v_pk_add_f16 v2, v2, v23
	v_pk_max_f16 v51, v51, v51
	v_pk_add_f16 v4, v4, v23
	;; [unrolled: 2-line block ×3, first 2 shown]
	v_pk_max_f16 v49, v49, v49
	v_pk_max_f16 v102, v102, v102
	v_pk_max_f16 v92, v92, v92
	v_pk_min_f16 v85, v85, v111
	v_pk_min_f16 v74, v74, v110
	;; [unrolled: 1-line block ×7, first 2 shown]
	v_pk_add_f16 v2, v19, v23
	v_pk_max_f16 v4, v48, v48
	v_pk_add_f16 v8, v11, v34
	v_pk_add_f16 v17, v13, v34
	v_pk_min_f16 v102, v102, v116
	v_pk_min_f16 v92, v92, v113
	v_pk_min_f16 v113, v4, v2
	v_pk_min_f16 v116, v14, v8
	v_pk_min_f16 v121, v15, v17
	v_pk_add_f16 v2, v3, v34
	v_pk_add_f16 v4, v5, v34
	v_pk_add_f16 v8, v18, v34
	v_pk_add_f16 v14, v20, v34
	v_pk_add_f16 v15, v11, v36
	v_pk_min_f16 v132, v40, v2
	v_pk_min_f16 v109, v109, v4
	v_pk_min_f16 v108, v108, v8
	v_pk_min_f16 v133, v33, v14
	v_pk_min_f16 v106, v106, v15
	v_pk_add_f16 v2, v13, v36
	v_pk_add_f16 v4, v7, v36
	v_pk_add_f16 v8, v9, v36
	;; [unrolled: 10-line block ×5, first 2 shown]
	v_pk_add_f16 v14, v9, v32
	v_pk_add_f16 v15, v3, v32
	v_pk_max_f16 v67, v67, v67
	v_pk_min_f16 v90, v90, v2
	v_pk_min_f16 v89, v89, v4
	;; [unrolled: 1-line block ×5, first 2 shown]
	v_pk_add_f16 v2, v5, v32
	v_pk_add_f16 v4, v18, v32
	;; [unrolled: 1-line block ×5, first 2 shown]
	v_pk_min_f16 v67, v67, v80
	v_pk_add_f16 v80, v6, v21
	v_pk_max_f16 v61, v61, v61
	v_pk_max_f16 v58, v58, v58
	;; [unrolled: 1-line block ×3, first 2 shown]
	v_pk_min_f16 v82, v82, v2
	v_pk_min_f16 v81, v81, v4
	v_pk_min_f16 v136, v31, v8
	v_pk_min_f16 v79, v79, v14
	v_pk_min_f16 v78, v78, v15
	v_pk_add_f16 v2, v7, v26
	v_pk_add_f16 v4, v9, v26
	;; [unrolled: 1-line block ×5, first 2 shown]
	v_pk_min_f16 v61, v61, v80
	v_pk_add_f16 v21, v19, v21
	v_pk_max_f16 v56, v56, v56
	v_pk_add_f16 v10, v10, v23
	v_pk_max_f16 v55, v55, v55
	;; [unrolled: 2-line block ×3, first 2 shown]
	v_pk_min_f16 v80, v58, v59
	v_pk_min_f16 v91, v57, v60
	;; [unrolled: 1-line block ×7, first 2 shown]
	v_pk_add_f16 v2, v20, v26
	v_pk_add_f16 v4, v11, v28
	;; [unrolled: 1-line block ×5, first 2 shown]
	v_pk_min_f16 v21, v56, v21
	v_pk_min_f16 v10, v55, v10
	;; [unrolled: 1-line block ×3, first 2 shown]
	v_pk_add_f16 v6, v6, v23
	v_pk_max_f16 v53, v53, v53
	v_pk_min_f16 v58, v25, v2
	v_pk_min_f16 v56, v71, v4
	;; [unrolled: 1-line block ×5, first 2 shown]
	v_pk_add_f16 v2, v3, v28
	v_pk_add_f16 v4, v5, v28
	;; [unrolled: 1-line block ×5, first 2 shown]
	v_pk_min_f16 v6, v53, v6
	v_pk_add_f16 v19, v7, v34
	v_pk_min_f16 v53, v67, v2
	v_pk_min_f16 v51, v66, v4
	;; [unrolled: 1-line block ×5, first 2 shown]
	v_pk_add_f16 v2, v13, v22
	v_pk_add_f16 v4, v7, v22
	;; [unrolled: 1-line block ×5, first 2 shown]
	v_pk_min_f16 v130, v16, v19
	v_pk_min_f16 v48, v62, v2
	;; [unrolled: 1-line block ×6, first 2 shown]
	ds_read2_b64 v[14:17], v88 offset1:32
	ds_read2_b64 v[61:64], v47 offset1:8
	v_pk_add_f16 v23, v9, v34
	v_pk_add_f16 v8, v11, v24
	;; [unrolled: 1-line block ×5, first 2 shown]
	v_pk_min_f16 v131, v39, v23
	v_pk_min_f16 v25, v10, v8
	;; [unrolled: 1-line block ×3, first 2 shown]
	ds_read2_b64 v[10:13], v88 offset0:64 offset1:96
	v_pk_min_f16 v27, v21, v4
	v_pk_add_f16 v21, v3, v24
	v_pk_add_f16 v2, v18, v22
	v_pk_min_f16 v22, v6, v7
	v_pk_add_f16 v19, v9, v24
	ds_read2_b64 v[6:9], v88 offset0:128 offset1:160
	v_pk_add_f16 v26, v5, v24
	v_pk_min_f16 v32, v107, v21
	v_pk_max_f16 v107, v116, v116
	v_pk_add_f16 v20, v20, v24
	s_waitcnt lgkmcnt(2)
	v_pk_add_f16 v69, v14, v61
	v_pk_min_f16 v28, v110, v26
	v_pk_add_f16 v110, v15, v62
	v_pk_min_f16 v31, v91, v2
	ds_read2_b64 v[2:5], v88 offset0:192 offset1:224
	v_pk_min_f16 v69, v107, v69
	v_pk_add_f16 v18, v18, v24
	v_pk_min_f16 v24, v113, v20
	v_pk_max_f16 v113, v121, v121
	s_waitcnt lgkmcnt(2)
	v_pk_add_f16 v71, v10, v61
	v_pk_add_f16 v72, v12, v61
	v_pk_min_f16 v121, v69, v110
	v_pk_max_f16 v69, v130, v130
	v_pk_max_f16 v110, v131, v131
	v_pk_min_f16 v26, v111, v18
	v_pk_add_f16 v70, v16, v61
	v_pk_add_f16 v111, v11, v62
	;; [unrolled: 1-line block ×3, first 2 shown]
	v_pk_min_f16 v69, v69, v71
	v_pk_min_f16 v72, v110, v72
	s_waitcnt lgkmcnt(1)
	v_pk_add_f16 v74, v8, v61
	v_pk_min_f16 v70, v113, v70
	v_pk_add_f16 v73, v6, v61
	v_pk_min_f16 v113, v69, v111
	v_pk_min_f16 v111, v72, v146
	v_pk_max_f16 v72, v109, v109
	v_pk_add_f16 v148, v9, v62
	v_pk_max_f16 v69, v132, v132
	s_waitcnt lgkmcnt(0)
	v_pk_add_f16 v75, v2, v61
	v_pk_add_f16 v61, v4, v61
	v_pk_min_f16 v72, v72, v74
	v_pk_add_f16 v91, v16, v63
	v_pk_min_f16 v69, v69, v73
	v_pk_max_f16 v73, v108, v108
	v_pk_add_f16 v107, v17, v62
	v_pk_min_f16 v109, v72, v148
	v_pk_max_f16 v72, v133, v133
	v_pk_add_f16 v147, v7, v62
	v_pk_add_f16 v149, v3, v62
	;; [unrolled: 1-line block ×3, first 2 shown]
	v_pk_min_f16 v73, v73, v75
	v_pk_min_f16 v61, v72, v61
	v_pk_max_f16 v105, v105, v105
	v_pk_add_f16 v80, v14, v63
	v_pk_add_f16 v151, v17, v64
	v_pk_min_f16 v116, v70, v107
	v_pk_min_f16 v108, v73, v149
	v_pk_max_f16 v73, v106, v106
	v_pk_min_f16 v107, v61, v62
	v_pk_min_f16 v62, v105, v91
	v_pk_add_f16 v137, v12, v63
	v_pk_add_f16 v150, v15, v64
	v_pk_min_f16 v73, v73, v80
	v_pk_min_f16 v34, v99, v19
	;; [unrolled: 1-line block ×3, first 2 shown]
	v_pk_max_f16 v62, v103, v103
	ds_read2_b64 v[65:68], v47 offset0:16 offset1:24
	v_pk_add_f16 v99, v10, v63
	v_pk_add_f16 v153, v13, v64
	v_pk_min_f16 v106, v73, v150
	v_pk_max_f16 v73, v104, v104
	v_pk_min_f16 v62, v62, v137
	v_pk_add_f16 v138, v6, v63
	v_pk_add_f16 v139, v8, v63
	;; [unrolled: 1-line block ×3, first 2 shown]
	v_pk_min_f16 v73, v73, v99
	v_pk_max_f16 v80, v102, v102
	v_pk_min_f16 v103, v62, v153
	v_pk_max_f16 v62, v101, v101
	v_pk_add_f16 v140, v2, v63
	v_pk_add_f16 v63, v4, v63
	;; [unrolled: 1-line block ×4, first 2 shown]
	v_pk_min_f16 v104, v73, v152
	v_pk_min_f16 v73, v80, v138
	v_pk_min_f16 v62, v62, v139
	v_pk_max_f16 v80, v134, v134
	v_pk_add_f16 v156, v3, v64
	v_pk_add_f16 v64, v5, v64
	v_pk_min_f16 v102, v73, v154
	v_pk_max_f16 v73, v100, v100
	v_pk_min_f16 v101, v62, v155
	v_pk_min_f16 v62, v80, v63
	s_waitcnt lgkmcnt(0)
	v_pk_add_f16 v141, v14, v65
	v_pk_add_f16 v142, v16, v65
	v_pk_min_f16 v73, v73, v140
	v_pk_max_f16 v63, v98, v98
	v_pk_min_f16 v99, v62, v64
	v_pk_max_f16 v62, v97, v97
	v_pk_add_f16 v143, v10, v65
	v_pk_min_f16 v100, v73, v156
	v_pk_add_f16 v64, v15, v66
	v_pk_min_f16 v63, v63, v141
	v_pk_max_f16 v73, v96, v96
	v_pk_min_f16 v62, v62, v142
	v_pk_add_f16 v80, v17, v66
	v_perm_b32 v38, v126, v38, 0x5040100
	ds_read2_b64 v[126:129], v47 offset0:32 offset1:40
	ds_read2_b64 v[18:21], v47 offset0:48 offset1:56
	v_pk_add_f16 v144, v12, v65
	v_pk_min_f16 v98, v63, v64
	v_pk_add_f16 v63, v11, v66
	v_pk_min_f16 v64, v73, v143
	v_pk_min_f16 v97, v62, v80
	v_pk_max_f16 v62, v95, v95
	v_pk_add_f16 v145, v6, v65
	v_pk_add_f16 v157, v8, v65
	;; [unrolled: 1-line block ×3, first 2 shown]
	v_pk_min_f16 v96, v64, v63
	v_pk_max_f16 v63, v94, v94
	v_pk_min_f16 v62, v62, v144
	v_pk_max_f16 v64, v93, v93
	v_pk_max_f16 v73, v92, v92
	v_pk_add_f16 v80, v13, v66
	v_pk_min_f16 v63, v63, v145
	v_pk_add_f16 v91, v7, v66
	v_pk_min_f16 v64, v64, v157
	v_pk_min_f16 v73, v73, v158
	v_pk_add_f16 v92, v9, v66
	v_pk_min_f16 v95, v62, v80
	v_pk_add_f16 v62, v3, v66
	v_pk_add_f16 v65, v4, v65
	;; [unrolled: 1-line block ×3, first 2 shown]
	v_pk_min_f16 v94, v63, v91
	v_pk_max_f16 v63, v135, v135
	v_pk_min_f16 v93, v64, v92
	v_pk_min_f16 v92, v73, v62
	v_pk_max_f16 v62, v90, v90
	v_pk_add_f16 v159, v16, v67
	v_pk_add_f16 v71, v10, v67
	;; [unrolled: 1-line block ×7, first 2 shown]
	s_waitcnt lgkmcnt(1)
	v_pk_add_f16 v74, v14, v126
	v_pk_min_f16 v110, v69, v147
	v_pk_add_f16 v69, v16, v126
	v_pk_add_f16 v75, v10, v126
	;; [unrolled: 1-line block ×15, first 2 shown]
	s_waitcnt lgkmcnt(0)
	v_pk_add_f16 v153, v14, v18
	v_pk_add_f16 v139, v16, v18
	;; [unrolled: 1-line block ×14, first 2 shown]
	v_pk_min_f16 v63, v63, v65
	v_pk_add_f16 v2, v2, v20
	v_pk_max_f16 v65, v87, v87
	v_pk_min_f16 v62, v62, v130
	v_pk_add_f16 v66, v5, v66
	v_pk_add_f16 v73, v15, v68
	;; [unrolled: 1-line block ×3, first 2 shown]
	v_pk_max_f16 v20, v85, v85
	v_pk_min_f16 v65, v65, v71
	v_pk_min_f16 v91, v63, v66
	v_pk_add_f16 v63, v11, v68
	v_pk_min_f16 v90, v62, v73
	v_pk_add_f16 v62, v13, v68
	v_pk_min_f16 v20, v20, v70
	v_pk_max_f16 v64, v89, v89
	v_pk_min_f16 v87, v65, v63
	v_pk_max_f16 v63, v83, v83
	v_pk_add_f16 v65, v7, v68
	v_pk_min_f16 v85, v20, v62
	v_pk_max_f16 v20, v136, v136
	v_pk_add_f16 v62, v5, v68
	v_pk_min_f16 v63, v63, v131
	v_pk_max_f16 v57, v57, v57
	v_pk_min_f16 v64, v64, v159
	v_pk_min_f16 v20, v20, v67
	v_pk_add_f16 v71, v17, v68
	v_pk_min_f16 v83, v63, v65
	v_pk_max_f16 v63, v79, v79
	v_pk_add_f16 v65, v15, v127
	v_pk_min_f16 v80, v20, v62
	v_pk_max_f16 v20, v76, v76
	;; [unrolled: 3-line block ×3, first 2 shown]
	v_pk_min_f16 v57, v57, v148
	v_pk_min_f16 v20, v20, v133
	;; [unrolled: 1-line block ×4, first 2 shown]
	v_pk_add_f16 v65, v3, v127
	v_pk_max_f16 v64, v82, v82
	v_pk_min_f16 v76, v20, v62
	v_pk_max_f16 v20, v58, v58
	v_pk_add_f16 v71, v3, v68
	v_pk_min_f16 v66, v66, v146
	v_pk_max_f16 v59, v59, v59
	v_pk_min_f16 v73, v57, v65
	v_pk_add_f16 v57, v5, v127
	v_pk_min_f16 v20, v20, v61
	v_pk_add_f16 v70, v9, v68
	v_pk_min_f16 v64, v64, v132
	v_pk_min_f16 v81, v66, v71
	v_pk_max_f16 v66, v77, v77
	v_pk_min_f16 v59, v59, v72
	v_pk_min_f16 v72, v20, v57
	v_pk_max_f16 v20, v52, v52
	v_pk_min_f16 v82, v64, v70
	v_pk_max_f16 v64, v78, v78
	v_pk_add_f16 v68, v11, v127
	v_pk_min_f16 v66, v66, v75
	v_pk_add_f16 v52, v13, v129
	v_pk_min_f16 v20, v20, v151
	;; [unrolled: 2-line block ×3, first 2 shown]
	v_pk_min_f16 v77, v66, v68
	v_pk_max_f16 v60, v60, v60
	v_pk_max_f16 v56, v56, v56
	v_pk_min_f16 v68, v20, v52
	v_pk_max_f16 v20, v49, v49
	v_pk_min_f16 v78, v64, v67
	v_pk_add_f16 v63, v7, v127
	v_pk_min_f16 v60, v60, v147
	v_pk_add_f16 v64, v9, v127
	v_pk_max_f16 v55, v55, v55
	v_pk_add_f16 v58, v15, v129
	v_pk_max_f16 v54, v54, v54
	v_pk_min_f16 v56, v56, v126
	v_pk_max_f16 v50, v50, v50
	v_pk_add_f16 v49, v5, v129
	v_pk_min_f16 v20, v20, v128
	v_pk_min_f16 v75, v60, v63
	;; [unrolled: 1-line block ×3, first 2 shown]
	v_pk_add_f16 v59, v17, v129
	v_pk_min_f16 v55, v55, v149
	v_pk_add_f16 v60, v11, v129
	v_pk_min_f16 v54, v54, v150
	v_pk_min_f16 v71, v56, v58
	v_pk_max_f16 v53, v53, v53
	v_pk_max_f16 v51, v51, v51
	v_pk_add_f16 v56, v3, v129
	v_pk_min_f16 v50, v50, v138
	v_pk_min_f16 v64, v20, v49
	v_pk_max_f16 v20, v33, v33
	v_pk_max_f16 v25, v25, v25
	;; [unrolled: 1-line block ×3, first 2 shown]
	v_pk_min_f16 v70, v55, v59
	v_pk_min_f16 v69, v54, v60
	v_pk_add_f16 v54, v7, v129
	v_pk_min_f16 v53, v53, v137
	v_pk_add_f16 v55, v9, v129
	v_pk_min_f16 v51, v51, v152
	v_pk_min_f16 v65, v50, v56
	v_pk_add_f16 v50, v15, v19
	v_pk_add_f16 v52, v11, v19
	;; [unrolled: 1-line block ×3, first 2 shown]
	v_pk_min_f16 v20, v20, v140
	v_pk_add_f16 v15, v15, v21
	v_pk_min_f16 v14, v25, v14
	v_pk_add_f16 v11, v11, v21
	v_pk_min_f16 v10, v22, v10
	v_pk_min_f16 v67, v53, v54
	v_pk_min_f16 v66, v51, v55
	v_pk_max_f16 v35, v35, v35
	v_pk_max_f16 v48, v48, v48
	;; [unrolled: 1-line block ×3, first 2 shown]
	v_pk_min_f16 v60, v20, v33
	v_pk_max_f16 v20, v27, v27
	v_pk_min_f16 v55, v14, v15
	v_pk_max_f16 v14, v34, v34
	;; [unrolled: 2-line block ×3, first 2 shown]
	v_pk_min_f16 v35, v35, v153
	v_pk_add_f16 v51, v17, v19
	v_pk_min_f16 v48, v48, v139
	v_pk_min_f16 v36, v36, v134
	v_pk_max_f16 v30, v30, v30
	v_pk_max_f16 v29, v29, v29
	;; [unrolled: 1-line block ×3, first 2 shown]
	v_pk_min_f16 v18, v20, v18
	v_pk_max_f16 v20, v23, v23
	v_pk_add_f16 v11, v13, v21
	v_pk_min_f16 v12, v14, v12
	v_pk_max_f16 v13, v28, v28
	v_pk_min_f16 v6, v10, v6
	v_pk_max_f16 v10, v26, v26
	v_pk_max_f16 v14, v24, v24
	v_add_co_u32 v41, vcc_lo, v41, 16
	v_pk_min_f16 v63, v35, v50
	v_pk_min_f16 v62, v48, v51
	;; [unrolled: 1-line block ×3, first 2 shown]
	v_pk_add_f16 v35, v7, v19
	v_pk_min_f16 v30, v30, v154
	v_pk_add_f16 v36, v9, v19
	v_pk_min_f16 v29, v29, v155
	;; [unrolled: 2-line block ×3, first 2 shown]
	v_pk_add_f16 v19, v5, v19
	v_pk_add_f16 v17, v17, v21
	v_pk_min_f16 v16, v20, v16
	v_pk_add_f16 v7, v7, v21
	v_pk_add_f16 v9, v9, v21
	v_pk_min_f16 v8, v13, v8
	v_pk_add_f16 v3, v3, v21
	v_pk_min_f16 v2, v10, v2
	;; [unrolled: 2-line block ×3, first 2 shown]
	v_add_co_ci_u32_e64 v42, null, 0, v42, vcc_lo
	v_add_co_u32 v117, vcc_lo, v117, s8
	v_add_co_ci_u32_e64 v118, null, s9, v118, vcc_lo
	v_add_co_u32 v119, vcc_lo, v119, s8
	v_perm_b32 v40, v125, v123, 0x5040100
	v_pk_min_f16 v59, v30, v35
	v_pk_min_f16 v58, v29, v36
	;; [unrolled: 1-line block ×10, first 2 shown]
	v_add_co_ci_u32_e64 v120, null, s9, v120, vcc_lo
	s_add_i32 s14, s14, 8
	ds_write_b16 v86, v122
	ds_write_b16_d16_hi v86, v122 offset:512
	ds_write_b16 v86, v123 offset:1024
	ds_write_b16 v86, v125 offset:1536
	ds_write_b16 v112, v124
	s_cmp_ge_i32 s14, s6
	s_waitcnt lgkmcnt(0)
	s_barrier
	buffer_gl0_inv
	s_cbranch_scc1 .LBB260_48
; %bb.41:
	v_mov_b32_e32 v39, v122
	s_mov_b32 s16, -1
	s_mov_b32 vcc_lo, s1
                                        ; implicit-def: $vgpr2_vgpr3
	s_cbranch_vccnz .LBB260_27
.LBB260_42:
	v_mov_b32_e32 v4, 0
	s_andn2_b32 vcc_lo, exec_lo, s16
	s_cbranch_vccnz .LBB260_28
.LBB260_43:
	v_add_co_u32 v2, vcc_lo, v119, v43
	v_add_co_ci_u32_e64 v3, null, v120, v44, vcc_lo
	s_clause 0x1
	global_load_ushort v4, v[2:3], off
	global_load_ushort v2, v[2:3], off offset:128
	s_waitcnt vmcnt(1)
	v_mul_f16_e32 v3, s15, v4
	s_waitcnt vmcnt(0)
	v_mul_f16_e32 v4, s15, v2
	v_bfi_b32 v37, 0xffff, v3, v37
	v_mov_b32_e32 v2, v37
	v_mov_b32_e32 v3, v38
	v_perm_b32 v37, v4, v2, 0x5040100
	s_mov_b32 s16, -1
	s_mov_b32 vcc_lo, s1
	s_cbranch_vccnz .LBB260_29
.LBB260_44:
	v_mov_b32_e32 v14, 0
	v_mov_b32_e32 v126, 0
	s_andn2_b32 vcc_lo, exec_lo, s16
	s_cbranch_vccnz .LBB260_30
.LBB260_45:
	v_add_co_u32 v4, vcc_lo, v119, v43
	v_add_co_ci_u32_e64 v5, null, v120, v44, vcc_lo
	s_clause 0x1
	global_load_ushort v2, v[4:5], off offset:256
	global_load_ushort v4, v[4:5], off offset:384
	s_waitcnt vmcnt(1)
	v_mul_f16_e32 v2, s15, v2
	s_waitcnt vmcnt(0)
	v_mul_f16_e32 v126, s15, v4
	v_bfi_b32 v38, 0xffff, v2, v3
	s_and_b32 vcc_lo, exec_lo, s2
	s_cbranch_vccz .LBB260_31
	s_branch .LBB260_32
.LBB260_46:
	v_mov_b32_e32 v124, 0
	v_mov_b32_e32 v125, 0
	s_andn2_b32 vcc_lo, exec_lo, s16
	s_cbranch_vccnz .LBB260_38
.LBB260_47:
	v_add_co_u32 v39, vcc_lo, v117, v43
	v_add_co_ci_u32_e64 v40, null, v118, v44, vcc_lo
	s_clause 0x1
	global_load_ushort v14, v[39:40], off offset:256
	global_load_ushort v16, v[39:40], off offset:384
	s_waitcnt vmcnt(1)
	v_mul_f16_e32 v14, s15, v14
	s_waitcnt vmcnt(0)
	v_mul_f16_e32 v125, s15, v16
	v_bfi_b32 v123, 0xffff, v14, v15
	s_and_b32 vcc_lo, exec_lo, s2
	s_cbranch_vccz .LBB260_39
	s_branch .LBB260_40
.LBB260_48:
	s_load_dword s2, s[4:5], 0x50
	v_add_nc_u32_e32 v86, s21, v1
	ds_read_b64 v[30:31], v88 offset:2048
	ds_read_b64 v[46:47], v84 offset:4608
	v_add_nc_u32_e32 v44, s20, v0
	v_cmp_neq_f16_e64 s8, s3, 0
	v_mov_b32_e32 v34, 0
	v_mov_b32_e32 v32, 0
	v_ashrrev_i32_e32 v45, 31, v44
	s_and_b32 vcc_lo, exec_lo, s8
	v_lshlrev_b64 v[28:29], 1, v[44:45]
	s_waitcnt lgkmcnt(0)
	v_mad_i64_i32 v[1:2], null, v86, s2, 0
	v_lshlrev_b64 v[0:1], 1, v[1:2]
	v_add_co_u32 v112, s1, s12, v0
	v_add_co_ci_u32_e64 v114, null, s13, v1, s1
	s_cbranch_vccz .LBB260_50
; %bb.49:
	v_add_co_u32 v0, vcc_lo, v112, v28
	v_add_co_ci_u32_e64 v1, null, v114, v29, vcc_lo
	global_load_ushort v0, v[0:1], off
	s_waitcnt vmcnt(0)
	v_mul_f16_e32 v0, s3, v0
	v_cvt_f32_f16_e32 v32, v0
.LBB260_50:
	s_clause 0x1
	s_load_dwordx2 s[14:15], s[4:5], 0x70
	s_load_dword s4, s[4:5], 0x68
	v_pk_add_f16 v13, v30, v46
	v_pk_add_f16 v26, v31, v47
	v_max_f16_e32 v14, v121, v121
	v_lshrrev_b32_e32 v15, 16, v121
	v_add_nc_u32_e32 v0, 0x800, v88
	v_lshrrev_b32_e32 v27, 16, v13
	v_lshrrev_b32_e32 v33, 16, v26
	v_min_f16_e32 v37, v14, v13
	v_add_nc_u32_e32 v12, 0x1000, v84
	ds_read_b64 v[24:25], v88 offset:3840
	ds_read2_b64 v[8:11], v0 offset0:32 offset1:64
	ds_read2_b64 v[4:7], v0 offset0:96 offset1:128
	v_min3_f16 v27, v15, v27, v33
	ds_read2_b64 v[0:3], v0 offset0:160 offset1:192
	ds_read2_b64 v[20:23], v12 offset0:72 offset1:80
	;; [unrolled: 1-line block ×4, first 2 shown]
	v_max_f32_e32 v40, v32, v32
	v_min3_f16 v33, v37, v26, v27
	ds_read_b64 v[26:27], v84 offset:5056
	s_waitcnt lgkmcnt(0)
	s_mul_i32 s1, s15, s7
	v_mad_i64_i32 v[35:36], null, v86, s4, 0
	s_mul_hi_u32 s5, s14, s7
	s_mul_i32 s14, s14, s7
	s_add_i32 s15, s5, s1
	v_cvt_f32_f16_e32 v39, v33
	s_lshl_b64 s[6:7], s[14:15], 1
	v_add_nc_u32_e32 v37, 32, v44
	v_lshlrev_b64 v[32:33], 1, v[35:36]
	s_add_u32 s5, s10, s6
	s_addc_u32 s6, s11, s7
	v_min_f32_e32 v35, v40, v39
	v_ashrrev_i32_e32 v38, 31, v37
	v_cndmask_b32_e64 v36, 0, 1, s8
	v_add_co_u32 v84, vcc_lo, s5, v32
	v_add_co_ci_u32_e64 v88, null, s6, v33, vcc_lo
	v_cvt_f16_f32_e32 v39, v35
	v_add_co_u32 v35, vcc_lo, v84, v28
	v_lshlrev_b64 v[32:33], 1, v[37:38]
	v_cmp_ne_u32_e64 s1, 1, v36
	v_add_co_ci_u32_e64 v36, null, v88, v29, vcc_lo
	s_andn2_b32 vcc_lo, exec_lo, s8
	global_store_short v[35:36], v39, off
	s_cbranch_vccnz .LBB260_52
; %bb.51:
	v_add_co_u32 v34, vcc_lo, v112, v32
	v_add_co_ci_u32_e64 v35, null, v114, v33, vcc_lo
	global_load_ushort v34, v[34:35], off
	s_waitcnt vmcnt(0)
	v_mul_f16_e32 v34, s3, v34
	v_cvt_f32_f16_e32 v34, v34
.LBB260_52:
	v_pk_add_f16 v35, v8, v46
	v_pk_add_f16 v36, v9, v47
	v_max_f16_e32 v37, v116, v116
	v_lshrrev_b32_e32 v38, 16, v116
	v_max_f32_e32 v34, v34, v34
	v_lshrrev_b32_e32 v39, 16, v35
	v_lshrrev_b32_e32 v40, 16, v36
	v_min_f16_e32 v35, v37, v35
	v_min3_f16 v37, v38, v39, v40
	v_add_co_u32 v39, vcc_lo, v84, v32
	v_add_co_ci_u32_e64 v40, null, v88, v33, vcc_lo
	v_min3_f16 v36, v35, v36, v37
	v_add_nc_u32_e32 v35, 64, v44
	v_mov_b32_e32 v38, 0
	s_and_b32 vcc_lo, exec_lo, s1
	v_cvt_f32_f16_e32 v37, v36
	v_ashrrev_i32_e32 v36, 31, v35
	v_min_f32_e32 v34, v34, v37
	v_cvt_f16_f32_e32 v37, v34
	v_lshlrev_b64 v[34:35], 1, v[35:36]
	v_mov_b32_e32 v36, 0
	global_store_short v[39:40], v37, off
	s_cbranch_vccnz .LBB260_54
; %bb.53:
	v_add_co_u32 v36, vcc_lo, v112, v34
	v_add_co_ci_u32_e64 v37, null, v114, v35, vcc_lo
	global_load_ushort v36, v[36:37], off
	s_waitcnt vmcnt(0)
	v_mul_f16_e32 v36, s3, v36
	v_cvt_f32_f16_e32 v36, v36
.LBB260_54:
	v_pk_add_f16 v37, v10, v46
	v_pk_add_f16 v39, v11, v47
	v_max_f16_e32 v40, v113, v113
	v_lshrrev_b32_e32 v41, 16, v113
	v_max_f32_e32 v36, v36, v36
	v_lshrrev_b32_e32 v42, 16, v37
	v_lshrrev_b32_e32 v43, 16, v39
	v_min_f16_e32 v37, v40, v37
	v_min3_f16 v40, v41, v42, v43
	v_add_co_u32 v41, vcc_lo, v84, v34
	v_add_co_ci_u32_e64 v42, null, v88, v35, vcc_lo
	v_min3_f16 v37, v37, v39, v40
	v_add_nc_u32_e32 v39, 0x60, v44
	s_and_b32 vcc_lo, exec_lo, s1
	v_cvt_f32_f16_e32 v37, v37
	v_ashrrev_i32_e32 v40, 31, v39
	v_min_f32_e32 v36, v36, v37
	v_cvt_f16_f32_e32 v43, v36
	v_lshlrev_b64 v[36:37], 1, v[39:40]
	global_store_short v[41:42], v43, off
	s_cbranch_vccnz .LBB260_56
; %bb.55:
	v_add_co_u32 v38, vcc_lo, v112, v36
	v_add_co_ci_u32_e64 v39, null, v114, v37, vcc_lo
	global_load_ushort v38, v[38:39], off
	s_waitcnt vmcnt(0)
	v_mul_f16_e32 v38, s3, v38
	v_cvt_f32_f16_e32 v38, v38
.LBB260_56:
	v_pk_add_f16 v39, v4, v46
	v_pk_add_f16 v40, v5, v47
	v_max_f16_e32 v41, v111, v111
	v_lshrrev_b32_e32 v42, 16, v111
	v_max_f32_e32 v38, v38, v38
	v_lshrrev_b32_e32 v43, 16, v39
	v_lshrrev_b32_e32 v45, 16, v40
	v_min_f16_e32 v39, v41, v39
	v_add_co_u32 v115, vcc_lo, v84, v36
	v_add_co_ci_u32_e64 v116, null, v88, v37, vcc_lo
	v_min3_f16 v41, v42, v43, v45
	s_and_b32 vcc_lo, exec_lo, s1
	v_min3_f16 v40, v39, v40, v41
	v_add_nc_u32_e32 v39, 0x80, v44
	v_cvt_f32_f16_e32 v41, v40
	v_ashrrev_i32_e32 v40, 31, v39
	v_min_f32_e32 v41, v38, v41
	v_lshlrev_b64 v[42:43], 1, v[39:40]
	v_mov_b32_e32 v38, 0
	v_mov_b32_e32 v39, 0
	v_cvt_f16_f32_e32 v41, v41
	global_store_short v[115:116], v41, off
	s_cbranch_vccnz .LBB260_58
; %bb.57:
	v_add_co_u32 v39, vcc_lo, v112, v42
	v_add_co_ci_u32_e64 v40, null, v114, v43, vcc_lo
	global_load_ushort v39, v[39:40], off
	s_waitcnt vmcnt(0)
	v_mul_f16_e32 v39, s3, v39
	v_cvt_f32_f16_e32 v39, v39
.LBB260_58:
	v_pk_add_f16 v40, v6, v46
	v_pk_add_f16 v41, v7, v47
	v_max_f16_e32 v45, v110, v110
	v_lshrrev_b32_e32 v110, 16, v110
	v_max_f32_e32 v39, v39, v39
	v_lshrrev_b32_e32 v111, 16, v40
	v_lshrrev_b32_e32 v113, 16, v41
	v_min_f16_e32 v40, v45, v40
	v_min3_f16 v45, v110, v111, v113
	v_add_co_u32 v110, vcc_lo, v84, v42
	v_add_co_ci_u32_e64 v111, null, v88, v43, vcc_lo
	v_min3_f16 v41, v40, v41, v45
	v_add_nc_u32_e32 v40, 0xa0, v44
	s_and_b32 vcc_lo, exec_lo, s1
	v_cvt_f32_f16_e32 v45, v41
	v_ashrrev_i32_e32 v41, 31, v40
	v_min_f32_e32 v39, v39, v45
	v_lshlrev_b64 v[40:41], 1, v[40:41]
	v_cvt_f16_f32_e32 v39, v39
	global_store_short v[110:111], v39, off
	s_cbranch_vccnz .LBB260_60
; %bb.59:
	v_add_co_u32 v38, vcc_lo, v112, v40
	v_add_co_ci_u32_e64 v39, null, v114, v41, vcc_lo
	global_load_ushort v38, v[38:39], off
	s_waitcnt vmcnt(0)
	v_mul_f16_e32 v38, s3, v38
	v_cvt_f32_f16_e32 v38, v38
.LBB260_60:
	v_pk_add_f16 v39, v0, v46
	v_pk_add_f16 v45, v1, v47
	v_max_f16_e32 v110, v109, v109
	v_lshrrev_b32_e32 v109, 16, v109
	v_max_f32_e32 v38, v38, v38
	v_lshrrev_b32_e32 v111, 16, v39
	v_lshrrev_b32_e32 v113, 16, v45
	v_min_f16_e32 v39, v110, v39
	v_add_nc_u32_e32 v110, 0xc0, v44
	v_add_co_u32 v115, vcc_lo, v84, v40
	v_min3_f16 v109, v109, v111, v113
	v_add_co_ci_u32_e64 v116, null, v88, v41, vcc_lo
	v_ashrrev_i32_e32 v111, 31, v110
	s_and_b32 vcc_lo, exec_lo, s1
	v_min3_f16 v39, v39, v45, v109
	v_mov_b32_e32 v109, 0
	v_mov_b32_e32 v45, 0
	v_cvt_f32_f16_e32 v39, v39
	v_min_f32_e32 v38, v38, v39
	v_cvt_f16_f32_e32 v113, v38
	v_lshlrev_b64 v[38:39], 1, v[110:111]
	global_store_short v[115:116], v113, off
	s_cbranch_vccnz .LBB260_62
; %bb.61:
	v_add_co_u32 v110, vcc_lo, v112, v38
	v_add_co_ci_u32_e64 v111, null, v114, v39, vcc_lo
	global_load_ushort v45, v[110:111], off
	s_waitcnt vmcnt(0)
	v_mul_f16_e32 v45, s3, v45
	v_cvt_f32_f16_e32 v45, v45
.LBB260_62:
	v_pk_add_f16 v110, v2, v46
	v_pk_add_f16 v111, v3, v47
	v_max_f16_e32 v113, v108, v108
	v_lshrrev_b32_e32 v108, 16, v108
	v_add_nc_u32_e32 v44, 0xe0, v44
	v_lshrrev_b32_e32 v115, 16, v110
	v_lshrrev_b32_e32 v116, 16, v111
	v_min_f16_e32 v110, v113, v110
	v_min3_f16 v108, v108, v115, v116
	v_min3_f16 v108, v110, v111, v108
	v_max_f32_e32 v110, v45, v45
	v_ashrrev_i32_e32 v45, 31, v44
	v_cvt_f32_f16_e32 v108, v108
	v_lshlrev_b64 v[44:45], 1, v[44:45]
	v_min_f32_e32 v108, v110, v108
	v_add_co_u32 v110, vcc_lo, v84, v38
	v_add_co_ci_u32_e64 v111, null, v88, v39, vcc_lo
	v_cvt_f16_f32_e32 v108, v108
	s_and_b32 vcc_lo, exec_lo, s1
	global_store_short v[110:111], v108, off
	s_cbranch_vccnz .LBB260_64
; %bb.63:
	v_add_co_u32 v108, vcc_lo, v112, v44
	v_add_co_ci_u32_e64 v109, null, v114, v45, vcc_lo
	global_load_ushort v108, v[108:109], off
	s_waitcnt vmcnt(0)
	v_mul_f16_e32 v108, s3, v108
	v_cvt_f32_f16_e32 v109, v108
.LBB260_64:
	v_pk_add_f16 v46, v24, v46
	v_pk_add_f16 v110, v25, v47
	v_max_f16_e32 v47, v107, v107
	v_lshrrev_b32_e32 v107, 16, v107
	v_add_nc_u32_e32 v108, 8, v86
	v_lshrrev_b32_e32 v111, 16, v46
	v_lshrrev_b32_e32 v112, 16, v110
	v_min_f16_e32 v113, v47, v46
	v_mad_i64_i32 v[46:47], null, v108, s2, 0
	v_min3_f16 v107, v107, v111, v112
	v_max_f32_e32 v111, v109, v109
	v_add_co_u32 v109, vcc_lo, v84, v44
	v_min3_f16 v107, v113, v110, v107
	v_lshlrev_b64 v[46:47], 1, v[46:47]
	v_add_co_ci_u32_e64 v110, null, v88, v45, vcc_lo
	v_cvt_f32_f16_e32 v107, v107
	v_add_co_u32 v46, vcc_lo, s12, v46
	v_add_co_ci_u32_e64 v47, null, s13, v47, vcc_lo
	v_min_f32_e32 v84, v111, v107
	v_mov_b32_e32 v107, 0
	s_and_b32 vcc_lo, exec_lo, s1
	v_cvt_f16_f32_e32 v88, v84
	v_mov_b32_e32 v84, 0
	global_store_short v[109:110], v88, off
	s_cbranch_vccnz .LBB260_66
; %bb.65:
	v_add_co_u32 v109, vcc_lo, v46, v28
	v_add_co_ci_u32_e64 v110, null, v47, v29, vcc_lo
	global_load_ushort v84, v[109:110], off
	s_waitcnt vmcnt(0)
	v_mul_f16_e32 v84, s3, v84
	v_cvt_f32_f16_e32 v84, v84
.LBB260_66:
	v_pk_add_f16 v88, v30, v20
	v_pk_add_f16 v110, v31, v21
	v_max_f16_e32 v109, v106, v106
	v_lshrrev_b32_e32 v106, 16, v106
	v_max_f32_e32 v84, v84, v84
	v_lshrrev_b32_e32 v111, 16, v88
	v_lshrrev_b32_e32 v112, 16, v110
	v_min_f16_e32 v88, v109, v88
	v_mad_i64_i32 v[108:109], null, v108, s4, 0
	v_min3_f16 v106, v106, v111, v112
	v_lshlrev_b64 v[108:109], 1, v[108:109]
	v_min3_f16 v88, v88, v110, v106
	v_cvt_f32_f16_e32 v88, v88
	v_min_f32_e32 v106, v84, v88
	v_add_co_u32 v84, vcc_lo, s5, v108
	v_add_co_ci_u32_e64 v88, null, s6, v109, vcc_lo
	v_cvt_f16_f32_e32 v106, v106
	v_add_co_u32 v108, vcc_lo, v84, v28
	v_add_co_ci_u32_e64 v109, null, v88, v29, vcc_lo
	s_and_b32 vcc_lo, exec_lo, s1
	global_store_short v[108:109], v106, off
	s_cbranch_vccnz .LBB260_68
; %bb.67:
	v_add_co_u32 v106, vcc_lo, v46, v32
	v_add_co_ci_u32_e64 v107, null, v47, v33, vcc_lo
	global_load_ushort v106, v[106:107], off
	s_waitcnt vmcnt(0)
	v_mul_f16_e32 v106, s3, v106
	v_cvt_f32_f16_e32 v107, v106
.LBB260_68:
	v_pk_add_f16 v106, v8, v20
	v_pk_add_f16 v108, v9, v21
	v_max_f16_e32 v109, v105, v105
	v_lshrrev_b32_e32 v105, 16, v105
	v_lshrrev_b32_e32 v110, 16, v106
	v_lshrrev_b32_e32 v111, 16, v108
	v_min_f16_e32 v106, v109, v106
	v_min3_f16 v105, v105, v110, v111
	v_min3_f16 v105, v106, v108, v105
	v_max_f32_e32 v106, v107, v107
	v_add_co_u32 v107, vcc_lo, v84, v32
	v_add_co_ci_u32_e64 v108, null, v88, v33, vcc_lo
	v_cvt_f32_f16_e32 v105, v105
	s_and_b32 vcc_lo, exec_lo, s1
	v_min_f32_e32 v105, v106, v105
	v_mov_b32_e32 v106, 0
	v_cvt_f16_f32_e32 v109, v105
	v_mov_b32_e32 v105, 0
	global_store_short v[107:108], v109, off
	s_cbranch_vccnz .LBB260_70
; %bb.69:
	v_add_co_u32 v106, vcc_lo, v46, v34
	v_add_co_ci_u32_e64 v107, null, v47, v35, vcc_lo
	global_load_ushort v106, v[106:107], off
	s_waitcnt vmcnt(0)
	v_mul_f16_e32 v106, s3, v106
	v_cvt_f32_f16_e32 v106, v106
.LBB260_70:
	v_pk_add_f16 v107, v10, v20
	v_pk_add_f16 v108, v11, v21
	v_max_f16_e32 v109, v104, v104
	v_lshrrev_b32_e32 v104, 16, v104
	v_max_f32_e32 v106, v106, v106
	v_lshrrev_b32_e32 v110, 16, v107
	v_lshrrev_b32_e32 v111, 16, v108
	v_min_f16_e32 v107, v109, v107
	v_min3_f16 v104, v104, v110, v111
	v_min3_f16 v104, v107, v108, v104
	v_cvt_f32_f16_e32 v104, v104
	v_min_f32_e32 v104, v106, v104
	v_add_co_u32 v106, vcc_lo, v84, v34
	v_add_co_ci_u32_e64 v107, null, v88, v35, vcc_lo
	v_cvt_f16_f32_e32 v104, v104
	s_and_b32 vcc_lo, exec_lo, s1
	global_store_short v[106:107], v104, off
	s_cbranch_vccnz .LBB260_72
; %bb.71:
	v_add_co_u32 v104, vcc_lo, v46, v36
	v_add_co_ci_u32_e64 v105, null, v47, v37, vcc_lo
	global_load_ushort v104, v[104:105], off
	s_waitcnt vmcnt(0)
	v_mul_f16_e32 v104, s3, v104
	v_cvt_f32_f16_e32 v105, v104
.LBB260_72:
	v_pk_add_f16 v104, v4, v20
	v_pk_add_f16 v106, v5, v21
	v_max_f16_e32 v107, v103, v103
	v_lshrrev_b32_e32 v103, 16, v103
	v_lshrrev_b32_e32 v108, 16, v104
	v_lshrrev_b32_e32 v109, 16, v106
	v_min_f16_e32 v104, v107, v104
	v_min3_f16 v103, v103, v108, v109
	v_min3_f16 v103, v104, v106, v103
	v_max_f32_e32 v104, v105, v105
	v_add_co_u32 v105, vcc_lo, v84, v36
	v_add_co_ci_u32_e64 v106, null, v88, v37, vcc_lo
	v_cvt_f32_f16_e32 v103, v103
	s_and_b32 vcc_lo, exec_lo, s1
	v_min_f32_e32 v103, v104, v103
	v_mov_b32_e32 v104, 0
	v_cvt_f16_f32_e32 v107, v103
	v_mov_b32_e32 v103, 0
	global_store_short v[105:106], v107, off
	s_cbranch_vccnz .LBB260_74
; %bb.73:
	v_add_co_u32 v104, vcc_lo, v46, v42
	v_add_co_ci_u32_e64 v105, null, v47, v43, vcc_lo
	global_load_ushort v104, v[104:105], off
	s_waitcnt vmcnt(0)
	v_mul_f16_e32 v104, s3, v104
	v_cvt_f32_f16_e32 v104, v104
.LBB260_74:
	v_pk_add_f16 v105, v6, v20
	v_pk_add_f16 v106, v7, v21
	v_max_f16_e32 v107, v102, v102
	v_lshrrev_b32_e32 v102, 16, v102
	v_max_f32_e32 v104, v104, v104
	v_lshrrev_b32_e32 v108, 16, v105
	v_lshrrev_b32_e32 v109, 16, v106
	v_min_f16_e32 v105, v107, v105
	v_min3_f16 v102, v102, v108, v109
	v_min3_f16 v102, v105, v106, v102
	v_cvt_f32_f16_e32 v102, v102
	v_min_f32_e32 v102, v104, v102
	v_add_co_u32 v104, vcc_lo, v84, v42
	v_add_co_ci_u32_e64 v105, null, v88, v43, vcc_lo
	v_cvt_f16_f32_e32 v102, v102
	s_and_b32 vcc_lo, exec_lo, s1
	global_store_short v[104:105], v102, off
	s_cbranch_vccnz .LBB260_76
; %bb.75:
	v_add_co_u32 v102, vcc_lo, v46, v40
	v_add_co_ci_u32_e64 v103, null, v47, v41, vcc_lo
	global_load_ushort v102, v[102:103], off
	s_waitcnt vmcnt(0)
	v_mul_f16_e32 v102, s3, v102
	v_cvt_f32_f16_e32 v103, v102
.LBB260_76:
	v_pk_add_f16 v102, v0, v20
	v_pk_add_f16 v104, v1, v21
	v_max_f16_e32 v105, v101, v101
	v_lshrrev_b32_e32 v101, 16, v101
	v_lshrrev_b32_e32 v106, 16, v102
	v_lshrrev_b32_e32 v107, 16, v104
	v_min_f16_e32 v102, v105, v102
	v_min3_f16 v101, v101, v106, v107
	v_min3_f16 v101, v102, v104, v101
	v_max_f32_e32 v102, v103, v103
	v_add_co_u32 v103, vcc_lo, v84, v40
	v_add_co_ci_u32_e64 v104, null, v88, v41, vcc_lo
	v_cvt_f32_f16_e32 v101, v101
	s_and_b32 vcc_lo, exec_lo, s1
	v_min_f32_e32 v101, v102, v101
	v_mov_b32_e32 v102, 0
	v_cvt_f16_f32_e32 v105, v101
	v_mov_b32_e32 v101, 0
	global_store_short v[103:104], v105, off
	s_cbranch_vccnz .LBB260_78
; %bb.77:
	v_add_co_u32 v102, vcc_lo, v46, v38
	v_add_co_ci_u32_e64 v103, null, v47, v39, vcc_lo
	global_load_ushort v102, v[102:103], off
	s_waitcnt vmcnt(0)
	v_mul_f16_e32 v102, s3, v102
	v_cvt_f32_f16_e32 v102, v102
.LBB260_78:
	v_pk_add_f16 v103, v2, v20
	v_pk_add_f16 v104, v3, v21
	v_max_f16_e32 v105, v100, v100
	v_lshrrev_b32_e32 v100, 16, v100
	v_max_f32_e32 v102, v102, v102
	v_lshrrev_b32_e32 v106, 16, v103
	v_lshrrev_b32_e32 v107, 16, v104
	v_min_f16_e32 v103, v105, v103
	v_min3_f16 v100, v100, v106, v107
	v_min3_f16 v100, v103, v104, v100
	v_cvt_f32_f16_e32 v100, v100
	v_min_f32_e32 v100, v102, v100
	v_add_co_u32 v102, vcc_lo, v84, v38
	v_add_co_ci_u32_e64 v103, null, v88, v39, vcc_lo
	v_cvt_f16_f32_e32 v100, v100
	s_and_b32 vcc_lo, exec_lo, s1
	global_store_short v[102:103], v100, off
	s_cbranch_vccnz .LBB260_80
; %bb.79:
	v_add_co_u32 v46, vcc_lo, v46, v44
	v_add_co_ci_u32_e64 v47, null, v47, v45, vcc_lo
	global_load_ushort v46, v[46:47], off
	s_waitcnt vmcnt(0)
	v_mul_f16_e32 v46, s3, v46
	v_cvt_f32_f16_e32 v101, v46
.LBB260_80:
	v_pk_add_f16 v20, v24, v20
	v_pk_add_f16 v47, v25, v21
	v_max_f16_e32 v21, v99, v99
	v_lshrrev_b32_e32 v99, 16, v99
	v_add_nc_u32_e32 v46, 16, v86
	v_lshrrev_b32_e32 v100, 16, v20
	v_lshrrev_b32_e32 v102, 16, v47
	v_min_f16_e32 v103, v21, v20
	v_max_f32_e32 v101, v101, v101
	v_mad_i64_i32 v[20:21], null, v46, s2, 0
	v_min3_f16 v99, v99, v100, v102
	v_min3_f16 v47, v103, v47, v99
	v_lshlrev_b64 v[20:21], 1, v[20:21]
	v_add_co_u32 v99, vcc_lo, v84, v44
	v_add_co_ci_u32_e64 v100, null, v88, v45, vcc_lo
	v_cvt_f32_f16_e32 v47, v47
	v_add_co_u32 v20, vcc_lo, s12, v20
	v_add_co_ci_u32_e64 v21, null, s13, v21, vcc_lo
	v_min_f32_e32 v47, v101, v47
	v_mov_b32_e32 v84, 0
	s_and_b32 vcc_lo, exec_lo, s1
	v_cvt_f16_f32_e32 v88, v47
	v_mov_b32_e32 v47, 0
	global_store_short v[99:100], v88, off
	s_cbranch_vccnz .LBB260_82
; %bb.81:
	v_add_co_u32 v99, vcc_lo, v20, v28
	v_add_co_ci_u32_e64 v100, null, v21, v29, vcc_lo
	global_load_ushort v47, v[99:100], off
	s_waitcnt vmcnt(0)
	v_mul_f16_e32 v47, s3, v47
	v_cvt_f32_f16_e32 v47, v47
.LBB260_82:
	v_pk_add_f16 v88, v30, v22
	v_pk_add_f16 v100, v31, v23
	v_max_f16_e32 v99, v98, v98
	v_lshrrev_b32_e32 v98, 16, v98
	v_lshrrev_b32_e32 v101, 16, v88
	;; [unrolled: 1-line block ×3, first 2 shown]
	v_min_f16_e32 v88, v99, v88
	v_min3_f16 v101, v98, v101, v102
	v_mad_i64_i32 v[98:99], null, v46, s4, 0
	v_min3_f16 v46, v88, v100, v101
	v_max_f32_e32 v88, v47, v47
	v_cvt_f32_f16_e32 v100, v46
	v_lshlrev_b64 v[46:47], 1, v[98:99]
	v_min_f32_e32 v88, v88, v100
	v_add_co_u32 v46, vcc_lo, s5, v46
	v_add_co_ci_u32_e64 v47, null, s6, v47, vcc_lo
	v_cvt_f16_f32_e32 v88, v88
	v_add_co_u32 v98, vcc_lo, v46, v28
	v_add_co_ci_u32_e64 v99, null, v47, v29, vcc_lo
	s_and_b32 vcc_lo, exec_lo, s1
	global_store_short v[98:99], v88, off
	s_cbranch_vccnz .LBB260_84
; %bb.83:
	v_add_co_u32 v98, vcc_lo, v20, v32
	v_add_co_ci_u32_e64 v99, null, v21, v33, vcc_lo
	global_load_ushort v84, v[98:99], off
	s_waitcnt vmcnt(0)
	v_mul_f16_e32 v84, s3, v84
	v_cvt_f32_f16_e32 v84, v84
.LBB260_84:
	v_pk_add_f16 v88, v8, v22
	v_pk_add_f16 v98, v9, v23
	v_max_f16_e32 v99, v97, v97
	v_lshrrev_b32_e32 v97, 16, v97
	v_max_f32_e32 v84, v84, v84
	v_lshrrev_b32_e32 v100, 16, v88
	v_lshrrev_b32_e32 v101, 16, v98
	v_min_f16_e32 v88, v99, v88
	v_min3_f16 v97, v97, v100, v101
	v_min3_f16 v88, v88, v98, v97
	v_add_co_u32 v97, vcc_lo, v46, v32
	v_add_co_ci_u32_e64 v98, null, v47, v33, vcc_lo
	v_cvt_f32_f16_e32 v88, v88
	s_and_b32 vcc_lo, exec_lo, s1
	v_min_f32_e32 v84, v84, v88
	v_mov_b32_e32 v88, 0
	v_cvt_f16_f32_e32 v99, v84
	v_mov_b32_e32 v84, 0
	global_store_short v[97:98], v99, off
	s_cbranch_vccnz .LBB260_86
; %bb.85:
	v_add_co_u32 v97, vcc_lo, v20, v34
	v_add_co_ci_u32_e64 v98, null, v21, v35, vcc_lo
	global_load_ushort v88, v[97:98], off
	s_waitcnt vmcnt(0)
	v_mul_f16_e32 v88, s3, v88
	v_cvt_f32_f16_e32 v88, v88
.LBB260_86:
	v_pk_add_f16 v97, v10, v22
	v_pk_add_f16 v98, v11, v23
	v_max_f16_e32 v99, v96, v96
	v_lshrrev_b32_e32 v96, 16, v96
	v_max_f32_e32 v88, v88, v88
	v_lshrrev_b32_e32 v100, 16, v97
	v_lshrrev_b32_e32 v101, 16, v98
	v_min_f16_e32 v97, v99, v97
	v_min3_f16 v96, v96, v100, v101
	v_min3_f16 v96, v97, v98, v96
	v_cvt_f32_f16_e32 v96, v96
	v_min_f32_e32 v88, v88, v96
	v_add_co_u32 v96, vcc_lo, v46, v34
	v_add_co_ci_u32_e64 v97, null, v47, v35, vcc_lo
	v_cvt_f16_f32_e32 v88, v88
	s_and_b32 vcc_lo, exec_lo, s1
	global_store_short v[96:97], v88, off
	s_cbranch_vccnz .LBB260_88
; %bb.87:
	v_add_co_u32 v96, vcc_lo, v20, v36
	v_add_co_ci_u32_e64 v97, null, v21, v37, vcc_lo
	global_load_ushort v84, v[96:97], off
	s_waitcnt vmcnt(0)
	v_mul_f16_e32 v84, s3, v84
	v_cvt_f32_f16_e32 v84, v84
.LBB260_88:
	v_pk_add_f16 v88, v4, v22
	v_pk_add_f16 v96, v5, v23
	v_max_f16_e32 v97, v95, v95
	v_lshrrev_b32_e32 v95, 16, v95
	v_max_f32_e32 v84, v84, v84
	v_lshrrev_b32_e32 v98, 16, v88
	v_lshrrev_b32_e32 v99, 16, v96
	v_min_f16_e32 v88, v97, v88
	v_min3_f16 v95, v95, v98, v99
	v_min3_f16 v88, v88, v96, v95
	v_add_co_u32 v95, vcc_lo, v46, v36
	v_add_co_ci_u32_e64 v96, null, v47, v37, vcc_lo
	v_cvt_f32_f16_e32 v88, v88
	s_and_b32 vcc_lo, exec_lo, s1
	v_min_f32_e32 v84, v84, v88
	v_mov_b32_e32 v88, 0
	v_cvt_f16_f32_e32 v97, v84
	v_mov_b32_e32 v84, 0
	global_store_short v[95:96], v97, off
	s_cbranch_vccnz .LBB260_90
; %bb.89:
	v_add_co_u32 v95, vcc_lo, v20, v42
	v_add_co_ci_u32_e64 v96, null, v21, v43, vcc_lo
	global_load_ushort v88, v[95:96], off
	s_waitcnt vmcnt(0)
	v_mul_f16_e32 v88, s3, v88
	v_cvt_f32_f16_e32 v88, v88
.LBB260_90:
	v_pk_add_f16 v95, v6, v22
	v_pk_add_f16 v96, v7, v23
	v_max_f16_e32 v97, v94, v94
	v_lshrrev_b32_e32 v94, 16, v94
	v_max_f32_e32 v88, v88, v88
	v_lshrrev_b32_e32 v98, 16, v95
	v_lshrrev_b32_e32 v99, 16, v96
	v_min_f16_e32 v95, v97, v95
	v_min3_f16 v94, v94, v98, v99
	v_min3_f16 v94, v95, v96, v94
	v_cvt_f32_f16_e32 v94, v94
	v_min_f32_e32 v88, v88, v94
	v_add_co_u32 v94, vcc_lo, v46, v42
	v_add_co_ci_u32_e64 v95, null, v47, v43, vcc_lo
	v_cvt_f16_f32_e32 v88, v88
	s_and_b32 vcc_lo, exec_lo, s1
	global_store_short v[94:95], v88, off
	s_cbranch_vccnz .LBB260_92
; %bb.91:
	v_add_co_u32 v94, vcc_lo, v20, v40
	v_add_co_ci_u32_e64 v95, null, v21, v41, vcc_lo
	global_load_ushort v84, v[94:95], off
	s_waitcnt vmcnt(0)
	v_mul_f16_e32 v84, s3, v84
	v_cvt_f32_f16_e32 v84, v84
.LBB260_92:
	v_pk_add_f16 v88, v0, v22
	v_pk_add_f16 v94, v1, v23
	v_max_f16_e32 v95, v93, v93
	v_lshrrev_b32_e32 v93, 16, v93
	v_max_f32_e32 v84, v84, v84
	v_lshrrev_b32_e32 v96, 16, v88
	v_lshrrev_b32_e32 v97, 16, v94
	v_min_f16_e32 v88, v95, v88
	v_min3_f16 v93, v93, v96, v97
	v_min3_f16 v88, v88, v94, v93
	v_add_co_u32 v93, vcc_lo, v46, v40
	v_add_co_ci_u32_e64 v94, null, v47, v41, vcc_lo
	v_cvt_f32_f16_e32 v88, v88
	s_and_b32 vcc_lo, exec_lo, s1
	v_min_f32_e32 v84, v84, v88
	v_mov_b32_e32 v88, 0
	v_cvt_f16_f32_e32 v95, v84
	v_mov_b32_e32 v84, 0
	global_store_short v[93:94], v95, off
	s_cbranch_vccnz .LBB260_94
; %bb.93:
	v_add_co_u32 v93, vcc_lo, v20, v38
	v_add_co_ci_u32_e64 v94, null, v21, v39, vcc_lo
	global_load_ushort v88, v[93:94], off
	s_waitcnt vmcnt(0)
	v_mul_f16_e32 v88, s3, v88
	v_cvt_f32_f16_e32 v88, v88
.LBB260_94:
	v_pk_add_f16 v93, v2, v22
	v_pk_add_f16 v94, v3, v23
	v_max_f16_e32 v95, v92, v92
	v_lshrrev_b32_e32 v92, 16, v92
	v_max_f32_e32 v88, v88, v88
	v_lshrrev_b32_e32 v96, 16, v93
	v_lshrrev_b32_e32 v97, 16, v94
	v_min_f16_e32 v93, v95, v93
	v_min3_f16 v92, v92, v96, v97
	v_min3_f16 v92, v93, v94, v92
	v_cvt_f32_f16_e32 v92, v92
	v_min_f32_e32 v88, v88, v92
	v_add_co_u32 v92, vcc_lo, v46, v38
	v_add_co_ci_u32_e64 v93, null, v47, v39, vcc_lo
	v_cvt_f16_f32_e32 v88, v88
	s_and_b32 vcc_lo, exec_lo, s1
	global_store_short v[92:93], v88, off
	s_cbranch_vccnz .LBB260_96
; %bb.95:
	v_add_co_u32 v20, vcc_lo, v20, v44
	v_add_co_ci_u32_e64 v21, null, v21, v45, vcc_lo
	global_load_ushort v20, v[20:21], off
	s_waitcnt vmcnt(0)
	v_mul_f16_e32 v20, s3, v20
	v_cvt_f32_f16_e32 v84, v20
.LBB260_96:
	v_pk_add_f16 v20, v24, v22
	v_pk_add_f16 v23, v25, v23
	v_max_f16_e32 v21, v91, v91
	v_lshrrev_b32_e32 v88, 16, v91
	v_add_nc_u32_e32 v22, 24, v86
	v_lshrrev_b32_e32 v91, 16, v20
	v_lshrrev_b32_e32 v92, 16, v23
	v_min_f16_e32 v93, v21, v20
	v_max_f32_e32 v84, v84, v84
	v_mad_i64_i32 v[20:21], null, v22, s2, 0
	v_min3_f16 v88, v88, v91, v92
	v_add_co_u32 v91, vcc_lo, v46, v44
	v_add_co_ci_u32_e64 v92, null, v47, v45, vcc_lo
	v_min3_f16 v23, v93, v23, v88
	v_lshlrev_b64 v[20:21], 1, v[20:21]
	v_mov_b32_e32 v46, 0
	v_cvt_f32_f16_e32 v23, v23
	v_add_co_u32 v20, vcc_lo, s12, v20
	v_add_co_ci_u32_e64 v21, null, s13, v21, vcc_lo
	v_min_f32_e32 v23, v84, v23
	s_and_b32 vcc_lo, exec_lo, s1
	v_cvt_f16_f32_e32 v47, v23
	v_mov_b32_e32 v23, 0
	global_store_short v[91:92], v47, off
	s_cbranch_vccnz .LBB260_98
; %bb.97:
	v_add_co_u32 v91, vcc_lo, v20, v28
	v_add_co_ci_u32_e64 v92, null, v21, v29, vcc_lo
	global_load_ushort v23, v[91:92], off
	s_waitcnt vmcnt(0)
	v_mul_f16_e32 v23, s3, v23
	v_cvt_f32_f16_e32 v23, v23
.LBB260_98:
	v_pk_add_f16 v47, v30, v16
	v_pk_add_f16 v84, v31, v17
	v_max_f16_e32 v88, v90, v90
	v_lshrrev_b32_e32 v90, 16, v90
	v_lshrrev_b32_e32 v91, 16, v47
	;; [unrolled: 1-line block ×3, first 2 shown]
	v_min_f16_e32 v47, v88, v47
	v_min3_f16 v88, v90, v91, v92
	v_mad_i64_i32 v[90:91], null, v22, s4, 0
	v_min3_f16 v22, v47, v84, v88
	v_max_f32_e32 v47, v23, v23
	v_cvt_f32_f16_e32 v84, v22
	v_lshlrev_b64 v[22:23], 1, v[90:91]
	v_min_f32_e32 v47, v47, v84
	v_add_co_u32 v22, vcc_lo, s5, v22
	v_add_co_ci_u32_e64 v23, null, s6, v23, vcc_lo
	v_cvt_f16_f32_e32 v47, v47
	v_add_co_u32 v90, vcc_lo, v22, v28
	v_add_co_ci_u32_e64 v91, null, v23, v29, vcc_lo
	s_and_b32 vcc_lo, exec_lo, s1
	global_store_short v[90:91], v47, off
	s_cbranch_vccnz .LBB260_100
; %bb.99:
	v_add_co_u32 v46, vcc_lo, v20, v32
	v_add_co_ci_u32_e64 v47, null, v21, v33, vcc_lo
	global_load_ushort v46, v[46:47], off
	s_waitcnt vmcnt(0)
	v_mul_f16_e32 v46, s3, v46
	v_cvt_f32_f16_e32 v46, v46
.LBB260_100:
	v_pk_add_f16 v47, v8, v16
	v_pk_add_f16 v84, v9, v17
	v_max_f16_e32 v88, v89, v89
	v_lshrrev_b32_e32 v89, 16, v89
	v_max_f32_e32 v46, v46, v46
	v_lshrrev_b32_e32 v90, 16, v47
	v_lshrrev_b32_e32 v91, 16, v84
	v_min_f16_e32 v47, v88, v47
	v_min3_f16 v88, v89, v90, v91
	v_min3_f16 v47, v47, v84, v88
	v_add_co_u32 v88, vcc_lo, v22, v32
	v_add_co_ci_u32_e64 v89, null, v23, v33, vcc_lo
	v_cvt_f32_f16_e32 v47, v47
	s_and_b32 vcc_lo, exec_lo, s1
	v_min_f32_e32 v46, v46, v47
	v_mov_b32_e32 v47, 0
	v_cvt_f16_f32_e32 v84, v46
	v_mov_b32_e32 v46, 0
	global_store_short v[88:89], v84, off
	s_cbranch_vccnz .LBB260_102
; %bb.101:
	v_add_co_u32 v88, vcc_lo, v20, v34
	v_add_co_ci_u32_e64 v89, null, v21, v35, vcc_lo
	global_load_ushort v47, v[88:89], off
	s_waitcnt vmcnt(0)
	v_mul_f16_e32 v47, s3, v47
	v_cvt_f32_f16_e32 v47, v47
.LBB260_102:
	v_pk_add_f16 v84, v10, v16
	v_pk_add_f16 v88, v11, v17
	v_max_f16_e32 v89, v87, v87
	v_lshrrev_b32_e32 v87, 16, v87
	v_max_f32_e32 v47, v47, v47
	v_lshrrev_b32_e32 v90, 16, v84
	v_lshrrev_b32_e32 v91, 16, v88
	v_min_f16_e32 v84, v89, v84
	v_min3_f16 v87, v87, v90, v91
	v_min3_f16 v84, v84, v88, v87
	v_add_co_u32 v87, vcc_lo, v22, v34
	v_add_co_ci_u32_e64 v88, null, v23, v35, vcc_lo
	v_cvt_f32_f16_e32 v84, v84
	s_and_b32 vcc_lo, exec_lo, s1
	v_min_f32_e32 v47, v47, v84
	v_cvt_f16_f32_e32 v47, v47
	global_store_short v[87:88], v47, off
	s_cbranch_vccnz .LBB260_104
; %bb.103:
	v_add_co_u32 v46, vcc_lo, v20, v36
	v_add_co_ci_u32_e64 v47, null, v21, v37, vcc_lo
	global_load_ushort v46, v[46:47], off
	s_waitcnt vmcnt(0)
	v_mul_f16_e32 v46, s3, v46
	v_cvt_f32_f16_e32 v46, v46
.LBB260_104:
	v_pk_add_f16 v47, v4, v16
	v_pk_add_f16 v84, v5, v17
	v_max_f16_e32 v87, v85, v85
	v_lshrrev_b32_e32 v85, 16, v85
	v_max_f32_e32 v46, v46, v46
	v_lshrrev_b32_e32 v88, 16, v47
	v_lshrrev_b32_e32 v89, 16, v84
	v_min_f16_e32 v47, v87, v47
	v_min3_f16 v85, v85, v88, v89
	v_min3_f16 v47, v47, v84, v85
	v_add_co_u32 v84, vcc_lo, v22, v36
	v_add_co_ci_u32_e64 v85, null, v23, v37, vcc_lo
	v_cvt_f32_f16_e32 v47, v47
	s_and_b32 vcc_lo, exec_lo, s1
	v_min_f32_e32 v46, v46, v47
	v_mov_b32_e32 v47, 0
	v_cvt_f16_f32_e32 v87, v46
	v_mov_b32_e32 v46, 0
	global_store_short v[84:85], v87, off
	s_cbranch_vccnz .LBB260_106
; %bb.105:
	v_add_co_u32 v84, vcc_lo, v20, v42
	v_add_co_ci_u32_e64 v85, null, v21, v43, vcc_lo
	global_load_ushort v47, v[84:85], off
	s_waitcnt vmcnt(0)
	v_mul_f16_e32 v47, s3, v47
	v_cvt_f32_f16_e32 v47, v47
.LBB260_106:
	v_pk_add_f16 v84, v6, v16
	v_pk_add_f16 v85, v7, v17
	v_max_f16_e32 v87, v83, v83
	v_lshrrev_b32_e32 v83, 16, v83
	v_max_f32_e32 v47, v47, v47
	v_lshrrev_b32_e32 v88, 16, v84
	v_lshrrev_b32_e32 v89, 16, v85
	v_min_f16_e32 v84, v87, v84
	v_min3_f16 v83, v83, v88, v89
	v_min3_f16 v83, v84, v85, v83
	v_cvt_f32_f16_e32 v83, v83
	v_min_f32_e32 v47, v47, v83
	v_add_co_u32 v83, vcc_lo, v22, v42
	v_add_co_ci_u32_e64 v84, null, v23, v43, vcc_lo
	v_cvt_f16_f32_e32 v47, v47
	s_and_b32 vcc_lo, exec_lo, s1
	global_store_short v[83:84], v47, off
	s_cbranch_vccnz .LBB260_108
; %bb.107:
	v_add_co_u32 v46, vcc_lo, v20, v40
	v_add_co_ci_u32_e64 v47, null, v21, v41, vcc_lo
	global_load_ushort v46, v[46:47], off
	s_waitcnt vmcnt(0)
	v_mul_f16_e32 v46, s3, v46
	v_cvt_f32_f16_e32 v46, v46
.LBB260_108:
	v_pk_add_f16 v47, v0, v16
	v_pk_add_f16 v83, v1, v17
	v_max_f16_e32 v84, v82, v82
	v_lshrrev_b32_e32 v82, 16, v82
	v_max_f32_e32 v46, v46, v46
	v_lshrrev_b32_e32 v85, 16, v47
	v_lshrrev_b32_e32 v87, 16, v83
	v_min_f16_e32 v47, v84, v47
	v_min3_f16 v82, v82, v85, v87
	v_min3_f16 v47, v47, v83, v82
	v_add_co_u32 v82, vcc_lo, v22, v40
	v_add_co_ci_u32_e64 v83, null, v23, v41, vcc_lo
	v_cvt_f32_f16_e32 v47, v47
	s_and_b32 vcc_lo, exec_lo, s1
	v_min_f32_e32 v46, v46, v47
	v_mov_b32_e32 v47, 0
	v_cvt_f16_f32_e32 v84, v46
	v_mov_b32_e32 v46, 0
	global_store_short v[82:83], v84, off
	s_cbranch_vccnz .LBB260_110
; %bb.109:
	v_add_co_u32 v82, vcc_lo, v20, v38
	v_add_co_ci_u32_e64 v83, null, v21, v39, vcc_lo
	global_load_ushort v47, v[82:83], off
	s_waitcnt vmcnt(0)
	v_mul_f16_e32 v47, s3, v47
	v_cvt_f32_f16_e32 v47, v47
.LBB260_110:
	v_pk_add_f16 v82, v2, v16
	v_pk_add_f16 v83, v3, v17
	v_max_f16_e32 v84, v81, v81
	v_lshrrev_b32_e32 v81, 16, v81
	v_max_f32_e32 v47, v47, v47
	v_lshrrev_b32_e32 v85, 16, v82
	v_lshrrev_b32_e32 v87, 16, v83
	v_min_f16_e32 v82, v84, v82
	v_min3_f16 v81, v81, v85, v87
	v_min3_f16 v81, v82, v83, v81
	v_cvt_f32_f16_e32 v81, v81
	v_min_f32_e32 v47, v47, v81
	v_add_co_u32 v81, vcc_lo, v22, v38
	v_add_co_ci_u32_e64 v82, null, v23, v39, vcc_lo
	v_cvt_f16_f32_e32 v47, v47
	s_and_b32 vcc_lo, exec_lo, s1
	global_store_short v[81:82], v47, off
	s_cbranch_vccnz .LBB260_112
; %bb.111:
	v_add_co_u32 v20, vcc_lo, v20, v44
	v_add_co_ci_u32_e64 v21, null, v21, v45, vcc_lo
	global_load_ushort v20, v[20:21], off
	s_waitcnt vmcnt(0)
	v_mul_f16_e32 v20, s3, v20
	v_cvt_f32_f16_e32 v46, v20
.LBB260_112:
	v_pk_add_f16 v16, v24, v16
	v_pk_add_f16 v21, v25, v17
	v_max_f16_e32 v17, v80, v80
	v_lshrrev_b32_e32 v47, 16, v80
	v_add_nc_u32_e32 v20, 32, v86
	v_lshrrev_b32_e32 v80, 16, v16
	v_lshrrev_b32_e32 v81, 16, v21
	v_min_f16_e32 v82, v17, v16
	v_mad_i64_i32 v[16:17], null, v20, s2, 0
	v_min3_f16 v47, v47, v80, v81
	v_max_f32_e32 v80, v46, v46
	v_add_co_u32 v46, vcc_lo, v22, v44
	v_mov_b32_e32 v22, 0
	v_min3_f16 v21, v82, v21, v47
	v_lshlrev_b64 v[16:17], 1, v[16:17]
	v_add_co_ci_u32_e64 v47, null, v23, v45, vcc_lo
	v_cvt_f32_f16_e32 v21, v21
	v_add_co_u32 v16, vcc_lo, s12, v16
	v_add_co_ci_u32_e64 v17, null, s13, v17, vcc_lo
	v_min_f32_e32 v21, v80, v21
	s_and_b32 vcc_lo, exec_lo, s1
	v_cvt_f16_f32_e32 v23, v21
	v_mov_b32_e32 v21, 0
	global_store_short v[46:47], v23, off
	s_cbranch_vccnz .LBB260_114
; %bb.113:
	v_add_co_u32 v46, vcc_lo, v16, v28
	v_add_co_ci_u32_e64 v47, null, v17, v29, vcc_lo
	global_load_ushort v21, v[46:47], off
	s_waitcnt vmcnt(0)
	v_mul_f16_e32 v21, s3, v21
	v_cvt_f32_f16_e32 v21, v21
.LBB260_114:
	v_pk_add_f16 v23, v30, v18
	v_pk_add_f16 v80, v31, v19
	v_max_f16_e32 v46, v79, v79
	v_lshrrev_b32_e32 v47, 16, v79
	v_lshrrev_b32_e32 v79, 16, v23
	;; [unrolled: 1-line block ×3, first 2 shown]
	v_min_f16_e32 v23, v46, v23
	v_min3_f16 v79, v47, v79, v81
	v_mad_i64_i32 v[46:47], null, v20, s4, 0
	v_min3_f16 v20, v23, v80, v79
	v_max_f32_e32 v23, v21, v21
	v_cvt_f32_f16_e32 v79, v20
	v_lshlrev_b64 v[20:21], 1, v[46:47]
	v_min_f32_e32 v23, v23, v79
	v_add_co_u32 v20, vcc_lo, s5, v20
	v_add_co_ci_u32_e64 v21, null, s6, v21, vcc_lo
	v_cvt_f16_f32_e32 v23, v23
	v_add_co_u32 v46, vcc_lo, v20, v28
	v_add_co_ci_u32_e64 v47, null, v21, v29, vcc_lo
	s_and_b32 vcc_lo, exec_lo, s1
	global_store_short v[46:47], v23, off
	s_cbranch_vccnz .LBB260_116
; %bb.115:
	v_add_co_u32 v22, vcc_lo, v16, v32
	v_add_co_ci_u32_e64 v23, null, v17, v33, vcc_lo
	global_load_ushort v22, v[22:23], off
	s_waitcnt vmcnt(0)
	v_mul_f16_e32 v22, s3, v22
	v_cvt_f32_f16_e32 v22, v22
.LBB260_116:
	v_pk_add_f16 v23, v8, v18
	v_pk_add_f16 v46, v9, v19
	v_max_f16_e32 v47, v78, v78
	v_lshrrev_b32_e32 v78, 16, v78
	v_max_f32_e32 v22, v22, v22
	v_lshrrev_b32_e32 v79, 16, v23
	v_lshrrev_b32_e32 v80, 16, v46
	v_min_f16_e32 v23, v47, v23
	v_min3_f16 v47, v78, v79, v80
	v_min3_f16 v23, v23, v46, v47
	v_add_co_u32 v46, vcc_lo, v20, v32
	v_add_co_ci_u32_e64 v47, null, v21, v33, vcc_lo
	v_cvt_f32_f16_e32 v23, v23
	s_and_b32 vcc_lo, exec_lo, s1
	v_min_f32_e32 v22, v22, v23
	v_mov_b32_e32 v23, 0
	v_cvt_f16_f32_e32 v78, v22
	v_mov_b32_e32 v22, 0
	global_store_short v[46:47], v78, off
	s_cbranch_vccnz .LBB260_118
; %bb.117:
	v_add_co_u32 v46, vcc_lo, v16, v34
	v_add_co_ci_u32_e64 v47, null, v17, v35, vcc_lo
	global_load_ushort v23, v[46:47], off
	s_waitcnt vmcnt(0)
	v_mul_f16_e32 v23, s3, v23
	v_cvt_f32_f16_e32 v23, v23
.LBB260_118:
	v_pk_add_f16 v46, v10, v18
	v_pk_add_f16 v47, v11, v19
	v_max_f16_e32 v78, v77, v77
	v_lshrrev_b32_e32 v77, 16, v77
	v_max_f32_e32 v23, v23, v23
	v_lshrrev_b32_e32 v79, 16, v46
	v_lshrrev_b32_e32 v80, 16, v47
	v_min_f16_e32 v46, v78, v46
	v_min3_f16 v77, v77, v79, v80
	v_min3_f16 v46, v46, v47, v77
	v_cvt_f32_f16_e32 v46, v46
	v_min_f32_e32 v23, v23, v46
	v_add_co_u32 v46, vcc_lo, v20, v34
	v_add_co_ci_u32_e64 v47, null, v21, v35, vcc_lo
	v_cvt_f16_f32_e32 v23, v23
	s_and_b32 vcc_lo, exec_lo, s1
	global_store_short v[46:47], v23, off
	s_cbranch_vccnz .LBB260_120
; %bb.119:
	v_add_co_u32 v22, vcc_lo, v16, v36
	v_add_co_ci_u32_e64 v23, null, v17, v37, vcc_lo
	global_load_ushort v22, v[22:23], off
	s_waitcnt vmcnt(0)
	v_mul_f16_e32 v22, s3, v22
	v_cvt_f32_f16_e32 v22, v22
.LBB260_120:
	v_pk_add_f16 v23, v4, v18
	v_pk_add_f16 v46, v5, v19
	v_max_f16_e32 v47, v76, v76
	v_lshrrev_b32_e32 v76, 16, v76
	v_max_f32_e32 v22, v22, v22
	v_lshrrev_b32_e32 v77, 16, v23
	v_lshrrev_b32_e32 v78, 16, v46
	v_min_f16_e32 v23, v47, v23
	v_min3_f16 v47, v76, v77, v78
	v_min3_f16 v23, v23, v46, v47
	v_add_co_u32 v46, vcc_lo, v20, v36
	v_add_co_ci_u32_e64 v47, null, v21, v37, vcc_lo
	v_cvt_f32_f16_e32 v23, v23
	s_and_b32 vcc_lo, exec_lo, s1
	v_min_f32_e32 v22, v22, v23
	v_mov_b32_e32 v23, 0
	v_cvt_f16_f32_e32 v76, v22
	v_mov_b32_e32 v22, 0
	global_store_short v[46:47], v76, off
	s_cbranch_vccnz .LBB260_122
; %bb.121:
	v_add_co_u32 v46, vcc_lo, v16, v42
	v_add_co_ci_u32_e64 v47, null, v17, v43, vcc_lo
	global_load_ushort v23, v[46:47], off
	s_waitcnt vmcnt(0)
	v_mul_f16_e32 v23, s3, v23
	v_cvt_f32_f16_e32 v23, v23
.LBB260_122:
	v_pk_add_f16 v46, v6, v18
	v_pk_add_f16 v47, v7, v19
	v_max_f16_e32 v76, v75, v75
	v_lshrrev_b32_e32 v75, 16, v75
	v_max_f32_e32 v23, v23, v23
	v_lshrrev_b32_e32 v77, 16, v46
	v_lshrrev_b32_e32 v78, 16, v47
	v_min_f16_e32 v46, v76, v46
	v_min3_f16 v75, v75, v77, v78
	v_min3_f16 v46, v46, v47, v75
	v_cvt_f32_f16_e32 v46, v46
	v_min_f32_e32 v23, v23, v46
	v_add_co_u32 v46, vcc_lo, v20, v42
	v_add_co_ci_u32_e64 v47, null, v21, v43, vcc_lo
	v_cvt_f16_f32_e32 v23, v23
	;; [unrolled: 54-line block ×3, first 2 shown]
	s_and_b32 vcc_lo, exec_lo, s1
	global_store_short v[46:47], v23, off
	s_cbranch_vccnz .LBB260_128
; %bb.127:
	v_add_co_u32 v16, vcc_lo, v16, v44
	v_add_co_ci_u32_e64 v17, null, v17, v45, vcc_lo
	global_load_ushort v16, v[16:17], off
	s_waitcnt vmcnt(0)
	v_mul_f16_e32 v16, s3, v16
	v_cvt_f32_f16_e32 v22, v16
.LBB260_128:
	v_pk_add_f16 v16, v24, v18
	v_pk_add_f16 v19, v25, v19
	v_max_f16_e32 v17, v72, v72
	v_lshrrev_b32_e32 v23, 16, v72
	v_add_nc_u32_e32 v18, 40, v86
	v_lshrrev_b32_e32 v46, 16, v16
	v_lshrrev_b32_e32 v47, 16, v19
	v_min_f16_e32 v72, v17, v16
	v_mad_i64_i32 v[16:17], null, v18, s2, 0
	v_min3_f16 v23, v23, v46, v47
	v_max_f32_e32 v46, v22, v22
	v_add_co_u32 v22, vcc_lo, v20, v44
	v_mov_b32_e32 v20, 0
	v_min3_f16 v19, v72, v19, v23
	v_lshlrev_b64 v[16:17], 1, v[16:17]
	v_add_co_ci_u32_e64 v23, null, v21, v45, vcc_lo
	v_cvt_f32_f16_e32 v19, v19
	v_add_co_u32 v16, vcc_lo, s12, v16
	v_add_co_ci_u32_e64 v17, null, s13, v17, vcc_lo
	v_min_f32_e32 v19, v46, v19
	s_and_b32 vcc_lo, exec_lo, s1
	v_cvt_f16_f32_e32 v21, v19
	v_mov_b32_e32 v19, 0
	global_store_short v[22:23], v21, off
	s_cbranch_vccnz .LBB260_130
; %bb.129:
	v_add_co_u32 v21, vcc_lo, v16, v28
	v_add_co_ci_u32_e64 v22, null, v17, v29, vcc_lo
	global_load_ushort v19, v[21:22], off
	s_waitcnt vmcnt(0)
	v_mul_f16_e32 v19, s3, v19
	v_cvt_f32_f16_e32 v19, v19
.LBB260_130:
	v_pk_add_f16 v21, v30, v12
	v_pk_add_f16 v23, v31, v13
	v_max_f16_e32 v22, v71, v71
	v_lshrrev_b32_e32 v46, 16, v71
	v_lshrrev_b32_e32 v47, 16, v21
	;; [unrolled: 1-line block ×3, first 2 shown]
	v_min_f16_e32 v72, v22, v21
	v_mad_i64_i32 v[21:22], null, v18, s4, 0
	v_min3_f16 v46, v46, v47, v71
	v_min3_f16 v18, v72, v23, v46
	v_max_f32_e32 v23, v19, v19
	v_cvt_f32_f16_e32 v46, v18
	v_lshlrev_b64 v[18:19], 1, v[21:22]
	v_min_f32_e32 v21, v23, v46
	v_add_co_u32 v18, vcc_lo, s5, v18
	v_add_co_ci_u32_e64 v19, null, s6, v19, vcc_lo
	v_cvt_f16_f32_e32 v23, v21
	v_add_co_u32 v21, vcc_lo, v18, v28
	v_add_co_ci_u32_e64 v22, null, v19, v29, vcc_lo
	s_and_b32 vcc_lo, exec_lo, s1
	global_store_short v[21:22], v23, off
	s_cbranch_vccnz .LBB260_132
; %bb.131:
	v_add_co_u32 v20, vcc_lo, v16, v32
	v_add_co_ci_u32_e64 v21, null, v17, v33, vcc_lo
	global_load_ushort v20, v[20:21], off
	s_waitcnt vmcnt(0)
	v_mul_f16_e32 v20, s3, v20
	v_cvt_f32_f16_e32 v20, v20
.LBB260_132:
	v_pk_add_f16 v21, v8, v12
	v_pk_add_f16 v22, v9, v13
	v_max_f16_e32 v23, v70, v70
	v_lshrrev_b32_e32 v46, 16, v70
	v_max_f32_e32 v20, v20, v20
	v_lshrrev_b32_e32 v47, 16, v21
	v_lshrrev_b32_e32 v70, 16, v22
	v_min_f16_e32 v21, v23, v21
	v_min3_f16 v23, v46, v47, v70
	v_min3_f16 v21, v21, v22, v23
	v_add_co_u32 v22, vcc_lo, v18, v32
	v_add_co_ci_u32_e64 v23, null, v19, v33, vcc_lo
	v_cvt_f32_f16_e32 v21, v21
	s_and_b32 vcc_lo, exec_lo, s1
	v_min_f32_e32 v20, v20, v21
	v_mov_b32_e32 v21, 0
	v_cvt_f16_f32_e32 v46, v20
	v_mov_b32_e32 v20, 0
	global_store_short v[22:23], v46, off
	s_cbranch_vccnz .LBB260_134
; %bb.133:
	v_add_co_u32 v21, vcc_lo, v16, v34
	v_add_co_ci_u32_e64 v22, null, v17, v35, vcc_lo
	global_load_ushort v21, v[21:22], off
	s_waitcnt vmcnt(0)
	v_mul_f16_e32 v21, s3, v21
	v_cvt_f32_f16_e32 v21, v21
.LBB260_134:
	v_pk_add_f16 v22, v10, v12
	v_pk_add_f16 v23, v11, v13
	v_max_f16_e32 v46, v69, v69
	v_lshrrev_b32_e32 v47, 16, v69
	v_max_f32_e32 v21, v21, v21
	v_lshrrev_b32_e32 v69, 16, v22
	v_lshrrev_b32_e32 v70, 16, v23
	v_min_f16_e32 v22, v46, v22
	v_min3_f16 v46, v47, v69, v70
	v_min3_f16 v22, v22, v23, v46
	v_cvt_f32_f16_e32 v22, v22
	v_min_f32_e32 v21, v21, v22
	v_cvt_f16_f32_e32 v23, v21
	v_add_co_u32 v21, vcc_lo, v18, v34
	v_add_co_ci_u32_e64 v22, null, v19, v35, vcc_lo
	s_and_b32 vcc_lo, exec_lo, s1
	global_store_short v[21:22], v23, off
	s_cbranch_vccnz .LBB260_136
; %bb.135:
	v_add_co_u32 v20, vcc_lo, v16, v36
	v_add_co_ci_u32_e64 v21, null, v17, v37, vcc_lo
	global_load_ushort v20, v[20:21], off
	s_waitcnt vmcnt(0)
	v_mul_f16_e32 v20, s3, v20
	v_cvt_f32_f16_e32 v20, v20
.LBB260_136:
	v_pk_add_f16 v21, v4, v12
	v_pk_add_f16 v22, v5, v13
	v_max_f16_e32 v23, v68, v68
	v_lshrrev_b32_e32 v46, 16, v68
	v_max_f32_e32 v20, v20, v20
	v_lshrrev_b32_e32 v47, 16, v21
	v_lshrrev_b32_e32 v68, 16, v22
	v_min_f16_e32 v21, v23, v21
	v_min3_f16 v23, v46, v47, v68
	v_min3_f16 v21, v21, v22, v23
	v_add_co_u32 v22, vcc_lo, v18, v36
	v_add_co_ci_u32_e64 v23, null, v19, v37, vcc_lo
	v_cvt_f32_f16_e32 v21, v21
	s_and_b32 vcc_lo, exec_lo, s1
	v_min_f32_e32 v20, v20, v21
	v_mov_b32_e32 v21, 0
	v_cvt_f16_f32_e32 v46, v20
	v_mov_b32_e32 v20, 0
	global_store_short v[22:23], v46, off
	s_cbranch_vccnz .LBB260_138
; %bb.137:
	v_add_co_u32 v21, vcc_lo, v16, v42
	v_add_co_ci_u32_e64 v22, null, v17, v43, vcc_lo
	global_load_ushort v21, v[21:22], off
	s_waitcnt vmcnt(0)
	v_mul_f16_e32 v21, s3, v21
	v_cvt_f32_f16_e32 v21, v21
.LBB260_138:
	v_pk_add_f16 v22, v6, v12
	v_pk_add_f16 v23, v7, v13
	v_max_f16_e32 v46, v67, v67
	v_lshrrev_b32_e32 v47, 16, v67
	v_max_f32_e32 v21, v21, v21
	v_lshrrev_b32_e32 v67, 16, v22
	v_lshrrev_b32_e32 v68, 16, v23
	v_min_f16_e32 v22, v46, v22
	v_min3_f16 v46, v47, v67, v68
	v_min3_f16 v22, v22, v23, v46
	v_cvt_f32_f16_e32 v22, v22
	v_min_f32_e32 v21, v21, v22
	;; [unrolled: 54-line block ×3, first 2 shown]
	v_cvt_f16_f32_e32 v23, v21
	v_add_co_u32 v21, vcc_lo, v18, v38
	v_add_co_ci_u32_e64 v22, null, v19, v39, vcc_lo
	s_and_b32 vcc_lo, exec_lo, s1
	global_store_short v[21:22], v23, off
	s_cbranch_vccnz .LBB260_144
; %bb.143:
	v_add_co_u32 v16, vcc_lo, v16, v44
	v_add_co_ci_u32_e64 v17, null, v17, v45, vcc_lo
	global_load_ushort v16, v[16:17], off
	s_waitcnt vmcnt(0)
	v_mul_f16_e32 v16, s3, v16
	v_cvt_f32_f16_e32 v20, v16
.LBB260_144:
	v_pk_add_f16 v12, v24, v12
	v_pk_add_f16 v17, v25, v13
	v_max_f16_e32 v13, v64, v64
	v_lshrrev_b32_e32 v21, 16, v64
	v_add_nc_u32_e32 v16, 48, v86
	v_lshrrev_b32_e32 v22, 16, v12
	v_lshrrev_b32_e32 v23, 16, v17
	v_min_f16_e32 v46, v13, v12
	v_mad_i64_i32 v[12:13], null, v16, s2, 0
	v_min3_f16 v21, v21, v22, v23
	v_max_f32_e32 v22, v20, v20
	v_add_co_u32 v20, vcc_lo, v18, v44
	v_mov_b32_e32 v18, 0
	v_min3_f16 v17, v46, v17, v21
	v_lshlrev_b64 v[12:13], 1, v[12:13]
	v_add_co_ci_u32_e64 v21, null, v19, v45, vcc_lo
	v_cvt_f32_f16_e32 v17, v17
	v_add_co_u32 v12, vcc_lo, s12, v12
	v_add_co_ci_u32_e64 v13, null, s13, v13, vcc_lo
	v_min_f32_e32 v17, v22, v17
	s_and_b32 vcc_lo, exec_lo, s1
	v_cvt_f16_f32_e32 v19, v17
	v_mov_b32_e32 v17, 0
	global_store_short v[20:21], v19, off
	s_cbranch_vccnz .LBB260_146
; %bb.145:
	v_add_co_u32 v19, vcc_lo, v12, v28
	v_add_co_ci_u32_e64 v20, null, v13, v29, vcc_lo
	global_load_ushort v17, v[19:20], off
	s_waitcnt vmcnt(0)
	v_mul_f16_e32 v17, s3, v17
	v_cvt_f32_f16_e32 v17, v17
.LBB260_146:
	v_pk_add_f16 v19, v30, v14
	v_pk_add_f16 v21, v31, v15
	v_max_f16_e32 v20, v63, v63
	v_lshrrev_b32_e32 v22, 16, v63
	v_lshrrev_b32_e32 v23, 16, v19
	;; [unrolled: 1-line block ×3, first 2 shown]
	v_min_f16_e32 v47, v20, v19
	v_mad_i64_i32 v[19:20], null, v16, s4, 0
	v_min3_f16 v22, v22, v23, v46
	v_min3_f16 v16, v47, v21, v22
	v_max_f32_e32 v21, v17, v17
	v_cvt_f32_f16_e32 v22, v16
	v_lshlrev_b64 v[16:17], 1, v[19:20]
	v_min_f32_e32 v19, v21, v22
	v_add_co_u32 v16, vcc_lo, s5, v16
	v_add_co_ci_u32_e64 v17, null, s6, v17, vcc_lo
	v_cvt_f16_f32_e32 v21, v19
	v_add_co_u32 v19, vcc_lo, v16, v28
	v_add_co_ci_u32_e64 v20, null, v17, v29, vcc_lo
	s_and_b32 vcc_lo, exec_lo, s1
	global_store_short v[19:20], v21, off
	s_cbranch_vccnz .LBB260_148
; %bb.147:
	v_add_co_u32 v18, vcc_lo, v12, v32
	v_add_co_ci_u32_e64 v19, null, v13, v33, vcc_lo
	global_load_ushort v18, v[18:19], off
	s_waitcnt vmcnt(0)
	v_mul_f16_e32 v18, s3, v18
	v_cvt_f32_f16_e32 v18, v18
.LBB260_148:
	v_pk_add_f16 v19, v8, v14
	v_pk_add_f16 v20, v9, v15
	v_max_f16_e32 v21, v62, v62
	v_lshrrev_b32_e32 v22, 16, v62
	v_max_f32_e32 v18, v18, v18
	v_lshrrev_b32_e32 v23, 16, v19
	v_lshrrev_b32_e32 v46, 16, v20
	v_min_f16_e32 v19, v21, v19
	v_min3_f16 v21, v22, v23, v46
	v_min3_f16 v19, v19, v20, v21
	v_add_co_u32 v20, vcc_lo, v16, v32
	v_add_co_ci_u32_e64 v21, null, v17, v33, vcc_lo
	v_cvt_f32_f16_e32 v19, v19
	s_and_b32 vcc_lo, exec_lo, s1
	v_min_f32_e32 v18, v18, v19
	v_mov_b32_e32 v19, 0
	v_cvt_f16_f32_e32 v22, v18
	v_mov_b32_e32 v18, 0
	global_store_short v[20:21], v22, off
	s_cbranch_vccnz .LBB260_150
; %bb.149:
	v_add_co_u32 v19, vcc_lo, v12, v34
	v_add_co_ci_u32_e64 v20, null, v13, v35, vcc_lo
	global_load_ushort v19, v[19:20], off
	s_waitcnt vmcnt(0)
	v_mul_f16_e32 v19, s3, v19
	v_cvt_f32_f16_e32 v19, v19
.LBB260_150:
	v_pk_add_f16 v20, v10, v14
	v_pk_add_f16 v21, v11, v15
	v_max_f16_e32 v22, v61, v61
	v_lshrrev_b32_e32 v23, 16, v61
	v_max_f32_e32 v19, v19, v19
	v_lshrrev_b32_e32 v46, 16, v20
	v_lshrrev_b32_e32 v47, 16, v21
	v_min_f16_e32 v20, v22, v20
	v_min3_f16 v22, v23, v46, v47
	v_min3_f16 v20, v20, v21, v22
	v_cvt_f32_f16_e32 v20, v20
	v_min_f32_e32 v19, v19, v20
	v_cvt_f16_f32_e32 v21, v19
	v_add_co_u32 v19, vcc_lo, v16, v34
	v_add_co_ci_u32_e64 v20, null, v17, v35, vcc_lo
	s_and_b32 vcc_lo, exec_lo, s1
	global_store_short v[19:20], v21, off
	s_cbranch_vccnz .LBB260_152
; %bb.151:
	v_add_co_u32 v18, vcc_lo, v12, v36
	v_add_co_ci_u32_e64 v19, null, v13, v37, vcc_lo
	global_load_ushort v18, v[18:19], off
	s_waitcnt vmcnt(0)
	v_mul_f16_e32 v18, s3, v18
	v_cvt_f32_f16_e32 v18, v18
.LBB260_152:
	v_pk_add_f16 v19, v4, v14
	v_pk_add_f16 v20, v5, v15
	v_max_f16_e32 v21, v60, v60
	v_lshrrev_b32_e32 v22, 16, v60
	v_max_f32_e32 v18, v18, v18
	v_lshrrev_b32_e32 v23, 16, v19
	v_lshrrev_b32_e32 v46, 16, v20
	v_min_f16_e32 v19, v21, v19
	v_min3_f16 v21, v22, v23, v46
	v_min3_f16 v19, v19, v20, v21
	v_add_co_u32 v20, vcc_lo, v16, v36
	v_add_co_ci_u32_e64 v21, null, v17, v37, vcc_lo
	v_cvt_f32_f16_e32 v19, v19
	s_and_b32 vcc_lo, exec_lo, s1
	v_min_f32_e32 v18, v18, v19
	v_mov_b32_e32 v19, 0
	v_cvt_f16_f32_e32 v22, v18
	v_mov_b32_e32 v18, 0
	global_store_short v[20:21], v22, off
	s_cbranch_vccnz .LBB260_154
; %bb.153:
	v_add_co_u32 v19, vcc_lo, v12, v42
	v_add_co_ci_u32_e64 v20, null, v13, v43, vcc_lo
	global_load_ushort v19, v[19:20], off
	s_waitcnt vmcnt(0)
	v_mul_f16_e32 v19, s3, v19
	v_cvt_f32_f16_e32 v19, v19
.LBB260_154:
	v_pk_add_f16 v20, v6, v14
	v_pk_add_f16 v21, v7, v15
	v_max_f16_e32 v22, v59, v59
	v_lshrrev_b32_e32 v23, 16, v59
	v_max_f32_e32 v19, v19, v19
	v_lshrrev_b32_e32 v46, 16, v20
	v_lshrrev_b32_e32 v47, 16, v21
	v_min_f16_e32 v20, v22, v20
	v_min3_f16 v22, v23, v46, v47
	v_min3_f16 v20, v20, v21, v22
	v_cvt_f32_f16_e32 v20, v20
	v_min_f32_e32 v19, v19, v20
	;; [unrolled: 54-line block ×3, first 2 shown]
	v_cvt_f16_f32_e32 v21, v19
	v_add_co_u32 v19, vcc_lo, v16, v38
	v_add_co_ci_u32_e64 v20, null, v17, v39, vcc_lo
	s_and_b32 vcc_lo, exec_lo, s1
	global_store_short v[19:20], v21, off
	s_cbranch_vccnz .LBB260_160
; %bb.159:
	v_add_co_u32 v12, vcc_lo, v12, v44
	v_add_co_ci_u32_e64 v13, null, v13, v45, vcc_lo
	global_load_ushort v12, v[12:13], off
	s_waitcnt vmcnt(0)
	v_mul_f16_e32 v12, s3, v12
	v_cvt_f32_f16_e32 v18, v12
.LBB260_160:
	v_pk_add_f16 v12, v24, v14
	v_pk_add_f16 v15, v25, v15
	v_max_f16_e32 v13, v56, v56
	v_lshrrev_b32_e32 v19, 16, v56
	v_add_nc_u32_e32 v14, 56, v86
	v_lshrrev_b32_e32 v20, 16, v12
	v_lshrrev_b32_e32 v21, 16, v15
	v_min_f16_e32 v22, v13, v12
	v_mad_i64_i32 v[12:13], null, v14, s2, 0
	v_min3_f16 v19, v19, v20, v21
	v_max_f32_e32 v20, v18, v18
	v_add_co_u32 v18, vcc_lo, v16, v44
	v_mov_b32_e32 v16, 0
	v_min3_f16 v15, v22, v15, v19
	v_lshlrev_b64 v[12:13], 1, v[12:13]
	v_add_co_ci_u32_e64 v19, null, v17, v45, vcc_lo
	v_cvt_f32_f16_e32 v15, v15
	v_add_co_u32 v12, vcc_lo, s12, v12
	v_add_co_ci_u32_e64 v13, null, s13, v13, vcc_lo
	v_min_f32_e32 v15, v20, v15
	s_and_b32 vcc_lo, exec_lo, s1
	v_cvt_f16_f32_e32 v17, v15
	v_mov_b32_e32 v15, 0
	global_store_short v[18:19], v17, off
	s_cbranch_vccnz .LBB260_162
; %bb.161:
	v_add_co_u32 v17, vcc_lo, v12, v28
	v_add_co_ci_u32_e64 v18, null, v13, v29, vcc_lo
	global_load_ushort v15, v[17:18], off
	s_waitcnt vmcnt(0)
	v_mul_f16_e32 v15, s3, v15
	v_cvt_f32_f16_e32 v15, v15
.LBB260_162:
	v_pk_add_f16 v17, v30, v26
	v_pk_add_f16 v19, v31, v27
	v_max_f16_e32 v18, v55, v55
	v_lshrrev_b32_e32 v20, 16, v55
	v_lshrrev_b32_e32 v21, 16, v17
	;; [unrolled: 1-line block ×3, first 2 shown]
	v_min_f16_e32 v23, v18, v17
	v_mad_i64_i32 v[17:18], null, v14, s4, 0
	v_min3_f16 v20, v20, v21, v22
	v_min3_f16 v14, v23, v19, v20
	v_max_f32_e32 v19, v15, v15
	v_cvt_f32_f16_e32 v20, v14
	v_lshlrev_b64 v[14:15], 1, v[17:18]
	v_min_f32_e32 v17, v19, v20
	v_add_co_u32 v14, vcc_lo, s5, v14
	v_add_co_ci_u32_e64 v15, null, s6, v15, vcc_lo
	v_cvt_f16_f32_e32 v19, v17
	v_add_co_u32 v17, vcc_lo, v14, v28
	v_add_co_ci_u32_e64 v18, null, v15, v29, vcc_lo
	s_and_b32 vcc_lo, exec_lo, s1
	global_store_short v[17:18], v19, off
	s_cbranch_vccnz .LBB260_164
; %bb.163:
	v_add_co_u32 v16, vcc_lo, v12, v32
	v_add_co_ci_u32_e64 v17, null, v13, v33, vcc_lo
	global_load_ushort v16, v[16:17], off
	s_waitcnt vmcnt(0)
	v_mul_f16_e32 v16, s3, v16
	v_cvt_f32_f16_e32 v16, v16
.LBB260_164:
	v_pk_add_f16 v8, v8, v26
	v_pk_add_f16 v9, v9, v27
	v_max_f16_e32 v17, v54, v54
	v_lshrrev_b32_e32 v18, 16, v54
	v_lshrrev_b32_e32 v19, 16, v8
	;; [unrolled: 1-line block ×3, first 2 shown]
	v_min_f16_e32 v8, v17, v8
	v_min3_f16 v17, v18, v19, v20
	v_min3_f16 v8, v8, v9, v17
	v_max_f32_e32 v9, v16, v16
	v_add_co_u32 v16, vcc_lo, v14, v32
	v_add_co_ci_u32_e64 v17, null, v15, v33, vcc_lo
	v_cvt_f32_f16_e32 v8, v8
	s_and_b32 vcc_lo, exec_lo, s1
	v_min_f32_e32 v8, v9, v8
	v_mov_b32_e32 v9, 0
	v_cvt_f16_f32_e32 v18, v8
	v_mov_b32_e32 v8, 0
	global_store_short v[16:17], v18, off
	s_cbranch_vccnz .LBB260_166
; %bb.165:
	v_add_co_u32 v16, vcc_lo, v12, v34
	v_add_co_ci_u32_e64 v17, null, v13, v35, vcc_lo
	global_load_ushort v9, v[16:17], off
	s_waitcnt vmcnt(0)
	v_mul_f16_e32 v9, s3, v9
	v_cvt_f32_f16_e32 v9, v9
.LBB260_166:
	v_pk_add_f16 v10, v10, v26
	v_pk_add_f16 v11, v11, v27
	v_max_f16_e32 v16, v53, v53
	v_lshrrev_b32_e32 v17, 16, v53
	v_max_f32_e32 v9, v9, v9
	v_lshrrev_b32_e32 v18, 16, v10
	v_lshrrev_b32_e32 v19, 16, v11
	v_min_f16_e32 v10, v16, v10
	v_min3_f16 v16, v17, v18, v19
	v_min3_f16 v10, v10, v11, v16
	v_cvt_f32_f16_e32 v10, v10
	v_min_f32_e32 v9, v9, v10
	v_cvt_f16_f32_e32 v11, v9
	v_add_co_u32 v9, vcc_lo, v14, v34
	v_add_co_ci_u32_e64 v10, null, v15, v35, vcc_lo
	s_and_b32 vcc_lo, exec_lo, s1
	global_store_short v[9:10], v11, off
	s_cbranch_vccnz .LBB260_168
; %bb.167:
	v_add_co_u32 v8, vcc_lo, v12, v36
	v_add_co_ci_u32_e64 v9, null, v13, v37, vcc_lo
	global_load_ushort v8, v[8:9], off
	s_waitcnt vmcnt(0)
	v_mul_f16_e32 v8, s3, v8
	v_cvt_f32_f16_e32 v8, v8
.LBB260_168:
	v_pk_add_f16 v4, v4, v26
	v_pk_add_f16 v5, v5, v27
	v_max_f16_e32 v9, v52, v52
	v_lshrrev_b32_e32 v10, 16, v52
	v_lshrrev_b32_e32 v11, 16, v4
	;; [unrolled: 1-line block ×3, first 2 shown]
	v_min_f16_e32 v4, v9, v4
	v_min3_f16 v9, v10, v11, v16
	v_min3_f16 v4, v4, v5, v9
	v_max_f32_e32 v5, v8, v8
	v_add_co_u32 v8, vcc_lo, v14, v36
	v_add_co_ci_u32_e64 v9, null, v15, v37, vcc_lo
	v_cvt_f32_f16_e32 v4, v4
	s_and_b32 vcc_lo, exec_lo, s1
	v_min_f32_e32 v4, v5, v4
	v_mov_b32_e32 v5, 0
	v_cvt_f16_f32_e32 v10, v4
	v_mov_b32_e32 v4, 0
	global_store_short v[8:9], v10, off
	s_cbranch_vccnz .LBB260_170
; %bb.169:
	v_add_co_u32 v8, vcc_lo, v12, v42
	v_add_co_ci_u32_e64 v9, null, v13, v43, vcc_lo
	global_load_ushort v5, v[8:9], off
	s_waitcnt vmcnt(0)
	v_mul_f16_e32 v5, s3, v5
	v_cvt_f32_f16_e32 v5, v5
.LBB260_170:
	v_pk_add_f16 v6, v6, v26
	v_pk_add_f16 v7, v7, v27
	v_max_f16_e32 v8, v51, v51
	v_lshrrev_b32_e32 v9, 16, v51
	v_max_f32_e32 v5, v5, v5
	v_lshrrev_b32_e32 v10, 16, v6
	v_lshrrev_b32_e32 v11, 16, v7
	v_min_f16_e32 v6, v8, v6
	v_min3_f16 v8, v9, v10, v11
	v_min3_f16 v6, v6, v7, v8
	v_cvt_f32_f16_e32 v6, v6
	v_min_f32_e32 v5, v5, v6
	v_cvt_f16_f32_e32 v7, v5
	v_add_co_u32 v5, vcc_lo, v14, v42
	v_add_co_ci_u32_e64 v6, null, v15, v43, vcc_lo
	s_and_b32 vcc_lo, exec_lo, s1
	global_store_short v[5:6], v7, off
	s_cbranch_vccnz .LBB260_172
; %bb.171:
	v_add_co_u32 v4, vcc_lo, v12, v40
	v_add_co_ci_u32_e64 v5, null, v13, v41, vcc_lo
	global_load_ushort v4, v[4:5], off
	s_waitcnt vmcnt(0)
	v_mul_f16_e32 v4, s3, v4
	v_cvt_f32_f16_e32 v4, v4
.LBB260_172:
	v_pk_add_f16 v0, v0, v26
	v_pk_add_f16 v1, v1, v27
	v_max_f16_e32 v5, v50, v50
	v_lshrrev_b32_e32 v6, 16, v50
	v_pk_add_f16 v3, v3, v27
	v_lshrrev_b32_e32 v7, 16, v0
	v_lshrrev_b32_e32 v8, 16, v1
	v_min_f16_e32 v0, v5, v0
	s_mov_b32 s1, -1
	v_min3_f16 v5, v6, v7, v8
	v_lshrrev_b32_e32 v6, 16, v49
	v_lshrrev_b32_e32 v8, 16, v3
	v_min3_f16 v0, v0, v1, v5
	v_pk_add_f16 v5, v2, v26
	v_max_f32_e32 v1, v4, v4
	v_max_f16_e32 v4, v49, v49
	v_cvt_f32_f16_e32 v0, v0
	v_lshrrev_b32_e32 v7, 16, v5
	v_min_f16_e32 v4, v4, v5
	v_min_f32_e32 v0, v1, v0
	v_min3_f16 v5, v6, v7, v8
	v_add_co_u32 v1, vcc_lo, v14, v40
	v_add_co_ci_u32_e64 v2, null, v15, v41, vcc_lo
	v_cvt_f16_f32_e32 v6, v0
	v_min3_f16 v0, v4, v3, v5
	s_mov_b32 vcc_lo, s0
	global_store_short v[1:2], v6, off
	s_cbranch_vccz .LBB260_174
; %bb.173:
	v_cvt_f32_f16_e32 v1, v0
	s_mov_b32 s1, 0
	v_min_f32_e32 v1, 0, v1
	v_cvt_f16_f32_e32 v3, v1
	v_add_co_u32 v1, vcc_lo, v14, v38
	v_add_co_ci_u32_e64 v2, null, v15, v39, vcc_lo
	global_store_short v[1:2], v3, off
.LBB260_174:
	v_mov_b32_e32 v1, 0
	s_andn2_b32 vcc_lo, exec_lo, s1
	s_cbranch_vccnz .LBB260_176
; %bb.175:
	v_add_co_u32 v1, vcc_lo, v12, v38
	v_add_co_ci_u32_e64 v2, null, v13, v39, vcc_lo
	global_load_ushort v1, v[1:2], off
	v_max_f16_e32 v2, v0, v0
	v_add_co_u32 v0, vcc_lo, v14, v38
	s_waitcnt vmcnt(0)
	v_mul_f16_e32 v3, s3, v1
	v_add_co_ci_u32_e64 v1, null, v15, v39, vcc_lo
	v_min_f16_e32 v4, v3, v2
	v_add_co_u32 v2, vcc_lo, v12, v44
	v_add_co_ci_u32_e64 v3, null, v13, v45, vcc_lo
	global_store_short v[0:1], v4, off
	global_load_ushort v0, v[2:3], off
	s_waitcnt vmcnt(0)
	v_mul_f16_e32 v0, s3, v0
	v_cvt_f32_f16_e32 v1, v0
.LBB260_176:
	v_pk_add_f16 v0, v24, v26
	v_pk_add_f16 v2, v25, v27
	v_max_f16_e32 v3, v48, v48
	v_lshrrev_b32_e32 v4, 16, v48
	v_max_f32_e32 v1, v1, v1
	v_lshrrev_b32_e32 v5, 16, v0
	v_lshrrev_b32_e32 v6, 16, v2
	v_min_f16_e32 v0, v3, v0
	v_min3_f16 v3, v4, v5, v6
	v_min3_f16 v0, v0, v2, v3
	v_cvt_f32_f16_e32 v0, v0
	v_min_f32_e32 v0, v1, v0
	v_cvt_f16_f32_e32 v2, v0
	v_add_co_u32 v0, vcc_lo, v14, v44
	v_add_co_ci_u32_e64 v1, null, v15, v45, vcc_lo
	global_store_short v[0:1], v2, off
	s_endpgm
	.section	.rodata,"a",@progbits
	.p2align	6, 0x0
	.amdhsa_kernel _ZN12_GLOBAL__N_120geam_min_plus_kernelIDF16_Dv2_DF16_S1_Li32ELi8ELi256ELi64ELi4ELi64ELi4ELi4ELi64ELc78ELc78ELb0ELb0ELb1EDF16_KDF16_DF16_EEviiiT16_PT17_ilS5_ilS3_S5_ilPT18_ili26rocblas_geam_ex_operation_
		.amdhsa_group_segment_fixed_size 5120
		.amdhsa_private_segment_fixed_size 0
		.amdhsa_kernarg_size 128
		.amdhsa_user_sgpr_count 6
		.amdhsa_user_sgpr_private_segment_buffer 1
		.amdhsa_user_sgpr_dispatch_ptr 0
		.amdhsa_user_sgpr_queue_ptr 0
		.amdhsa_user_sgpr_kernarg_segment_ptr 1
		.amdhsa_user_sgpr_dispatch_id 0
		.amdhsa_user_sgpr_flat_scratch_init 0
		.amdhsa_user_sgpr_private_segment_size 0
		.amdhsa_wavefront_size32 1
		.amdhsa_uses_dynamic_stack 0
		.amdhsa_system_sgpr_private_segment_wavefront_offset 0
		.amdhsa_system_sgpr_workgroup_id_x 1
		.amdhsa_system_sgpr_workgroup_id_y 0
		.amdhsa_system_sgpr_workgroup_id_z 1
		.amdhsa_system_sgpr_workgroup_info 0
		.amdhsa_system_vgpr_workitem_id 1
		.amdhsa_next_free_vgpr 167
		.amdhsa_next_free_sgpr 24
		.amdhsa_reserve_vcc 1
		.amdhsa_reserve_flat_scratch 0
		.amdhsa_float_round_mode_32 0
		.amdhsa_float_round_mode_16_64 0
		.amdhsa_float_denorm_mode_32 3
		.amdhsa_float_denorm_mode_16_64 3
		.amdhsa_dx10_clamp 1
		.amdhsa_ieee_mode 1
		.amdhsa_fp16_overflow 0
		.amdhsa_workgroup_processor_mode 1
		.amdhsa_memory_ordered 1
		.amdhsa_forward_progress 1
		.amdhsa_shared_vgpr_count 0
		.amdhsa_exception_fp_ieee_invalid_op 0
		.amdhsa_exception_fp_denorm_src 0
		.amdhsa_exception_fp_ieee_div_zero 0
		.amdhsa_exception_fp_ieee_overflow 0
		.amdhsa_exception_fp_ieee_underflow 0
		.amdhsa_exception_fp_ieee_inexact 0
		.amdhsa_exception_int_div_zero 0
	.end_amdhsa_kernel
	.section	.text._ZN12_GLOBAL__N_120geam_min_plus_kernelIDF16_Dv2_DF16_S1_Li32ELi8ELi256ELi64ELi4ELi64ELi4ELi4ELi64ELc78ELc78ELb0ELb0ELb1EDF16_KDF16_DF16_EEviiiT16_PT17_ilS5_ilS3_S5_ilPT18_ili26rocblas_geam_ex_operation_,"axG",@progbits,_ZN12_GLOBAL__N_120geam_min_plus_kernelIDF16_Dv2_DF16_S1_Li32ELi8ELi256ELi64ELi4ELi64ELi4ELi4ELi64ELc78ELc78ELb0ELb0ELb1EDF16_KDF16_DF16_EEviiiT16_PT17_ilS5_ilS3_S5_ilPT18_ili26rocblas_geam_ex_operation_,comdat
.Lfunc_end260:
	.size	_ZN12_GLOBAL__N_120geam_min_plus_kernelIDF16_Dv2_DF16_S1_Li32ELi8ELi256ELi64ELi4ELi64ELi4ELi4ELi64ELc78ELc78ELb0ELb0ELb1EDF16_KDF16_DF16_EEviiiT16_PT17_ilS5_ilS3_S5_ilPT18_ili26rocblas_geam_ex_operation_, .Lfunc_end260-_ZN12_GLOBAL__N_120geam_min_plus_kernelIDF16_Dv2_DF16_S1_Li32ELi8ELi256ELi64ELi4ELi64ELi4ELi4ELi64ELc78ELc78ELb0ELb0ELb1EDF16_KDF16_DF16_EEviiiT16_PT17_ilS5_ilS3_S5_ilPT18_ili26rocblas_geam_ex_operation_
                                        ; -- End function
	.set _ZN12_GLOBAL__N_120geam_min_plus_kernelIDF16_Dv2_DF16_S1_Li32ELi8ELi256ELi64ELi4ELi64ELi4ELi4ELi64ELc78ELc78ELb0ELb0ELb1EDF16_KDF16_DF16_EEviiiT16_PT17_ilS5_ilS3_S5_ilPT18_ili26rocblas_geam_ex_operation_.num_vgpr, 167
	.set _ZN12_GLOBAL__N_120geam_min_plus_kernelIDF16_Dv2_DF16_S1_Li32ELi8ELi256ELi64ELi4ELi64ELi4ELi4ELi64ELc78ELc78ELb0ELb0ELb1EDF16_KDF16_DF16_EEviiiT16_PT17_ilS5_ilS3_S5_ilPT18_ili26rocblas_geam_ex_operation_.num_agpr, 0
	.set _ZN12_GLOBAL__N_120geam_min_plus_kernelIDF16_Dv2_DF16_S1_Li32ELi8ELi256ELi64ELi4ELi64ELi4ELi4ELi64ELc78ELc78ELb0ELb0ELb1EDF16_KDF16_DF16_EEviiiT16_PT17_ilS5_ilS3_S5_ilPT18_ili26rocblas_geam_ex_operation_.numbered_sgpr, 24
	.set _ZN12_GLOBAL__N_120geam_min_plus_kernelIDF16_Dv2_DF16_S1_Li32ELi8ELi256ELi64ELi4ELi64ELi4ELi4ELi64ELc78ELc78ELb0ELb0ELb1EDF16_KDF16_DF16_EEviiiT16_PT17_ilS5_ilS3_S5_ilPT18_ili26rocblas_geam_ex_operation_.num_named_barrier, 0
	.set _ZN12_GLOBAL__N_120geam_min_plus_kernelIDF16_Dv2_DF16_S1_Li32ELi8ELi256ELi64ELi4ELi64ELi4ELi4ELi64ELc78ELc78ELb0ELb0ELb1EDF16_KDF16_DF16_EEviiiT16_PT17_ilS5_ilS3_S5_ilPT18_ili26rocblas_geam_ex_operation_.private_seg_size, 0
	.set _ZN12_GLOBAL__N_120geam_min_plus_kernelIDF16_Dv2_DF16_S1_Li32ELi8ELi256ELi64ELi4ELi64ELi4ELi4ELi64ELc78ELc78ELb0ELb0ELb1EDF16_KDF16_DF16_EEviiiT16_PT17_ilS5_ilS3_S5_ilPT18_ili26rocblas_geam_ex_operation_.uses_vcc, 1
	.set _ZN12_GLOBAL__N_120geam_min_plus_kernelIDF16_Dv2_DF16_S1_Li32ELi8ELi256ELi64ELi4ELi64ELi4ELi4ELi64ELc78ELc78ELb0ELb0ELb1EDF16_KDF16_DF16_EEviiiT16_PT17_ilS5_ilS3_S5_ilPT18_ili26rocblas_geam_ex_operation_.uses_flat_scratch, 0
	.set _ZN12_GLOBAL__N_120geam_min_plus_kernelIDF16_Dv2_DF16_S1_Li32ELi8ELi256ELi64ELi4ELi64ELi4ELi4ELi64ELc78ELc78ELb0ELb0ELb1EDF16_KDF16_DF16_EEviiiT16_PT17_ilS5_ilS3_S5_ilPT18_ili26rocblas_geam_ex_operation_.has_dyn_sized_stack, 0
	.set _ZN12_GLOBAL__N_120geam_min_plus_kernelIDF16_Dv2_DF16_S1_Li32ELi8ELi256ELi64ELi4ELi64ELi4ELi4ELi64ELc78ELc78ELb0ELb0ELb1EDF16_KDF16_DF16_EEviiiT16_PT17_ilS5_ilS3_S5_ilPT18_ili26rocblas_geam_ex_operation_.has_recursion, 0
	.set _ZN12_GLOBAL__N_120geam_min_plus_kernelIDF16_Dv2_DF16_S1_Li32ELi8ELi256ELi64ELi4ELi64ELi4ELi4ELi64ELc78ELc78ELb0ELb0ELb1EDF16_KDF16_DF16_EEviiiT16_PT17_ilS5_ilS3_S5_ilPT18_ili26rocblas_geam_ex_operation_.has_indirect_call, 0
	.section	.AMDGPU.csdata,"",@progbits
; Kernel info:
; codeLenInByte = 19900
; TotalNumSgprs: 26
; NumVgprs: 167
; ScratchSize: 0
; MemoryBound: 0
; FloatMode: 240
; IeeeMode: 1
; LDSByteSize: 5120 bytes/workgroup (compile time only)
; SGPRBlocks: 0
; VGPRBlocks: 20
; NumSGPRsForWavesPerEU: 26
; NumVGPRsForWavesPerEU: 167
; Occupancy: 5
; WaveLimiterHint : 1
; COMPUTE_PGM_RSRC2:SCRATCH_EN: 0
; COMPUTE_PGM_RSRC2:USER_SGPR: 6
; COMPUTE_PGM_RSRC2:TRAP_HANDLER: 0
; COMPUTE_PGM_RSRC2:TGID_X_EN: 1
; COMPUTE_PGM_RSRC2:TGID_Y_EN: 0
; COMPUTE_PGM_RSRC2:TGID_Z_EN: 1
; COMPUTE_PGM_RSRC2:TIDIG_COMP_CNT: 1
	.section	.text._ZN12_GLOBAL__N_120geam_min_plus_kernelIDF16_Dv2_DF16_S1_Li32ELi8ELi256ELi64ELi4ELi64ELi4ELi4ELi64ELc78ELc78ELb0ELb1ELb1EPKDF16_S2_DF16_EEviiiT16_PT17_ilS6_ilS4_S6_ilPT18_ili26rocblas_geam_ex_operation_,"axG",@progbits,_ZN12_GLOBAL__N_120geam_min_plus_kernelIDF16_Dv2_DF16_S1_Li32ELi8ELi256ELi64ELi4ELi64ELi4ELi4ELi64ELc78ELc78ELb0ELb1ELb1EPKDF16_S2_DF16_EEviiiT16_PT17_ilS6_ilS4_S6_ilPT18_ili26rocblas_geam_ex_operation_,comdat
	.globl	_ZN12_GLOBAL__N_120geam_min_plus_kernelIDF16_Dv2_DF16_S1_Li32ELi8ELi256ELi64ELi4ELi64ELi4ELi4ELi64ELc78ELc78ELb0ELb1ELb1EPKDF16_S2_DF16_EEviiiT16_PT17_ilS6_ilS4_S6_ilPT18_ili26rocblas_geam_ex_operation_ ; -- Begin function _ZN12_GLOBAL__N_120geam_min_plus_kernelIDF16_Dv2_DF16_S1_Li32ELi8ELi256ELi64ELi4ELi64ELi4ELi4ELi64ELc78ELc78ELb0ELb1ELb1EPKDF16_S2_DF16_EEviiiT16_PT17_ilS6_ilS4_S6_ilPT18_ili26rocblas_geam_ex_operation_
	.p2align	8
	.type	_ZN12_GLOBAL__N_120geam_min_plus_kernelIDF16_Dv2_DF16_S1_Li32ELi8ELi256ELi64ELi4ELi64ELi4ELi4ELi64ELc78ELc78ELb0ELb1ELb1EPKDF16_S2_DF16_EEviiiT16_PT17_ilS6_ilS4_S6_ilPT18_ili26rocblas_geam_ex_operation_,@function
_ZN12_GLOBAL__N_120geam_min_plus_kernelIDF16_Dv2_DF16_S1_Li32ELi8ELi256ELi64ELi4ELi64ELi4ELi4ELi64ELc78ELc78ELb0ELb1ELb1EPKDF16_S2_DF16_EEviiiT16_PT17_ilS6_ilS4_S6_ilPT18_ili26rocblas_geam_ex_operation_: ; @_ZN12_GLOBAL__N_120geam_min_plus_kernelIDF16_Dv2_DF16_S1_Li32ELi8ELi256ELi64ELi4ELi64ELi4ELi4ELi64ELc78ELc78ELb0ELb1ELb1EPKDF16_S2_DF16_EEviiiT16_PT17_ilS6_ilS4_S6_ilPT18_ili26rocblas_geam_ex_operation_
; %bb.0:
	s_clause 0x1
	s_load_dwordx4 s[0:3], s[4:5], 0x10
	s_load_dwordx4 s[8:11], s[4:5], 0x40
	s_mov_b32 s18, s7
	s_mov_b32 s19, 0
	v_mov_b32_e32 v2, 0
	s_lshl_b64 s[20:21], s[18:19], 1
	s_clause 0x1
	s_load_dwordx4 s[12:15], s[4:5], 0x28
	s_load_dwordx2 s[16:17], s[4:5], 0x50
	s_mov_b64 s[22:23], 0
	s_waitcnt lgkmcnt(0)
	s_add_u32 s0, s0, s20
	s_addc_u32 s1, s1, s21
	global_load_ushort v47, v2, s[0:1]
	s_add_u32 s0, s10, s20
	s_addc_u32 s1, s11, s21
	s_mov_b64 s[20:21], 0
	global_load_ushort v48, v2, s[0:1]
	s_waitcnt vmcnt(1)
	v_cmp_eq_f16_e32 vcc_lo, 0, v47
	v_cmp_neq_f16_e64 s0, 0, v47
	s_cbranch_vccnz .LBB261_2
; %bb.1:
	s_mul_i32 s1, s13, s18
	s_mul_hi_u32 s7, s12, s18
	s_mul_i32 s10, s12, s18
	s_add_i32 s11, s7, s1
	s_lshl_b64 s[10:11], s[10:11], 1
	s_add_u32 s20, s2, s10
	s_addc_u32 s21, s3, s11
.LBB261_2:
	s_andn2_b32 vcc_lo, exec_lo, s0
	s_cbranch_vccnz .LBB261_4
; %bb.3:
	s_mul_i32 s0, s9, s18
	s_mul_hi_u32 s1, s8, s18
	s_add_i32 s1, s1, s0
	s_mul_i32 s0, s8, s18
	s_lshl_b64 s[0:1], s[0:1], 1
	s_add_u32 s22, s14, s0
	s_addc_u32 s23, s15, s1
.LBB261_4:
	s_load_dwordx4 s[8:11], s[4:5], 0x60
	s_waitcnt vmcnt(0)
	v_cmp_eq_f16_e32 vcc_lo, 0, v48
	v_cmp_neq_f16_e64 s1, 0, v48
	s_cbranch_vccnz .LBB261_6
; %bb.5:
	s_waitcnt lgkmcnt(0)
	s_mul_i32 s0, s9, s18
	s_mul_hi_u32 s2, s8, s18
	s_add_i32 s3, s2, s0
	s_mul_i32 s2, s8, s18
	s_lshl_b64 s[2:3], s[2:3], 1
	s_add_u32 s16, s16, s2
	s_addc_u32 s17, s17, s3
	s_branch .LBB261_7
.LBB261_6:
	s_mov_b64 s[16:17], 0
.LBB261_7:
	s_clause 0x1
	s_load_dwordx4 s[12:15], s[4:5], 0x0
	s_load_dword s24, s[4:5], 0x20
	v_lshl_add_u32 v7, v1, 5, v0
	v_lshrrev_b32_e32 v75, 6, v7
	s_waitcnt lgkmcnt(0)
	s_add_i32 s8, s12, -1
	s_ashr_i32 s0, s8, 31
	s_lshr_b32 s0, s0, 24
	s_add_i32 s0, s8, s0
	s_ashr_i32 s0, s0, 8
	s_add_i32 s2, s0, 1
	s_not_b32 s0, s0
	v_cvt_f32_u32_e32 v2, s2
	v_rcp_iflag_f32_e32 v2, v2
	v_mul_f32_e32 v2, 0x4f7ffffe, v2
	v_cvt_u32_f32_e32 v2, v2
	v_readfirstlane_b32 s3, v2
	v_and_b32_e32 v2, 63, v7
	s_mul_i32 s0, s0, s3
	s_mul_hi_u32 s0, s3, s0
	s_add_i32 s3, s3, s0
	s_mul_hi_u32 s0, s6, s3
	s_mul_i32 s3, s0, s2
	s_add_i32 s7, s0, 1
	s_sub_i32 s3, s6, s3
	s_sub_i32 s9, s3, s2
	s_cmp_ge_u32 s3, s2
	s_cselect_b32 s0, s7, s0
	s_cselect_b32 s3, s9, s3
	s_add_i32 s7, s0, 1
	s_cmp_ge_u32 s3, s2
	s_cselect_b32 s9, s7, s0
	s_add_i32 s25, s14, -1
	s_mul_i32 s0, s9, s2
	v_min_i32_e32 v3, s25, v75
	s_sub_i32 s0, s6, s0
	v_cmp_le_i32_e64 s7, s14, v75
	s_lshl_b32 s15, s0, 8
	v_cmp_eq_f16_e64 s0, 0, v47
	v_mad_i64_i32 v[3:4], null, s24, v3, 0
	v_or_b32_e32 v22, s15, v2
	v_cmp_le_i32_e32 vcc_lo, s12, v22
	v_lshlrev_b64 v[4:5], 1, v[3:4]
	v_ashrrev_i32_e32 v23, 31, v22
	s_or_b32 s3, vcc_lo, s7
	v_add_co_u32 v8, s2, s20, v4
	v_cndmask_b32_e64 v3, 0, 0x7c00, s3
	v_add_co_ci_u32_e64 v9, null, s21, v5, s2
	s_nor_b32 s2, s0, s3
	s_and_saveexec_b32 s3, s2
	s_cbranch_execz .LBB261_9
; %bb.8:
	v_lshlrev_b64 v[3:4], 1, v[22:23]
	v_add_co_u32 v3, s2, v8, v3
	v_add_co_ci_u32_e64 v4, null, v9, v4, s2
	global_load_ushort v3, v[3:4], off
	s_waitcnt vmcnt(0)
	v_mul_f16_e32 v3, v47, v3
.LBB261_9:
	s_or_b32 exec_lo, exec_lo, s3
	v_or_b32_e32 v4, 64, v22
	v_cmp_le_i32_e64 s2, s12, v4
	v_min_i32_e32 v24, s8, v4
	s_or_b32 s3, s2, s7
	v_ashrrev_i32_e32 v25, 31, v24
	v_cndmask_b32_e64 v4, 0, 0x7c00, s3
	s_nor_b32 s3, s3, s0
	s_and_saveexec_b32 s6, s3
	s_cbranch_execz .LBB261_11
; %bb.10:
	v_lshlrev_b64 v[4:5], 1, v[24:25]
	v_add_co_u32 v4, s3, v8, v4
	v_add_co_ci_u32_e64 v5, null, v9, v5, s3
	global_load_ushort v4, v[4:5], off
	s_waitcnt vmcnt(0)
	v_mul_f16_e32 v4, v47, v4
.LBB261_11:
	s_or_b32 exec_lo, exec_lo, s6
	v_or_b32_e32 v5, 0x80, v22
	v_cmp_le_i32_e64 s3, s12, v5
	v_min_i32_e32 v26, s8, v5
	s_or_b32 s6, s3, s7
	v_ashrrev_i32_e32 v27, 31, v26
	v_cndmask_b32_e64 v5, 0, 0x7c00, s6
	s_nor_b32 s6, s6, s0
	s_and_saveexec_b32 s19, s6
	s_cbranch_execz .LBB261_13
; %bb.12:
	v_lshlrev_b64 v[5:6], 1, v[26:27]
	v_add_co_u32 v5, s6, v8, v5
	v_add_co_ci_u32_e64 v6, null, v9, v6, s6
	global_load_ushort v5, v[5:6], off
	s_waitcnt vmcnt(0)
	v_mul_f16_e32 v5, v47, v5
.LBB261_13:
	s_or_b32 exec_lo, exec_lo, s19
	v_or_b32_e32 v6, 0xc0, v22
	v_cmp_le_i32_e64 s6, s12, v6
	v_min_i32_e32 v28, s8, v6
	s_or_b32 s7, s6, s7
	v_ashrrev_i32_e32 v29, 31, v28
	v_cndmask_b32_e64 v6, 0, 0x7c00, s7
	s_nor_b32 s7, s7, s0
	s_and_saveexec_b32 s8, s7
	s_cbranch_execz .LBB261_15
; %bb.14:
	v_lshlrev_b64 v[10:11], 1, v[28:29]
	v_add_co_u32 v8, s7, v8, v10
	v_add_co_ci_u32_e64 v9, null, v9, v11, s7
	global_load_ushort v6, v[8:9], off
	s_waitcnt vmcnt(0)
	v_mul_f16_e32 v6, v47, v6
.LBB261_15:
	s_or_b32 exec_lo, exec_lo, s8
	v_lshrrev_b32_e32 v7, 2, v7
	s_load_dword s26, s[4:5], 0x38
	s_lshl_b32 s19, s9, 6
	v_and_b32_e32 v102, 3, v0
	v_add_nc_u32_e32 v30, s19, v7
	v_cmp_le_i32_e64 s8, s14, v102
	v_cmp_le_i32_e64 s7, s13, v30
	s_or_b32 s8, s8, s7
	v_cndmask_b32_e64 v8, 0, 0x7c00, s8
	s_nor_b32 s8, s0, s8
	s_and_saveexec_b32 s9, s8
	s_cbranch_execz .LBB261_17
; %bb.16:
	s_waitcnt lgkmcnt(0)
	v_mad_i64_i32 v[8:9], null, v30, s26, 0
	v_min_u32_e32 v10, s25, v102
	v_lshlrev_b32_e32 v10, 1, v10
	v_lshlrev_b64 v[8:9], 1, v[8:9]
	v_add_co_u32 v8, s8, s22, v8
	v_add_co_ci_u32_e64 v9, null, s23, v9, s8
	v_add_co_u32 v8, s8, v8, v10
	v_add_co_ci_u32_e64 v9, null, 0, v9, s8
	global_load_ushort v8, v[8:9], off
	s_waitcnt vmcnt(0)
	v_mul_f16_e32 v8, v47, v8
.LBB261_17:
	s_or_b32 exec_lo, exec_lo, s9
	v_add_nc_u32_e32 v11, 4, v75
	v_min_i32_e32 v9, s25, v11
	v_cmp_le_i32_e64 s8, s14, v11
	v_mad_i64_i32 v[9:10], null, s24, v9, 0
	v_lshlrev_b64 v[9:10], 1, v[9:10]
	v_add_co_u32 v9, s9, s20, v9
	v_add_co_ci_u32_e64 v10, null, s21, v10, s9
	s_or_b32 s9, vcc_lo, s8
	v_cndmask_b32_e64 v31, 0, 0x7c00, s9
	s_nor_b32 s9, s0, s9
	s_and_saveexec_b32 s27, s9
	s_cbranch_execz .LBB261_19
; %bb.18:
	v_lshlrev_b64 v[11:12], 1, v[22:23]
	v_add_co_u32 v11, s9, v9, v11
	v_add_co_ci_u32_e64 v12, null, v10, v12, s9
	global_load_ushort v11, v[11:12], off
	s_waitcnt vmcnt(0)
	v_mul_f16_e32 v31, v47, v11
.LBB261_19:
	s_or_b32 exec_lo, exec_lo, s27
	s_or_b32 s9, s2, s8
	v_cndmask_b32_e64 v32, 0, 0x7c00, s9
	s_nor_b32 s9, s9, s0
	s_and_saveexec_b32 s27, s9
	s_cbranch_execz .LBB261_21
; %bb.20:
	v_lshlrev_b64 v[11:12], 1, v[24:25]
	v_add_co_u32 v11, s9, v9, v11
	v_add_co_ci_u32_e64 v12, null, v10, v12, s9
	global_load_ushort v11, v[11:12], off
	s_waitcnt vmcnt(0)
	v_mul_f16_e32 v32, v47, v11
.LBB261_21:
	s_or_b32 exec_lo, exec_lo, s27
	s_or_b32 s9, s3, s8
	;; [unrolled: 14-line block ×3, first 2 shown]
	v_cndmask_b32_e64 v34, 0, 0x7c00, s8
	s_nor_b32 s8, s8, s0
	s_and_saveexec_b32 s9, s8
	s_cbranch_execz .LBB261_25
; %bb.24:
	v_lshlrev_b64 v[11:12], 1, v[28:29]
	v_add_co_u32 v9, s8, v9, v11
	v_add_co_ci_u32_e64 v10, null, v10, v12, s8
	global_load_ushort v9, v[9:10], off
	s_waitcnt vmcnt(0)
	v_mul_f16_e32 v34, v47, v9
.LBB261_25:
	s_or_b32 exec_lo, exec_lo, s9
	v_or_b32_e32 v9, 4, v102
	v_cmp_le_i32_e64 s8, s14, v9
	s_or_b32 s8, s8, s7
	v_cndmask_b32_e64 v36, 0, 0x7c00, s8
	s_nor_b32 s8, s0, s8
	s_and_saveexec_b32 s9, s8
	s_cbranch_execz .LBB261_27
; %bb.26:
	s_waitcnt lgkmcnt(0)
	v_mad_i64_i32 v[10:11], null, v30, s26, 0
	v_min_u32_e32 v12, s25, v9
	v_lshlrev_b64 v[9:10], 1, v[10:11]
	v_lshlrev_b32_e32 v11, 1, v12
	v_add_co_u32 v9, s8, s22, v9
	v_add_co_ci_u32_e64 v10, null, s23, v10, s8
	v_add_co_u32 v9, s8, v9, v11
	v_add_co_ci_u32_e64 v10, null, 0, v10, s8
	global_load_ushort v9, v[9:10], off
	s_waitcnt vmcnt(0)
	v_mul_f16_e32 v36, v47, v9
.LBB261_27:
	s_or_b32 exec_lo, exec_lo, s9
	v_lshlrev_b32_e32 v2, 3, v2
	v_lshlrev_b32_e32 v35, 1, v102
	;; [unrolled: 1-line block ×4, first 2 shown]
	s_cmp_lt_i32 s14, 9
	v_lshl_add_u32 v107, v75, 1, v2
	v_lshl_or_b32 v37, v7, 3, v35
	ds_write_b16 v107, v3
	ds_write_b16 v107, v4 offset:512
	ds_write_b16 v107, v5 offset:1024
	;; [unrolled: 1-line block ×4, first 2 shown]
	v_add_nc_u32_e32 v6, 0x1000, v83
	s_waitcnt lgkmcnt(0)
	s_barrier
	buffer_gl0_inv
	ds_read2_b64 v[18:21], v101 offset1:32
	ds_read2_b64 v[38:41], v6 offset1:8
	ds_read2_b64 v[14:17], v101 offset0:64 offset1:96
	ds_read2_b64 v[10:13], v101 offset0:128 offset1:160
	;; [unrolled: 1-line block ×6, first 2 shown]
	ds_write_b16 v107, v31 offset:2048
	ds_write_b16 v107, v32 offset:2560
	;; [unrolled: 1-line block ×5, first 2 shown]
	s_waitcnt lgkmcnt(0)
	s_barrier
	buffer_gl0_inv
	v_pk_add_f16 v46, v18, v38
	v_pk_add_f16 v53, v20, v38
	;; [unrolled: 1-line block ×64, first 2 shown]
	v_pk_min_f16 v46, 0x7c00, v46 op_sel_hi:[0,1]
	v_pk_add_f16 v85, v21, v39
	v_pk_min_f16 v53, 0x7c00, v53 op_sel_hi:[0,1]
	v_pk_add_f16 v86, v15, v39
	;; [unrolled: 2-line block ×3, first 2 shown]
	v_pk_add_f16 v4, v11, v39
	v_pk_min_f16 v8, 0x7c00, v56 op_sel_hi:[0,1]
	v_pk_add_f16 v87, v17, v39
	v_pk_min_f16 v55, 0x7c00, v55 op_sel_hi:[0,1]
	v_pk_min_f16 v117, v46, v84
	v_pk_min_f16 v116, v53, v85
	;; [unrolled: 1-line block ×3, first 2 shown]
	v_pk_add_f16 v46, v13, v39
	v_pk_min_f16 v53, 0x7c00, v57 op_sel_hi:[0,1]
	v_pk_add_f16 v54, v3, v39
	v_pk_add_f16 v39, v5, v39
	v_pk_min_f16 v38, 0x7c00, v38 op_sel_hi:[0,1]
	v_pk_min_f16 v113, v8, v4
	v_pk_add_f16 v4, v21, v41
	v_pk_min_f16 v8, 0x7c00, v60 op_sel_hi:[0,1]
	v_pk_min_f16 v114, v55, v87
	v_pk_min_f16 v55, 0x7c00, v58 op_sel_hi:[0,1]
	v_pk_add_f16 v56, v19, v41
	v_pk_min_f16 v57, 0x7c00, v59 op_sel_hi:[0,1]
	v_pk_min_f16 v112, v53, v46
	v_pk_min_f16 v110, v38, v39
	v_pk_add_f16 v38, v15, v41
	v_pk_min_f16 v39, 0x7c00, v61 op_sel_hi:[0,1]
	v_pk_add_f16 v46, v17, v41
	v_pk_min_f16 v53, 0x7c00, v62 op_sel_hi:[0,1]
	v_pk_min_f16 v108, v8, v4
	v_pk_add_f16 v4, v3, v41
	v_pk_min_f16 v8, 0x7c00, v65 op_sel_hi:[0,1]
	v_pk_min_f16 v111, v55, v54
	v_pk_min_f16 v109, v57, v56
	v_pk_add_f16 v54, v11, v41
	v_pk_min_f16 v55, 0x7c00, v63 op_sel_hi:[0,1]
	v_pk_add_f16 v56, v13, v41
	v_pk_min_f16 v106, v39, v38
	v_pk_min_f16 v105, v53, v46
	v_pk_add_f16 v38, v5, v41
	v_pk_min_f16 v39, 0x7c00, v40 op_sel_hi:[0,1]
	v_pk_add_f16 v40, v19, v43
	v_pk_min_f16 v41, 0x7c00, v66 op_sel_hi:[0,1]
	v_pk_add_f16 v46, v21, v43
	v_pk_min_f16 v53, 0x7c00, v67 op_sel_hi:[0,1]
	v_pk_min_f16 v99, v8, v4
	v_pk_add_f16 v4, v17, v43
	v_pk_min_f16 v8, 0x7c00, v69 op_sel_hi:[0,1]
	v_pk_min_f16 v104, v55, v54
	v_pk_add_f16 v54, v15, v43
	v_pk_min_f16 v103, v39, v38
	v_pk_min_f16 v98, v41, v40
	;; [unrolled: 1-line block ×3, first 2 shown]
	v_pk_add_f16 v38, v11, v43
	v_pk_min_f16 v39, 0x7c00, v70 op_sel_hi:[0,1]
	v_pk_add_f16 v40, v13, v43
	v_pk_min_f16 v41, 0x7c00, v71 op_sel_hi:[0,1]
	v_pk_add_f16 v46, v3, v43
	v_pk_add_f16 v43, v5, v43
	v_pk_min_f16 v42, 0x7c00, v42 op_sel_hi:[0,1]
	v_pk_min_f16 v95, v8, v4
	v_pk_add_f16 v4, v19, v45
	v_pk_min_f16 v8, 0x7c00, v73 op_sel_hi:[0,1]
	v_pk_min_f16 v53, 0x7c00, v72 op_sel_hi:[0,1]
	v_pk_min_f16 v94, v39, v38
	v_pk_min_f16 v93, v41, v40
	;; [unrolled: 1-line block ×3, first 2 shown]
	v_pk_add_f16 v38, v21, v45
	v_pk_min_f16 v39, 0x7c00, v74 op_sel_hi:[0,1]
	v_pk_add_f16 v40, v15, v45
	v_pk_min_f16 v41, 0x7c00, v76 op_sel_hi:[0,1]
	;; [unrolled: 2-line block ×3, first 2 shown]
	v_pk_min_f16 v90, v8, v4
	v_pk_add_f16 v4, v13, v45
	v_pk_min_f16 v8, 0x7c00, v79 op_sel_hi:[0,1]
	v_pk_min_f16 v92, v53, v46
	v_pk_add_f16 v46, v11, v45
	v_pk_min_f16 v89, v39, v38
	v_pk_min_f16 v88, v41, v40
	;; [unrolled: 1-line block ×3, first 2 shown]
	v_pk_add_f16 v38, v3, v45
	v_pk_min_f16 v39, 0x7c00, v80 op_sel_hi:[0,1]
	v_pk_add_f16 v40, v5, v45
	v_pk_min_f16 v41, 0x7c00, v44 op_sel_hi:[0,1]
	;; [unrolled: 2-line block ×4, first 2 shown]
	v_pk_min_f16 v85, v8, v4
	v_pk_add_f16 v4, v15, v50
	v_pk_min_f16 v8, 0x7c00, v118 op_sel_hi:[0,1]
	v_pk_min_f16 v84, v39, v38
	v_pk_min_f16 v82, v41, v40
	v_pk_min_f16 v81, v43, v42
	v_pk_min_f16 v80, v45, v44
	v_pk_add_f16 v38, v17, v50
	v_pk_min_f16 v39, 0x7c00, v119 op_sel_hi:[0,1]
	v_pk_add_f16 v40, v11, v50
	v_pk_min_f16 v41, 0x7c00, v120 op_sel_hi:[0,1]
	v_pk_add_f16 v42, v13, v50
	v_pk_min_f16 v43, 0x7c00, v121 op_sel_hi:[0,1]
	v_pk_add_f16 v44, v3, v50
	v_pk_min_f16 v45, 0x7c00, v122 op_sel_hi:[0,1]
	v_pk_min_f16 v79, v8, v4
	v_pk_add_f16 v4, v5, v50
	v_pk_min_f16 v8, 0x7c00, v49 op_sel_hi:[0,1]
	v_pk_min_f16 v53, 0x7c00, v78 op_sel_hi:[0,1]
	v_pk_min_f16 v78, v39, v38
	v_pk_min_f16 v77, v41, v40
	v_pk_min_f16 v76, v43, v42
	v_pk_min_f16 v74, v45, v44
	v_pk_add_f16 v38, v19, v52
	v_pk_min_f16 v39, 0x7c00, v123 op_sel_hi:[0,1]
	v_pk_add_f16 v40, v21, v52
	v_pk_min_f16 v41, 0x7c00, v124 op_sel_hi:[0,1]
	v_pk_add_f16 v42, v15, v52
	v_pk_min_f16 v43, 0x7c00, v125 op_sel_hi:[0,1]
	v_pk_add_f16 v44, v17, v52
	v_pk_min_f16 v45, 0x7c00, v126 op_sel_hi:[0,1]
	v_pk_min_f16 v73, v8, v4
	v_pk_add_f16 v4, v11, v52
	v_pk_min_f16 v8, 0x7c00, v127 op_sel_hi:[0,1]
	;; [unrolled: 16-line block ×3, first 2 shown]
	v_pk_min_f16 v57, 0x7c00, v64 op_sel_hi:[0,1]
	v_pk_min_f16 v67, v39, v38
	v_pk_min_f16 v66, v41, v40
	;; [unrolled: 1-line block ×4, first 2 shown]
	v_pk_add_f16 v38, v15, v7
	v_pk_add_f16 v40, v17, v7
	v_pk_add_f16 v42, v11, v7
	v_pk_add_f16 v44, v13, v7
	v_pk_min_f16 v63, v8, v4
	v_pk_add_f16 v4, v3, v7
	v_pk_min_f16 v8, 0x7c00, v136 op_sel_hi:[0,1]
	v_pk_add_f16 v7, v5, v7
	v_pk_min_f16 v6, 0x7c00, v6 op_sel_hi:[0,1]
	v_pk_min_f16 v100, v57, v56
	v_pk_min_f16 v39, 0x7c00, v132 op_sel_hi:[0,1]
	v_pk_min_f16 v41, 0x7c00, v133 op_sel_hi:[0,1]
	;; [unrolled: 1-line block ×4, first 2 shown]
	v_pk_add_f16 v19, v19, v9
	v_pk_min_f16 v18, 0x7c00, v18 op_sel_hi:[0,1]
	v_pk_add_f16 v21, v21, v9
	v_pk_min_f16 v20, 0x7c00, v20 op_sel_hi:[0,1]
	;; [unrolled: 2-line block ×3, first 2 shown]
	v_pk_min_f16 v58, v8, v4
	v_pk_min_f16 v57, v6, v7
	v_pk_add_f16 v4, v17, v9
	v_pk_min_f16 v6, 0x7c00, v16 op_sel_hi:[0,1]
	v_pk_add_f16 v7, v11, v9
	v_pk_min_f16 v8, 0x7c00, v10 op_sel_hi:[0,1]
	;; [unrolled: 2-line block ×5, first 2 shown]
	v_pk_min_f16 v96, v55, v54
	v_pk_min_f16 v86, v53, v46
	;; [unrolled: 1-line block ×14, first 2 shown]
	s_cbranch_scc1 .LBB261_50
; %bb.28:
	v_mad_i64_i32 v[2:3], null, s26, v30, 0
	v_add_nc_u32_e32 v118, 0x1000, v37
	v_add_nc_u32_e32 v121, 0x1200, v37
	v_lshlrev_b64 v[37:38], 1, v[22:23]
	v_lshlrev_b64 v[39:40], 1, v[24:25]
	;; [unrolled: 1-line block ×5, first 2 shown]
	v_or_b32_e32 v119, 0x1000, v83
	v_or_b32_e32 v120, 0x800, v107
	v_lshl_or_b32 v122, v0, 3, 0x800
	v_lshl_add_u32 v123, v1, 3, 0x1200
	v_add_co_u32 v2, s8, v2, v35
	v_add_co_ci_u32_e64 v3, null, 0, v3, s8
	v_add_co_u32 v2, s8, s22, v2
	v_add_co_ci_u32_e64 v3, null, s23, v3, s8
	s_add_i32 s22, s14, -8
	v_add_co_u32 v45, s8, v2, 16
	v_add_co_ci_u32_e64 v46, null, 0, v3, s8
	s_mov_b32 s23, 0
	s_branch .LBB261_30
.LBB261_29:                             ;   in Loop: Header=BB261_30 Depth=1
	s_or_b32 exec_lo, exec_lo, s8
	v_pk_add_f16 v14, v2, v33
	v_pk_max_f16 v15, v117, v117
	v_pk_add_f16 v16, v4, v33
	v_pk_max_f16 v116, v116, v116
	v_pk_add_f16 v117, v25, v33
	v_pk_max_f16 v114, v114, v114
	v_pk_min_f16 v14, v15, v14
	v_pk_max_f16 v15, v115, v115
	v_pk_add_f16 v115, v27, v33
	v_pk_add_f16 v129, v21, v33
	v_pk_max_f16 v113, v113, v113
	v_pk_add_f16 v130, v23, v33
	v_pk_min_f16 v16, v116, v16
	v_pk_min_f16 v15, v15, v117
	;; [unrolled: 1-line block ×3, first 2 shown]
	v_pk_add_f16 v115, v17, v33
	v_pk_max_f16 v111, v111, v111
	v_pk_add_f16 v33, v19, v33
	v_pk_max_f16 v110, v110, v110
	;; [unrolled: 2-line block ×4, first 2 shown]
	v_pk_min_f16 v113, v113, v129
	v_pk_add_f16 v129, v25, v35
	v_pk_min_f16 v111, v111, v115
	v_pk_min_f16 v33, v110, v33
	;; [unrolled: 1-line block ×4, first 2 shown]
	v_pk_add_f16 v110, v27, v35
	v_pk_max_f16 v105, v105, v105
	v_pk_add_f16 v115, v21, v35
	v_pk_max_f16 v104, v104, v104
	v_pk_add_f16 v116, v23, v35
	v_pk_add_f16 v117, v17, v35
	;; [unrolled: 1-line block ×3, first 2 shown]
	v_pk_max_f16 v103, v103, v103
	v_pk_max_f16 v100, v100, v100
	;; [unrolled: 1-line block ×3, first 2 shown]
	v_pk_min_f16 v105, v105, v110
	v_pk_min_f16 v104, v104, v115
	;; [unrolled: 1-line block ×3, first 2 shown]
	v_pk_add_f16 v103, v2, v10
	v_pk_max_f16 v98, v98, v98
	v_pk_add_f16 v110, v4, v10
	v_pk_max_f16 v97, v97, v97
	;; [unrolled: 2-line block ×3, first 2 shown]
	v_pk_min_f16 v100, v100, v116
	v_pk_min_f16 v99, v99, v117
	v_pk_add_f16 v116, v27, v10
	v_pk_max_f16 v95, v95, v95
	v_pk_add_f16 v117, v21, v10
	v_pk_min_f16 v98, v98, v103
	v_pk_min_f16 v97, v97, v110
	;; [unrolled: 1-line block ×3, first 2 shown]
	v_pk_add_f16 v103, v23, v10
	v_pk_max_f16 v93, v93, v93
	v_pk_add_f16 v110, v17, v10
	v_pk_max_f16 v92, v92, v92
	;; [unrolled: 2-line block ×4, first 2 shown]
	v_pk_min_f16 v95, v95, v116
	v_pk_add_f16 v116, v4, v12
	v_pk_max_f16 v89, v89, v89
	v_pk_min_f16 v93, v93, v103
	v_pk_min_f16 v92, v92, v110
	;; [unrolled: 1-line block ×4, first 2 shown]
	v_pk_add_f16 v91, v25, v12
	v_pk_max_f16 v88, v88, v88
	v_pk_add_f16 v103, v27, v12
	v_pk_max_f16 v87, v87, v87
	;; [unrolled: 2-line block ×4, first 2 shown]
	v_pk_min_f16 v89, v89, v116
	v_pk_add_f16 v116, v17, v12
	v_pk_min_f16 v88, v88, v91
	v_pk_min_f16 v87, v87, v103
	v_pk_min_f16 v86, v86, v110
	v_pk_min_f16 v85, v85, v115
	v_pk_add_f16 v12, v19, v12
	v_pk_max_f16 v82, v82, v82
	v_pk_add_f16 v91, v2, v6
	v_pk_max_f16 v81, v81, v81
	;; [unrolled: 2-line block ×5, first 2 shown]
	v_pk_max_f16 v84, v84, v84
	v_pk_min_f16 v12, v82, v12
	v_pk_min_f16 v81, v81, v91
	;; [unrolled: 1-line block ×5, first 2 shown]
	v_pk_add_f16 v78, v21, v6
	v_pk_max_f16 v77, v77, v77
	v_pk_add_f16 v79, v23, v6
	v_pk_max_f16 v76, v76, v76
	;; [unrolled: 2-line block ×4, first 2 shown]
	v_pk_max_f16 v112, v112, v112
	v_pk_max_f16 v106, v106, v106
	v_pk_min_f16 v84, v84, v116
	v_pk_add_f16 v110, v2, v8
	v_pk_max_f16 v72, v72, v72
	v_pk_min_f16 v115, v77, v78
	v_pk_min_f16 v116, v76, v79
	;; [unrolled: 1-line block ×4, first 2 shown]
	v_pk_add_f16 v73, v25, v8
	v_pk_max_f16 v70, v70, v70
	v_pk_add_f16 v74, v27, v8
	v_pk_max_f16 v69, v69, v69
	;; [unrolled: 2-line block ×4, first 2 shown]
	v_pk_min_f16 v112, v112, v130
	v_pk_min_f16 v106, v106, v129
	;; [unrolled: 1-line block ×3, first 2 shown]
	v_pk_add_f16 v72, v4, v8
	v_pk_min_f16 v129, v70, v73
	v_pk_min_f16 v130, v69, v74
	;; [unrolled: 1-line block ×4, first 2 shown]
	v_pk_add_f16 v67, v17, v8
	v_pk_add_f16 v8, v19, v8
	v_pk_max_f16 v65, v65, v65
	v_pk_add_f16 v68, v2, v29
	v_pk_max_f16 v64, v64, v64
	;; [unrolled: 2-line block ×4, first 2 shown]
	v_pk_min_f16 v8, v65, v8
	v_pk_min_f16 v134, v64, v68
	;; [unrolled: 1-line block ×3, first 2 shown]
	v_pk_add_f16 v63, v21, v29
	v_pk_min_f16 v136, v62, v70
	v_pk_add_f16 v62, v27, v29
	v_pk_add_f16 v64, v23, v29
	;; [unrolled: 1-line block ×4, first 2 shown]
	v_pk_max_f16 v57, v57, v57
	v_pk_add_f16 v4, v4, v31
	v_pk_max_f16 v53, v53, v53
	v_pk_add_f16 v2, v2, v31
	v_pk_add_f16 v25, v25, v31
	v_pk_min_f16 v141, v57, v29
	v_pk_max_f16 v29, v55, v55
	v_pk_max_f16 v51, v51, v51
	v_pk_min_f16 v142, v53, v4
	v_pk_add_f16 v4, v23, v31
	v_pk_max_f16 v23, v52, v52
	v_pk_add_f16 v27, v27, v31
	v_pk_add_f16 v21, v21, v31
	v_pk_min_f16 v2, v29, v2
	v_pk_min_f16 v143, v51, v25
	v_pk_add_f16 v17, v17, v31
	v_pk_max_f16 v25, v50, v50
	v_pk_add_f16 v19, v19, v31
	v_pk_add_f16 v29, v3, v34
	;; [unrolled: 1-line block ×3, first 2 shown]
	v_pk_min_f16 v145, v23, v4
	v_pk_add_f16 v4, v26, v34
	v_pk_min_f16 v146, v25, v17
	v_pk_min_f16 v148, v14, v29
	;; [unrolled: 1-line block ×3, first 2 shown]
	v_pk_add_f16 v14, v28, v34
	v_pk_add_f16 v16, v22, v34
	;; [unrolled: 1-line block ×3, first 2 shown]
	v_pk_min_f16 v150, v15, v4
	v_pk_add_f16 v4, v20, v34
	v_pk_min_f16 v114, v114, v14
	v_pk_min_f16 v113, v113, v16
	;; [unrolled: 1-line block ×3, first 2 shown]
	v_pk_add_f16 v14, v3, v36
	v_pk_add_f16 v15, v5, v36
	;; [unrolled: 1-line block ×4, first 2 shown]
	v_pk_min_f16 v151, v33, v4
	v_pk_add_f16 v4, v22, v36
	v_pk_min_f16 v109, v109, v14
	v_pk_min_f16 v108, v108, v15
	;; [unrolled: 1-line block ×4, first 2 shown]
	v_pk_add_f16 v14, v24, v36
	v_pk_add_f16 v15, v18, v36
	;; [unrolled: 1-line block ×4, first 2 shown]
	v_pk_min_f16 v104, v104, v4
	v_pk_add_f16 v4, v5, v11
	v_pk_min_f16 v100, v100, v14
	v_pk_min_f16 v99, v99, v15
	;; [unrolled: 1-line block ×4, first 2 shown]
	v_pk_add_f16 v14, v26, v11
	v_pk_add_f16 v15, v28, v11
	;; [unrolled: 1-line block ×4, first 2 shown]
	v_pk_min_f16 v79, v97, v4
	v_pk_add_f16 v4, v18, v11
	v_pk_add_f16 v11, v20, v11
	v_pk_max_f16 v94, v94, v94
	v_pk_max_f16 v66, v66, v66
	;; [unrolled: 1-line block ×4, first 2 shown]
	v_pk_min_f16 v73, v10, v11
	v_pk_add_f16 v10, v22, v13
	v_pk_min_f16 v94, v94, v117
	v_pk_min_f16 v133, v66, v67
	;; [unrolled: 1-line block ×3, first 2 shown]
	v_pk_add_f16 v14, v3, v13
	v_pk_min_f16 v76, v92, v4
	v_pk_add_f16 v4, v28, v13
	v_pk_add_f16 v11, v24, v13
	v_pk_min_f16 v67, v86, v10
	v_pk_add_f16 v10, v5, v7
	v_pk_min_f16 v117, v71, v72
	v_pk_max_f16 v60, v60, v60
	v_pk_max_f16 v59, v59, v59
	;; [unrolled: 1-line block ×3, first 2 shown]
	v_pk_min_f16 v137, v61, v62
	v_pk_min_f16 v77, v95, v15
	v_pk_min_f16 v74, v94, v16
	v_pk_add_f16 v15, v5, v13
	v_pk_add_f16 v16, v26, v13
	v_pk_min_f16 v71, v90, v14
	v_pk_add_f16 v14, v18, v13
	v_pk_add_f16 v13, v20, v13
	v_pk_min_f16 v69, v87, v4
	v_pk_min_f16 v66, v85, v11
	v_pk_add_f16 v4, v3, v7
	v_pk_add_f16 v11, v26, v7
	v_pk_min_f16 v62, v80, v10
	v_pk_add_f16 v10, v18, v7
	v_pk_min_f16 v138, v60, v63
	v_pk_min_f16 v139, v59, v64
	;; [unrolled: 1-line block ×3, first 2 shown]
	v_pk_max_f16 v55, v56, v56
	v_pk_max_f16 v54, v54, v54
	v_pk_min_f16 v63, v12, v13
	v_pk_add_f16 v12, v28, v7
	v_pk_add_f16 v13, v22, v7
	v_pk_min_f16 v64, v81, v4
	v_pk_min_f16 v61, v82, v11
	v_pk_add_f16 v4, v24, v7
	v_pk_add_f16 v7, v20, v7
	;; [unrolled: 1-line block ×3, first 2 shown]
	v_pk_min_f16 v58, v103, v10
	v_pk_add_f16 v10, v24, v9
	v_pk_min_f16 v144, v55, v27
	v_pk_min_f16 v21, v54, v21
	v_pk_max_f16 v27, v49, v49
	v_pk_min_f16 v60, v91, v12
	v_pk_add_f16 v12, v5, v9
	v_pk_min_f16 v59, v116, v4
	v_pk_min_f16 v56, v6, v7
	;; [unrolled: 1-line block ×3, first 2 shown]
	v_pk_add_f16 v4, v26, v9
	v_pk_add_f16 v6, v28, v9
	;; [unrolled: 1-line block ×4, first 2 shown]
	v_pk_min_f16 v50, v132, v10
	v_pk_add_f16 v10, v28, v30
	v_pk_min_f16 v147, v27, v19
	v_pk_min_f16 v65, v84, v14
	;; [unrolled: 1-line block ×8, first 2 shown]
	v_pk_add_f16 v4, v20, v9
	v_pk_add_f16 v6, v3, v30
	;; [unrolled: 1-line block ×3, first 2 shown]
	v_pk_min_f16 v27, v137, v10
	ds_read2_b64 v[10:13], v101 offset1:32
	ds_read2_b64 v[84:87], v119 offset1:8
	v_pk_add_f16 v19, v18, v34
	v_pk_add_f16 v9, v26, v30
	v_pk_min_f16 v49, v8, v4
	v_pk_min_f16 v35, v134, v6
	;; [unrolled: 1-line block ×3, first 2 shown]
	v_pk_add_f16 v6, v24, v30
	v_pk_add_f16 v7, v18, v30
	;; [unrolled: 1-line block ×3, first 2 shown]
	v_pk_min_f16 v111, v111, v19
	v_pk_min_f16 v72, v93, v17
	;; [unrolled: 1-line block ×8, first 2 shown]
	ds_read2_b64 v[14:17], v101 offset0:64 offset1:96
	ds_read2_b64 v[6:9], v101 offset0:128 offset1:160
	v_pk_add_f16 v28, v28, v32
	v_pk_add_f16 v4, v22, v30
	;; [unrolled: 1-line block ×5, first 2 shown]
	v_pk_min_f16 v24, v144, v28
	v_pk_add_f16 v28, v20, v32
	v_pk_min_f16 v29, v138, v4
	v_pk_add_f16 v30, v5, v32
	v_pk_min_f16 v34, v2, v3
	ds_read2_b64 v[2:5], v101 offset0:192 offset1:224
	v_pk_min_f16 v20, v146, v18
	v_pk_min_f16 v18, v147, v28
	s_waitcnt lgkmcnt(3)
	v_pk_add_f16 v28, v10, v84
	v_pk_max_f16 v115, v148, v148
	v_pk_add_f16 v26, v26, v32
	v_pk_add_f16 v22, v22, v32
	;; [unrolled: 1-line block ×4, first 2 shown]
	v_pk_max_f16 v117, v149, v149
	v_pk_min_f16 v28, v115, v28
	v_pk_min_f16 v22, v21, v22
	;; [unrolled: 1-line block ×3, first 2 shown]
	ds_read2_b64 v[88:91], v119 offset0:16 offset1:24
	s_waitcnt lgkmcnt(3)
	v_pk_add_f16 v80, v14, v84
	s_waitcnt lgkmcnt(2)
	v_pk_add_f16 v92, v8, v84
	v_pk_max_f16 v115, v150, v150
	v_pk_min_f16 v32, v117, v32
	v_pk_min_f16 v117, v28, v110
	v_pk_max_f16 v110, v112, v112
	v_pk_add_f16 v116, v13, v85
	v_pk_add_f16 v135, v15, v85
	;; [unrolled: 1-line block ×3, first 2 shown]
	v_pk_min_f16 v80, v115, v80
	v_pk_min_f16 v92, v110, v92
	v_pk_add_f16 v81, v16, v84
	v_pk_add_f16 v82, v6, v84
	s_waitcnt lgkmcnt(1)
	v_pk_add_f16 v93, v2, v84
	v_pk_add_f16 v84, v4, v84
	v_pk_min_f16 v116, v32, v116
	v_pk_max_f16 v32, v114, v114
	v_pk_min_f16 v115, v80, v135
	v_pk_max_f16 v80, v113, v113
	v_pk_max_f16 v110, v111, v111
	v_pk_min_f16 v112, v92, v138
	v_pk_max_f16 v92, v151, v151
	v_pk_add_f16 v94, v10, v86
	v_pk_add_f16 v95, v12, v86
	;; [unrolled: 1-line block ×6, first 2 shown]
	ds_read2_b64 v[129:132], v119 offset0:32 offset1:40
	v_pk_min_f16 v32, v32, v81
	v_pk_min_f16 v80, v80, v82
	v_pk_max_f16 v109, v109, v109
	v_pk_min_f16 v93, v110, v93
	v_pk_min_f16 v84, v92, v84
	v_pk_max_f16 v92, v108, v108
	v_pk_add_f16 v96, v14, v86
	v_pk_add_f16 v140, v11, v87
	;; [unrolled: 1-line block ×3, first 2 shown]
	s_waitcnt lgkmcnt(1)
	v_pk_add_f16 v150, v16, v88
	v_pk_add_f16 v28, v6, v88
	;; [unrolled: 1-line block ×4, first 2 shown]
	v_pk_min_f16 v114, v32, v136
	v_pk_add_f16 v32, v14, v90
	v_pk_add_f16 v155, v16, v90
	v_pk_min_f16 v113, v80, v137
	v_pk_add_f16 v80, v6, v90
	v_pk_add_f16 v137, v8, v90
	;; [unrolled: 1-line block ×4, first 2 shown]
	v_pk_min_f16 v90, v109, v94
	v_pk_min_f16 v111, v93, v139
	v_pk_max_f16 v93, v106, v106
	v_pk_min_f16 v110, v84, v85
	v_pk_min_f16 v84, v92, v95
	v_pk_max_f16 v77, v77, v77
	v_pk_max_f16 v74, v74, v74
	v_pk_add_f16 v103, v6, v86
	v_pk_add_f16 v133, v8, v86
	;; [unrolled: 1-line block ×3, first 2 shown]
	v_pk_min_f16 v109, v90, v140
	v_pk_min_f16 v90, v93, v96
	v_pk_max_f16 v92, v104, v104
	v_pk_max_f16 v93, v100, v100
	v_pk_min_f16 v108, v84, v141
	v_pk_max_f16 v84, v99, v99
	v_pk_add_f16 v94, v17, v89
	v_pk_add_f16 v139, v7, v89
	v_pk_min_f16 v77, v77, v150
	v_pk_min_f16 v28, v74, v28
	v_pk_add_f16 v97, v16, v86
	v_pk_add_f16 v144, v7, v87
	;; [unrolled: 1-line block ×4, first 2 shown]
	v_pk_max_f16 v85, v105, v105
	v_pk_min_f16 v92, v92, v103
	v_pk_min_f16 v93, v93, v133
	;; [unrolled: 1-line block ×3, first 2 shown]
	ds_read2_b64 v[133:136], v119 offset0:48 offset1:56
	v_pk_max_f16 v79, v79, v79
	v_pk_min_f16 v95, v77, v94
	v_pk_min_f16 v94, v28, v139
	v_pk_max_f16 v28, v76, v76
	v_pk_max_f16 v63, v63, v63
	v_pk_min_f16 v26, v143, v26
	v_pk_add_f16 v143, v17, v87
	v_pk_add_f16 v146, v3, v87
	v_pk_min_f16 v85, v85, v97
	v_pk_min_f16 v104, v92, v144
	v_pk_add_f16 v92, v13, v89
	v_pk_add_f16 v141, v3, v89
	;; [unrolled: 1-line block ×3, first 2 shown]
	v_pk_min_f16 v79, v79, v148
	s_waitcnt lgkmcnt(1)
	v_pk_add_f16 v161, v8, v129
	v_pk_min_f16 v28, v28, v154
	v_pk_max_f16 v70, v70, v70
	v_pk_max_f16 v67, v67, v67
	v_pk_min_f16 v63, v63, v151
	v_pk_max_f16 v59, v59, v59
	v_pk_min_f16 v30, v142, v30
	v_pk_add_f16 v86, v4, v86
	v_pk_add_f16 v142, v15, v87
	;; [unrolled: 1-line block ×3, first 2 shown]
	v_pk_min_f16 v105, v85, v143
	v_pk_max_f16 v85, v152, v152
	v_pk_min_f16 v99, v84, v146
	v_pk_max_f16 v84, v98, v98
	v_pk_add_f16 v146, v7, v91
	v_pk_add_f16 v159, v14, v129
	v_pk_min_f16 v97, v79, v92
	v_pk_add_f16 v162, v12, v131
	v_pk_min_f16 v92, v28, v141
	v_pk_max_f16 v28, v71, v71
	v_pk_min_f16 v70, v70, v82
	v_pk_max_f16 v66, v66, v66
	v_pk_max_f16 v65, v65, v65
	v_pk_min_f16 v67, v67, v80
	v_pk_max_f16 v61, v61, v61
	v_pk_min_f16 v82, v63, v157
	v_pk_add_f16 v63, v9, v130
	v_pk_min_f16 v59, v59, v161
	v_pk_max_f16 v53, v53, v53
	v_pk_add_f16 v145, v9, v87
	v_pk_add_f16 v87, v5, v87
	;; [unrolled: 1-line block ×4, first 2 shown]
	v_pk_min_f16 v106, v90, v142
	v_pk_add_f16 v90, v11, v89
	v_pk_add_f16 v142, v11, v91
	v_pk_add_f16 v152, v9, v91
	v_pk_add_f16 v156, v3, v91
	v_pk_min_f16 v85, v85, v86
	v_pk_add_f16 v158, v10, v129
	v_pk_min_f16 v84, v84, v147
	v_pk_add_f16 v147, v12, v129
	v_pk_add_f16 v148, v16, v129
	v_pk_max_f16 v78, v78, v78
	v_pk_max_f16 v72, v72, v72
	v_pk_add_f16 v139, v16, v131
	v_pk_min_f16 v28, v28, v81
	v_pk_min_f16 v66, v66, v137
	;; [unrolled: 1-line block ×4, first 2 shown]
	v_pk_max_f16 v64, v64, v64
	v_pk_max_f16 v62, v62, v62
	v_pk_add_f16 v67, v15, v130
	v_pk_min_f16 v61, v61, v159
	v_pk_max_f16 v60, v60, v60
	v_pk_min_f16 v76, v59, v63
	v_pk_add_f16 v59, v13, v132
	v_pk_min_f16 v53, v53, v162
	v_pk_max_f16 v52, v52, v52
	v_pk_add_f16 v88, v4, v88
	v_pk_min_f16 v100, v93, v145
	v_pk_add_f16 v93, v15, v89
	v_pk_add_f16 v140, v9, v89
	v_pk_min_f16 v103, v85, v87
	v_pk_min_f16 v98, v84, v90
	v_pk_add_f16 v160, v6, v129
	v_pk_min_f16 v78, v78, v149
	v_pk_add_f16 v149, v2, v129
	v_pk_add_f16 v163, v14, v131
	v_pk_min_f16 v72, v72, v153
	v_pk_max_f16 v73, v73, v73
	s_waitcnt lgkmcnt(0)
	v_pk_add_f16 v165, v14, v133
	v_pk_max_f16 v68, v68, v68
	v_pk_min_f16 v90, v28, v142
	v_pk_add_f16 v28, v6, v133
	v_pk_add_f16 v142, v8, v133
	v_pk_min_f16 v85, v66, v152
	v_pk_min_f16 v84, v65, v156
	v_pk_add_f16 v65, v11, v130
	v_pk_min_f16 v64, v64, v158
	v_pk_add_f16 v66, v13, v130
	v_pk_min_f16 v62, v62, v147
	v_pk_min_f16 v79, v61, v67
	v_pk_add_f16 v61, v17, v130
	v_pk_max_f16 v57, v57, v57
	v_pk_min_f16 v60, v60, v148
	v_pk_max_f16 v58, v58, v58
	v_pk_max_f16 v55, v55, v55
	v_pk_min_f16 v71, v53, v59
	v_pk_add_f16 v53, v17, v132
	v_pk_min_f16 v52, v52, v139
	v_pk_max_f16 v31, v31, v31
	v_pk_max_f16 v29, v29, v29
	v_pk_max_f16 v25, v25, v25
	v_pk_add_f16 v89, v5, v89
	v_pk_add_f16 v143, v13, v91
	v_pk_min_f16 v96, v78, v93
	v_pk_add_f16 v150, v10, v131
	v_pk_add_f16 v154, v8, v131
	v_pk_min_f16 v93, v72, v140
	v_pk_min_f16 v72, v73, v88
	v_pk_add_f16 v166, v16, v133
	v_pk_min_f16 v32, v68, v32
	v_pk_max_f16 v68, v69, v69
	v_pk_min_f16 v81, v64, v65
	v_pk_min_f16 v80, v62, v66
	v_pk_add_f16 v62, v7, v130
	v_pk_min_f16 v57, v57, v160
	v_pk_add_f16 v64, v3, v130
	v_pk_min_f16 v58, v58, v149
	v_pk_min_f16 v78, v60, v61
	v_pk_max_f16 v54, v54, v54
	v_pk_add_f16 v60, v15, v132
	v_pk_min_f16 v55, v55, v163
	v_pk_max_f16 v50, v50, v50
	v_pk_min_f16 v69, v52, v53
	v_pk_add_f16 v52, v15, v134
	v_pk_min_f16 v31, v31, v165
	v_pk_max_f16 v27, v27, v27
	v_pk_min_f16 v28, v29, v28
	v_pk_add_f16 v29, v9, v134
	v_pk_min_f16 v25, v25, v142
	v_pk_add_f16 v144, v15, v91
	v_pk_add_f16 v145, v17, v91
	;; [unrolled: 1-line block ×4, first 2 shown]
	v_pk_min_f16 v91, v72, v89
	v_pk_min_f16 v89, v70, v143
	v_pk_add_f16 v10, v10, v135
	v_pk_min_f16 v77, v57, v62
	v_pk_min_f16 v74, v58, v64
	v_pk_add_f16 v58, v11, v132
	v_pk_min_f16 v54, v54, v150
	v_pk_min_f16 v70, v55, v60
	v_pk_max_f16 v51, v51, v51
	v_pk_add_f16 v55, v9, v132
	v_pk_min_f16 v50, v50, v154
	v_pk_min_f16 v62, v31, v52
	v_pk_add_f16 v31, v17, v134
	v_pk_min_f16 v27, v27, v166
	v_pk_min_f16 v59, v25, v29
	v_pk_max_f16 v25, v34, v34
	v_pk_add_f16 v129, v4, v129
	v_pk_add_f16 v164, v12, v133
	v_pk_min_f16 v68, v68, v155
	v_pk_add_f16 v12, v12, v135
	v_pk_add_f16 v14, v14, v135
	v_pk_max_f16 v56, v56, v56
	v_pk_min_f16 v72, v54, v58
	v_pk_add_f16 v54, v7, v132
	v_pk_min_f16 v51, v51, v153
	v_pk_min_f16 v67, v50, v55
	v_pk_max_f16 v35, v35, v35
	v_pk_max_f16 v33, v33, v33
	v_pk_add_f16 v50, v11, v134
	v_pk_min_f16 v61, v27, v31
	v_pk_max_f16 v27, v30, v30
	v_pk_add_f16 v11, v11, v136
	v_pk_max_f16 v26, v26, v26
	v_pk_min_f16 v10, v25, v10
	v_pk_add_f16 v140, v2, v131
	v_pk_add_f16 v143, v2, v133
	v_pk_min_f16 v87, v68, v145
	v_pk_add_f16 v6, v6, v135
	v_pk_add_f16 v57, v5, v130
	v_pk_min_f16 v56, v56, v129
	v_pk_max_f16 v36, v36, v36
	v_pk_min_f16 v68, v51, v54
	v_pk_min_f16 v35, v35, v141
	v_pk_add_f16 v51, v13, v134
	v_pk_min_f16 v33, v33, v164
	v_pk_max_f16 v23, v23, v23
	v_pk_add_f16 v13, v13, v136
	v_pk_min_f16 v12, v27, v12
	v_pk_add_f16 v15, v15, v136
	v_pk_min_f16 v14, v26, v14
	v_pk_min_f16 v55, v10, v11
	v_pk_max_f16 v11, v22, v22
	v_pk_add_f16 v131, v4, v131
	v_pk_min_f16 v88, v32, v144
	v_pk_add_f16 v32, v4, v133
	v_pk_add_f16 v16, v16, v135
	;; [unrolled: 1-line block ×5, first 2 shown]
	v_pk_min_f16 v73, v56, v57
	v_pk_add_f16 v56, v3, v132
	v_pk_min_f16 v36, v36, v140
	v_pk_max_f16 v49, v49, v49
	v_pk_min_f16 v64, v35, v50
	v_pk_min_f16 v63, v33, v51
	v_pk_add_f16 v35, v3, v134
	v_pk_min_f16 v23, v23, v143
	v_pk_max_f16 v19, v19, v19
	v_pk_max_f16 v10, v24, v24
	v_pk_min_f16 v53, v12, v13
	v_pk_min_f16 v51, v14, v15
	v_pk_max_f16 v13, v21, v21
	v_pk_min_f16 v6, v11, v6
	v_pk_max_f16 v11, v20, v20
	v_pk_max_f16 v14, v18, v18
	v_pk_min_f16 v66, v36, v56
	v_pk_add_f16 v36, v5, v132
	v_pk_min_f16 v49, v49, v131
	v_pk_add_f16 v33, v7, v134
	;; [unrolled: 2-line block ×5, first 2 shown]
	v_pk_add_f16 v9, v9, v136
	v_pk_min_f16 v8, v13, v8
	v_pk_add_f16 v3, v3, v136
	v_pk_min_f16 v2, v11, v2
	;; [unrolled: 2-line block ×3, first 2 shown]
	v_add_co_u32 v45, s8, v45, 16
	v_pk_min_f16 v65, v49, v36
	v_pk_min_f16 v60, v28, v33
	;; [unrolled: 1-line block ×8, first 2 shown]
	v_add_co_ci_u32_e64 v46, null, 0, v46, s8
	s_add_i32 s23, s23, 8
	ds_write_b16 v120, v124
	ds_write_b16 v120, v125 offset:512
	ds_write_b16 v120, v126 offset:1024
	;; [unrolled: 1-line block ×3, first 2 shown]
	ds_write_b16 v121, v128
	s_cmp_ge_i32 s23, s22
	s_waitcnt lgkmcnt(0)
	s_barrier
	buffer_gl0_inv
	s_cbranch_scc1 .LBB261_50
.LBB261_30:                             ; =>This Inner Loop Header: Depth=1
	v_add_nc_u32_e32 v15, s23, v75
	v_add_nc_u32_e32 v4, 8, v15
	v_min_i32_e32 v2, s25, v4
	v_cmp_le_i32_e64 s8, s14, v4
	v_mad_i64_i32 v[2:3], null, v2, s24, 0
	v_lshlrev_b64 v[2:3], 1, v[2:3]
	v_add_co_u32 v2, s9, s20, v2
	v_add_co_ci_u32_e64 v3, null, s21, v3, s9
	s_or_b32 s9, vcc_lo, s8
	v_cndmask_b32_e64 v16, 0, 0x7c00, s9
	s_nor_b32 s9, s0, s9
	s_and_saveexec_b32 s26, s9
	s_cbranch_execz .LBB261_32
; %bb.31:                               ;   in Loop: Header=BB261_30 Depth=1
	v_add_co_u32 v4, s9, v2, v37
	v_add_co_ci_u32_e64 v5, null, v3, v38, s9
	global_load_ushort v4, v[4:5], off
	s_waitcnt vmcnt(0)
	v_mul_f16_e32 v16, v47, v4
.LBB261_32:                             ;   in Loop: Header=BB261_30 Depth=1
	s_or_b32 exec_lo, exec_lo, s26
	s_or_b32 s9, s2, s8
	v_cndmask_b32_e64 v124, 0, 0x7c00, s9
	s_nor_b32 s9, s9, s0
	s_and_saveexec_b32 s26, s9
	s_cbranch_execz .LBB261_34
; %bb.33:                               ;   in Loop: Header=BB261_30 Depth=1
	v_add_co_u32 v4, s9, v2, v39
	v_add_co_ci_u32_e64 v5, null, v3, v40, s9
	global_load_ushort v4, v[4:5], off
	s_waitcnt vmcnt(0)
	v_mul_f16_e32 v124, v47, v4
.LBB261_34:                             ;   in Loop: Header=BB261_30 Depth=1
	s_or_b32 exec_lo, exec_lo, s26
	s_or_b32 s9, s3, s8
	;; [unrolled: 13-line block ×3, first 2 shown]
	v_cndmask_b32_e64 v126, 0, 0x7c00, s8
	s_nor_b32 s8, s8, s0
	s_and_saveexec_b32 s9, s8
	s_cbranch_execz .LBB261_38
; %bb.37:                               ;   in Loop: Header=BB261_30 Depth=1
	v_add_co_u32 v2, s8, v2, v43
	v_add_co_ci_u32_e64 v3, null, v3, v44, s8
	global_load_ushort v2, v[2:3], off
	s_waitcnt vmcnt(0)
	v_mul_f16_e32 v126, v47, v2
.LBB261_38:                             ;   in Loop: Header=BB261_30 Depth=1
	s_or_b32 exec_lo, exec_lo, s9
	v_add_nc_u32_e32 v14, s23, v102
	v_add_nc_u32_e32 v2, 8, v14
	v_cmp_le_i32_e64 s8, s14, v2
	s_or_b32 s8, s8, s7
	v_cndmask_b32_e64 v127, 0, 0x7c00, s8
	s_nor_b32 s9, s0, s8
	s_and_saveexec_b32 s8, s9
	s_cbranch_execz .LBB261_40
; %bb.39:                               ;   in Loop: Header=BB261_30 Depth=1
	global_load_ushort v2, v[45:46], off
	s_waitcnt vmcnt(0)
	v_mul_f16_e32 v127, v47, v2
.LBB261_40:                             ;   in Loop: Header=BB261_30 Depth=1
	s_or_b32 exec_lo, exec_lo, s8
	v_add_nc_u32_e32 v15, 12, v15
	ds_read2_b64 v[2:5], v122 offset1:32
	ds_read2_b64 v[25:28], v122 offset0:64 offset1:96
	ds_read2_b64 v[21:24], v122 offset0:128 offset1:160
	;; [unrolled: 1-line block ×3, first 2 shown]
	ds_read2_b64 v[33:36], v123 offset1:8
	ds_read2_b64 v[10:13], v123 offset0:16 offset1:24
	ds_read2_b64 v[6:9], v123 offset0:32 offset1:40
	;; [unrolled: 1-line block ×3, first 2 shown]
	ds_write_b16 v107, v16
	ds_write_b16 v107, v124 offset:512
	ds_write_b16 v107, v125 offset:1024
	ds_write_b16 v107, v126 offset:1536
	ds_write_b16 v118, v127
	s_waitcnt lgkmcnt(0)
	s_barrier
	v_cmp_le_i32_e64 s8, s14, v15
	v_min_i32_e32 v15, s25, v15
	buffer_gl0_inv
	v_mad_i64_i32 v[15:16], null, v15, s24, 0
	v_lshlrev_b64 v[15:16], 1, v[15:16]
	v_add_co_u32 v15, s9, s20, v15
	v_add_co_ci_u32_e64 v16, null, s21, v16, s9
	s_or_b32 s9, vcc_lo, s8
	v_cndmask_b32_e64 v124, 0, 0x7c00, s9
	s_nor_b32 s27, s0, s9
	s_and_saveexec_b32 s26, s27
	s_cbranch_execz .LBB261_42
; %bb.41:                               ;   in Loop: Header=BB261_30 Depth=1
	v_add_co_u32 v124, s9, v15, v37
	v_add_co_ci_u32_e64 v125, null, v16, v38, s9
	global_load_ushort v124, v[124:125], off
	s_waitcnt vmcnt(0)
	v_mul_f16_e32 v124, v47, v124
.LBB261_42:                             ;   in Loop: Header=BB261_30 Depth=1
	s_or_b32 exec_lo, exec_lo, s26
	s_or_b32 s9, s2, s8
	v_cndmask_b32_e64 v125, 0, 0x7c00, s9
	s_nor_b32 s9, s9, s0
	s_and_saveexec_b32 s26, s9
	s_cbranch_execz .LBB261_44
; %bb.43:                               ;   in Loop: Header=BB261_30 Depth=1
	v_add_co_u32 v125, s9, v15, v39
	v_add_co_ci_u32_e64 v126, null, v16, v40, s9
	global_load_ushort v125, v[125:126], off
	s_waitcnt vmcnt(0)
	v_mul_f16_e32 v125, v47, v125
.LBB261_44:                             ;   in Loop: Header=BB261_30 Depth=1
	s_or_b32 exec_lo, exec_lo, s26
	s_or_b32 s9, s3, s8
	;; [unrolled: 13-line block ×3, first 2 shown]
	v_cndmask_b32_e64 v127, 0, 0x7c00, s8
	s_nor_b32 s8, s8, s0
	s_and_saveexec_b32 s9, s8
	s_cbranch_execz .LBB261_48
; %bb.47:                               ;   in Loop: Header=BB261_30 Depth=1
	v_add_co_u32 v15, s8, v15, v43
	v_add_co_ci_u32_e64 v16, null, v16, v44, s8
	global_load_ushort v15, v[15:16], off
	s_waitcnt vmcnt(0)
	v_mul_f16_e32 v127, v47, v15
.LBB261_48:                             ;   in Loop: Header=BB261_30 Depth=1
	s_or_b32 exec_lo, exec_lo, s9
	v_add_nc_u32_e32 v14, 12, v14
	v_cmp_le_i32_e64 s8, s14, v14
	s_or_b32 s8, s8, s7
	v_cndmask_b32_e64 v128, 0, 0x7c00, s8
	s_nor_b32 s9, s0, s8
	s_and_saveexec_b32 s8, s9
	s_cbranch_execz .LBB261_29
; %bb.49:                               ;   in Loop: Header=BB261_30 Depth=1
	global_load_ushort v14, v[45:46], off offset:8
	s_waitcnt vmcnt(0)
	v_mul_f16_e32 v128, v47, v14
	s_branch .LBB261_29
.LBB261_50:
	s_clause 0x2
	s_load_dwordx2 s[2:3], s[4:5], 0x78
	s_load_dword s14, s[4:5], 0x58
	s_load_dword s9, s[4:5], 0x70
	v_add_nc_u32_e32 v2, 0x800, v101
	v_add_nc_u32_e32 v4, 0x1000, v83
	;; [unrolled: 1-line block ×4, first 2 shown]
	ds_read2_b64 v[16:19], v2 offset1:32
	ds_read2_b64 v[12:15], v2 offset0:64 offset1:96
	ds_read2_b64 v[8:11], v2 offset0:128 offset1:160
	;; [unrolled: 1-line block ×7, first 2 shown]
	v_cndmask_b32_e64 v75, 0, 1, s1
	v_cmp_gt_i32_e64 s8, s13, v83
	v_cmp_gt_i32_e64 s0, s12, v32
	v_ashrrev_i32_e32 v33, 31, v32
	s_waitcnt lgkmcnt(0)
	s_mul_i32 s3, s3, s18
	v_mad_i64_i32 v[34:35], null, v83, s14, 0
	v_mad_i64_i32 v[36:37], null, v83, s9, 0
	s_mul_hi_u32 s4, s2, s18
	s_mul_i32 s2, s2, s18
	s_add_i32 s3, s4, s3
	s_lshl_b64 s[2:3], s[2:3], 1
	v_lshlrev_b64 v[34:35], 1, v[34:35]
	v_lshlrev_b64 v[36:37], 1, v[36:37]
	s_add_u32 s10, s10, s2
	s_addc_u32 s11, s11, s3
	s_and_b32 s3, s0, s8
	v_add_co_u32 v107, vcc_lo, s16, v34
	v_add_co_ci_u32_e64 v118, null, s17, v35, vcc_lo
	v_add_co_u32 v101, vcc_lo, s10, v36
	v_add_co_ci_u32_e64 v102, null, s11, v37, vcc_lo
	s_and_saveexec_b32 s2, s3
	s_cbranch_execz .LBB261_55
; %bb.51:
	s_andn2_b32 vcc_lo, exec_lo, s1
	s_cbranch_vccnz .LBB261_53
; %bb.52:
	v_lshlrev_b64 v[34:35], 1, v[32:33]
	v_add_co_u32 v34, vcc_lo, v107, v34
	v_add_co_ci_u32_e64 v35, null, v118, v35, vcc_lo
	global_load_ushort v34, v[34:35], off
	s_waitcnt vmcnt(0)
	v_mul_f16_e32 v34, v48, v34
	v_cvt_f32_f16_e32 v34, v34
	s_branch .LBB261_54
.LBB261_53:
	v_mov_b32_e32 v34, 0
.LBB261_54:
	v_pk_add_f16 v35, v16, v28
	v_pk_add_f16 v36, v17, v29
	v_max_f16_e32 v37, v117, v117
	v_lshrrev_b32_e32 v38, 16, v117
	v_max_f32_e32 v34, v34, v34
	v_lshrrev_b32_e32 v39, 16, v35
	v_lshrrev_b32_e32 v40, 16, v36
	v_min_f16_e32 v35, v37, v35
	v_min3_f16 v37, v38, v39, v40
	v_min3_f16 v35, v35, v36, v37
	v_cvt_f32_f16_e32 v35, v35
	v_min_f32_e32 v36, v34, v35
	v_lshlrev_b64 v[34:35], 1, v[32:33]
	v_cvt_f16_f32_e32 v36, v36
	v_add_co_u32 v34, vcc_lo, v101, v34
	v_add_co_ci_u32_e64 v35, null, v102, v35, vcc_lo
	global_store_short v[34:35], v36, off
.LBB261_55:
	s_or_b32 exec_lo, exec_lo, s2
	v_add_nc_u32_e32 v34, 32, v32
	v_cmp_gt_i32_e64 s1, s12, v34
	v_ashrrev_i32_e32 v35, 31, v34
	s_and_b32 s3, s1, s8
	s_and_saveexec_b32 s2, s3
	s_cbranch_execz .LBB261_60
; %bb.56:
	v_cmp_ne_u32_e32 vcc_lo, 1, v75
	s_cbranch_vccnz .LBB261_58
; %bb.57:
	v_lshlrev_b64 v[36:37], 1, v[34:35]
	v_add_co_u32 v36, vcc_lo, v107, v36
	v_add_co_ci_u32_e64 v37, null, v118, v37, vcc_lo
	global_load_ushort v36, v[36:37], off
	s_waitcnt vmcnt(0)
	v_mul_f16_e32 v36, v48, v36
	v_cvt_f32_f16_e32 v36, v36
	s_branch .LBB261_59
.LBB261_58:
	v_mov_b32_e32 v36, 0
.LBB261_59:
	v_pk_add_f16 v37, v18, v28
	v_pk_add_f16 v38, v19, v29
	v_max_f16_e32 v39, v116, v116
	v_lshrrev_b32_e32 v40, 16, v116
	v_max_f32_e32 v36, v36, v36
	v_lshrrev_b32_e32 v41, 16, v37
	v_lshrrev_b32_e32 v42, 16, v38
	v_min_f16_e32 v37, v39, v37
	v_min3_f16 v39, v40, v41, v42
	v_min3_f16 v37, v37, v38, v39
	v_cvt_f32_f16_e32 v37, v37
	v_min_f32_e32 v38, v36, v37
	v_lshlrev_b64 v[36:37], 1, v[34:35]
	v_cvt_f16_f32_e32 v38, v38
	v_add_co_u32 v36, vcc_lo, v101, v36
	v_add_co_ci_u32_e64 v37, null, v102, v37, vcc_lo
	global_store_short v[36:37], v38, off
.LBB261_60:
	s_or_b32 exec_lo, exec_lo, s2
	v_add_nc_u32_e32 v36, 64, v32
	v_cmp_gt_i32_e64 s2, s12, v36
	v_ashrrev_i32_e32 v37, 31, v36
	s_and_b32 s4, s2, s8
	s_and_saveexec_b32 s3, s4
	s_cbranch_execz .LBB261_65
; %bb.61:
	v_cmp_ne_u32_e32 vcc_lo, 1, v75
	s_cbranch_vccnz .LBB261_63
; %bb.62:
	v_lshlrev_b64 v[38:39], 1, v[36:37]
	v_add_co_u32 v38, vcc_lo, v107, v38
	v_add_co_ci_u32_e64 v39, null, v118, v39, vcc_lo
	global_load_ushort v38, v[38:39], off
	s_waitcnt vmcnt(0)
	v_mul_f16_e32 v38, v48, v38
	v_cvt_f32_f16_e32 v38, v38
	s_branch .LBB261_64
.LBB261_63:
	v_mov_b32_e32 v38, 0
.LBB261_64:
	v_pk_add_f16 v39, v12, v28
	v_pk_add_f16 v40, v13, v29
	v_max_f16_e32 v41, v115, v115
	v_lshrrev_b32_e32 v42, 16, v115
	v_max_f32_e32 v38, v38, v38
	v_lshrrev_b32_e32 v43, 16, v39
	v_lshrrev_b32_e32 v44, 16, v40
	v_min_f16_e32 v39, v41, v39
	v_min3_f16 v41, v42, v43, v44
	v_min3_f16 v39, v39, v40, v41
	v_cvt_f32_f16_e32 v39, v39
	v_min_f32_e32 v40, v38, v39
	v_lshlrev_b64 v[38:39], 1, v[36:37]
	v_cvt_f16_f32_e32 v40, v40
	v_add_co_u32 v38, vcc_lo, v101, v38
	v_add_co_ci_u32_e64 v39, null, v102, v39, vcc_lo
	global_store_short v[38:39], v40, off
.LBB261_65:
	;; [unrolled: 40-line block ×6, first 2 shown]
	s_or_b32 exec_lo, exec_lo, s7
	v_add_nc_u32_e32 v46, 0xe0, v32
	v_cmp_gt_i32_e64 s7, s12, v46
	v_ashrrev_i32_e32 v47, 31, v46
	s_and_b32 s12, s7, s8
	s_and_saveexec_b32 s8, s12
	s_cbranch_execz .LBB261_90
; %bb.86:
	v_cmp_ne_u32_e32 vcc_lo, 1, v75
	s_cbranch_vccnz .LBB261_88
; %bb.87:
	v_lshlrev_b64 v[111:112], 1, v[46:47]
	v_add_co_u32 v111, vcc_lo, v107, v111
	v_add_co_ci_u32_e64 v112, null, v118, v112, vcc_lo
	global_load_ushort v107, v[111:112], off
	s_waitcnt vmcnt(0)
	v_mul_f16_e32 v107, v48, v107
	v_cvt_f32_f16_e32 v107, v107
	s_branch .LBB261_89
.LBB261_88:
	v_mov_b32_e32 v107, 0
.LBB261_89:
	v_pk_add_f16 v28, v2, v28
	v_pk_add_f16 v29, v3, v29
	v_max_f16_e32 v111, v110, v110
	v_lshrrev_b32_e32 v110, 16, v110
	v_lshrrev_b32_e32 v112, 16, v28
	;; [unrolled: 1-line block ×3, first 2 shown]
	v_min_f16_e32 v28, v111, v28
	v_min3_f16 v110, v110, v112, v113
	v_min3_f16 v28, v28, v29, v110
	v_max_f32_e32 v29, v107, v107
	v_cvt_f32_f16_e32 v28, v28
	v_min_f32_e32 v107, v29, v28
	v_lshlrev_b64 v[28:29], 1, v[46:47]
	v_cvt_f16_f32_e32 v107, v107
	v_add_co_u32 v28, vcc_lo, v101, v28
	v_add_co_ci_u32_e64 v29, null, v102, v29, vcc_lo
	global_store_short v[28:29], v107, off
.LBB261_90:
	s_or_b32 exec_lo, exec_lo, s8
	v_add_nc_u32_e32 v107, 8, v83
	v_mad_i64_i32 v[28:29], null, v107, s14, 0
	v_mad_i64_i32 v[101:102], null, v107, s9, 0
	v_cmp_gt_i32_e64 s8, s13, v107
	v_lshlrev_b64 v[28:29], 1, v[28:29]
	s_and_b32 s15, s0, s8
	v_lshlrev_b64 v[110:111], 1, v[101:102]
	v_add_co_u32 v101, vcc_lo, s16, v28
	v_add_co_ci_u32_e64 v102, null, s17, v29, vcc_lo
	v_add_co_u32 v28, vcc_lo, s10, v110
	v_add_co_ci_u32_e64 v29, null, s11, v111, vcc_lo
	s_and_saveexec_b32 s12, s15
	s_cbranch_execnz .LBB261_98
; %bb.91:
	s_or_b32 exec_lo, exec_lo, s12
	s_and_b32 s15, s1, s8
	s_and_saveexec_b32 s12, s15
	s_cbranch_execnz .LBB261_102
.LBB261_92:
	s_or_b32 exec_lo, exec_lo, s12
	s_and_b32 s15, s2, s8
	s_and_saveexec_b32 s12, s15
	s_cbranch_execnz .LBB261_106
.LBB261_93:
	s_or_b32 exec_lo, exec_lo, s12
	s_and_b32 s15, s3, s8
	s_and_saveexec_b32 s12, s15
	s_cbranch_execnz .LBB261_110
.LBB261_94:
	s_or_b32 exec_lo, exec_lo, s12
	s_and_b32 s15, s4, s8
	s_and_saveexec_b32 s12, s15
	s_cbranch_execnz .LBB261_114
.LBB261_95:
	s_or_b32 exec_lo, exec_lo, s12
	s_and_b32 s15, s5, s8
	s_and_saveexec_b32 s12, s15
	s_cbranch_execnz .LBB261_118
.LBB261_96:
	s_or_b32 exec_lo, exec_lo, s12
	s_and_b32 s15, s6, s8
	s_and_saveexec_b32 s12, s15
	s_cbranch_execnz .LBB261_122
.LBB261_97:
	s_or_b32 exec_lo, exec_lo, s12
	s_and_b32 s12, s7, s8
	s_and_saveexec_b32 s8, s12
	s_cbranch_execnz .LBB261_126
	s_branch .LBB261_130
.LBB261_98:
	v_cmp_ne_u32_e32 vcc_lo, 1, v75
	s_cbranch_vccnz .LBB261_100
; %bb.99:
	v_lshlrev_b64 v[110:111], 1, v[32:33]
	v_add_co_u32 v110, vcc_lo, v101, v110
	v_add_co_ci_u32_e64 v111, null, v102, v111, vcc_lo
	global_load_ushort v107, v[110:111], off
	s_waitcnt vmcnt(0)
	v_mul_f16_e32 v107, v48, v107
	v_cvt_f32_f16_e32 v107, v107
	s_branch .LBB261_101
.LBB261_100:
	v_mov_b32_e32 v107, 0
.LBB261_101:
	v_pk_add_f16 v110, v16, v30
	v_pk_add_f16 v111, v17, v31
	v_max_f16_e32 v112, v109, v109
	v_lshrrev_b32_e32 v109, 16, v109
	v_max_f32_e32 v107, v107, v107
	v_lshrrev_b32_e32 v113, 16, v110
	v_lshrrev_b32_e32 v114, 16, v111
	v_min_f16_e32 v110, v112, v110
	v_min3_f16 v109, v109, v113, v114
	v_min3_f16 v109, v110, v111, v109
	v_cvt_f32_f16_e32 v109, v109
	v_min_f32_e32 v107, v107, v109
	v_lshlrev_b64 v[109:110], 1, v[32:33]
	v_cvt_f16_f32_e32 v107, v107
	v_add_co_u32 v109, vcc_lo, v28, v109
	v_add_co_ci_u32_e64 v110, null, v29, v110, vcc_lo
	global_store_short v[109:110], v107, off
	s_or_b32 exec_lo, exec_lo, s12
	s_and_b32 s15, s1, s8
	s_and_saveexec_b32 s12, s15
	s_cbranch_execz .LBB261_92
.LBB261_102:
	v_cmp_ne_u32_e32 vcc_lo, 1, v75
	s_cbranch_vccnz .LBB261_104
; %bb.103:
	v_lshlrev_b64 v[109:110], 1, v[34:35]
	v_add_co_u32 v109, vcc_lo, v101, v109
	v_add_co_ci_u32_e64 v110, null, v102, v110, vcc_lo
	global_load_ushort v107, v[109:110], off
	s_waitcnt vmcnt(0)
	v_mul_f16_e32 v107, v48, v107
	v_cvt_f32_f16_e32 v107, v107
	s_branch .LBB261_105
.LBB261_104:
	v_mov_b32_e32 v107, 0
.LBB261_105:
	v_pk_add_f16 v109, v18, v30
	v_pk_add_f16 v110, v19, v31
	v_max_f16_e32 v111, v108, v108
	v_lshrrev_b32_e32 v108, 16, v108
	v_max_f32_e32 v107, v107, v107
	v_lshrrev_b32_e32 v112, 16, v109
	v_lshrrev_b32_e32 v113, 16, v110
	v_min_f16_e32 v109, v111, v109
	v_min3_f16 v108, v108, v112, v113
	v_min3_f16 v108, v109, v110, v108
	v_cvt_f32_f16_e32 v108, v108
	v_min_f32_e32 v109, v107, v108
	v_lshlrev_b64 v[107:108], 1, v[34:35]
	v_cvt_f16_f32_e32 v109, v109
	v_add_co_u32 v107, vcc_lo, v28, v107
	v_add_co_ci_u32_e64 v108, null, v29, v108, vcc_lo
	global_store_short v[107:108], v109, off
	s_or_b32 exec_lo, exec_lo, s12
	s_and_b32 s15, s2, s8
	s_and_saveexec_b32 s12, s15
	s_cbranch_execz .LBB261_93
.LBB261_106:
	v_cmp_ne_u32_e32 vcc_lo, 1, v75
	s_cbranch_vccnz .LBB261_108
; %bb.107:
	v_lshlrev_b64 v[107:108], 1, v[36:37]
	v_add_co_u32 v107, vcc_lo, v101, v107
	v_add_co_ci_u32_e64 v108, null, v102, v108, vcc_lo
	global_load_ushort v107, v[107:108], off
	s_waitcnt vmcnt(0)
	v_mul_f16_e32 v107, v48, v107
	v_cvt_f32_f16_e32 v107, v107
	s_branch .LBB261_109
.LBB261_108:
	v_mov_b32_e32 v107, 0
.LBB261_109:
	v_pk_add_f16 v108, v12, v30
	v_pk_add_f16 v109, v13, v31
	v_max_f16_e32 v110, v106, v106
	v_lshrrev_b32_e32 v106, 16, v106
	v_max_f32_e32 v107, v107, v107
	v_lshrrev_b32_e32 v111, 16, v108
	v_lshrrev_b32_e32 v112, 16, v109
	v_min_f16_e32 v108, v110, v108
	v_min3_f16 v106, v106, v111, v112
	v_min3_f16 v106, v108, v109, v106
	v_cvt_f32_f16_e32 v106, v106
	v_min_f32_e32 v108, v107, v106
	v_lshlrev_b64 v[106:107], 1, v[36:37]
	v_cvt_f16_f32_e32 v108, v108
	v_add_co_u32 v106, vcc_lo, v28, v106
	v_add_co_ci_u32_e64 v107, null, v29, v107, vcc_lo
	global_store_short v[106:107], v108, off
	s_or_b32 exec_lo, exec_lo, s12
	s_and_b32 s15, s3, s8
	s_and_saveexec_b32 s12, s15
	s_cbranch_execz .LBB261_94
.LBB261_110:
	v_cmp_ne_u32_e32 vcc_lo, 1, v75
	s_cbranch_vccnz .LBB261_112
; %bb.111:
	v_lshlrev_b64 v[106:107], 1, v[38:39]
	v_add_co_u32 v106, vcc_lo, v101, v106
	v_add_co_ci_u32_e64 v107, null, v102, v107, vcc_lo
	global_load_ushort v106, v[106:107], off
	s_waitcnt vmcnt(0)
	v_mul_f16_e32 v106, v48, v106
	v_cvt_f32_f16_e32 v106, v106
	s_branch .LBB261_113
.LBB261_112:
	v_mov_b32_e32 v106, 0
.LBB261_113:
	v_pk_add_f16 v107, v14, v30
	v_pk_add_f16 v108, v15, v31
	v_max_f16_e32 v109, v105, v105
	v_lshrrev_b32_e32 v105, 16, v105
	v_max_f32_e32 v106, v106, v106
	v_lshrrev_b32_e32 v110, 16, v107
	v_lshrrev_b32_e32 v111, 16, v108
	v_min_f16_e32 v107, v109, v107
	v_min3_f16 v105, v105, v110, v111
	v_min3_f16 v105, v107, v108, v105
	v_cvt_f32_f16_e32 v105, v105
	v_min_f32_e32 v107, v106, v105
	v_lshlrev_b64 v[105:106], 1, v[38:39]
	v_cvt_f16_f32_e32 v107, v107
	v_add_co_u32 v105, vcc_lo, v28, v105
	v_add_co_ci_u32_e64 v106, null, v29, v106, vcc_lo
	global_store_short v[105:106], v107, off
	s_or_b32 exec_lo, exec_lo, s12
	s_and_b32 s15, s4, s8
	s_and_saveexec_b32 s12, s15
	s_cbranch_execz .LBB261_95
.LBB261_114:
	v_cmp_ne_u32_e32 vcc_lo, 1, v75
	s_cbranch_vccnz .LBB261_116
; %bb.115:
	v_lshlrev_b64 v[105:106], 1, v[40:41]
	v_add_co_u32 v105, vcc_lo, v101, v105
	v_add_co_ci_u32_e64 v106, null, v102, v106, vcc_lo
	global_load_ushort v105, v[105:106], off
	s_waitcnt vmcnt(0)
	v_mul_f16_e32 v105, v48, v105
	v_cvt_f32_f16_e32 v105, v105
	s_branch .LBB261_117
.LBB261_116:
	v_mov_b32_e32 v105, 0
.LBB261_117:
	v_pk_add_f16 v106, v8, v30
	v_pk_add_f16 v107, v9, v31
	v_max_f16_e32 v108, v104, v104
	v_lshrrev_b32_e32 v104, 16, v104
	v_max_f32_e32 v105, v105, v105
	v_lshrrev_b32_e32 v109, 16, v106
	v_lshrrev_b32_e32 v110, 16, v107
	v_min_f16_e32 v106, v108, v106
	v_min3_f16 v104, v104, v109, v110
	v_min3_f16 v104, v106, v107, v104
	v_cvt_f32_f16_e32 v104, v104
	v_min_f32_e32 v106, v105, v104
	v_lshlrev_b64 v[104:105], 1, v[40:41]
	v_cvt_f16_f32_e32 v106, v106
	v_add_co_u32 v104, vcc_lo, v28, v104
	v_add_co_ci_u32_e64 v105, null, v29, v105, vcc_lo
	global_store_short v[104:105], v106, off
	s_or_b32 exec_lo, exec_lo, s12
	s_and_b32 s15, s5, s8
	s_and_saveexec_b32 s12, s15
	s_cbranch_execz .LBB261_96
.LBB261_118:
	v_cmp_ne_u32_e32 vcc_lo, 1, v75
	s_cbranch_vccnz .LBB261_120
; %bb.119:
	v_lshlrev_b64 v[104:105], 1, v[42:43]
	v_add_co_u32 v104, vcc_lo, v101, v104
	v_add_co_ci_u32_e64 v105, null, v102, v105, vcc_lo
	global_load_ushort v104, v[104:105], off
	s_waitcnt vmcnt(0)
	v_mul_f16_e32 v104, v48, v104
	v_cvt_f32_f16_e32 v104, v104
	s_branch .LBB261_121
.LBB261_120:
	v_mov_b32_e32 v104, 0
.LBB261_121:
	v_pk_add_f16 v105, v10, v30
	v_pk_add_f16 v106, v11, v31
	v_max_f16_e32 v107, v100, v100
	v_lshrrev_b32_e32 v100, 16, v100
	v_max_f32_e32 v104, v104, v104
	v_lshrrev_b32_e32 v108, 16, v105
	v_lshrrev_b32_e32 v109, 16, v106
	v_min_f16_e32 v105, v107, v105
	v_min3_f16 v100, v100, v108, v109
	v_min3_f16 v100, v105, v106, v100
	v_cvt_f32_f16_e32 v100, v100
	v_min_f32_e32 v100, v104, v100
	v_lshlrev_b64 v[104:105], 1, v[42:43]
	v_cvt_f16_f32_e32 v100, v100
	v_add_co_u32 v104, vcc_lo, v28, v104
	v_add_co_ci_u32_e64 v105, null, v29, v105, vcc_lo
	global_store_short v[104:105], v100, off
	s_or_b32 exec_lo, exec_lo, s12
	s_and_b32 s15, s6, s8
	s_and_saveexec_b32 s12, s15
	s_cbranch_execz .LBB261_97
.LBB261_122:
	v_cmp_ne_u32_e32 vcc_lo, 1, v75
	s_cbranch_vccnz .LBB261_124
; %bb.123:
	v_lshlrev_b64 v[104:105], 1, v[44:45]
	v_add_co_u32 v104, vcc_lo, v101, v104
	v_add_co_ci_u32_e64 v105, null, v102, v105, vcc_lo
	global_load_ushort v100, v[104:105], off
	s_waitcnt vmcnt(0)
	v_mul_f16_e32 v100, v48, v100
	v_cvt_f32_f16_e32 v100, v100
	s_branch .LBB261_125
.LBB261_124:
	v_mov_b32_e32 v100, 0
.LBB261_125:
	v_pk_add_f16 v104, v0, v30
	v_pk_add_f16 v105, v1, v31
	v_max_f16_e32 v106, v99, v99
	v_lshrrev_b32_e32 v99, 16, v99
	v_max_f32_e32 v100, v100, v100
	v_lshrrev_b32_e32 v107, 16, v104
	v_lshrrev_b32_e32 v108, 16, v105
	v_min_f16_e32 v104, v106, v104
	v_min3_f16 v99, v99, v107, v108
	v_min3_f16 v99, v104, v105, v99
	v_cvt_f32_f16_e32 v99, v99
	v_min_f32_e32 v104, v100, v99
	v_lshlrev_b64 v[99:100], 1, v[44:45]
	v_cvt_f16_f32_e32 v104, v104
	v_add_co_u32 v99, vcc_lo, v28, v99
	v_add_co_ci_u32_e64 v100, null, v29, v100, vcc_lo
	global_store_short v[99:100], v104, off
	s_or_b32 exec_lo, exec_lo, s12
	s_and_b32 s12, s7, s8
	s_and_saveexec_b32 s8, s12
	s_cbranch_execz .LBB261_130
.LBB261_126:
	v_cmp_ne_u32_e32 vcc_lo, 1, v75
	s_cbranch_vccnz .LBB261_128
; %bb.127:
	v_lshlrev_b64 v[99:100], 1, v[46:47]
	v_add_co_u32 v99, vcc_lo, v101, v99
	v_add_co_ci_u32_e64 v100, null, v102, v100, vcc_lo
	global_load_ushort v99, v[99:100], off
	s_waitcnt vmcnt(0)
	v_mul_f16_e32 v99, v48, v99
	v_cvt_f32_f16_e32 v99, v99
	s_branch .LBB261_129
.LBB261_128:
	v_mov_b32_e32 v99, 0
.LBB261_129:
	v_pk_add_f16 v30, v2, v30
	v_pk_add_f16 v31, v3, v31
	v_max_f16_e32 v100, v103, v103
	v_lshrrev_b32_e32 v101, 16, v103
	v_lshrrev_b32_e32 v102, 16, v30
	;; [unrolled: 1-line block ×3, first 2 shown]
	v_min_f16_e32 v30, v100, v30
	v_min3_f16 v100, v101, v102, v103
	v_min3_f16 v30, v30, v31, v100
	v_max_f32_e32 v31, v99, v99
	v_cvt_f32_f16_e32 v30, v30
	v_min_f32_e32 v99, v31, v30
	v_lshlrev_b64 v[30:31], 1, v[46:47]
	v_cvt_f16_f32_e32 v99, v99
	v_add_co_u32 v28, vcc_lo, v28, v30
	v_add_co_ci_u32_e64 v29, null, v29, v31, vcc_lo
	global_store_short v[28:29], v99, off
.LBB261_130:
	s_or_b32 exec_lo, exec_lo, s8
	v_add_nc_u32_e32 v99, 16, v83
	v_mad_i64_i32 v[28:29], null, v99, s14, 0
	v_mad_i64_i32 v[30:31], null, v99, s9, 0
	v_cmp_gt_i32_e64 s8, s13, v99
	v_lshlrev_b64 v[28:29], 1, v[28:29]
	s_and_b32 s15, s0, s8
	v_lshlrev_b64 v[99:100], 1, v[30:31]
	v_add_co_u32 v30, vcc_lo, s16, v28
	v_add_co_ci_u32_e64 v31, null, s17, v29, vcc_lo
	v_add_co_u32 v28, vcc_lo, s10, v99
	v_add_co_ci_u32_e64 v29, null, s11, v100, vcc_lo
	s_and_saveexec_b32 s12, s15
	s_cbranch_execnz .LBB261_138
; %bb.131:
	s_or_b32 exec_lo, exec_lo, s12
	s_and_b32 s15, s1, s8
	s_and_saveexec_b32 s12, s15
	s_cbranch_execnz .LBB261_142
.LBB261_132:
	s_or_b32 exec_lo, exec_lo, s12
	s_and_b32 s15, s2, s8
	s_and_saveexec_b32 s12, s15
	s_cbranch_execnz .LBB261_146
.LBB261_133:
	s_or_b32 exec_lo, exec_lo, s12
	s_and_b32 s15, s3, s8
	s_and_saveexec_b32 s12, s15
	s_cbranch_execnz .LBB261_150
.LBB261_134:
	s_or_b32 exec_lo, exec_lo, s12
	s_and_b32 s15, s4, s8
	s_and_saveexec_b32 s12, s15
	s_cbranch_execnz .LBB261_154
.LBB261_135:
	s_or_b32 exec_lo, exec_lo, s12
	s_and_b32 s15, s5, s8
	s_and_saveexec_b32 s12, s15
	s_cbranch_execnz .LBB261_158
.LBB261_136:
	s_or_b32 exec_lo, exec_lo, s12
	s_and_b32 s15, s6, s8
	s_and_saveexec_b32 s12, s15
	s_cbranch_execnz .LBB261_162
.LBB261_137:
	s_or_b32 exec_lo, exec_lo, s12
	s_and_b32 s12, s7, s8
	s_and_saveexec_b32 s8, s12
	s_cbranch_execnz .LBB261_166
	s_branch .LBB261_170
.LBB261_138:
	v_cmp_ne_u32_e32 vcc_lo, 1, v75
	s_cbranch_vccnz .LBB261_140
; %bb.139:
	v_lshlrev_b64 v[99:100], 1, v[32:33]
	v_add_co_u32 v99, vcc_lo, v30, v99
	v_add_co_ci_u32_e64 v100, null, v31, v100, vcc_lo
	global_load_ushort v99, v[99:100], off
	s_waitcnt vmcnt(0)
	v_mul_f16_e32 v99, v48, v99
	v_cvt_f32_f16_e32 v99, v99
	s_branch .LBB261_141
.LBB261_140:
	v_mov_b32_e32 v99, 0
.LBB261_141:
	v_pk_add_f16 v100, v16, v24
	v_pk_add_f16 v101, v17, v25
	v_max_f16_e32 v102, v98, v98
	v_lshrrev_b32_e32 v98, 16, v98
	v_max_f32_e32 v99, v99, v99
	v_lshrrev_b32_e32 v103, 16, v100
	v_lshrrev_b32_e32 v104, 16, v101
	v_min_f16_e32 v100, v102, v100
	v_min3_f16 v98, v98, v103, v104
	v_min3_f16 v98, v100, v101, v98
	v_cvt_f32_f16_e32 v98, v98
	v_min_f32_e32 v100, v99, v98
	v_lshlrev_b64 v[98:99], 1, v[32:33]
	v_cvt_f16_f32_e32 v100, v100
	v_add_co_u32 v98, vcc_lo, v28, v98
	v_add_co_ci_u32_e64 v99, null, v29, v99, vcc_lo
	global_store_short v[98:99], v100, off
	s_or_b32 exec_lo, exec_lo, s12
	s_and_b32 s15, s1, s8
	s_and_saveexec_b32 s12, s15
	s_cbranch_execz .LBB261_132
.LBB261_142:
	v_cmp_ne_u32_e32 vcc_lo, 1, v75
	s_cbranch_vccnz .LBB261_144
; %bb.143:
	v_lshlrev_b64 v[98:99], 1, v[34:35]
	v_add_co_u32 v98, vcc_lo, v30, v98
	v_add_co_ci_u32_e64 v99, null, v31, v99, vcc_lo
	global_load_ushort v98, v[98:99], off
	s_waitcnt vmcnt(0)
	v_mul_f16_e32 v98, v48, v98
	v_cvt_f32_f16_e32 v98, v98
	s_branch .LBB261_145
.LBB261_144:
	v_mov_b32_e32 v98, 0
.LBB261_145:
	v_pk_add_f16 v99, v18, v24
	v_pk_add_f16 v100, v19, v25
	v_max_f16_e32 v101, v97, v97
	v_lshrrev_b32_e32 v97, 16, v97
	v_max_f32_e32 v98, v98, v98
	v_lshrrev_b32_e32 v102, 16, v99
	v_lshrrev_b32_e32 v103, 16, v100
	v_min_f16_e32 v99, v101, v99
	v_min3_f16 v97, v97, v102, v103
	v_min3_f16 v97, v99, v100, v97
	v_cvt_f32_f16_e32 v97, v97
	v_min_f32_e32 v99, v98, v97
	v_lshlrev_b64 v[97:98], 1, v[34:35]
	v_cvt_f16_f32_e32 v99, v99
	v_add_co_u32 v97, vcc_lo, v28, v97
	v_add_co_ci_u32_e64 v98, null, v29, v98, vcc_lo
	global_store_short v[97:98], v99, off
	s_or_b32 exec_lo, exec_lo, s12
	s_and_b32 s15, s2, s8
	s_and_saveexec_b32 s12, s15
	s_cbranch_execz .LBB261_133
.LBB261_146:
	v_cmp_ne_u32_e32 vcc_lo, 1, v75
	s_cbranch_vccnz .LBB261_148
; %bb.147:
	v_lshlrev_b64 v[97:98], 1, v[36:37]
	v_add_co_u32 v97, vcc_lo, v30, v97
	v_add_co_ci_u32_e64 v98, null, v31, v98, vcc_lo
	global_load_ushort v97, v[97:98], off
	s_waitcnt vmcnt(0)
	v_mul_f16_e32 v97, v48, v97
	v_cvt_f32_f16_e32 v97, v97
	s_branch .LBB261_149
.LBB261_148:
	v_mov_b32_e32 v97, 0
.LBB261_149:
	v_pk_add_f16 v98, v12, v24
	v_pk_add_f16 v99, v13, v25
	v_max_f16_e32 v100, v96, v96
	v_lshrrev_b32_e32 v96, 16, v96
	v_max_f32_e32 v97, v97, v97
	v_lshrrev_b32_e32 v101, 16, v98
	v_lshrrev_b32_e32 v102, 16, v99
	v_min_f16_e32 v98, v100, v98
	v_min3_f16 v96, v96, v101, v102
	v_min3_f16 v96, v98, v99, v96
	v_cvt_f32_f16_e32 v96, v96
	v_min_f32_e32 v98, v97, v96
	v_lshlrev_b64 v[96:97], 1, v[36:37]
	v_cvt_f16_f32_e32 v98, v98
	v_add_co_u32 v96, vcc_lo, v28, v96
	v_add_co_ci_u32_e64 v97, null, v29, v97, vcc_lo
	global_store_short v[96:97], v98, off
	s_or_b32 exec_lo, exec_lo, s12
	s_and_b32 s15, s3, s8
	s_and_saveexec_b32 s12, s15
	s_cbranch_execz .LBB261_134
.LBB261_150:
	v_cmp_ne_u32_e32 vcc_lo, 1, v75
	s_cbranch_vccnz .LBB261_152
; %bb.151:
	v_lshlrev_b64 v[96:97], 1, v[38:39]
	v_add_co_u32 v96, vcc_lo, v30, v96
	v_add_co_ci_u32_e64 v97, null, v31, v97, vcc_lo
	global_load_ushort v96, v[96:97], off
	s_waitcnt vmcnt(0)
	v_mul_f16_e32 v96, v48, v96
	v_cvt_f32_f16_e32 v96, v96
	s_branch .LBB261_153
.LBB261_152:
	v_mov_b32_e32 v96, 0
.LBB261_153:
	v_pk_add_f16 v97, v14, v24
	v_pk_add_f16 v98, v15, v25
	v_max_f16_e32 v99, v95, v95
	v_lshrrev_b32_e32 v95, 16, v95
	v_max_f32_e32 v96, v96, v96
	v_lshrrev_b32_e32 v100, 16, v97
	v_lshrrev_b32_e32 v101, 16, v98
	v_min_f16_e32 v97, v99, v97
	v_min3_f16 v95, v95, v100, v101
	v_min3_f16 v95, v97, v98, v95
	v_cvt_f32_f16_e32 v95, v95
	v_min_f32_e32 v97, v96, v95
	v_lshlrev_b64 v[95:96], 1, v[38:39]
	v_cvt_f16_f32_e32 v97, v97
	v_add_co_u32 v95, vcc_lo, v28, v95
	v_add_co_ci_u32_e64 v96, null, v29, v96, vcc_lo
	global_store_short v[95:96], v97, off
	s_or_b32 exec_lo, exec_lo, s12
	s_and_b32 s15, s4, s8
	s_and_saveexec_b32 s12, s15
	s_cbranch_execz .LBB261_135
.LBB261_154:
	v_cmp_ne_u32_e32 vcc_lo, 1, v75
	s_cbranch_vccnz .LBB261_156
; %bb.155:
	v_lshlrev_b64 v[95:96], 1, v[40:41]
	v_add_co_u32 v95, vcc_lo, v30, v95
	v_add_co_ci_u32_e64 v96, null, v31, v96, vcc_lo
	global_load_ushort v95, v[95:96], off
	s_waitcnt vmcnt(0)
	v_mul_f16_e32 v95, v48, v95
	v_cvt_f32_f16_e32 v95, v95
	s_branch .LBB261_157
.LBB261_156:
	v_mov_b32_e32 v95, 0
.LBB261_157:
	v_pk_add_f16 v96, v8, v24
	v_pk_add_f16 v97, v9, v25
	v_max_f16_e32 v98, v94, v94
	v_lshrrev_b32_e32 v94, 16, v94
	v_max_f32_e32 v95, v95, v95
	v_lshrrev_b32_e32 v99, 16, v96
	v_lshrrev_b32_e32 v100, 16, v97
	v_min_f16_e32 v96, v98, v96
	v_min3_f16 v94, v94, v99, v100
	v_min3_f16 v94, v96, v97, v94
	v_cvt_f32_f16_e32 v94, v94
	v_min_f32_e32 v96, v95, v94
	v_lshlrev_b64 v[94:95], 1, v[40:41]
	v_cvt_f16_f32_e32 v96, v96
	v_add_co_u32 v94, vcc_lo, v28, v94
	v_add_co_ci_u32_e64 v95, null, v29, v95, vcc_lo
	global_store_short v[94:95], v96, off
	s_or_b32 exec_lo, exec_lo, s12
	s_and_b32 s15, s5, s8
	s_and_saveexec_b32 s12, s15
	s_cbranch_execz .LBB261_136
.LBB261_158:
	v_cmp_ne_u32_e32 vcc_lo, 1, v75
	s_cbranch_vccnz .LBB261_160
; %bb.159:
	v_lshlrev_b64 v[94:95], 1, v[42:43]
	v_add_co_u32 v94, vcc_lo, v30, v94
	v_add_co_ci_u32_e64 v95, null, v31, v95, vcc_lo
	global_load_ushort v94, v[94:95], off
	s_waitcnt vmcnt(0)
	v_mul_f16_e32 v94, v48, v94
	v_cvt_f32_f16_e32 v94, v94
	s_branch .LBB261_161
.LBB261_160:
	v_mov_b32_e32 v94, 0
.LBB261_161:
	v_pk_add_f16 v95, v10, v24
	v_pk_add_f16 v96, v11, v25
	v_max_f16_e32 v97, v93, v93
	v_lshrrev_b32_e32 v93, 16, v93
	v_max_f32_e32 v94, v94, v94
	v_lshrrev_b32_e32 v98, 16, v95
	v_lshrrev_b32_e32 v99, 16, v96
	v_min_f16_e32 v95, v97, v95
	v_min3_f16 v93, v93, v98, v99
	v_min3_f16 v93, v95, v96, v93
	v_cvt_f32_f16_e32 v93, v93
	v_min_f32_e32 v95, v94, v93
	v_lshlrev_b64 v[93:94], 1, v[42:43]
	v_cvt_f16_f32_e32 v95, v95
	v_add_co_u32 v93, vcc_lo, v28, v93
	v_add_co_ci_u32_e64 v94, null, v29, v94, vcc_lo
	global_store_short v[93:94], v95, off
	s_or_b32 exec_lo, exec_lo, s12
	s_and_b32 s15, s6, s8
	s_and_saveexec_b32 s12, s15
	s_cbranch_execz .LBB261_137
.LBB261_162:
	v_cmp_ne_u32_e32 vcc_lo, 1, v75
	s_cbranch_vccnz .LBB261_164
; %bb.163:
	v_lshlrev_b64 v[93:94], 1, v[44:45]
	v_add_co_u32 v93, vcc_lo, v30, v93
	v_add_co_ci_u32_e64 v94, null, v31, v94, vcc_lo
	global_load_ushort v93, v[93:94], off
	s_waitcnt vmcnt(0)
	v_mul_f16_e32 v93, v48, v93
	v_cvt_f32_f16_e32 v93, v93
	s_branch .LBB261_165
.LBB261_164:
	v_mov_b32_e32 v93, 0
.LBB261_165:
	v_pk_add_f16 v94, v0, v24
	v_pk_add_f16 v95, v1, v25
	v_max_f16_e32 v96, v92, v92
	v_lshrrev_b32_e32 v92, 16, v92
	v_max_f32_e32 v93, v93, v93
	v_lshrrev_b32_e32 v97, 16, v94
	v_lshrrev_b32_e32 v98, 16, v95
	v_min_f16_e32 v94, v96, v94
	v_min3_f16 v92, v92, v97, v98
	v_min3_f16 v92, v94, v95, v92
	v_cvt_f32_f16_e32 v92, v92
	v_min_f32_e32 v94, v93, v92
	v_lshlrev_b64 v[92:93], 1, v[44:45]
	v_cvt_f16_f32_e32 v94, v94
	v_add_co_u32 v92, vcc_lo, v28, v92
	v_add_co_ci_u32_e64 v93, null, v29, v93, vcc_lo
	global_store_short v[92:93], v94, off
	s_or_b32 exec_lo, exec_lo, s12
	s_and_b32 s12, s7, s8
	s_and_saveexec_b32 s8, s12
	s_cbranch_execz .LBB261_170
.LBB261_166:
	v_cmp_ne_u32_e32 vcc_lo, 1, v75
	s_cbranch_vccnz .LBB261_168
; %bb.167:
	v_lshlrev_b64 v[92:93], 1, v[46:47]
	v_add_co_u32 v30, vcc_lo, v30, v92
	v_add_co_ci_u32_e64 v31, null, v31, v93, vcc_lo
	global_load_ushort v30, v[30:31], off
	s_waitcnt vmcnt(0)
	v_mul_f16_e32 v30, v48, v30
	v_cvt_f32_f16_e32 v30, v30
	s_branch .LBB261_169
.LBB261_168:
	v_mov_b32_e32 v30, 0
.LBB261_169:
	v_pk_add_f16 v24, v2, v24
	v_pk_add_f16 v25, v3, v25
	v_max_f16_e32 v31, v91, v91
	v_lshrrev_b32_e32 v91, 16, v91
	v_lshrrev_b32_e32 v92, 16, v24
	;; [unrolled: 1-line block ×3, first 2 shown]
	v_min_f16_e32 v24, v31, v24
	v_min3_f16 v31, v91, v92, v93
	v_min3_f16 v24, v24, v25, v31
	v_max_f32_e32 v25, v30, v30
	v_cvt_f32_f16_e32 v24, v24
	v_min_f32_e32 v30, v25, v24
	v_lshlrev_b64 v[24:25], 1, v[46:47]
	v_cvt_f16_f32_e32 v30, v30
	v_add_co_u32 v24, vcc_lo, v28, v24
	v_add_co_ci_u32_e64 v25, null, v29, v25, vcc_lo
	global_store_short v[24:25], v30, off
.LBB261_170:
	s_or_b32 exec_lo, exec_lo, s8
	v_add_nc_u32_e32 v30, 24, v83
	v_mad_i64_i32 v[24:25], null, v30, s14, 0
	v_mad_i64_i32 v[28:29], null, v30, s9, 0
	v_cmp_gt_i32_e64 s8, s13, v30
	v_lshlrev_b64 v[24:25], 1, v[24:25]
	s_and_b32 s15, s0, s8
	v_lshlrev_b64 v[30:31], 1, v[28:29]
	v_add_co_u32 v28, vcc_lo, s16, v24
	v_add_co_ci_u32_e64 v29, null, s17, v25, vcc_lo
	v_add_co_u32 v24, vcc_lo, s10, v30
	v_add_co_ci_u32_e64 v25, null, s11, v31, vcc_lo
	s_and_saveexec_b32 s12, s15
	s_cbranch_execnz .LBB261_178
; %bb.171:
	s_or_b32 exec_lo, exec_lo, s12
	s_and_b32 s15, s1, s8
	s_and_saveexec_b32 s12, s15
	s_cbranch_execnz .LBB261_182
.LBB261_172:
	s_or_b32 exec_lo, exec_lo, s12
	s_and_b32 s15, s2, s8
	s_and_saveexec_b32 s12, s15
	s_cbranch_execnz .LBB261_186
.LBB261_173:
	s_or_b32 exec_lo, exec_lo, s12
	s_and_b32 s15, s3, s8
	s_and_saveexec_b32 s12, s15
	s_cbranch_execnz .LBB261_190
.LBB261_174:
	s_or_b32 exec_lo, exec_lo, s12
	s_and_b32 s15, s4, s8
	s_and_saveexec_b32 s12, s15
	s_cbranch_execnz .LBB261_194
.LBB261_175:
	s_or_b32 exec_lo, exec_lo, s12
	s_and_b32 s15, s5, s8
	s_and_saveexec_b32 s12, s15
	s_cbranch_execnz .LBB261_198
.LBB261_176:
	s_or_b32 exec_lo, exec_lo, s12
	s_and_b32 s15, s6, s8
	s_and_saveexec_b32 s12, s15
	s_cbranch_execnz .LBB261_202
.LBB261_177:
	s_or_b32 exec_lo, exec_lo, s12
	s_and_b32 s12, s7, s8
	s_and_saveexec_b32 s8, s12
	s_cbranch_execnz .LBB261_206
	s_branch .LBB261_210
.LBB261_178:
	v_cmp_ne_u32_e32 vcc_lo, 1, v75
	s_cbranch_vccnz .LBB261_180
; %bb.179:
	v_lshlrev_b64 v[30:31], 1, v[32:33]
	v_add_co_u32 v30, vcc_lo, v28, v30
	v_add_co_ci_u32_e64 v31, null, v29, v31, vcc_lo
	global_load_ushort v30, v[30:31], off
	s_waitcnt vmcnt(0)
	v_mul_f16_e32 v30, v48, v30
	v_cvt_f32_f16_e32 v30, v30
	s_branch .LBB261_181
.LBB261_180:
	v_mov_b32_e32 v30, 0
.LBB261_181:
	v_pk_add_f16 v31, v16, v26
	v_pk_add_f16 v91, v17, v27
	v_max_f16_e32 v92, v90, v90
	v_lshrrev_b32_e32 v90, 16, v90
	v_max_f32_e32 v30, v30, v30
	v_lshrrev_b32_e32 v93, 16, v31
	v_lshrrev_b32_e32 v94, 16, v91
	v_min_f16_e32 v31, v92, v31
	v_min3_f16 v90, v90, v93, v94
	v_min3_f16 v31, v31, v91, v90
	v_cvt_f32_f16_e32 v31, v31
	v_min_f32_e32 v90, v30, v31
	v_lshlrev_b64 v[30:31], 1, v[32:33]
	v_cvt_f16_f32_e32 v90, v90
	v_add_co_u32 v30, vcc_lo, v24, v30
	v_add_co_ci_u32_e64 v31, null, v25, v31, vcc_lo
	global_store_short v[30:31], v90, off
	s_or_b32 exec_lo, exec_lo, s12
	s_and_b32 s15, s1, s8
	s_and_saveexec_b32 s12, s15
	s_cbranch_execz .LBB261_172
.LBB261_182:
	v_cmp_ne_u32_e32 vcc_lo, 1, v75
	s_cbranch_vccnz .LBB261_184
; %bb.183:
	v_lshlrev_b64 v[30:31], 1, v[34:35]
	v_add_co_u32 v30, vcc_lo, v28, v30
	v_add_co_ci_u32_e64 v31, null, v29, v31, vcc_lo
	global_load_ushort v30, v[30:31], off
	s_waitcnt vmcnt(0)
	v_mul_f16_e32 v30, v48, v30
	v_cvt_f32_f16_e32 v30, v30
	s_branch .LBB261_185
.LBB261_184:
	v_mov_b32_e32 v30, 0
.LBB261_185:
	v_pk_add_f16 v31, v18, v26
	v_pk_add_f16 v90, v19, v27
	v_max_f16_e32 v91, v89, v89
	v_lshrrev_b32_e32 v89, 16, v89
	v_max_f32_e32 v30, v30, v30
	v_lshrrev_b32_e32 v92, 16, v31
	v_lshrrev_b32_e32 v93, 16, v90
	v_min_f16_e32 v31, v91, v31
	v_min3_f16 v89, v89, v92, v93
	v_min3_f16 v31, v31, v90, v89
	v_cvt_f32_f16_e32 v31, v31
	v_min_f32_e32 v89, v30, v31
	v_lshlrev_b64 v[30:31], 1, v[34:35]
	v_cvt_f16_f32_e32 v89, v89
	v_add_co_u32 v30, vcc_lo, v24, v30
	v_add_co_ci_u32_e64 v31, null, v25, v31, vcc_lo
	global_store_short v[30:31], v89, off
	s_or_b32 exec_lo, exec_lo, s12
	s_and_b32 s15, s2, s8
	s_and_saveexec_b32 s12, s15
	s_cbranch_execz .LBB261_173
.LBB261_186:
	v_cmp_ne_u32_e32 vcc_lo, 1, v75
	s_cbranch_vccnz .LBB261_188
; %bb.187:
	v_lshlrev_b64 v[30:31], 1, v[36:37]
	v_add_co_u32 v30, vcc_lo, v28, v30
	v_add_co_ci_u32_e64 v31, null, v29, v31, vcc_lo
	global_load_ushort v30, v[30:31], off
	s_waitcnt vmcnt(0)
	v_mul_f16_e32 v30, v48, v30
	v_cvt_f32_f16_e32 v30, v30
	s_branch .LBB261_189
.LBB261_188:
	v_mov_b32_e32 v30, 0
.LBB261_189:
	v_pk_add_f16 v31, v12, v26
	v_pk_add_f16 v89, v13, v27
	v_max_f16_e32 v90, v88, v88
	v_lshrrev_b32_e32 v88, 16, v88
	v_max_f32_e32 v30, v30, v30
	v_lshrrev_b32_e32 v91, 16, v31
	v_lshrrev_b32_e32 v92, 16, v89
	v_min_f16_e32 v31, v90, v31
	v_min3_f16 v88, v88, v91, v92
	v_min3_f16 v31, v31, v89, v88
	v_cvt_f32_f16_e32 v31, v31
	v_min_f32_e32 v88, v30, v31
	v_lshlrev_b64 v[30:31], 1, v[36:37]
	v_cvt_f16_f32_e32 v88, v88
	v_add_co_u32 v30, vcc_lo, v24, v30
	v_add_co_ci_u32_e64 v31, null, v25, v31, vcc_lo
	global_store_short v[30:31], v88, off
	s_or_b32 exec_lo, exec_lo, s12
	s_and_b32 s15, s3, s8
	s_and_saveexec_b32 s12, s15
	s_cbranch_execz .LBB261_174
.LBB261_190:
	v_cmp_ne_u32_e32 vcc_lo, 1, v75
	s_cbranch_vccnz .LBB261_192
; %bb.191:
	v_lshlrev_b64 v[30:31], 1, v[38:39]
	v_add_co_u32 v30, vcc_lo, v28, v30
	v_add_co_ci_u32_e64 v31, null, v29, v31, vcc_lo
	global_load_ushort v30, v[30:31], off
	s_waitcnt vmcnt(0)
	v_mul_f16_e32 v30, v48, v30
	v_cvt_f32_f16_e32 v30, v30
	s_branch .LBB261_193
.LBB261_192:
	v_mov_b32_e32 v30, 0
.LBB261_193:
	v_pk_add_f16 v31, v14, v26
	v_pk_add_f16 v88, v15, v27
	v_max_f16_e32 v89, v87, v87
	v_lshrrev_b32_e32 v87, 16, v87
	v_max_f32_e32 v30, v30, v30
	v_lshrrev_b32_e32 v90, 16, v31
	v_lshrrev_b32_e32 v91, 16, v88
	v_min_f16_e32 v31, v89, v31
	v_min3_f16 v87, v87, v90, v91
	v_min3_f16 v31, v31, v88, v87
	v_cvt_f32_f16_e32 v31, v31
	v_min_f32_e32 v87, v30, v31
	v_lshlrev_b64 v[30:31], 1, v[38:39]
	v_cvt_f16_f32_e32 v87, v87
	v_add_co_u32 v30, vcc_lo, v24, v30
	v_add_co_ci_u32_e64 v31, null, v25, v31, vcc_lo
	global_store_short v[30:31], v87, off
	s_or_b32 exec_lo, exec_lo, s12
	s_and_b32 s15, s4, s8
	s_and_saveexec_b32 s12, s15
	s_cbranch_execz .LBB261_175
.LBB261_194:
	v_cmp_ne_u32_e32 vcc_lo, 1, v75
	s_cbranch_vccnz .LBB261_196
; %bb.195:
	v_lshlrev_b64 v[30:31], 1, v[40:41]
	v_add_co_u32 v30, vcc_lo, v28, v30
	v_add_co_ci_u32_e64 v31, null, v29, v31, vcc_lo
	global_load_ushort v30, v[30:31], off
	s_waitcnt vmcnt(0)
	v_mul_f16_e32 v30, v48, v30
	v_cvt_f32_f16_e32 v30, v30
	s_branch .LBB261_197
.LBB261_196:
	v_mov_b32_e32 v30, 0
.LBB261_197:
	v_pk_add_f16 v31, v8, v26
	v_pk_add_f16 v87, v9, v27
	v_max_f16_e32 v88, v86, v86
	v_lshrrev_b32_e32 v86, 16, v86
	v_max_f32_e32 v30, v30, v30
	v_lshrrev_b32_e32 v89, 16, v31
	v_lshrrev_b32_e32 v90, 16, v87
	v_min_f16_e32 v31, v88, v31
	v_min3_f16 v86, v86, v89, v90
	v_min3_f16 v31, v31, v87, v86
	v_cvt_f32_f16_e32 v31, v31
	v_min_f32_e32 v86, v30, v31
	v_lshlrev_b64 v[30:31], 1, v[40:41]
	v_cvt_f16_f32_e32 v86, v86
	v_add_co_u32 v30, vcc_lo, v24, v30
	v_add_co_ci_u32_e64 v31, null, v25, v31, vcc_lo
	global_store_short v[30:31], v86, off
	s_or_b32 exec_lo, exec_lo, s12
	s_and_b32 s15, s5, s8
	s_and_saveexec_b32 s12, s15
	s_cbranch_execz .LBB261_176
.LBB261_198:
	v_cmp_ne_u32_e32 vcc_lo, 1, v75
	s_cbranch_vccnz .LBB261_200
; %bb.199:
	v_lshlrev_b64 v[30:31], 1, v[42:43]
	v_add_co_u32 v30, vcc_lo, v28, v30
	v_add_co_ci_u32_e64 v31, null, v29, v31, vcc_lo
	global_load_ushort v30, v[30:31], off
	s_waitcnt vmcnt(0)
	v_mul_f16_e32 v30, v48, v30
	v_cvt_f32_f16_e32 v30, v30
	s_branch .LBB261_201
.LBB261_200:
	v_mov_b32_e32 v30, 0
.LBB261_201:
	v_pk_add_f16 v31, v10, v26
	v_pk_add_f16 v86, v11, v27
	v_max_f16_e32 v87, v85, v85
	v_lshrrev_b32_e32 v85, 16, v85
	v_max_f32_e32 v30, v30, v30
	v_lshrrev_b32_e32 v88, 16, v31
	v_lshrrev_b32_e32 v89, 16, v86
	v_min_f16_e32 v31, v87, v31
	v_min3_f16 v85, v85, v88, v89
	v_min3_f16 v31, v31, v86, v85
	v_cvt_f32_f16_e32 v31, v31
	v_min_f32_e32 v85, v30, v31
	v_lshlrev_b64 v[30:31], 1, v[42:43]
	v_cvt_f16_f32_e32 v85, v85
	v_add_co_u32 v30, vcc_lo, v24, v30
	v_add_co_ci_u32_e64 v31, null, v25, v31, vcc_lo
	global_store_short v[30:31], v85, off
	s_or_b32 exec_lo, exec_lo, s12
	s_and_b32 s15, s6, s8
	s_and_saveexec_b32 s12, s15
	s_cbranch_execz .LBB261_177
.LBB261_202:
	v_cmp_ne_u32_e32 vcc_lo, 1, v75
	s_cbranch_vccnz .LBB261_204
; %bb.203:
	v_lshlrev_b64 v[30:31], 1, v[44:45]
	v_add_co_u32 v30, vcc_lo, v28, v30
	v_add_co_ci_u32_e64 v31, null, v29, v31, vcc_lo
	global_load_ushort v30, v[30:31], off
	s_waitcnt vmcnt(0)
	v_mul_f16_e32 v30, v48, v30
	v_cvt_f32_f16_e32 v30, v30
	s_branch .LBB261_205
.LBB261_204:
	v_mov_b32_e32 v30, 0
.LBB261_205:
	v_pk_add_f16 v31, v0, v26
	v_pk_add_f16 v85, v1, v27
	v_max_f16_e32 v86, v84, v84
	v_lshrrev_b32_e32 v84, 16, v84
	v_max_f32_e32 v30, v30, v30
	v_lshrrev_b32_e32 v87, 16, v31
	v_lshrrev_b32_e32 v88, 16, v85
	v_min_f16_e32 v31, v86, v31
	v_min3_f16 v84, v84, v87, v88
	v_min3_f16 v31, v31, v85, v84
	v_cvt_f32_f16_e32 v31, v31
	v_min_f32_e32 v84, v30, v31
	v_lshlrev_b64 v[30:31], 1, v[44:45]
	v_cvt_f16_f32_e32 v84, v84
	v_add_co_u32 v30, vcc_lo, v24, v30
	v_add_co_ci_u32_e64 v31, null, v25, v31, vcc_lo
	global_store_short v[30:31], v84, off
	s_or_b32 exec_lo, exec_lo, s12
	s_and_b32 s12, s7, s8
	s_and_saveexec_b32 s8, s12
	s_cbranch_execz .LBB261_210
.LBB261_206:
	v_cmp_ne_u32_e32 vcc_lo, 1, v75
	s_cbranch_vccnz .LBB261_208
; %bb.207:
	v_lshlrev_b64 v[30:31], 1, v[46:47]
	v_add_co_u32 v28, vcc_lo, v28, v30
	v_add_co_ci_u32_e64 v29, null, v29, v31, vcc_lo
	global_load_ushort v28, v[28:29], off
	s_waitcnt vmcnt(0)
	v_mul_f16_e32 v28, v48, v28
	v_cvt_f32_f16_e32 v28, v28
	s_branch .LBB261_209
.LBB261_208:
	v_mov_b32_e32 v28, 0
.LBB261_209:
	v_pk_add_f16 v26, v2, v26
	v_pk_add_f16 v27, v3, v27
	v_max_f16_e32 v29, v82, v82
	v_lshrrev_b32_e32 v30, 16, v82
	v_lshrrev_b32_e32 v31, 16, v26
	;; [unrolled: 1-line block ×3, first 2 shown]
	v_min_f16_e32 v26, v29, v26
	v_min3_f16 v29, v30, v31, v82
	v_min3_f16 v26, v26, v27, v29
	v_max_f32_e32 v27, v28, v28
	v_cvt_f32_f16_e32 v26, v26
	v_min_f32_e32 v28, v27, v26
	v_lshlrev_b64 v[26:27], 1, v[46:47]
	v_cvt_f16_f32_e32 v28, v28
	v_add_co_u32 v24, vcc_lo, v24, v26
	v_add_co_ci_u32_e64 v25, null, v25, v27, vcc_lo
	global_store_short v[24:25], v28, off
.LBB261_210:
	s_or_b32 exec_lo, exec_lo, s8
	v_add_nc_u32_e32 v28, 32, v83
	v_mad_i64_i32 v[24:25], null, v28, s14, 0
	v_mad_i64_i32 v[26:27], null, v28, s9, 0
	v_cmp_gt_i32_e64 s8, s13, v28
	v_lshlrev_b64 v[24:25], 1, v[24:25]
	s_and_b32 s15, s0, s8
	v_lshlrev_b64 v[28:29], 1, v[26:27]
	v_add_co_u32 v26, vcc_lo, s16, v24
	v_add_co_ci_u32_e64 v27, null, s17, v25, vcc_lo
	v_add_co_u32 v24, vcc_lo, s10, v28
	v_add_co_ci_u32_e64 v25, null, s11, v29, vcc_lo
	s_and_saveexec_b32 s12, s15
	s_cbranch_execnz .LBB261_218
; %bb.211:
	s_or_b32 exec_lo, exec_lo, s12
	s_and_b32 s15, s1, s8
	s_and_saveexec_b32 s12, s15
	s_cbranch_execnz .LBB261_222
.LBB261_212:
	s_or_b32 exec_lo, exec_lo, s12
	s_and_b32 s15, s2, s8
	s_and_saveexec_b32 s12, s15
	s_cbranch_execnz .LBB261_226
.LBB261_213:
	s_or_b32 exec_lo, exec_lo, s12
	s_and_b32 s15, s3, s8
	s_and_saveexec_b32 s12, s15
	s_cbranch_execnz .LBB261_230
.LBB261_214:
	s_or_b32 exec_lo, exec_lo, s12
	s_and_b32 s15, s4, s8
	s_and_saveexec_b32 s12, s15
	s_cbranch_execnz .LBB261_234
.LBB261_215:
	s_or_b32 exec_lo, exec_lo, s12
	s_and_b32 s15, s5, s8
	s_and_saveexec_b32 s12, s15
	s_cbranch_execnz .LBB261_238
.LBB261_216:
	s_or_b32 exec_lo, exec_lo, s12
	s_and_b32 s15, s6, s8
	s_and_saveexec_b32 s12, s15
	s_cbranch_execnz .LBB261_242
.LBB261_217:
	s_or_b32 exec_lo, exec_lo, s12
	s_and_b32 s12, s7, s8
	s_and_saveexec_b32 s8, s12
	s_cbranch_execnz .LBB261_246
	s_branch .LBB261_250
.LBB261_218:
	v_cmp_ne_u32_e32 vcc_lo, 1, v75
	s_cbranch_vccnz .LBB261_220
; %bb.219:
	v_lshlrev_b64 v[28:29], 1, v[32:33]
	v_add_co_u32 v28, vcc_lo, v26, v28
	v_add_co_ci_u32_e64 v29, null, v27, v29, vcc_lo
	global_load_ushort v28, v[28:29], off
	s_waitcnt vmcnt(0)
	v_mul_f16_e32 v28, v48, v28
	v_cvt_f32_f16_e32 v28, v28
	s_branch .LBB261_221
.LBB261_220:
	v_mov_b32_e32 v28, 0
.LBB261_221:
	v_pk_add_f16 v29, v16, v20
	v_pk_add_f16 v30, v17, v21
	v_max_f16_e32 v31, v81, v81
	v_lshrrev_b32_e32 v81, 16, v81
	v_max_f32_e32 v28, v28, v28
	v_lshrrev_b32_e32 v82, 16, v29
	v_lshrrev_b32_e32 v84, 16, v30
	v_min_f16_e32 v29, v31, v29
	v_min3_f16 v31, v81, v82, v84
	v_min3_f16 v29, v29, v30, v31
	v_cvt_f32_f16_e32 v29, v29
	v_min_f32_e32 v30, v28, v29
	v_lshlrev_b64 v[28:29], 1, v[32:33]
	v_cvt_f16_f32_e32 v30, v30
	v_add_co_u32 v28, vcc_lo, v24, v28
	v_add_co_ci_u32_e64 v29, null, v25, v29, vcc_lo
	global_store_short v[28:29], v30, off
	s_or_b32 exec_lo, exec_lo, s12
	s_and_b32 s15, s1, s8
	s_and_saveexec_b32 s12, s15
	s_cbranch_execz .LBB261_212
.LBB261_222:
	v_cmp_ne_u32_e32 vcc_lo, 1, v75
	s_cbranch_vccnz .LBB261_224
; %bb.223:
	v_lshlrev_b64 v[28:29], 1, v[34:35]
	v_add_co_u32 v28, vcc_lo, v26, v28
	v_add_co_ci_u32_e64 v29, null, v27, v29, vcc_lo
	global_load_ushort v28, v[28:29], off
	s_waitcnt vmcnt(0)
	v_mul_f16_e32 v28, v48, v28
	v_cvt_f32_f16_e32 v28, v28
	s_branch .LBB261_225
.LBB261_224:
	v_mov_b32_e32 v28, 0
.LBB261_225:
	v_pk_add_f16 v29, v18, v20
	v_pk_add_f16 v30, v19, v21
	v_max_f16_e32 v31, v80, v80
	v_lshrrev_b32_e32 v80, 16, v80
	v_max_f32_e32 v28, v28, v28
	v_lshrrev_b32_e32 v81, 16, v29
	v_lshrrev_b32_e32 v82, 16, v30
	v_min_f16_e32 v29, v31, v29
	v_min3_f16 v31, v80, v81, v82
	v_min3_f16 v29, v29, v30, v31
	v_cvt_f32_f16_e32 v29, v29
	v_min_f32_e32 v30, v28, v29
	v_lshlrev_b64 v[28:29], 1, v[34:35]
	v_cvt_f16_f32_e32 v30, v30
	v_add_co_u32 v28, vcc_lo, v24, v28
	v_add_co_ci_u32_e64 v29, null, v25, v29, vcc_lo
	global_store_short v[28:29], v30, off
	s_or_b32 exec_lo, exec_lo, s12
	s_and_b32 s15, s2, s8
	s_and_saveexec_b32 s12, s15
	s_cbranch_execz .LBB261_213
.LBB261_226:
	v_cmp_ne_u32_e32 vcc_lo, 1, v75
	s_cbranch_vccnz .LBB261_228
; %bb.227:
	v_lshlrev_b64 v[28:29], 1, v[36:37]
	v_add_co_u32 v28, vcc_lo, v26, v28
	v_add_co_ci_u32_e64 v29, null, v27, v29, vcc_lo
	global_load_ushort v28, v[28:29], off
	s_waitcnt vmcnt(0)
	v_mul_f16_e32 v28, v48, v28
	v_cvt_f32_f16_e32 v28, v28
	s_branch .LBB261_229
.LBB261_228:
	v_mov_b32_e32 v28, 0
.LBB261_229:
	v_pk_add_f16 v29, v12, v20
	v_pk_add_f16 v30, v13, v21
	v_max_f16_e32 v31, v79, v79
	v_lshrrev_b32_e32 v79, 16, v79
	v_max_f32_e32 v28, v28, v28
	v_lshrrev_b32_e32 v80, 16, v29
	v_lshrrev_b32_e32 v81, 16, v30
	v_min_f16_e32 v29, v31, v29
	v_min3_f16 v31, v79, v80, v81
	v_min3_f16 v29, v29, v30, v31
	v_cvt_f32_f16_e32 v29, v29
	v_min_f32_e32 v30, v28, v29
	v_lshlrev_b64 v[28:29], 1, v[36:37]
	v_cvt_f16_f32_e32 v30, v30
	v_add_co_u32 v28, vcc_lo, v24, v28
	v_add_co_ci_u32_e64 v29, null, v25, v29, vcc_lo
	global_store_short v[28:29], v30, off
	s_or_b32 exec_lo, exec_lo, s12
	s_and_b32 s15, s3, s8
	s_and_saveexec_b32 s12, s15
	s_cbranch_execz .LBB261_214
.LBB261_230:
	v_cmp_ne_u32_e32 vcc_lo, 1, v75
	s_cbranch_vccnz .LBB261_232
; %bb.231:
	v_lshlrev_b64 v[28:29], 1, v[38:39]
	v_add_co_u32 v28, vcc_lo, v26, v28
	v_add_co_ci_u32_e64 v29, null, v27, v29, vcc_lo
	global_load_ushort v28, v[28:29], off
	s_waitcnt vmcnt(0)
	v_mul_f16_e32 v28, v48, v28
	v_cvt_f32_f16_e32 v28, v28
	s_branch .LBB261_233
.LBB261_232:
	v_mov_b32_e32 v28, 0
.LBB261_233:
	v_pk_add_f16 v29, v14, v20
	v_pk_add_f16 v30, v15, v21
	v_max_f16_e32 v31, v78, v78
	v_lshrrev_b32_e32 v78, 16, v78
	v_max_f32_e32 v28, v28, v28
	v_lshrrev_b32_e32 v79, 16, v29
	v_lshrrev_b32_e32 v80, 16, v30
	v_min_f16_e32 v29, v31, v29
	v_min3_f16 v31, v78, v79, v80
	v_min3_f16 v29, v29, v30, v31
	v_cvt_f32_f16_e32 v29, v29
	v_min_f32_e32 v30, v28, v29
	v_lshlrev_b64 v[28:29], 1, v[38:39]
	v_cvt_f16_f32_e32 v30, v30
	v_add_co_u32 v28, vcc_lo, v24, v28
	v_add_co_ci_u32_e64 v29, null, v25, v29, vcc_lo
	global_store_short v[28:29], v30, off
	s_or_b32 exec_lo, exec_lo, s12
	s_and_b32 s15, s4, s8
	s_and_saveexec_b32 s12, s15
	s_cbranch_execz .LBB261_215
.LBB261_234:
	v_cmp_ne_u32_e32 vcc_lo, 1, v75
	s_cbranch_vccnz .LBB261_236
; %bb.235:
	v_lshlrev_b64 v[28:29], 1, v[40:41]
	v_add_co_u32 v28, vcc_lo, v26, v28
	v_add_co_ci_u32_e64 v29, null, v27, v29, vcc_lo
	global_load_ushort v28, v[28:29], off
	s_waitcnt vmcnt(0)
	v_mul_f16_e32 v28, v48, v28
	v_cvt_f32_f16_e32 v28, v28
	s_branch .LBB261_237
.LBB261_236:
	v_mov_b32_e32 v28, 0
.LBB261_237:
	v_pk_add_f16 v29, v8, v20
	v_pk_add_f16 v30, v9, v21
	v_max_f16_e32 v31, v77, v77
	v_lshrrev_b32_e32 v77, 16, v77
	v_max_f32_e32 v28, v28, v28
	v_lshrrev_b32_e32 v78, 16, v29
	v_lshrrev_b32_e32 v79, 16, v30
	v_min_f16_e32 v29, v31, v29
	v_min3_f16 v31, v77, v78, v79
	v_min3_f16 v29, v29, v30, v31
	v_cvt_f32_f16_e32 v29, v29
	v_min_f32_e32 v30, v28, v29
	v_lshlrev_b64 v[28:29], 1, v[40:41]
	v_cvt_f16_f32_e32 v30, v30
	v_add_co_u32 v28, vcc_lo, v24, v28
	v_add_co_ci_u32_e64 v29, null, v25, v29, vcc_lo
	global_store_short v[28:29], v30, off
	s_or_b32 exec_lo, exec_lo, s12
	s_and_b32 s15, s5, s8
	s_and_saveexec_b32 s12, s15
	s_cbranch_execz .LBB261_216
.LBB261_238:
	v_cmp_ne_u32_e32 vcc_lo, 1, v75
	s_cbranch_vccnz .LBB261_240
; %bb.239:
	v_lshlrev_b64 v[28:29], 1, v[42:43]
	v_add_co_u32 v28, vcc_lo, v26, v28
	v_add_co_ci_u32_e64 v29, null, v27, v29, vcc_lo
	global_load_ushort v28, v[28:29], off
	s_waitcnt vmcnt(0)
	v_mul_f16_e32 v28, v48, v28
	v_cvt_f32_f16_e32 v28, v28
	s_branch .LBB261_241
.LBB261_240:
	v_mov_b32_e32 v28, 0
.LBB261_241:
	v_pk_add_f16 v29, v10, v20
	v_pk_add_f16 v30, v11, v21
	v_max_f16_e32 v31, v76, v76
	v_lshrrev_b32_e32 v76, 16, v76
	v_max_f32_e32 v28, v28, v28
	v_lshrrev_b32_e32 v77, 16, v29
	v_lshrrev_b32_e32 v78, 16, v30
	v_min_f16_e32 v29, v31, v29
	v_min3_f16 v31, v76, v77, v78
	v_min3_f16 v29, v29, v30, v31
	v_cvt_f32_f16_e32 v29, v29
	v_min_f32_e32 v30, v28, v29
	v_lshlrev_b64 v[28:29], 1, v[42:43]
	v_cvt_f16_f32_e32 v30, v30
	v_add_co_u32 v28, vcc_lo, v24, v28
	v_add_co_ci_u32_e64 v29, null, v25, v29, vcc_lo
	global_store_short v[28:29], v30, off
	s_or_b32 exec_lo, exec_lo, s12
	s_and_b32 s15, s6, s8
	s_and_saveexec_b32 s12, s15
	s_cbranch_execz .LBB261_217
.LBB261_242:
	v_cmp_ne_u32_e32 vcc_lo, 1, v75
	s_cbranch_vccnz .LBB261_244
; %bb.243:
	v_lshlrev_b64 v[28:29], 1, v[44:45]
	v_add_co_u32 v28, vcc_lo, v26, v28
	v_add_co_ci_u32_e64 v29, null, v27, v29, vcc_lo
	global_load_ushort v28, v[28:29], off
	s_waitcnt vmcnt(0)
	v_mul_f16_e32 v28, v48, v28
	v_cvt_f32_f16_e32 v28, v28
	s_branch .LBB261_245
.LBB261_244:
	v_mov_b32_e32 v28, 0
.LBB261_245:
	v_pk_add_f16 v29, v0, v20
	v_pk_add_f16 v30, v1, v21
	v_max_f16_e32 v31, v74, v74
	v_lshrrev_b32_e32 v74, 16, v74
	v_max_f32_e32 v28, v28, v28
	v_lshrrev_b32_e32 v76, 16, v29
	v_lshrrev_b32_e32 v77, 16, v30
	v_min_f16_e32 v29, v31, v29
	v_min3_f16 v31, v74, v76, v77
	v_min3_f16 v29, v29, v30, v31
	v_cvt_f32_f16_e32 v29, v29
	v_min_f32_e32 v30, v28, v29
	v_lshlrev_b64 v[28:29], 1, v[44:45]
	v_cvt_f16_f32_e32 v30, v30
	v_add_co_u32 v28, vcc_lo, v24, v28
	v_add_co_ci_u32_e64 v29, null, v25, v29, vcc_lo
	global_store_short v[28:29], v30, off
	s_or_b32 exec_lo, exec_lo, s12
	s_and_b32 s12, s7, s8
	s_and_saveexec_b32 s8, s12
	s_cbranch_execz .LBB261_250
.LBB261_246:
	v_cmp_ne_u32_e32 vcc_lo, 1, v75
	s_cbranch_vccnz .LBB261_248
; %bb.247:
	v_lshlrev_b64 v[28:29], 1, v[46:47]
	v_add_co_u32 v26, vcc_lo, v26, v28
	v_add_co_ci_u32_e64 v27, null, v27, v29, vcc_lo
	global_load_ushort v26, v[26:27], off
	s_waitcnt vmcnt(0)
	v_mul_f16_e32 v26, v48, v26
	v_cvt_f32_f16_e32 v26, v26
	s_branch .LBB261_249
.LBB261_248:
	v_mov_b32_e32 v26, 0
.LBB261_249:
	v_pk_add_f16 v20, v2, v20
	v_pk_add_f16 v21, v3, v21
	v_max_f16_e32 v27, v73, v73
	v_lshrrev_b32_e32 v28, 16, v73
	v_lshrrev_b32_e32 v29, 16, v20
	;; [unrolled: 1-line block ×3, first 2 shown]
	v_min_f16_e32 v20, v27, v20
	v_min3_f16 v27, v28, v29, v30
	v_min3_f16 v20, v20, v21, v27
	v_max_f32_e32 v21, v26, v26
	v_cvt_f32_f16_e32 v20, v20
	v_min_f32_e32 v26, v21, v20
	v_lshlrev_b64 v[20:21], 1, v[46:47]
	v_cvt_f16_f32_e32 v26, v26
	v_add_co_u32 v20, vcc_lo, v24, v20
	v_add_co_ci_u32_e64 v21, null, v25, v21, vcc_lo
	global_store_short v[20:21], v26, off
.LBB261_250:
	s_or_b32 exec_lo, exec_lo, s8
	v_add_nc_u32_e32 v26, 40, v83
	v_mad_i64_i32 v[20:21], null, v26, s14, 0
	v_mad_i64_i32 v[24:25], null, v26, s9, 0
	v_cmp_gt_i32_e64 s8, s13, v26
	v_lshlrev_b64 v[20:21], 1, v[20:21]
	s_and_b32 s15, s0, s8
	v_lshlrev_b64 v[26:27], 1, v[24:25]
	v_add_co_u32 v24, vcc_lo, s16, v20
	v_add_co_ci_u32_e64 v25, null, s17, v21, vcc_lo
	v_add_co_u32 v20, vcc_lo, s10, v26
	v_add_co_ci_u32_e64 v21, null, s11, v27, vcc_lo
	s_and_saveexec_b32 s12, s15
	s_cbranch_execnz .LBB261_258
; %bb.251:
	s_or_b32 exec_lo, exec_lo, s12
	s_and_b32 s15, s1, s8
	s_and_saveexec_b32 s12, s15
	s_cbranch_execnz .LBB261_262
.LBB261_252:
	s_or_b32 exec_lo, exec_lo, s12
	s_and_b32 s15, s2, s8
	s_and_saveexec_b32 s12, s15
	s_cbranch_execnz .LBB261_266
.LBB261_253:
	s_or_b32 exec_lo, exec_lo, s12
	s_and_b32 s15, s3, s8
	s_and_saveexec_b32 s12, s15
	s_cbranch_execnz .LBB261_270
.LBB261_254:
	s_or_b32 exec_lo, exec_lo, s12
	s_and_b32 s15, s4, s8
	s_and_saveexec_b32 s12, s15
	s_cbranch_execnz .LBB261_274
.LBB261_255:
	s_or_b32 exec_lo, exec_lo, s12
	s_and_b32 s15, s5, s8
	s_and_saveexec_b32 s12, s15
	s_cbranch_execnz .LBB261_278
.LBB261_256:
	s_or_b32 exec_lo, exec_lo, s12
	s_and_b32 s15, s6, s8
	s_and_saveexec_b32 s12, s15
	s_cbranch_execnz .LBB261_282
.LBB261_257:
	s_or_b32 exec_lo, exec_lo, s12
	s_and_b32 s12, s7, s8
	s_and_saveexec_b32 s8, s12
	s_cbranch_execnz .LBB261_286
	s_branch .LBB261_290
.LBB261_258:
	v_cmp_ne_u32_e32 vcc_lo, 1, v75
	s_cbranch_vccnz .LBB261_260
; %bb.259:
	v_lshlrev_b64 v[26:27], 1, v[32:33]
	v_add_co_u32 v26, vcc_lo, v24, v26
	v_add_co_ci_u32_e64 v27, null, v25, v27, vcc_lo
	global_load_ushort v26, v[26:27], off
	s_waitcnt vmcnt(0)
	v_mul_f16_e32 v26, v48, v26
	v_cvt_f32_f16_e32 v26, v26
	s_branch .LBB261_261
.LBB261_260:
	v_mov_b32_e32 v26, 0
.LBB261_261:
	v_pk_add_f16 v27, v16, v22
	v_pk_add_f16 v28, v17, v23
	v_max_f16_e32 v29, v72, v72
	v_lshrrev_b32_e32 v30, 16, v72
	v_max_f32_e32 v26, v26, v26
	v_lshrrev_b32_e32 v31, 16, v27
	v_lshrrev_b32_e32 v72, 16, v28
	v_min_f16_e32 v27, v29, v27
	v_min3_f16 v29, v30, v31, v72
	v_min3_f16 v27, v27, v28, v29
	v_cvt_f32_f16_e32 v27, v27
	v_min_f32_e32 v28, v26, v27
	v_lshlrev_b64 v[26:27], 1, v[32:33]
	v_cvt_f16_f32_e32 v28, v28
	v_add_co_u32 v26, vcc_lo, v20, v26
	v_add_co_ci_u32_e64 v27, null, v21, v27, vcc_lo
	global_store_short v[26:27], v28, off
	s_or_b32 exec_lo, exec_lo, s12
	s_and_b32 s15, s1, s8
	s_and_saveexec_b32 s12, s15
	s_cbranch_execz .LBB261_252
.LBB261_262:
	v_cmp_ne_u32_e32 vcc_lo, 1, v75
	s_cbranch_vccnz .LBB261_264
; %bb.263:
	v_lshlrev_b64 v[26:27], 1, v[34:35]
	v_add_co_u32 v26, vcc_lo, v24, v26
	v_add_co_ci_u32_e64 v27, null, v25, v27, vcc_lo
	global_load_ushort v26, v[26:27], off
	s_waitcnt vmcnt(0)
	v_mul_f16_e32 v26, v48, v26
	v_cvt_f32_f16_e32 v26, v26
	s_branch .LBB261_265
.LBB261_264:
	v_mov_b32_e32 v26, 0
.LBB261_265:
	v_pk_add_f16 v27, v18, v22
	v_pk_add_f16 v28, v19, v23
	v_max_f16_e32 v29, v71, v71
	v_lshrrev_b32_e32 v30, 16, v71
	v_max_f32_e32 v26, v26, v26
	v_lshrrev_b32_e32 v31, 16, v27
	v_lshrrev_b32_e32 v71, 16, v28
	v_min_f16_e32 v27, v29, v27
	v_min3_f16 v29, v30, v31, v71
	v_min3_f16 v27, v27, v28, v29
	v_cvt_f32_f16_e32 v27, v27
	v_min_f32_e32 v28, v26, v27
	v_lshlrev_b64 v[26:27], 1, v[34:35]
	v_cvt_f16_f32_e32 v28, v28
	v_add_co_u32 v26, vcc_lo, v20, v26
	v_add_co_ci_u32_e64 v27, null, v21, v27, vcc_lo
	global_store_short v[26:27], v28, off
	s_or_b32 exec_lo, exec_lo, s12
	s_and_b32 s15, s2, s8
	s_and_saveexec_b32 s12, s15
	s_cbranch_execz .LBB261_253
.LBB261_266:
	v_cmp_ne_u32_e32 vcc_lo, 1, v75
	s_cbranch_vccnz .LBB261_268
; %bb.267:
	v_lshlrev_b64 v[26:27], 1, v[36:37]
	v_add_co_u32 v26, vcc_lo, v24, v26
	v_add_co_ci_u32_e64 v27, null, v25, v27, vcc_lo
	global_load_ushort v26, v[26:27], off
	s_waitcnt vmcnt(0)
	v_mul_f16_e32 v26, v48, v26
	v_cvt_f32_f16_e32 v26, v26
	s_branch .LBB261_269
.LBB261_268:
	v_mov_b32_e32 v26, 0
.LBB261_269:
	v_pk_add_f16 v27, v12, v22
	v_pk_add_f16 v28, v13, v23
	v_max_f16_e32 v29, v70, v70
	v_lshrrev_b32_e32 v30, 16, v70
	v_max_f32_e32 v26, v26, v26
	v_lshrrev_b32_e32 v31, 16, v27
	v_lshrrev_b32_e32 v70, 16, v28
	v_min_f16_e32 v27, v29, v27
	v_min3_f16 v29, v30, v31, v70
	v_min3_f16 v27, v27, v28, v29
	v_cvt_f32_f16_e32 v27, v27
	v_min_f32_e32 v28, v26, v27
	v_lshlrev_b64 v[26:27], 1, v[36:37]
	v_cvt_f16_f32_e32 v28, v28
	v_add_co_u32 v26, vcc_lo, v20, v26
	v_add_co_ci_u32_e64 v27, null, v21, v27, vcc_lo
	global_store_short v[26:27], v28, off
	s_or_b32 exec_lo, exec_lo, s12
	s_and_b32 s15, s3, s8
	s_and_saveexec_b32 s12, s15
	s_cbranch_execz .LBB261_254
.LBB261_270:
	v_cmp_ne_u32_e32 vcc_lo, 1, v75
	s_cbranch_vccnz .LBB261_272
; %bb.271:
	v_lshlrev_b64 v[26:27], 1, v[38:39]
	v_add_co_u32 v26, vcc_lo, v24, v26
	v_add_co_ci_u32_e64 v27, null, v25, v27, vcc_lo
	global_load_ushort v26, v[26:27], off
	s_waitcnt vmcnt(0)
	v_mul_f16_e32 v26, v48, v26
	v_cvt_f32_f16_e32 v26, v26
	s_branch .LBB261_273
.LBB261_272:
	v_mov_b32_e32 v26, 0
.LBB261_273:
	v_pk_add_f16 v27, v14, v22
	v_pk_add_f16 v28, v15, v23
	v_max_f16_e32 v29, v69, v69
	v_lshrrev_b32_e32 v30, 16, v69
	v_max_f32_e32 v26, v26, v26
	v_lshrrev_b32_e32 v31, 16, v27
	v_lshrrev_b32_e32 v69, 16, v28
	v_min_f16_e32 v27, v29, v27
	v_min3_f16 v29, v30, v31, v69
	v_min3_f16 v27, v27, v28, v29
	v_cvt_f32_f16_e32 v27, v27
	v_min_f32_e32 v28, v26, v27
	v_lshlrev_b64 v[26:27], 1, v[38:39]
	v_cvt_f16_f32_e32 v28, v28
	v_add_co_u32 v26, vcc_lo, v20, v26
	v_add_co_ci_u32_e64 v27, null, v21, v27, vcc_lo
	global_store_short v[26:27], v28, off
	s_or_b32 exec_lo, exec_lo, s12
	s_and_b32 s15, s4, s8
	s_and_saveexec_b32 s12, s15
	s_cbranch_execz .LBB261_255
.LBB261_274:
	v_cmp_ne_u32_e32 vcc_lo, 1, v75
	s_cbranch_vccnz .LBB261_276
; %bb.275:
	v_lshlrev_b64 v[26:27], 1, v[40:41]
	v_add_co_u32 v26, vcc_lo, v24, v26
	v_add_co_ci_u32_e64 v27, null, v25, v27, vcc_lo
	global_load_ushort v26, v[26:27], off
	s_waitcnt vmcnt(0)
	v_mul_f16_e32 v26, v48, v26
	v_cvt_f32_f16_e32 v26, v26
	s_branch .LBB261_277
.LBB261_276:
	v_mov_b32_e32 v26, 0
.LBB261_277:
	v_pk_add_f16 v27, v8, v22
	v_pk_add_f16 v28, v9, v23
	v_max_f16_e32 v29, v68, v68
	v_lshrrev_b32_e32 v30, 16, v68
	v_max_f32_e32 v26, v26, v26
	v_lshrrev_b32_e32 v31, 16, v27
	v_lshrrev_b32_e32 v68, 16, v28
	v_min_f16_e32 v27, v29, v27
	v_min3_f16 v29, v30, v31, v68
	v_min3_f16 v27, v27, v28, v29
	v_cvt_f32_f16_e32 v27, v27
	v_min_f32_e32 v28, v26, v27
	v_lshlrev_b64 v[26:27], 1, v[40:41]
	v_cvt_f16_f32_e32 v28, v28
	v_add_co_u32 v26, vcc_lo, v20, v26
	v_add_co_ci_u32_e64 v27, null, v21, v27, vcc_lo
	global_store_short v[26:27], v28, off
	s_or_b32 exec_lo, exec_lo, s12
	s_and_b32 s15, s5, s8
	s_and_saveexec_b32 s12, s15
	s_cbranch_execz .LBB261_256
.LBB261_278:
	v_cmp_ne_u32_e32 vcc_lo, 1, v75
	s_cbranch_vccnz .LBB261_280
; %bb.279:
	v_lshlrev_b64 v[26:27], 1, v[42:43]
	v_add_co_u32 v26, vcc_lo, v24, v26
	v_add_co_ci_u32_e64 v27, null, v25, v27, vcc_lo
	global_load_ushort v26, v[26:27], off
	s_waitcnt vmcnt(0)
	v_mul_f16_e32 v26, v48, v26
	v_cvt_f32_f16_e32 v26, v26
	s_branch .LBB261_281
.LBB261_280:
	v_mov_b32_e32 v26, 0
.LBB261_281:
	v_pk_add_f16 v27, v10, v22
	v_pk_add_f16 v28, v11, v23
	v_max_f16_e32 v29, v67, v67
	v_lshrrev_b32_e32 v30, 16, v67
	v_max_f32_e32 v26, v26, v26
	v_lshrrev_b32_e32 v31, 16, v27
	v_lshrrev_b32_e32 v67, 16, v28
	v_min_f16_e32 v27, v29, v27
	v_min3_f16 v29, v30, v31, v67
	v_min3_f16 v27, v27, v28, v29
	v_cvt_f32_f16_e32 v27, v27
	v_min_f32_e32 v28, v26, v27
	v_lshlrev_b64 v[26:27], 1, v[42:43]
	v_cvt_f16_f32_e32 v28, v28
	v_add_co_u32 v26, vcc_lo, v20, v26
	v_add_co_ci_u32_e64 v27, null, v21, v27, vcc_lo
	global_store_short v[26:27], v28, off
	s_or_b32 exec_lo, exec_lo, s12
	s_and_b32 s15, s6, s8
	s_and_saveexec_b32 s12, s15
	s_cbranch_execz .LBB261_257
.LBB261_282:
	v_cmp_ne_u32_e32 vcc_lo, 1, v75
	s_cbranch_vccnz .LBB261_284
; %bb.283:
	v_lshlrev_b64 v[26:27], 1, v[44:45]
	v_add_co_u32 v26, vcc_lo, v24, v26
	v_add_co_ci_u32_e64 v27, null, v25, v27, vcc_lo
	global_load_ushort v26, v[26:27], off
	s_waitcnt vmcnt(0)
	v_mul_f16_e32 v26, v48, v26
	v_cvt_f32_f16_e32 v26, v26
	s_branch .LBB261_285
.LBB261_284:
	v_mov_b32_e32 v26, 0
.LBB261_285:
	v_pk_add_f16 v27, v0, v22
	v_pk_add_f16 v28, v1, v23
	v_max_f16_e32 v29, v66, v66
	v_lshrrev_b32_e32 v30, 16, v66
	v_max_f32_e32 v26, v26, v26
	v_lshrrev_b32_e32 v31, 16, v27
	v_lshrrev_b32_e32 v66, 16, v28
	v_min_f16_e32 v27, v29, v27
	v_min3_f16 v29, v30, v31, v66
	v_min3_f16 v27, v27, v28, v29
	v_cvt_f32_f16_e32 v27, v27
	v_min_f32_e32 v28, v26, v27
	v_lshlrev_b64 v[26:27], 1, v[44:45]
	v_cvt_f16_f32_e32 v28, v28
	v_add_co_u32 v26, vcc_lo, v20, v26
	v_add_co_ci_u32_e64 v27, null, v21, v27, vcc_lo
	global_store_short v[26:27], v28, off
	s_or_b32 exec_lo, exec_lo, s12
	s_and_b32 s12, s7, s8
	s_and_saveexec_b32 s8, s12
	s_cbranch_execz .LBB261_290
.LBB261_286:
	v_cmp_ne_u32_e32 vcc_lo, 1, v75
	s_cbranch_vccnz .LBB261_288
; %bb.287:
	v_lshlrev_b64 v[26:27], 1, v[46:47]
	v_add_co_u32 v24, vcc_lo, v24, v26
	v_add_co_ci_u32_e64 v25, null, v25, v27, vcc_lo
	global_load_ushort v24, v[24:25], off
	s_waitcnt vmcnt(0)
	v_mul_f16_e32 v24, v48, v24
	v_cvt_f32_f16_e32 v24, v24
	s_branch .LBB261_289
.LBB261_288:
	v_mov_b32_e32 v24, 0
.LBB261_289:
	v_pk_add_f16 v22, v2, v22
	v_pk_add_f16 v23, v3, v23
	v_max_f16_e32 v25, v65, v65
	v_lshrrev_b32_e32 v26, 16, v65
	v_lshrrev_b32_e32 v27, 16, v22
	;; [unrolled: 1-line block ×3, first 2 shown]
	v_min_f16_e32 v22, v25, v22
	v_min3_f16 v25, v26, v27, v28
	v_min3_f16 v22, v22, v23, v25
	v_max_f32_e32 v23, v24, v24
	v_cvt_f32_f16_e32 v22, v22
	v_min_f32_e32 v24, v23, v22
	v_lshlrev_b64 v[22:23], 1, v[46:47]
	v_cvt_f16_f32_e32 v24, v24
	v_add_co_u32 v20, vcc_lo, v20, v22
	v_add_co_ci_u32_e64 v21, null, v21, v23, vcc_lo
	global_store_short v[20:21], v24, off
.LBB261_290:
	s_or_b32 exec_lo, exec_lo, s8
	v_add_nc_u32_e32 v24, 48, v83
	v_mad_i64_i32 v[20:21], null, v24, s14, 0
	v_mad_i64_i32 v[22:23], null, v24, s9, 0
	v_cmp_gt_i32_e64 s8, s13, v24
	v_lshlrev_b64 v[20:21], 1, v[20:21]
	s_and_b32 s15, s0, s8
	v_lshlrev_b64 v[24:25], 1, v[22:23]
	v_add_co_u32 v22, vcc_lo, s16, v20
	v_add_co_ci_u32_e64 v23, null, s17, v21, vcc_lo
	v_add_co_u32 v20, vcc_lo, s10, v24
	v_add_co_ci_u32_e64 v21, null, s11, v25, vcc_lo
	s_and_saveexec_b32 s12, s15
	s_cbranch_execnz .LBB261_298
; %bb.291:
	s_or_b32 exec_lo, exec_lo, s12
	s_and_b32 s15, s1, s8
	s_and_saveexec_b32 s12, s15
	s_cbranch_execnz .LBB261_302
.LBB261_292:
	s_or_b32 exec_lo, exec_lo, s12
	s_and_b32 s15, s2, s8
	s_and_saveexec_b32 s12, s15
	s_cbranch_execnz .LBB261_306
.LBB261_293:
	s_or_b32 exec_lo, exec_lo, s12
	s_and_b32 s15, s3, s8
	s_and_saveexec_b32 s12, s15
	s_cbranch_execnz .LBB261_310
.LBB261_294:
	s_or_b32 exec_lo, exec_lo, s12
	s_and_b32 s15, s4, s8
	s_and_saveexec_b32 s12, s15
	s_cbranch_execnz .LBB261_314
.LBB261_295:
	s_or_b32 exec_lo, exec_lo, s12
	s_and_b32 s15, s5, s8
	s_and_saveexec_b32 s12, s15
	s_cbranch_execnz .LBB261_318
.LBB261_296:
	s_or_b32 exec_lo, exec_lo, s12
	s_and_b32 s15, s6, s8
	s_and_saveexec_b32 s12, s15
	s_cbranch_execnz .LBB261_322
.LBB261_297:
	s_or_b32 exec_lo, exec_lo, s12
	s_and_b32 s12, s7, s8
	s_and_saveexec_b32 s8, s12
	s_cbranch_execnz .LBB261_326
	s_branch .LBB261_330
.LBB261_298:
	v_cmp_ne_u32_e32 vcc_lo, 1, v75
	s_cbranch_vccnz .LBB261_300
; %bb.299:
	v_lshlrev_b64 v[24:25], 1, v[32:33]
	v_add_co_u32 v24, vcc_lo, v22, v24
	v_add_co_ci_u32_e64 v25, null, v23, v25, vcc_lo
	global_load_ushort v24, v[24:25], off
	s_waitcnt vmcnt(0)
	v_mul_f16_e32 v24, v48, v24
	v_cvt_f32_f16_e32 v24, v24
	s_branch .LBB261_301
.LBB261_300:
	v_mov_b32_e32 v24, 0
.LBB261_301:
	v_pk_add_f16 v25, v16, v4
	v_pk_add_f16 v26, v17, v5
	v_max_f16_e32 v27, v64, v64
	v_lshrrev_b32_e32 v28, 16, v64
	v_max_f32_e32 v24, v24, v24
	v_lshrrev_b32_e32 v29, 16, v25
	v_lshrrev_b32_e32 v30, 16, v26
	v_min_f16_e32 v25, v27, v25
	v_min3_f16 v27, v28, v29, v30
	v_min3_f16 v25, v25, v26, v27
	v_cvt_f32_f16_e32 v25, v25
	v_min_f32_e32 v26, v24, v25
	v_lshlrev_b64 v[24:25], 1, v[32:33]
	v_cvt_f16_f32_e32 v26, v26
	v_add_co_u32 v24, vcc_lo, v20, v24
	v_add_co_ci_u32_e64 v25, null, v21, v25, vcc_lo
	global_store_short v[24:25], v26, off
	s_or_b32 exec_lo, exec_lo, s12
	s_and_b32 s15, s1, s8
	s_and_saveexec_b32 s12, s15
	s_cbranch_execz .LBB261_292
.LBB261_302:
	v_cmp_ne_u32_e32 vcc_lo, 1, v75
	s_cbranch_vccnz .LBB261_304
; %bb.303:
	v_lshlrev_b64 v[24:25], 1, v[34:35]
	v_add_co_u32 v24, vcc_lo, v22, v24
	v_add_co_ci_u32_e64 v25, null, v23, v25, vcc_lo
	global_load_ushort v24, v[24:25], off
	s_waitcnt vmcnt(0)
	v_mul_f16_e32 v24, v48, v24
	v_cvt_f32_f16_e32 v24, v24
	s_branch .LBB261_305
.LBB261_304:
	v_mov_b32_e32 v24, 0
.LBB261_305:
	v_pk_add_f16 v25, v18, v4
	v_pk_add_f16 v26, v19, v5
	v_max_f16_e32 v27, v63, v63
	v_lshrrev_b32_e32 v28, 16, v63
	v_max_f32_e32 v24, v24, v24
	v_lshrrev_b32_e32 v29, 16, v25
	v_lshrrev_b32_e32 v30, 16, v26
	v_min_f16_e32 v25, v27, v25
	v_min3_f16 v27, v28, v29, v30
	v_min3_f16 v25, v25, v26, v27
	v_cvt_f32_f16_e32 v25, v25
	v_min_f32_e32 v26, v24, v25
	v_lshlrev_b64 v[24:25], 1, v[34:35]
	v_cvt_f16_f32_e32 v26, v26
	v_add_co_u32 v24, vcc_lo, v20, v24
	v_add_co_ci_u32_e64 v25, null, v21, v25, vcc_lo
	global_store_short v[24:25], v26, off
	s_or_b32 exec_lo, exec_lo, s12
	s_and_b32 s15, s2, s8
	s_and_saveexec_b32 s12, s15
	s_cbranch_execz .LBB261_293
.LBB261_306:
	v_cmp_ne_u32_e32 vcc_lo, 1, v75
	s_cbranch_vccnz .LBB261_308
; %bb.307:
	v_lshlrev_b64 v[24:25], 1, v[36:37]
	v_add_co_u32 v24, vcc_lo, v22, v24
	v_add_co_ci_u32_e64 v25, null, v23, v25, vcc_lo
	global_load_ushort v24, v[24:25], off
	s_waitcnt vmcnt(0)
	v_mul_f16_e32 v24, v48, v24
	v_cvt_f32_f16_e32 v24, v24
	s_branch .LBB261_309
.LBB261_308:
	v_mov_b32_e32 v24, 0
.LBB261_309:
	v_pk_add_f16 v25, v12, v4
	v_pk_add_f16 v26, v13, v5
	v_max_f16_e32 v27, v62, v62
	v_lshrrev_b32_e32 v28, 16, v62
	v_max_f32_e32 v24, v24, v24
	v_lshrrev_b32_e32 v29, 16, v25
	v_lshrrev_b32_e32 v30, 16, v26
	v_min_f16_e32 v25, v27, v25
	v_min3_f16 v27, v28, v29, v30
	v_min3_f16 v25, v25, v26, v27
	v_cvt_f32_f16_e32 v25, v25
	v_min_f32_e32 v26, v24, v25
	v_lshlrev_b64 v[24:25], 1, v[36:37]
	v_cvt_f16_f32_e32 v26, v26
	v_add_co_u32 v24, vcc_lo, v20, v24
	v_add_co_ci_u32_e64 v25, null, v21, v25, vcc_lo
	global_store_short v[24:25], v26, off
	s_or_b32 exec_lo, exec_lo, s12
	s_and_b32 s15, s3, s8
	s_and_saveexec_b32 s12, s15
	s_cbranch_execz .LBB261_294
.LBB261_310:
	v_cmp_ne_u32_e32 vcc_lo, 1, v75
	s_cbranch_vccnz .LBB261_312
; %bb.311:
	v_lshlrev_b64 v[24:25], 1, v[38:39]
	v_add_co_u32 v24, vcc_lo, v22, v24
	v_add_co_ci_u32_e64 v25, null, v23, v25, vcc_lo
	global_load_ushort v24, v[24:25], off
	s_waitcnt vmcnt(0)
	v_mul_f16_e32 v24, v48, v24
	v_cvt_f32_f16_e32 v24, v24
	s_branch .LBB261_313
.LBB261_312:
	v_mov_b32_e32 v24, 0
.LBB261_313:
	v_pk_add_f16 v25, v14, v4
	v_pk_add_f16 v26, v15, v5
	v_max_f16_e32 v27, v61, v61
	v_lshrrev_b32_e32 v28, 16, v61
	v_max_f32_e32 v24, v24, v24
	v_lshrrev_b32_e32 v29, 16, v25
	v_lshrrev_b32_e32 v30, 16, v26
	v_min_f16_e32 v25, v27, v25
	v_min3_f16 v27, v28, v29, v30
	v_min3_f16 v25, v25, v26, v27
	v_cvt_f32_f16_e32 v25, v25
	v_min_f32_e32 v26, v24, v25
	v_lshlrev_b64 v[24:25], 1, v[38:39]
	v_cvt_f16_f32_e32 v26, v26
	v_add_co_u32 v24, vcc_lo, v20, v24
	v_add_co_ci_u32_e64 v25, null, v21, v25, vcc_lo
	global_store_short v[24:25], v26, off
	s_or_b32 exec_lo, exec_lo, s12
	s_and_b32 s15, s4, s8
	s_and_saveexec_b32 s12, s15
	s_cbranch_execz .LBB261_295
.LBB261_314:
	v_cmp_ne_u32_e32 vcc_lo, 1, v75
	s_cbranch_vccnz .LBB261_316
; %bb.315:
	v_lshlrev_b64 v[24:25], 1, v[40:41]
	v_add_co_u32 v24, vcc_lo, v22, v24
	v_add_co_ci_u32_e64 v25, null, v23, v25, vcc_lo
	global_load_ushort v24, v[24:25], off
	s_waitcnt vmcnt(0)
	v_mul_f16_e32 v24, v48, v24
	v_cvt_f32_f16_e32 v24, v24
	s_branch .LBB261_317
.LBB261_316:
	v_mov_b32_e32 v24, 0
.LBB261_317:
	v_pk_add_f16 v25, v8, v4
	v_pk_add_f16 v26, v9, v5
	v_max_f16_e32 v27, v60, v60
	v_lshrrev_b32_e32 v28, 16, v60
	v_max_f32_e32 v24, v24, v24
	v_lshrrev_b32_e32 v29, 16, v25
	v_lshrrev_b32_e32 v30, 16, v26
	v_min_f16_e32 v25, v27, v25
	v_min3_f16 v27, v28, v29, v30
	v_min3_f16 v25, v25, v26, v27
	v_cvt_f32_f16_e32 v25, v25
	v_min_f32_e32 v26, v24, v25
	v_lshlrev_b64 v[24:25], 1, v[40:41]
	v_cvt_f16_f32_e32 v26, v26
	v_add_co_u32 v24, vcc_lo, v20, v24
	v_add_co_ci_u32_e64 v25, null, v21, v25, vcc_lo
	global_store_short v[24:25], v26, off
	s_or_b32 exec_lo, exec_lo, s12
	s_and_b32 s15, s5, s8
	s_and_saveexec_b32 s12, s15
	s_cbranch_execz .LBB261_296
.LBB261_318:
	v_cmp_ne_u32_e32 vcc_lo, 1, v75
	s_cbranch_vccnz .LBB261_320
; %bb.319:
	v_lshlrev_b64 v[24:25], 1, v[42:43]
	v_add_co_u32 v24, vcc_lo, v22, v24
	v_add_co_ci_u32_e64 v25, null, v23, v25, vcc_lo
	global_load_ushort v24, v[24:25], off
	s_waitcnt vmcnt(0)
	v_mul_f16_e32 v24, v48, v24
	v_cvt_f32_f16_e32 v24, v24
	s_branch .LBB261_321
.LBB261_320:
	v_mov_b32_e32 v24, 0
.LBB261_321:
	v_pk_add_f16 v25, v10, v4
	v_pk_add_f16 v26, v11, v5
	v_max_f16_e32 v27, v59, v59
	v_lshrrev_b32_e32 v28, 16, v59
	v_max_f32_e32 v24, v24, v24
	v_lshrrev_b32_e32 v29, 16, v25
	v_lshrrev_b32_e32 v30, 16, v26
	v_min_f16_e32 v25, v27, v25
	v_min3_f16 v27, v28, v29, v30
	v_min3_f16 v25, v25, v26, v27
	v_cvt_f32_f16_e32 v25, v25
	v_min_f32_e32 v26, v24, v25
	v_lshlrev_b64 v[24:25], 1, v[42:43]
	v_cvt_f16_f32_e32 v26, v26
	v_add_co_u32 v24, vcc_lo, v20, v24
	v_add_co_ci_u32_e64 v25, null, v21, v25, vcc_lo
	global_store_short v[24:25], v26, off
	s_or_b32 exec_lo, exec_lo, s12
	s_and_b32 s15, s6, s8
	s_and_saveexec_b32 s12, s15
	s_cbranch_execz .LBB261_297
.LBB261_322:
	v_cmp_ne_u32_e32 vcc_lo, 1, v75
	s_cbranch_vccnz .LBB261_324
; %bb.323:
	v_lshlrev_b64 v[24:25], 1, v[44:45]
	v_add_co_u32 v24, vcc_lo, v22, v24
	v_add_co_ci_u32_e64 v25, null, v23, v25, vcc_lo
	global_load_ushort v24, v[24:25], off
	s_waitcnt vmcnt(0)
	v_mul_f16_e32 v24, v48, v24
	v_cvt_f32_f16_e32 v24, v24
	s_branch .LBB261_325
.LBB261_324:
	v_mov_b32_e32 v24, 0
.LBB261_325:
	v_pk_add_f16 v25, v0, v4
	v_pk_add_f16 v26, v1, v5
	v_max_f16_e32 v27, v58, v58
	v_lshrrev_b32_e32 v28, 16, v58
	v_max_f32_e32 v24, v24, v24
	v_lshrrev_b32_e32 v29, 16, v25
	v_lshrrev_b32_e32 v30, 16, v26
	v_min_f16_e32 v25, v27, v25
	v_min3_f16 v27, v28, v29, v30
	v_min3_f16 v25, v25, v26, v27
	v_cvt_f32_f16_e32 v25, v25
	v_min_f32_e32 v26, v24, v25
	v_lshlrev_b64 v[24:25], 1, v[44:45]
	v_cvt_f16_f32_e32 v26, v26
	v_add_co_u32 v24, vcc_lo, v20, v24
	v_add_co_ci_u32_e64 v25, null, v21, v25, vcc_lo
	global_store_short v[24:25], v26, off
	s_or_b32 exec_lo, exec_lo, s12
	s_and_b32 s12, s7, s8
	s_and_saveexec_b32 s8, s12
	s_cbranch_execz .LBB261_330
.LBB261_326:
	v_cmp_ne_u32_e32 vcc_lo, 1, v75
	s_cbranch_vccnz .LBB261_328
; %bb.327:
	v_lshlrev_b64 v[24:25], 1, v[46:47]
	v_add_co_u32 v22, vcc_lo, v22, v24
	v_add_co_ci_u32_e64 v23, null, v23, v25, vcc_lo
	global_load_ushort v22, v[22:23], off
	s_waitcnt vmcnt(0)
	v_mul_f16_e32 v22, v48, v22
	v_cvt_f32_f16_e32 v22, v22
	s_branch .LBB261_329
.LBB261_328:
	v_mov_b32_e32 v22, 0
.LBB261_329:
	v_pk_add_f16 v4, v2, v4
	v_pk_add_f16 v5, v3, v5
	v_max_f16_e32 v23, v57, v57
	v_lshrrev_b32_e32 v24, 16, v57
	v_lshrrev_b32_e32 v25, 16, v4
	;; [unrolled: 1-line block ×3, first 2 shown]
	v_min_f16_e32 v4, v23, v4
	v_min3_f16 v23, v24, v25, v26
	v_min3_f16 v4, v4, v5, v23
	v_max_f32_e32 v5, v22, v22
	v_cvt_f32_f16_e32 v4, v4
	v_min_f32_e32 v22, v5, v4
	v_lshlrev_b64 v[4:5], 1, v[46:47]
	v_cvt_f16_f32_e32 v22, v22
	v_add_co_u32 v4, vcc_lo, v20, v4
	v_add_co_ci_u32_e64 v5, null, v21, v5, vcc_lo
	global_store_short v[4:5], v22, off
.LBB261_330:
	s_or_b32 exec_lo, exec_lo, s8
	v_add_nc_u32_e32 v22, 56, v83
	v_mad_i64_i32 v[4:5], null, v22, s14, 0
	v_mad_i64_i32 v[20:21], null, v22, s9, 0
	v_cmp_gt_i32_e64 s8, s13, v22
	v_lshlrev_b64 v[4:5], 1, v[4:5]
	s_and_b32 s9, s0, s8
	v_lshlrev_b64 v[20:21], 1, v[20:21]
	v_add_co_u32 v22, vcc_lo, s16, v4
	v_add_co_ci_u32_e64 v23, null, s17, v5, vcc_lo
	v_add_co_u32 v20, vcc_lo, s10, v20
	v_add_co_ci_u32_e64 v21, null, s11, v21, vcc_lo
	s_and_saveexec_b32 s0, s9
	s_cbranch_execnz .LBB261_339
; %bb.331:
	s_or_b32 exec_lo, exec_lo, s0
	s_and_b32 s1, s1, s8
	s_and_saveexec_b32 s0, s1
	s_cbranch_execnz .LBB261_343
.LBB261_332:
	s_or_b32 exec_lo, exec_lo, s0
	s_and_b32 s1, s2, s8
	s_and_saveexec_b32 s0, s1
	s_cbranch_execnz .LBB261_347
.LBB261_333:
	s_or_b32 exec_lo, exec_lo, s0
	s_and_b32 s1, s3, s8
	s_and_saveexec_b32 s0, s1
	s_cbranch_execnz .LBB261_351
.LBB261_334:
	s_or_b32 exec_lo, exec_lo, s0
	s_and_b32 s1, s4, s8
	s_and_saveexec_b32 s0, s1
	s_cbranch_execnz .LBB261_355
.LBB261_335:
	s_or_b32 exec_lo, exec_lo, s0
	s_and_b32 s1, s5, s8
	s_and_saveexec_b32 s0, s1
	s_cbranch_execnz .LBB261_359
.LBB261_336:
	s_or_b32 exec_lo, exec_lo, s0
	s_and_b32 s1, s6, s8
	s_and_saveexec_b32 s0, s1
	s_cbranch_execnz .LBB261_363
.LBB261_337:
	s_or_b32 exec_lo, exec_lo, s0
	s_and_b32 s0, s7, s8
	s_and_saveexec_b32 s1, s0
	s_cbranch_execnz .LBB261_367
.LBB261_338:
	s_endpgm
.LBB261_339:
	v_cmp_ne_u32_e32 vcc_lo, 1, v75
	v_lshlrev_b64 v[4:5], 1, v[32:33]
	s_cbranch_vccnz .LBB261_341
; %bb.340:
	v_add_co_u32 v24, vcc_lo, v22, v4
	v_add_co_ci_u32_e64 v25, null, v23, v5, vcc_lo
	global_load_ushort v24, v[24:25], off
	s_waitcnt vmcnt(0)
	v_mul_f16_e32 v24, v48, v24
	v_cvt_f32_f16_e32 v24, v24
	s_branch .LBB261_342
.LBB261_341:
	v_mov_b32_e32 v24, 0
.LBB261_342:
	v_pk_add_f16 v16, v16, v6
	v_pk_add_f16 v17, v17, v7
	v_max_f16_e32 v25, v55, v55
	v_lshrrev_b32_e32 v26, 16, v55
	v_add_co_u32 v4, vcc_lo, v20, v4
	v_lshrrev_b32_e32 v27, 16, v16
	v_lshrrev_b32_e32 v28, 16, v17
	v_min_f16_e32 v16, v25, v16
	v_add_co_ci_u32_e64 v5, null, v21, v5, vcc_lo
	v_min3_f16 v25, v26, v27, v28
	v_min3_f16 v16, v16, v17, v25
	v_max_f32_e32 v17, v24, v24
	v_cvt_f32_f16_e32 v16, v16
	v_min_f32_e32 v16, v17, v16
	v_cvt_f16_f32_e32 v16, v16
	global_store_short v[4:5], v16, off
	s_or_b32 exec_lo, exec_lo, s0
	s_and_b32 s1, s1, s8
	s_and_saveexec_b32 s0, s1
	s_cbranch_execz .LBB261_332
.LBB261_343:
	v_cmp_ne_u32_e32 vcc_lo, 1, v75
	v_lshlrev_b64 v[4:5], 1, v[34:35]
	s_cbranch_vccnz .LBB261_345
; %bb.344:
	v_add_co_u32 v16, vcc_lo, v22, v4
	v_add_co_ci_u32_e64 v17, null, v23, v5, vcc_lo
	global_load_ushort v16, v[16:17], off
	s_waitcnt vmcnt(0)
	v_mul_f16_e32 v16, v48, v16
	v_cvt_f32_f16_e32 v16, v16
	s_branch .LBB261_346
.LBB261_345:
	v_mov_b32_e32 v16, 0
.LBB261_346:
	v_pk_add_f16 v17, v18, v6
	v_pk_add_f16 v18, v19, v7
	v_max_f16_e32 v19, v53, v53
	v_lshrrev_b32_e32 v24, 16, v53
	v_max_f32_e32 v16, v16, v16
	v_lshrrev_b32_e32 v25, 16, v17
	v_lshrrev_b32_e32 v26, 16, v18
	v_min_f16_e32 v17, v19, v17
	v_add_co_u32 v4, vcc_lo, v20, v4
	v_add_co_ci_u32_e64 v5, null, v21, v5, vcc_lo
	v_min3_f16 v19, v24, v25, v26
	v_min3_f16 v17, v17, v18, v19
	v_cvt_f32_f16_e32 v17, v17
	v_min_f32_e32 v16, v16, v17
	v_cvt_f16_f32_e32 v16, v16
	global_store_short v[4:5], v16, off
	s_or_b32 exec_lo, exec_lo, s0
	s_and_b32 s1, s2, s8
	s_and_saveexec_b32 s0, s1
	s_cbranch_execz .LBB261_333
.LBB261_347:
	v_cmp_ne_u32_e32 vcc_lo, 1, v75
	v_lshlrev_b64 v[4:5], 1, v[36:37]
	s_cbranch_vccnz .LBB261_349
; %bb.348:
	v_add_co_u32 v16, vcc_lo, v22, v4
	v_add_co_ci_u32_e64 v17, null, v23, v5, vcc_lo
	global_load_ushort v16, v[16:17], off
	s_waitcnt vmcnt(0)
	v_mul_f16_e32 v16, v48, v16
	v_cvt_f32_f16_e32 v16, v16
	s_branch .LBB261_350
.LBB261_349:
	v_mov_b32_e32 v16, 0
.LBB261_350:
	v_pk_add_f16 v12, v12, v6
	v_pk_add_f16 v13, v13, v7
	v_max_f16_e32 v17, v51, v51
	v_lshrrev_b32_e32 v18, 16, v51
	v_add_co_u32 v4, vcc_lo, v20, v4
	v_lshrrev_b32_e32 v19, 16, v12
	v_lshrrev_b32_e32 v24, 16, v13
	v_min_f16_e32 v12, v17, v12
	v_add_co_ci_u32_e64 v5, null, v21, v5, vcc_lo
	v_min3_f16 v17, v18, v19, v24
	v_min3_f16 v12, v12, v13, v17
	v_max_f32_e32 v13, v16, v16
	v_cvt_f32_f16_e32 v12, v12
	v_min_f32_e32 v12, v13, v12
	v_cvt_f16_f32_e32 v12, v12
	global_store_short v[4:5], v12, off
	s_or_b32 exec_lo, exec_lo, s0
	s_and_b32 s1, s3, s8
	s_and_saveexec_b32 s0, s1
	s_cbranch_execz .LBB261_334
.LBB261_351:
	v_cmp_ne_u32_e32 vcc_lo, 1, v75
	v_lshlrev_b64 v[4:5], 1, v[38:39]
	s_cbranch_vccnz .LBB261_353
; %bb.352:
	v_add_co_u32 v12, vcc_lo, v22, v4
	v_add_co_ci_u32_e64 v13, null, v23, v5, vcc_lo
	global_load_ushort v12, v[12:13], off
	s_waitcnt vmcnt(0)
	v_mul_f16_e32 v12, v48, v12
	v_cvt_f32_f16_e32 v12, v12
	s_branch .LBB261_354
.LBB261_353:
	v_mov_b32_e32 v12, 0
.LBB261_354:
	v_pk_add_f16 v13, v14, v6
	v_pk_add_f16 v14, v15, v7
	v_max_f16_e32 v15, v56, v56
	v_lshrrev_b32_e32 v16, 16, v56
	v_max_f32_e32 v12, v12, v12
	v_lshrrev_b32_e32 v17, 16, v13
	v_lshrrev_b32_e32 v18, 16, v14
	v_min_f16_e32 v13, v15, v13
	v_add_co_u32 v4, vcc_lo, v20, v4
	v_add_co_ci_u32_e64 v5, null, v21, v5, vcc_lo
	v_min3_f16 v15, v16, v17, v18
	v_min3_f16 v13, v13, v14, v15
	v_cvt_f32_f16_e32 v13, v13
	v_min_f32_e32 v12, v12, v13
	v_cvt_f16_f32_e32 v12, v12
	global_store_short v[4:5], v12, off
	s_or_b32 exec_lo, exec_lo, s0
	s_and_b32 s1, s4, s8
	s_and_saveexec_b32 s0, s1
	s_cbranch_execz .LBB261_335
.LBB261_355:
	v_cmp_ne_u32_e32 vcc_lo, 1, v75
	v_lshlrev_b64 v[4:5], 1, v[40:41]
	s_cbranch_vccnz .LBB261_357
; %bb.356:
	v_add_co_u32 v12, vcc_lo, v22, v4
	v_add_co_ci_u32_e64 v13, null, v23, v5, vcc_lo
	global_load_ushort v12, v[12:13], off
	s_waitcnt vmcnt(0)
	v_mul_f16_e32 v12, v48, v12
	v_cvt_f32_f16_e32 v12, v12
	s_branch .LBB261_358
.LBB261_357:
	v_mov_b32_e32 v12, 0
.LBB261_358:
	v_pk_add_f16 v8, v8, v6
	v_pk_add_f16 v9, v9, v7
	v_max_f16_e32 v13, v54, v54
	v_lshrrev_b32_e32 v14, 16, v54
	v_add_co_u32 v4, vcc_lo, v20, v4
	v_lshrrev_b32_e32 v15, 16, v8
	v_lshrrev_b32_e32 v16, 16, v9
	v_min_f16_e32 v8, v13, v8
	v_add_co_ci_u32_e64 v5, null, v21, v5, vcc_lo
	v_min3_f16 v13, v14, v15, v16
	v_min3_f16 v8, v8, v9, v13
	v_max_f32_e32 v9, v12, v12
	v_cvt_f32_f16_e32 v8, v8
	v_min_f32_e32 v8, v9, v8
	v_cvt_f16_f32_e32 v8, v8
	global_store_short v[4:5], v8, off
	s_or_b32 exec_lo, exec_lo, s0
	s_and_b32 s1, s5, s8
	s_and_saveexec_b32 s0, s1
	s_cbranch_execz .LBB261_336
.LBB261_359:
	v_cmp_ne_u32_e32 vcc_lo, 1, v75
	v_lshlrev_b64 v[4:5], 1, v[42:43]
	s_cbranch_vccnz .LBB261_361
; %bb.360:
	v_add_co_u32 v8, vcc_lo, v22, v4
	v_add_co_ci_u32_e64 v9, null, v23, v5, vcc_lo
	global_load_ushort v8, v[8:9], off
	s_waitcnt vmcnt(0)
	v_mul_f16_e32 v8, v48, v8
	v_cvt_f32_f16_e32 v8, v8
	s_branch .LBB261_362
.LBB261_361:
	v_mov_b32_e32 v8, 0
.LBB261_362:
	v_pk_add_f16 v9, v10, v6
	v_pk_add_f16 v10, v11, v7
	v_max_f16_e32 v11, v52, v52
	v_lshrrev_b32_e32 v12, 16, v52
	v_max_f32_e32 v8, v8, v8
	v_lshrrev_b32_e32 v13, 16, v9
	v_lshrrev_b32_e32 v14, 16, v10
	v_min_f16_e32 v9, v11, v9
	v_add_co_u32 v4, vcc_lo, v20, v4
	v_add_co_ci_u32_e64 v5, null, v21, v5, vcc_lo
	v_min3_f16 v11, v12, v13, v14
	v_min3_f16 v9, v9, v10, v11
	v_cvt_f32_f16_e32 v9, v9
	v_min_f32_e32 v8, v8, v9
	v_cvt_f16_f32_e32 v8, v8
	global_store_short v[4:5], v8, off
	s_or_b32 exec_lo, exec_lo, s0
	s_and_b32 s1, s6, s8
	s_and_saveexec_b32 s0, s1
	s_cbranch_execz .LBB261_337
.LBB261_363:
	v_cmp_ne_u32_e32 vcc_lo, 1, v75
	v_lshlrev_b64 v[4:5], 1, v[44:45]
	s_cbranch_vccnz .LBB261_365
; %bb.364:
	v_add_co_u32 v8, vcc_lo, v22, v4
	v_add_co_ci_u32_e64 v9, null, v23, v5, vcc_lo
	global_load_ushort v8, v[8:9], off
	s_waitcnt vmcnt(0)
	v_mul_f16_e32 v8, v48, v8
	v_cvt_f32_f16_e32 v8, v8
	s_branch .LBB261_366
.LBB261_365:
	v_mov_b32_e32 v8, 0
.LBB261_366:
	v_pk_add_f16 v0, v0, v6
	v_pk_add_f16 v1, v1, v7
	v_max_f16_e32 v9, v50, v50
	v_lshrrev_b32_e32 v10, 16, v50
	v_lshrrev_b32_e32 v11, 16, v0
	v_lshrrev_b32_e32 v12, 16, v1
	v_min_f16_e32 v0, v9, v0
	v_min3_f16 v9, v10, v11, v12
	v_min3_f16 v0, v0, v1, v9
	v_max_f32_e32 v1, v8, v8
	v_cvt_f32_f16_e32 v0, v0
	v_min_f32_e32 v0, v1, v0
	v_cvt_f16_f32_e32 v8, v0
	v_add_co_u32 v0, vcc_lo, v20, v4
	v_add_co_ci_u32_e64 v1, null, v21, v5, vcc_lo
	global_store_short v[0:1], v8, off
	s_or_b32 exec_lo, exec_lo, s0
	s_and_b32 s0, s7, s8
	s_and_saveexec_b32 s1, s0
	s_cbranch_execz .LBB261_338
.LBB261_367:
	v_cmp_ne_u32_e32 vcc_lo, 1, v75
	v_lshlrev_b64 v[0:1], 1, v[46:47]
	s_cbranch_vccnz .LBB261_369
; %bb.368:
	v_add_co_u32 v4, vcc_lo, v22, v0
	v_add_co_ci_u32_e64 v5, null, v23, v1, vcc_lo
	global_load_ushort v4, v[4:5], off
	s_waitcnt vmcnt(0)
	v_mul_f16_e32 v4, v48, v4
	v_cvt_f32_f16_e32 v4, v4
	s_branch .LBB261_370
.LBB261_369:
	v_mov_b32_e32 v4, 0
.LBB261_370:
	v_pk_add_f16 v2, v2, v6
	v_pk_add_f16 v3, v3, v7
	v_max_f16_e32 v5, v49, v49
	v_lshrrev_b32_e32 v6, 16, v49
	v_add_co_u32 v0, vcc_lo, v20, v0
	v_lshrrev_b32_e32 v7, 16, v2
	v_lshrrev_b32_e32 v8, 16, v3
	v_min_f16_e32 v2, v5, v2
	v_add_co_ci_u32_e64 v1, null, v21, v1, vcc_lo
	v_min3_f16 v5, v6, v7, v8
	v_min3_f16 v2, v2, v3, v5
	v_max_f32_e32 v3, v4, v4
	v_cvt_f32_f16_e32 v2, v2
	v_min_f32_e32 v2, v3, v2
	v_cvt_f16_f32_e32 v2, v2
	global_store_short v[0:1], v2, off
	s_endpgm
	.section	.rodata,"a",@progbits
	.p2align	6, 0x0
	.amdhsa_kernel _ZN12_GLOBAL__N_120geam_min_plus_kernelIDF16_Dv2_DF16_S1_Li32ELi8ELi256ELi64ELi4ELi64ELi4ELi4ELi64ELc78ELc78ELb0ELb1ELb1EPKDF16_S2_DF16_EEviiiT16_PT17_ilS6_ilS4_S6_ilPT18_ili26rocblas_geam_ex_operation_
		.amdhsa_group_segment_fixed_size 5120
		.amdhsa_private_segment_fixed_size 0
		.amdhsa_kernarg_size 136
		.amdhsa_user_sgpr_count 6
		.amdhsa_user_sgpr_private_segment_buffer 1
		.amdhsa_user_sgpr_dispatch_ptr 0
		.amdhsa_user_sgpr_queue_ptr 0
		.amdhsa_user_sgpr_kernarg_segment_ptr 1
		.amdhsa_user_sgpr_dispatch_id 0
		.amdhsa_user_sgpr_flat_scratch_init 0
		.amdhsa_user_sgpr_private_segment_size 0
		.amdhsa_wavefront_size32 1
		.amdhsa_uses_dynamic_stack 0
		.amdhsa_system_sgpr_private_segment_wavefront_offset 0
		.amdhsa_system_sgpr_workgroup_id_x 1
		.amdhsa_system_sgpr_workgroup_id_y 0
		.amdhsa_system_sgpr_workgroup_id_z 1
		.amdhsa_system_sgpr_workgroup_info 0
		.amdhsa_system_vgpr_workitem_id 1
		.amdhsa_next_free_vgpr 167
		.amdhsa_next_free_sgpr 28
		.amdhsa_reserve_vcc 1
		.amdhsa_reserve_flat_scratch 0
		.amdhsa_float_round_mode_32 0
		.amdhsa_float_round_mode_16_64 0
		.amdhsa_float_denorm_mode_32 3
		.amdhsa_float_denorm_mode_16_64 3
		.amdhsa_dx10_clamp 1
		.amdhsa_ieee_mode 1
		.amdhsa_fp16_overflow 0
		.amdhsa_workgroup_processor_mode 1
		.amdhsa_memory_ordered 1
		.amdhsa_forward_progress 1
		.amdhsa_shared_vgpr_count 0
		.amdhsa_exception_fp_ieee_invalid_op 0
		.amdhsa_exception_fp_denorm_src 0
		.amdhsa_exception_fp_ieee_div_zero 0
		.amdhsa_exception_fp_ieee_overflow 0
		.amdhsa_exception_fp_ieee_underflow 0
		.amdhsa_exception_fp_ieee_inexact 0
		.amdhsa_exception_int_div_zero 0
	.end_amdhsa_kernel
	.section	.text._ZN12_GLOBAL__N_120geam_min_plus_kernelIDF16_Dv2_DF16_S1_Li32ELi8ELi256ELi64ELi4ELi64ELi4ELi4ELi64ELc78ELc78ELb0ELb1ELb1EPKDF16_S2_DF16_EEviiiT16_PT17_ilS6_ilS4_S6_ilPT18_ili26rocblas_geam_ex_operation_,"axG",@progbits,_ZN12_GLOBAL__N_120geam_min_plus_kernelIDF16_Dv2_DF16_S1_Li32ELi8ELi256ELi64ELi4ELi64ELi4ELi4ELi64ELc78ELc78ELb0ELb1ELb1EPKDF16_S2_DF16_EEviiiT16_PT17_ilS6_ilS4_S6_ilPT18_ili26rocblas_geam_ex_operation_,comdat
.Lfunc_end261:
	.size	_ZN12_GLOBAL__N_120geam_min_plus_kernelIDF16_Dv2_DF16_S1_Li32ELi8ELi256ELi64ELi4ELi64ELi4ELi4ELi64ELc78ELc78ELb0ELb1ELb1EPKDF16_S2_DF16_EEviiiT16_PT17_ilS6_ilS4_S6_ilPT18_ili26rocblas_geam_ex_operation_, .Lfunc_end261-_ZN12_GLOBAL__N_120geam_min_plus_kernelIDF16_Dv2_DF16_S1_Li32ELi8ELi256ELi64ELi4ELi64ELi4ELi4ELi64ELc78ELc78ELb0ELb1ELb1EPKDF16_S2_DF16_EEviiiT16_PT17_ilS6_ilS4_S6_ilPT18_ili26rocblas_geam_ex_operation_
                                        ; -- End function
	.set _ZN12_GLOBAL__N_120geam_min_plus_kernelIDF16_Dv2_DF16_S1_Li32ELi8ELi256ELi64ELi4ELi64ELi4ELi4ELi64ELc78ELc78ELb0ELb1ELb1EPKDF16_S2_DF16_EEviiiT16_PT17_ilS6_ilS4_S6_ilPT18_ili26rocblas_geam_ex_operation_.num_vgpr, 167
	.set _ZN12_GLOBAL__N_120geam_min_plus_kernelIDF16_Dv2_DF16_S1_Li32ELi8ELi256ELi64ELi4ELi64ELi4ELi4ELi64ELc78ELc78ELb0ELb1ELb1EPKDF16_S2_DF16_EEviiiT16_PT17_ilS6_ilS4_S6_ilPT18_ili26rocblas_geam_ex_operation_.num_agpr, 0
	.set _ZN12_GLOBAL__N_120geam_min_plus_kernelIDF16_Dv2_DF16_S1_Li32ELi8ELi256ELi64ELi4ELi64ELi4ELi4ELi64ELc78ELc78ELb0ELb1ELb1EPKDF16_S2_DF16_EEviiiT16_PT17_ilS6_ilS4_S6_ilPT18_ili26rocblas_geam_ex_operation_.numbered_sgpr, 28
	.set _ZN12_GLOBAL__N_120geam_min_plus_kernelIDF16_Dv2_DF16_S1_Li32ELi8ELi256ELi64ELi4ELi64ELi4ELi4ELi64ELc78ELc78ELb0ELb1ELb1EPKDF16_S2_DF16_EEviiiT16_PT17_ilS6_ilS4_S6_ilPT18_ili26rocblas_geam_ex_operation_.num_named_barrier, 0
	.set _ZN12_GLOBAL__N_120geam_min_plus_kernelIDF16_Dv2_DF16_S1_Li32ELi8ELi256ELi64ELi4ELi64ELi4ELi4ELi64ELc78ELc78ELb0ELb1ELb1EPKDF16_S2_DF16_EEviiiT16_PT17_ilS6_ilS4_S6_ilPT18_ili26rocblas_geam_ex_operation_.private_seg_size, 0
	.set _ZN12_GLOBAL__N_120geam_min_plus_kernelIDF16_Dv2_DF16_S1_Li32ELi8ELi256ELi64ELi4ELi64ELi4ELi4ELi64ELc78ELc78ELb0ELb1ELb1EPKDF16_S2_DF16_EEviiiT16_PT17_ilS6_ilS4_S6_ilPT18_ili26rocblas_geam_ex_operation_.uses_vcc, 1
	.set _ZN12_GLOBAL__N_120geam_min_plus_kernelIDF16_Dv2_DF16_S1_Li32ELi8ELi256ELi64ELi4ELi64ELi4ELi4ELi64ELc78ELc78ELb0ELb1ELb1EPKDF16_S2_DF16_EEviiiT16_PT17_ilS6_ilS4_S6_ilPT18_ili26rocblas_geam_ex_operation_.uses_flat_scratch, 0
	.set _ZN12_GLOBAL__N_120geam_min_plus_kernelIDF16_Dv2_DF16_S1_Li32ELi8ELi256ELi64ELi4ELi64ELi4ELi4ELi64ELc78ELc78ELb0ELb1ELb1EPKDF16_S2_DF16_EEviiiT16_PT17_ilS6_ilS4_S6_ilPT18_ili26rocblas_geam_ex_operation_.has_dyn_sized_stack, 0
	.set _ZN12_GLOBAL__N_120geam_min_plus_kernelIDF16_Dv2_DF16_S1_Li32ELi8ELi256ELi64ELi4ELi64ELi4ELi4ELi64ELc78ELc78ELb0ELb1ELb1EPKDF16_S2_DF16_EEviiiT16_PT17_ilS6_ilS4_S6_ilPT18_ili26rocblas_geam_ex_operation_.has_recursion, 0
	.set _ZN12_GLOBAL__N_120geam_min_plus_kernelIDF16_Dv2_DF16_S1_Li32ELi8ELi256ELi64ELi4ELi64ELi4ELi4ELi64ELc78ELc78ELb0ELb1ELb1EPKDF16_S2_DF16_EEviiiT16_PT17_ilS6_ilS4_S6_ilPT18_ili26rocblas_geam_ex_operation_.has_indirect_call, 0
	.section	.AMDGPU.csdata,"",@progbits
; Kernel info:
; codeLenInByte = 23204
; TotalNumSgprs: 30
; NumVgprs: 167
; ScratchSize: 0
; MemoryBound: 0
; FloatMode: 240
; IeeeMode: 1
; LDSByteSize: 5120 bytes/workgroup (compile time only)
; SGPRBlocks: 0
; VGPRBlocks: 20
; NumSGPRsForWavesPerEU: 30
; NumVGPRsForWavesPerEU: 167
; Occupancy: 5
; WaveLimiterHint : 0
; COMPUTE_PGM_RSRC2:SCRATCH_EN: 0
; COMPUTE_PGM_RSRC2:USER_SGPR: 6
; COMPUTE_PGM_RSRC2:TRAP_HANDLER: 0
; COMPUTE_PGM_RSRC2:TGID_X_EN: 1
; COMPUTE_PGM_RSRC2:TGID_Y_EN: 0
; COMPUTE_PGM_RSRC2:TGID_Z_EN: 1
; COMPUTE_PGM_RSRC2:TIDIG_COMP_CNT: 1
	.section	.text._ZN12_GLOBAL__N_120geam_min_plus_kernelIDF16_Dv2_DF16_S1_Li32ELi8ELi256ELi64ELi4ELi64ELi4ELi4ELi64ELc78ELc78ELb1ELb1ELb1EDF16_KDF16_DF16_EEviiiT16_PT17_ilS5_ilS3_S5_ilPT18_ili26rocblas_geam_ex_operation_,"axG",@progbits,_ZN12_GLOBAL__N_120geam_min_plus_kernelIDF16_Dv2_DF16_S1_Li32ELi8ELi256ELi64ELi4ELi64ELi4ELi4ELi64ELc78ELc78ELb1ELb1ELb1EDF16_KDF16_DF16_EEviiiT16_PT17_ilS5_ilS3_S5_ilPT18_ili26rocblas_geam_ex_operation_,comdat
	.globl	_ZN12_GLOBAL__N_120geam_min_plus_kernelIDF16_Dv2_DF16_S1_Li32ELi8ELi256ELi64ELi4ELi64ELi4ELi4ELi64ELc78ELc78ELb1ELb1ELb1EDF16_KDF16_DF16_EEviiiT16_PT17_ilS5_ilS3_S5_ilPT18_ili26rocblas_geam_ex_operation_ ; -- Begin function _ZN12_GLOBAL__N_120geam_min_plus_kernelIDF16_Dv2_DF16_S1_Li32ELi8ELi256ELi64ELi4ELi64ELi4ELi4ELi64ELc78ELc78ELb1ELb1ELb1EDF16_KDF16_DF16_EEviiiT16_PT17_ilS5_ilS3_S5_ilPT18_ili26rocblas_geam_ex_operation_
	.p2align	8
	.type	_ZN12_GLOBAL__N_120geam_min_plus_kernelIDF16_Dv2_DF16_S1_Li32ELi8ELi256ELi64ELi4ELi64ELi4ELi4ELi64ELc78ELc78ELb1ELb1ELb1EDF16_KDF16_DF16_EEviiiT16_PT17_ilS5_ilS3_S5_ilPT18_ili26rocblas_geam_ex_operation_,@function
_ZN12_GLOBAL__N_120geam_min_plus_kernelIDF16_Dv2_DF16_S1_Li32ELi8ELi256ELi64ELi4ELi64ELi4ELi4ELi64ELc78ELc78ELb1ELb1ELb1EDF16_KDF16_DF16_EEviiiT16_PT17_ilS5_ilS3_S5_ilPT18_ili26rocblas_geam_ex_operation_: ; @_ZN12_GLOBAL__N_120geam_min_plus_kernelIDF16_Dv2_DF16_S1_Li32ELi8ELi256ELi64ELi4ELi64ELi4ELi4ELi64ELc78ELc78ELb1ELb1ELb1EDF16_KDF16_DF16_EEviiiT16_PT17_ilS5_ilS3_S5_ilPT18_ili26rocblas_geam_ex_operation_
; %bb.0:
	s_clause 0x1
	s_load_dwordx4 s[12:15], s[4:5], 0x0
	s_load_dwordx4 s[0:3], s[4:5], 0x20
	s_waitcnt lgkmcnt(0)
	v_cmp_eq_f16_e64 s8, s15, 0
	s_and_b32 vcc_lo, exec_lo, s8
	s_cbranch_vccnz .LBB262_53
; %bb.1:
	s_load_dwordx2 s[10:11], s[4:5], 0x10
	s_mul_i32 s1, s1, s7
	s_mul_hi_u32 s9, s0, s7
	s_mul_i32 s0, s0, s7
	s_add_i32 s1, s9, s1
	s_lshl_b64 s[0:1], s[0:1], 1
	s_waitcnt lgkmcnt(0)
	s_add_u32 s18, s10, s0
	s_addc_u32 s19, s11, s1
	s_andn2_b32 vcc_lo, exec_lo, s8
	s_mov_b32 s0, -1
	s_cbranch_vccnz .LBB262_3
.LBB262_2:
	s_mov_b32 s0, 0
.LBB262_3:
	s_mov_b64 s[16:17], 0
	s_andn2_b32 vcc_lo, exec_lo, s0
	s_mov_b64 s[20:21], 0
	s_cbranch_vccnz .LBB262_5
; %bb.4:
	s_load_dwordx2 s[0:1], s[4:5], 0x38
	s_waitcnt lgkmcnt(0)
	s_mul_i32 s1, s1, s7
	s_mul_hi_u32 s8, s0, s7
	s_mul_i32 s0, s0, s7
	s_add_i32 s1, s8, s1
	s_lshl_b64 s[0:1], s[0:1], 1
	s_add_u32 s20, s2, s0
	s_addc_u32 s21, s3, s1
.LBB262_5:
	s_clause 0x1
	s_load_dword s15, s[4:5], 0x40
	s_load_dwordx4 s[8:11], s[4:5], 0x58
	s_waitcnt lgkmcnt(0)
	v_cmp_eq_f16_e64 s0, s15, 0
	v_cmp_neq_f16_e64 s24, s15, 0
	s_and_b32 vcc_lo, exec_lo, s0
	s_cbranch_vccnz .LBB262_7
; %bb.6:
	s_load_dwordx2 s[0:1], s[4:5], 0x48
	s_mul_i32 s2, s9, s7
	s_mul_hi_u32 s3, s8, s7
	s_add_i32 s3, s3, s2
	s_mul_i32 s2, s8, s7
	s_lshl_b64 s[2:3], s[2:3], 1
	s_waitcnt lgkmcnt(0)
	s_add_u32 s16, s0, s2
	s_addc_u32 s17, s1, s3
.LBB262_7:
	s_add_i32 s0, s12, -1
	s_load_dword s22, s[4:5], 0x18
	s_ashr_i32 s1, s0, 31
	v_lshl_add_u32 v7, v1, 5, v0
	s_lshr_b32 s1, s1, 24
	s_add_i32 s0, s0, s1
	v_lshrrev_b32_e32 v41, 6, v7
	s_ashr_i32 s0, s0, 8
	v_and_b32_e32 v4, 63, v7
	s_add_i32 s1, s0, 1
	s_not_b32 s0, s0
	v_cvt_f32_u32_e32 v2, s1
	v_rcp_iflag_f32_e32 v2, v2
	v_mul_f32_e32 v2, 0x4f7ffffe, v2
	v_cvt_u32_f32_e32 v2, v2
	v_readfirstlane_b32 s2, v2
	s_waitcnt lgkmcnt(0)
	v_mad_i64_i32 v[2:3], null, s22, v41, 0
	s_mul_i32 s0, s0, s2
	s_mul_hi_u32 s0, s2, s0
	s_add_i32 s2, s2, s0
	v_lshlrev_b64 v[2:3], 1, v[2:3]
	s_mul_hi_u32 s0, s6, s2
	s_mul_i32 s2, s0, s1
	s_add_i32 s3, s0, 1
	s_sub_i32 s2, s6, s2
	v_add_co_u32 v8, vcc_lo, s18, v2
	s_sub_i32 s8, s2, s1
	s_cmp_ge_u32 s2, s1
	v_add_co_ci_u32_e64 v9, null, s19, v3, vcc_lo
	s_cselect_b32 s0, s3, s0
	s_cselect_b32 s2, s8, s2
	s_add_i32 s3, s0, 1
	s_cmp_ge_u32 s2, s1
	v_mov_b32_e32 v2, 0x7c00
	s_cselect_b32 s8, s3, s0
	v_cmp_le_i32_e64 s3, s14, v41
	s_mul_i32 s0, s8, s1
	v_mov_b32_e32 v3, 0x7c00
	s_sub_i32 s0, s6, s0
	s_lshl_b32 s25, s0, 8
	v_or_b32_e32 v22, s25, v4
	v_cmp_le_i32_e32 vcc_lo, s12, v22
	v_ashrrev_i32_e32 v23, 31, v22
	s_nor_b32 s0, vcc_lo, s3
	s_and_saveexec_b32 s1, s0
	s_cbranch_execz .LBB262_9
; %bb.8:
	v_lshlrev_b64 v[5:6], 1, v[22:23]
	v_add_co_u32 v5, s0, v8, v5
	v_add_co_ci_u32_e64 v6, null, v9, v6, s0
	global_load_ushort v3, v[5:6], off
.LBB262_9:
	s_or_b32 exec_lo, exec_lo, s1
	v_or_b32_e32 v5, 64, v22
	v_cmp_le_i32_e64 s0, s12, v5
	s_nor_b32 s1, s0, s3
	s_and_saveexec_b32 s2, s1
	s_cbranch_execz .LBB262_11
; %bb.10:
	v_lshlrev_b64 v[5:6], 1, v[22:23]
	v_add_co_u32 v5, s1, v8, v5
	v_add_co_ci_u32_e64 v6, null, v9, v6, s1
	global_load_ushort v2, v[5:6], off offset:128
.LBB262_11:
	s_or_b32 exec_lo, exec_lo, s2
	v_or_b32_e32 v5, 0x80, v22
	v_mov_b32_e32 v6, 0x7c00
	s_ashr_i32 s23, s22, 31
	v_cmp_le_i32_e64 s1, s12, v5
	v_mov_b32_e32 v5, 0x7c00
	s_nor_b32 s2, s1, s3
	s_and_saveexec_b32 s6, s2
	s_cbranch_execz .LBB262_13
; %bb.12:
	v_lshlrev_b64 v[10:11], 1, v[22:23]
	v_add_co_u32 v10, s2, v8, v10
	v_add_co_ci_u32_e64 v11, null, v9, v11, s2
	global_load_ushort v6, v[10:11], off offset:256
.LBB262_13:
	s_or_b32 exec_lo, exec_lo, s6
	v_or_b32_e32 v10, 0xc0, v22
	v_cmp_le_i32_e64 s2, s12, v10
	s_nor_b32 s3, s2, s3
	s_and_saveexec_b32 s6, s3
	s_cbranch_execz .LBB262_15
; %bb.14:
	v_lshlrev_b64 v[10:11], 1, v[22:23]
	v_add_co_u32 v8, s3, v8, v10
	v_add_co_ci_u32_e64 v9, null, v9, v11, s3
	global_load_ushort v5, v[8:9], off offset:384
.LBB262_15:
	s_or_b32 exec_lo, exec_lo, s6
	s_load_dword s9, s[4:5], 0x30
	v_lshrrev_b32_e32 v7, 2, v7
	s_lshl_b32 s26, s8, 6
	v_and_b32_e32 v44, 3, v0
	v_mov_b32_e32 v26, 0x7c00
	v_mov_b32_e32 v8, 0x7c00
	v_add_nc_u32_e32 v25, s26, v7
	v_cmp_gt_i32_e64 s6, s14, v44
	v_lshlrev_b32_e32 v24, 1, v44
	v_cmp_gt_i32_e64 s8, s13, v25
	v_cmp_le_i32_e64 s3, s13, v25
	s_and_b32 s6, s6, s8
	s_and_saveexec_b32 s8, s6
	s_cbranch_execz .LBB262_17
; %bb.16:
	s_waitcnt lgkmcnt(0)
	v_mad_i64_i32 v[8:9], null, v25, s9, 0
	v_lshlrev_b64 v[8:9], 1, v[8:9]
	v_add_co_u32 v8, s6, s20, v8
	v_add_co_ci_u32_e64 v9, null, s21, v9, s6
	v_add_co_u32 v8, s6, v8, v24
	v_add_co_ci_u32_e64 v9, null, 0, v9, s6
	global_load_ushort v8, v[8:9], off
.LBB262_17:
	s_or_b32 exec_lo, exec_lo, s8
	v_add_nc_u32_e32 v11, 4, v41
	v_mad_i64_i32 v[9:10], null, s22, v11, 0
	v_cmp_le_i32_e64 s6, s14, v11
	v_lshlrev_b64 v[9:10], 1, v[9:10]
	v_add_co_u32 v9, s8, s18, v9
	v_add_co_ci_u32_e64 v10, null, s19, v10, s8
	s_nor_b32 s8, vcc_lo, s6
	s_and_saveexec_b32 s27, s8
	s_cbranch_execz .LBB262_19
; %bb.18:
	v_lshlrev_b64 v[11:12], 1, v[22:23]
	v_add_co_u32 v11, s8, v9, v11
	v_add_co_ci_u32_e64 v12, null, v10, v12, s8
	global_load_ushort v26, v[11:12], off
.LBB262_19:
	s_or_b32 exec_lo, exec_lo, s27
	v_mov_b32_e32 v27, 0x7c00
	v_mov_b32_e32 v28, 0x7c00
	s_nor_b32 s8, s0, s6
	s_and_saveexec_b32 s27, s8
	s_cbranch_execz .LBB262_21
; %bb.20:
	v_lshlrev_b64 v[11:12], 1, v[22:23]
	v_add_co_u32 v11, s8, v9, v11
	v_add_co_ci_u32_e64 v12, null, v10, v12, s8
	global_load_ushort v28, v[11:12], off offset:128
.LBB262_21:
	s_or_b32 exec_lo, exec_lo, s27
	s_nor_b32 s8, s1, s6
	s_and_saveexec_b32 s27, s8
	s_cbranch_execz .LBB262_23
; %bb.22:
	v_lshlrev_b64 v[11:12], 1, v[22:23]
	v_add_co_u32 v11, s8, v9, v11
	v_add_co_ci_u32_e64 v12, null, v10, v12, s8
	global_load_ushort v27, v[11:12], off offset:256
.LBB262_23:
	s_or_b32 exec_lo, exec_lo, s27
	v_mov_b32_e32 v30, 0x7c00
	v_mov_b32_e32 v29, 0x7c00
	s_nor_b32 s6, s2, s6
	s_and_saveexec_b32 s8, s6
	s_cbranch_execz .LBB262_25
; %bb.24:
	v_lshlrev_b64 v[11:12], 1, v[22:23]
	v_add_co_u32 v9, s6, v9, v11
	v_add_co_ci_u32_e64 v10, null, v10, v12, s6
	global_load_ushort v29, v[9:10], off offset:384
.LBB262_25:
	s_or_b32 exec_lo, exec_lo, s8
	v_or_b32_e32 v9, 4, v44
	s_xor_b32 s27, s3, -1
	v_cmp_gt_i32_e64 s6, s14, v9
	s_and_b32 s3, s6, s27
	s_and_saveexec_b32 s6, s3
	s_cbranch_execz .LBB262_27
; %bb.26:
	s_waitcnt lgkmcnt(0)
	v_mad_i64_i32 v[9:10], null, v25, s9, 0
	v_lshlrev_b64 v[9:10], 1, v[9:10]
	v_add_co_u32 v9, s3, s20, v9
	v_add_co_ci_u32_e64 v10, null, s21, v10, s3
	v_add_co_u32 v9, s3, v9, v24
	v_add_co_ci_u32_e64 v10, null, 0, v10, s3
	global_load_ushort v30, v[9:10], off offset:8
.LBB262_27:
	s_or_b32 exec_lo, exec_lo, s6
	v_lshlrev_b32_e32 v4, 3, v4
	v_lshlrev_b32_e32 v42, 3, v1
	v_lshl_or_b32 v31, v7, 3, v24
	v_lshlrev_b32_e32 v43, 3, v0
	s_cmp_lt_i32 s14, 9
	v_lshl_add_u32 v45, v41, 1, v4
	v_add_nc_u32_e32 v7, 0x1000, v42
	s_waitcnt vmcnt(0)
	ds_write_b16 v31, v8 offset:4096
	ds_write_b16 v45, v3
	ds_write_b16 v45, v2 offset:512
	ds_write_b16 v45, v6 offset:1024
	;; [unrolled: 1-line block ×3, first 2 shown]
	s_waitcnt lgkmcnt(0)
	s_barrier
	buffer_gl0_inv
	ds_read2_b64 v[18:21], v43 offset1:32
	ds_read2_b64 v[32:35], v7 offset1:8
	ds_read2_b64 v[14:17], v43 offset0:64 offset1:96
	ds_read2_b64 v[10:13], v43 offset0:128 offset1:160
	;; [unrolled: 1-line block ×6, first 2 shown]
	ds_write_b16 v45, v26 offset:2048
	ds_write_b16 v45, v28 offset:2560
	;; [unrolled: 1-line block ×5, first 2 shown]
	s_waitcnt lgkmcnt(0)
	s_barrier
	buffer_gl0_inv
	v_pk_add_f16 v40, v18, v32
	v_pk_add_f16 v50, v20, v32
	;; [unrolled: 1-line block ×64, first 2 shown]
	v_pk_min_f16 v40, 0x7c00, v40 op_sel_hi:[0,1]
	v_pk_add_f16 v80, v21, v33
	v_pk_min_f16 v50, 0x7c00, v50 op_sel_hi:[0,1]
	v_pk_add_f16 v81, v15, v33
	;; [unrolled: 2-line block ×3, first 2 shown]
	v_pk_add_f16 v4, v11, v33
	v_pk_min_f16 v8, 0x7c00, v53 op_sel_hi:[0,1]
	v_pk_add_f16 v82, v17, v33
	v_pk_min_f16 v52, 0x7c00, v52 op_sel_hi:[0,1]
	v_pk_min_f16 v119, v40, v79
	v_pk_min_f16 v118, v50, v80
	;; [unrolled: 1-line block ×3, first 2 shown]
	v_pk_add_f16 v40, v13, v33
	v_pk_min_f16 v50, 0x7c00, v54 op_sel_hi:[0,1]
	v_pk_add_f16 v51, v3, v33
	v_pk_add_f16 v33, v5, v33
	v_pk_min_f16 v32, 0x7c00, v32 op_sel_hi:[0,1]
	v_pk_min_f16 v115, v8, v4
	v_pk_add_f16 v4, v21, v35
	v_pk_min_f16 v8, 0x7c00, v57 op_sel_hi:[0,1]
	v_pk_min_f16 v116, v52, v82
	v_pk_min_f16 v52, 0x7c00, v55 op_sel_hi:[0,1]
	v_pk_add_f16 v53, v19, v35
	v_pk_min_f16 v54, 0x7c00, v56 op_sel_hi:[0,1]
	v_pk_min_f16 v114, v50, v40
	v_pk_min_f16 v106, v32, v33
	v_pk_add_f16 v32, v15, v35
	v_pk_min_f16 v33, 0x7c00, v58 op_sel_hi:[0,1]
	v_pk_add_f16 v40, v17, v35
	v_pk_min_f16 v50, 0x7c00, v59 op_sel_hi:[0,1]
	v_pk_min_f16 v104, v8, v4
	v_pk_add_f16 v4, v3, v35
	v_pk_min_f16 v8, 0x7c00, v62 op_sel_hi:[0,1]
	v_pk_min_f16 v108, v52, v51
	v_pk_min_f16 v105, v54, v53
	v_pk_add_f16 v51, v11, v35
	v_pk_min_f16 v52, 0x7c00, v60 op_sel_hi:[0,1]
	v_pk_add_f16 v53, v13, v35
	v_pk_min_f16 v102, v33, v32
	v_pk_min_f16 v101, v50, v40
	v_pk_add_f16 v32, v5, v35
	v_pk_min_f16 v33, 0x7c00, v34 op_sel_hi:[0,1]
	v_pk_add_f16 v34, v19, v37
	v_pk_min_f16 v35, 0x7c00, v63 op_sel_hi:[0,1]
	;; [unrolled: 2-line block ×3, first 2 shown]
	v_pk_min_f16 v98, v8, v4
	v_pk_add_f16 v4, v17, v37
	v_pk_min_f16 v8, 0x7c00, v66 op_sel_hi:[0,1]
	v_pk_min_f16 v100, v52, v51
	v_pk_add_f16 v51, v15, v37
	v_pk_min_f16 v97, v33, v32
	v_pk_min_f16 v94, v35, v34
	;; [unrolled: 1-line block ×3, first 2 shown]
	v_pk_add_f16 v32, v11, v37
	v_pk_min_f16 v33, 0x7c00, v67 op_sel_hi:[0,1]
	v_pk_add_f16 v34, v13, v37
	v_pk_min_f16 v35, 0x7c00, v68 op_sel_hi:[0,1]
	v_pk_add_f16 v40, v3, v37
	v_pk_add_f16 v37, v5, v37
	v_pk_min_f16 v36, 0x7c00, v36 op_sel_hi:[0,1]
	v_pk_min_f16 v88, v8, v4
	v_pk_add_f16 v4, v19, v39
	v_pk_min_f16 v8, 0x7c00, v70 op_sel_hi:[0,1]
	v_pk_min_f16 v50, 0x7c00, v69 op_sel_hi:[0,1]
	v_pk_min_f16 v85, v33, v32
	v_pk_min_f16 v86, v35, v34
	;; [unrolled: 1-line block ×3, first 2 shown]
	v_pk_add_f16 v32, v21, v39
	v_pk_min_f16 v33, 0x7c00, v71 op_sel_hi:[0,1]
	v_pk_add_f16 v34, v15, v39
	v_pk_min_f16 v35, 0x7c00, v72 op_sel_hi:[0,1]
	v_pk_add_f16 v36, v17, v39
	v_pk_min_f16 v37, 0x7c00, v73 op_sel_hi:[0,1]
	v_pk_min_f16 v92, v8, v4
	v_pk_add_f16 v4, v13, v39
	v_pk_min_f16 v8, 0x7c00, v75 op_sel_hi:[0,1]
	v_pk_min_f16 v96, v50, v40
	v_pk_add_f16 v40, v11, v39
	v_pk_min_f16 v89, v33, v32
	v_pk_min_f16 v87, v35, v34
	;; [unrolled: 1-line block ×3, first 2 shown]
	v_pk_add_f16 v32, v3, v39
	v_pk_min_f16 v33, 0x7c00, v76 op_sel_hi:[0,1]
	v_pk_add_f16 v34, v5, v39
	v_pk_min_f16 v35, 0x7c00, v38 op_sel_hi:[0,1]
	;; [unrolled: 2-line block ×4, first 2 shown]
	v_pk_min_f16 v82, v8, v4
	v_pk_add_f16 v4, v15, v47
	v_pk_min_f16 v8, 0x7c00, v91 op_sel_hi:[0,1]
	v_pk_min_f16 v81, v33, v32
	v_pk_min_f16 v80, v35, v34
	;; [unrolled: 1-line block ×4, first 2 shown]
	v_pk_add_f16 v32, v17, v47
	v_pk_min_f16 v33, 0x7c00, v103 op_sel_hi:[0,1]
	v_pk_add_f16 v34, v11, v47
	v_pk_min_f16 v35, 0x7c00, v107 op_sel_hi:[0,1]
	;; [unrolled: 2-line block ×4, first 2 shown]
	v_pk_min_f16 v78, v8, v4
	v_pk_add_f16 v4, v5, v47
	v_pk_min_f16 v8, 0x7c00, v46 op_sel_hi:[0,1]
	v_pk_min_f16 v50, 0x7c00, v74 op_sel_hi:[0,1]
	v_pk_min_f16 v76, v33, v32
	v_pk_min_f16 v75, v35, v34
	;; [unrolled: 1-line block ×4, first 2 shown]
	v_pk_add_f16 v32, v19, v49
	v_pk_min_f16 v33, 0x7c00, v111 op_sel_hi:[0,1]
	v_pk_add_f16 v34, v21, v49
	v_pk_min_f16 v35, 0x7c00, v112 op_sel_hi:[0,1]
	;; [unrolled: 2-line block ×4, first 2 shown]
	v_pk_min_f16 v72, v8, v4
	v_pk_add_f16 v4, v11, v49
	v_pk_min_f16 v8, 0x7c00, v121 op_sel_hi:[0,1]
	v_pk_min_f16 v71, v33, v32
	v_pk_min_f16 v70, v35, v34
	;; [unrolled: 1-line block ×4, first 2 shown]
	v_pk_add_f16 v32, v13, v49
	v_pk_min_f16 v33, 0x7c00, v122 op_sel_hi:[0,1]
	v_pk_add_f16 v34, v3, v49
	v_pk_min_f16 v35, 0x7c00, v123 op_sel_hi:[0,1]
	;; [unrolled: 2-line block ×4, first 2 shown]
	v_pk_min_f16 v67, v8, v4
	v_pk_add_f16 v4, v21, v7
	v_pk_min_f16 v8, 0x7c00, v125 op_sel_hi:[0,1]
	v_pk_min_f16 v54, 0x7c00, v61 op_sel_hi:[0,1]
	;; [unrolled: 1-line block ×3, first 2 shown]
	v_pk_min_f16 v66, v33, v32
	v_pk_min_f16 v63, v35, v34
	;; [unrolled: 1-line block ×4, first 2 shown]
	v_pk_add_f16 v32, v15, v7
	v_pk_add_f16 v34, v17, v7
	;; [unrolled: 1-line block ×4, first 2 shown]
	v_pk_min_f16 v59, v8, v4
	v_pk_add_f16 v4, v3, v7
	v_pk_min_f16 v8, 0x7c00, v130 op_sel_hi:[0,1]
	v_pk_add_f16 v7, v5, v7
	v_pk_min_f16 v6, 0x7c00, v6 op_sel_hi:[0,1]
	v_pk_min_f16 v90, v52, v51
	v_pk_min_f16 v33, 0x7c00, v126 op_sel_hi:[0,1]
	v_pk_min_f16 v35, 0x7c00, v127 op_sel_hi:[0,1]
	;; [unrolled: 1-line block ×4, first 2 shown]
	v_pk_add_f16 v19, v19, v9
	v_pk_min_f16 v18, 0x7c00, v18 op_sel_hi:[0,1]
	v_pk_add_f16 v21, v21, v9
	v_pk_min_f16 v20, 0x7c00, v20 op_sel_hi:[0,1]
	;; [unrolled: 2-line block ×3, first 2 shown]
	v_pk_min_f16 v51, v8, v4
	v_pk_min_f16 v52, v6, v7
	v_pk_add_f16 v4, v17, v9
	v_pk_min_f16 v6, 0x7c00, v16 op_sel_hi:[0,1]
	v_pk_add_f16 v7, v11, v9
	v_pk_min_f16 v8, 0x7c00, v10 op_sel_hi:[0,1]
	;; [unrolled: 2-line block ×5, first 2 shown]
	v_pk_min_f16 v99, v54, v53
	v_pk_min_f16 v83, v50, v40
	;; [unrolled: 1-line block ×14, first 2 shown]
	s_cbranch_scc1 .LBB262_50
; %bb.28:
	v_mad_i64_i32 v[2:3], null, s9, v25, 0
	v_add_nc_u32_e32 v4, 8, v41
	v_add_nc_u32_e32 v6, 12, v41
	v_lshlrev_b64 v[39:40], 1, v[22:23]
	v_add_nc_u32_e32 v46, 0x1000, v31
	v_or_b32_e32 v47, 0x1000, v42
	v_mad_i64_i32 v[4:5], null, v4, s22, 0
	v_lshlrev_b64 v[2:3], 1, v[2:3]
	v_or_b32_e32 v91, 0x800, v45
	v_add_nc_u32_e32 v103, 0x1200, v31
	v_lshl_or_b32 v107, v0, 3, 0x800
	v_lshl_add_u32 v109, v1, 3, 0x1200
	s_lshl_b64 s[8:9], s[22:23], 4
	v_add_co_u32 v7, s3, v2, v24
	v_add_co_ci_u32_e64 v8, null, 0, v3, s3
	v_mad_i64_i32 v[2:3], null, v6, s22, 0
	v_add_co_u32 v6, s3, s20, v7
	v_lshlrev_b64 v[4:5], 1, v[4:5]
	v_add_co_ci_u32_e64 v7, null, s21, v8, s3
	v_add_co_u32 v37, s3, v6, 16
	v_lshlrev_b64 v[2:3], 1, v[2:3]
	v_add_co_ci_u32_e64 v38, null, 0, v7, s3
	v_add_co_u32 v110, s3, s18, v4
	v_add_co_ci_u32_e64 v111, null, s19, v5, s3
	v_add_co_u32 v112, s3, s18, v2
	v_add_co_ci_u32_e64 v113, null, s19, v3, s3
	s_add_i32 s18, s14, -8
	s_mov_b32 s19, 0
	s_branch .LBB262_30
.LBB262_29:                             ;   in Loop: Header=BB262_30 Depth=1
	s_or_b32 exec_lo, exec_lo, s3
	v_pk_add_f16 v14, v2, v33
	v_pk_max_f16 v15, v119, v119
	v_pk_add_f16 v16, v4, v33
	v_pk_max_f16 v118, v118, v118
	v_pk_add_f16 v119, v29, v33
	v_pk_add_f16 v127, v31, v33
	v_pk_max_f16 v116, v116, v116
	v_pk_add_f16 v128, v21, v33
	v_pk_min_f16 v141, v15, v14
	v_pk_min_f16 v125, v118, v16
	v_pk_add_f16 v14, v23, v33
	v_pk_max_f16 v15, v114, v114
	v_pk_add_f16 v16, v17, v33
	v_pk_max_f16 v108, v108, v108
	;; [unrolled: 2-line block ×3, first 2 shown]
	v_pk_max_f16 v115, v115, v115
	v_pk_min_f16 v131, v116, v127
	v_pk_add_f16 v116, v4, v35
	v_pk_max_f16 v104, v104, v104
	v_pk_min_f16 v147, v15, v14
	v_pk_min_f16 v106, v108, v16
	;; [unrolled: 1-line block ×3, first 2 shown]
	v_pk_add_f16 v14, v29, v35
	v_pk_max_f16 v15, v102, v102
	v_pk_add_f16 v16, v31, v35
	v_pk_max_f16 v33, v101, v101
	v_pk_min_f16 v132, v115, v128
	v_pk_add_f16 v115, v2, v35
	v_pk_min_f16 v140, v104, v116
	v_pk_add_f16 v101, v21, v35
	v_pk_add_f16 v102, v23, v35
	;; [unrolled: 1-line block ×3, first 2 shown]
	v_pk_max_f16 v98, v98, v98
	v_pk_min_f16 v149, v15, v14
	v_pk_min_f16 v143, v33, v16
	v_pk_add_f16 v14, v19, v35
	v_pk_max_f16 v15, v97, v97
	v_pk_add_f16 v16, v2, v10
	v_pk_max_f16 v33, v94, v94
	;; [unrolled: 2-line block ×3, first 2 shown]
	v_pk_max_f16 v117, v117, v117
	v_pk_min_f16 v146, v98, v104
	v_pk_add_f16 v97, v29, v10
	v_pk_add_f16 v98, v31, v10
	v_pk_min_f16 v150, v15, v14
	v_pk_min_f16 v93, v33, v16
	;; [unrolled: 1-line block ×3, first 2 shown]
	v_pk_add_f16 v14, v21, v10
	v_pk_max_f16 v15, v85, v85
	v_pk_add_f16 v16, v23, v10
	v_pk_max_f16 v33, v86, v86
	;; [unrolled: 2-line block ×4, first 2 shown]
	v_pk_min_f16 v126, v117, v119
	v_pk_max_f16 v105, v105, v105
	v_pk_max_f16 v88, v88, v88
	v_pk_min_f16 v137, v15, v14
	v_pk_min_f16 v119, v33, v16
	;; [unrolled: 1-line block ×4, first 2 shown]
	v_pk_add_f16 v10, v4, v12
	v_pk_max_f16 v14, v89, v89
	v_pk_add_f16 v15, v29, v12
	v_pk_max_f16 v16, v87, v87
	;; [unrolled: 2-line block ×3, first 2 shown]
	v_pk_min_f16 v139, v105, v115
	v_pk_max_f16 v100, v100, v100
	v_pk_max_f16 v99, v99, v99
	v_pk_min_f16 v135, v88, v98
	v_pk_add_f16 v88, v2, v12
	v_pk_add_f16 v84, v21, v12
	;; [unrolled: 1-line block ×3, first 2 shown]
	v_pk_min_f16 v136, v14, v10
	v_pk_min_f16 v115, v16, v15
	;; [unrolled: 1-line block ×3, first 2 shown]
	v_pk_add_f16 v10, v17, v12
	v_pk_max_f16 v14, v81, v81
	v_pk_add_f16 v12, v19, v12
	v_pk_max_f16 v15, v80, v80
	;; [unrolled: 2-line block ×4, first 2 shown]
	v_pk_min_f16 v144, v100, v101
	v_pk_min_f16 v145, v99, v102
	v_pk_max_f16 v90, v90, v90
	v_pk_add_f16 v79, v29, v6
	v_pk_min_f16 v130, v14, v10
	v_pk_min_f16 v101, v15, v12
	;; [unrolled: 1-line block ×4, first 2 shown]
	v_pk_add_f16 v10, v31, v6
	v_pk_max_f16 v12, v76, v76
	v_pk_add_f16 v14, v21, v6
	v_pk_max_f16 v15, v75, v75
	;; [unrolled: 2-line block ×5, first 2 shown]
	v_pk_min_f16 v134, v90, v97
	v_pk_max_f16 v90, v92, v92
	v_pk_min_f16 v114, v12, v10
	v_pk_min_f16 v95, v15, v14
	;; [unrolled: 1-line block ×5, first 2 shown]
	v_pk_add_f16 v6, v2, v8
	v_pk_max_f16 v10, v71, v71
	v_pk_add_f16 v12, v4, v8
	v_pk_max_f16 v14, v70, v70
	;; [unrolled: 2-line block ×4, first 2 shown]
	v_pk_min_f16 v129, v90, v88
	v_pk_add_f16 v68, v21, v8
	v_pk_min_f16 v108, v10, v6
	v_pk_min_f16 v88, v14, v12
	v_pk_min_f16 v89, v16, v15
	v_pk_min_f16 v90, v35, v33
	v_pk_add_f16 v6, v23, v8
	v_pk_max_f16 v10, v66, v66
	v_pk_add_f16 v12, v17, v8
	v_pk_max_f16 v14, v63, v63
	;; [unrolled: 2-line block ×5, first 2 shown]
	v_pk_max_f16 v82, v82, v82
	v_pk_min_f16 v100, v10, v6
	v_pk_min_f16 v6, v14, v12
	;; [unrolled: 1-line block ×5, first 2 shown]
	v_pk_add_f16 v14, v29, v25
	v_pk_max_f16 v15, v57, v57
	v_pk_add_f16 v16, v31, v25
	v_pk_max_f16 v35, v55, v55
	;; [unrolled: 2-line block ×3, first 2 shown]
	v_pk_min_f16 v118, v82, v85
	v_pk_add_f16 v55, v21, v25
	v_pk_add_f16 v57, v23, v25
	v_pk_min_f16 v33, v15, v14
	v_pk_min_f16 v14, v35, v16
	;; [unrolled: 1-line block ×3, first 2 shown]
	v_pk_add_f16 v25, v19, v25
	v_pk_max_f16 v35, v52, v52
	v_pk_add_f16 v51, v4, v27
	v_pk_max_f16 v49, v49, v49
	;; [unrolled: 2-line block ×5, first 2 shown]
	v_pk_min_f16 v4, v35, v25
	v_pk_min_f16 v35, v49, v51
	;; [unrolled: 1-line block ×4, first 2 shown]
	v_pk_add_f16 v21, v21, v27
	v_pk_max_f16 v29, v62, v62
	v_pk_add_f16 v23, v23, v27
	v_pk_max_f16 v31, v60, v60
	;; [unrolled: 2-line block ×3, first 2 shown]
	v_pk_min_f16 v2, v50, v2
	v_pk_add_f16 v19, v19, v27
	v_pk_max_f16 v27, v56, v56
	v_pk_add_f16 v50, v3, v34
	v_pk_min_f16 v151, v29, v21
	v_pk_min_f16 v152, v31, v23
	;; [unrolled: 1-line block ×3, first 2 shown]
	v_pk_add_f16 v17, v5, v34
	v_pk_add_f16 v21, v32, v34
	;; [unrolled: 1-line block ×3, first 2 shown]
	v_pk_min_f16 v154, v27, v19
	v_pk_min_f16 v155, v141, v50
	v_pk_add_f16 v19, v30, v34
	v_pk_add_f16 v27, v24, v34
	v_pk_min_f16 v148, v125, v17
	v_pk_min_f16 v141, v131, v21
	;; [unrolled: 1-line block ×3, first 2 shown]
	v_pk_add_f16 v17, v18, v34
	v_pk_add_f16 v23, v20, v34
	v_pk_min_f16 v142, v126, v19
	v_pk_min_f16 v21, v147, v27
	v_pk_add_f16 v27, v3, v36
	v_pk_add_f16 v29, v5, v36
	;; [unrolled: 1-line block ×3, first 2 shown]
	v_pk_min_f16 v19, v106, v17
	v_pk_min_f16 v125, v138, v23
	v_pk_add_f16 v17, v32, v36
	v_pk_add_f16 v23, v22, v36
	v_pk_max_f16 v78, v78, v78
	v_pk_min_f16 v106, v139, v27
	v_pk_min_f16 v99, v140, v29
	;; [unrolled: 1-line block ×3, first 2 shown]
	v_pk_add_f16 v27, v24, v36
	v_pk_add_f16 v29, v18, v36
	;; [unrolled: 1-line block ×3, first 2 shown]
	v_pk_min_f16 v94, v143, v17
	v_pk_min_f16 v87, v144, v23
	v_pk_add_f16 v17, v3, v11
	v_pk_add_f16 v23, v5, v11
	v_pk_max_f16 v83, v83, v83
	v_pk_min_f16 v105, v78, v79
	v_pk_min_f16 v82, v145, v27
	;; [unrolled: 1-line block ×4, first 2 shown]
	v_pk_add_f16 v27, v30, v11
	v_pk_add_f16 v29, v32, v11
	;; [unrolled: 1-line block ×3, first 2 shown]
	v_pk_min_f16 v126, v93, v17
	v_pk_min_f16 v93, v133, v23
	v_pk_add_f16 v17, v24, v11
	v_pk_add_f16 v23, v18, v11
	;; [unrolled: 1-line block ×3, first 2 shown]
	v_pk_min_f16 v117, v83, v84
	v_pk_min_f16 v84, v134, v27
	;; [unrolled: 1-line block ×3, first 2 shown]
	v_pk_add_f16 v27, v3, v13
	v_pk_add_f16 v29, v5, v13
	v_pk_min_f16 v81, v119, v17
	v_pk_min_f16 v77, v128, v11
	v_pk_add_f16 v11, v30, v13
	v_pk_add_f16 v17, v32, v13
	v_pk_max_f16 v67, v67, v67
	v_pk_min_f16 v78, v137, v31
	v_pk_min_f16 v76, v129, v27
	;; [unrolled: 1-line block ×3, first 2 shown]
	v_pk_add_f16 v27, v22, v13
	v_pk_add_f16 v29, v24, v13
	;; [unrolled: 1-line block ×3, first 2 shown]
	v_pk_min_f16 v75, v115, v11
	v_pk_min_f16 v72, v116, v17
	v_pk_add_f16 v11, v20, v13
	v_pk_add_f16 v13, v3, v7
	;; [unrolled: 1-line block ×3, first 2 shown]
	v_pk_min_f16 v92, v67, v68
	v_pk_min_f16 v69, v117, v27
	v_pk_min_f16 v68, v118, v29
	v_pk_add_f16 v27, v30, v7
	v_pk_add_f16 v29, v32, v7
	v_pk_min_f16 v74, v101, v11
	v_pk_min_f16 v73, v102, v13
	;; [unrolled: 1-line block ×3, first 2 shown]
	v_pk_add_f16 v11, v22, v7
	v_pk_add_f16 v13, v24, v7
	;; [unrolled: 1-line block ×4, first 2 shown]
	v_pk_min_f16 v66, v105, v27
	v_pk_add_f16 v27, v3, v9
	v_pk_min_f16 v64, v95, v11
	v_pk_add_f16 v11, v30, v9
	;; [unrolled: 2-line block ×3, first 2 shown]
	v_pk_max_f16 v54, v54, v54
	v_pk_max_f16 v53, v53, v53
	v_pk_min_f16 v63, v96, v13
	v_pk_min_f16 v62, v97, v17
	;; [unrolled: 1-line block ×3, first 2 shown]
	v_pk_add_f16 v13, v32, v9
	v_pk_add_f16 v17, v22, v9
	;; [unrolled: 1-line block ×3, first 2 shown]
	v_pk_min_f16 v61, v88, v7
	v_pk_min_f16 v58, v89, v11
	v_pk_add_f16 v7, v18, v9
	v_pk_add_f16 v9, v20, v9
	;; [unrolled: 1-line block ×3, first 2 shown]
	v_pk_min_f16 v15, v54, v55
	v_pk_min_f16 v16, v53, v57
	;; [unrolled: 1-line block ×4, first 2 shown]
	v_pk_add_f16 v13, v5, v26
	v_pk_add_f16 v17, v30, v26
	v_pk_min_f16 v53, v6, v7
	v_pk_min_f16 v51, v8, v9
	;; [unrolled: 1-line block ×3, first 2 shown]
	v_pk_add_f16 v6, v32, v26
	v_pk_add_f16 v7, v22, v26
	;; [unrolled: 1-line block ×6, first 2 shown]
	v_pk_min_f16 v67, v130, v31
	v_pk_min_f16 v65, v114, v29
	;; [unrolled: 1-line block ×10, first 2 shown]
	ds_read2_b64 v[10:13], v43 offset1:32
	ds_read2_b64 v[95:98], v47 offset1:8
	v_pk_add_f16 v36, v5, v28
	ds_read2_b64 v[14:17], v43 offset0:64 offset1:96
	ds_read2_b64 v[6:9], v43 offset0:128 offset1:160
	v_pk_min_f16 v52, v2, v3
	ds_read2_b64 v[2:5], v43 offset0:192 offset1:224
	v_pk_add_f16 v30, v30, v28
	v_pk_min_f16 v56, v35, v36
	v_pk_add_f16 v22, v22, v28
	v_pk_add_f16 v24, v24, v28
	;; [unrolled: 1-line block ×3, first 2 shown]
	v_pk_min_f16 v35, v48, v30
	v_pk_add_f16 v30, v32, v28
	v_pk_add_f16 v20, v20, v28
	v_pk_min_f16 v36, v151, v22
	v_pk_min_f16 v32, v152, v24
	v_pk_max_f16 v104, v148, v148
	v_pk_min_f16 v48, v25, v30
	v_pk_min_f16 v30, v153, v18
	;; [unrolled: 1-line block ×3, first 2 shown]
	s_waitcnt lgkmcnt(3)
	v_pk_add_f16 v18, v10, v95
	v_pk_add_f16 v20, v12, v95
	s_waitcnt lgkmcnt(2)
	v_pk_add_f16 v22, v14, v95
	v_pk_add_f16 v24, v16, v95
	;; [unrolled: 3-line block ×4, first 2 shown]
	v_pk_max_f16 v95, v155, v155
	v_pk_add_f16 v102, v11, v96
	v_pk_min_f16 v20, v104, v20
	v_pk_max_f16 v104, v141, v141
	v_pk_max_f16 v108, v131, v131
	v_pk_min_f16 v18, v95, v18
	v_pk_add_f16 v90, v10, v97
	v_pk_add_f16 v105, v15, v96
	v_pk_min_f16 v24, v104, v24
	v_pk_add_f16 v104, v7, v96
	v_pk_min_f16 v119, v18, v102
	v_pk_add_f16 v18, v13, v96
	v_pk_max_f16 v102, v142, v142
	v_pk_min_f16 v25, v108, v25
	v_pk_add_f16 v100, v14, v97
	v_pk_min_f16 v23, v127, v23
	v_pk_min_f16 v118, v20, v18
	;; [unrolled: 1-line block ×3, first 2 shown]
	v_pk_add_f16 v102, v17, v96
	v_pk_max_f16 v18, v21, v21
	v_pk_min_f16 v115, v25, v104
	v_pk_add_f16 v25, v3, v96
	v_pk_min_f16 v117, v22, v105
	v_pk_min_f16 v116, v24, v102
	;; [unrolled: 1-line block ×3, first 2 shown]
	v_pk_max_f16 v85, v19, v19
	v_pk_add_f16 v102, v11, v98
	ds_read2_b64 v[127:130], v47 offset0:16 offset1:24
	v_pk_add_f16 v132, v6, v97
	v_pk_add_f16 v131, v15, v98
	v_pk_min_f16 v85, v85, v88
	v_pk_max_f16 v87, v87, v87
	v_pk_add_f16 v135, v7, v98
	v_pk_add_f16 v133, v2, v97
	;; [unrolled: 1-line block ×3, first 2 shown]
	v_pk_min_f16 v108, v85, v25
	v_pk_max_f16 v25, v106, v106
	v_pk_add_f16 v101, v16, v97
	v_pk_add_f16 v95, v8, v97
	;; [unrolled: 1-line block ×4, first 2 shown]
	v_pk_min_f16 v25, v25, v90
	v_pk_add_f16 v104, v13, v98
	v_pk_add_f16 v134, v17, v98
	;; [unrolled: 1-line block ×4, first 2 shown]
	v_pk_min_f16 v105, v25, v102
	v_pk_max_f16 v25, v86, v86
	v_pk_add_f16 v138, v5, v98
	v_pk_max_f16 v98, v99, v99
	v_pk_max_f16 v86, v94, v94
	;; [unrolled: 1-line block ×3, first 2 shown]
	v_pk_min_f16 v25, v25, v100
	ds_read2_b64 v[18:21], v47 offset0:32 offset1:40
	s_waitcnt lgkmcnt(1)
	v_pk_add_f16 v88, v10, v127
	v_pk_min_f16 v114, v24, v22
	v_pk_max_f16 v22, v125, v125
	v_pk_min_f16 v102, v25, v131
	v_pk_min_f16 v25, v87, v132
	v_pk_add_f16 v24, v12, v127
	v_pk_min_f16 v92, v98, v92
	v_pk_min_f16 v86, v86, v101
	v_pk_add_f16 v96, v5, v96
	v_pk_min_f16 v100, v25, v135
	v_pk_max_f16 v25, v79, v79
	v_pk_max_f16 v79, v80, v80
	v_pk_min_f16 v80, v82, v95
	v_pk_max_f16 v82, v126, v126
	v_pk_add_f16 v85, v14, v127
	v_pk_min_f16 v25, v25, v133
	v_pk_min_f16 v79, v79, v97
	v_pk_min_f16 v22, v22, v89
	v_pk_add_f16 v90, v6, v127
	v_pk_min_f16 v101, v86, v134
	v_pk_min_f16 v98, v25, v137
	v_pk_max_f16 v25, v93, v93
	v_pk_add_f16 v86, v11, v128
	v_pk_min_f16 v82, v82, v88
	v_pk_min_f16 v99, v80, v136
	;; [unrolled: 1-line block ×3, first 2 shown]
	v_pk_add_f16 v79, v13, v128
	v_pk_max_f16 v80, v84, v84
	v_pk_min_f16 v24, v25, v24
	v_pk_max_f16 v78, v78, v78
	v_pk_add_f16 v89, v16, v127
	v_pk_min_f16 v106, v22, v96
	v_pk_add_f16 v22, v8, v127
	v_pk_add_f16 v125, v4, v127
	v_pk_add_f16 v134, v8, v129
	v_pk_add_f16 v135, v2, v129
	v_pk_min_f16 v94, v82, v86
	v_pk_max_f16 v25, v83, v83
	v_pk_add_f16 v82, v15, v128
	v_pk_min_f16 v80, v80, v85
	v_pk_add_f16 v84, v7, v128
	v_pk_min_f16 v78, v78, v90
	v_pk_min_f16 v93, v24, v79
	v_pk_max_f16 v24, v81, v81
	v_pk_max_f16 v77, v77, v77
	v_pk_max_f16 v68, v68, v68
	v_pk_max_f16 v67, v67, v67
	v_pk_add_f16 v96, v2, v127
	v_pk_min_f16 v104, v92, v104
	v_pk_add_f16 v92, v10, v129
	v_pk_add_f16 v132, v6, v129
	;; [unrolled: 1-line block ×3, first 2 shown]
	v_pk_min_f16 v25, v25, v89
	v_pk_min_f16 v90, v80, v82
	;; [unrolled: 1-line block ×3, first 2 shown]
	v_pk_add_f16 v78, v9, v128
	v_pk_min_f16 v79, v24, v22
	v_pk_max_f16 v81, v23, v23
	v_pk_add_f16 v82, v5, v128
	v_pk_add_f16 v133, v9, v130
	;; [unrolled: 1-line block ×3, first 2 shown]
	v_pk_max_f16 v76, v76, v76
	v_pk_min_f16 v77, v77, v125
	v_pk_max_f16 v69, v69, v69
	v_pk_min_f16 v68, v68, v134
	v_pk_min_f16 v67, v67, v135
	v_pk_add_f16 v127, v12, v129
	v_pk_add_f16 v139, v14, v129
	;; [unrolled: 1-line block ×4, first 2 shown]
	v_pk_min_f16 v88, v25, v83
	v_pk_add_f16 v83, v11, v130
	v_pk_add_f16 v129, v7, v130
	v_pk_min_f16 v86, v79, v78
	s_waitcnt lgkmcnt(0)
	v_pk_add_f16 v78, v10, v18
	v_pk_min_f16 v79, v81, v96
	v_pk_min_f16 v76, v76, v92
	;; [unrolled: 1-line block ×5, first 2 shown]
	v_pk_max_f16 v68, v74, v74
	v_pk_min_f16 v81, v67, v136
	v_pk_max_f16 v67, v73, v73
	v_pk_add_f16 v80, v3, v128
	v_pk_add_f16 v84, v13, v130
	;; [unrolled: 1-line block ×7, first 2 shown]
	v_pk_min_f16 v92, v76, v83
	v_pk_min_f16 v83, v69, v129
	;; [unrolled: 1-line block ×3, first 2 shown]
	v_pk_max_f16 v69, v71, v71
	v_pk_min_f16 v67, v67, v78
	v_pk_add_f16 v71, v11, v19
	v_pk_max_f16 v66, v66, v66
	v_pk_min_f16 v96, v79, v80
	v_pk_add_f16 v138, v16, v18
	v_pk_add_f16 v140, v6, v18
	v_pk_max_f16 v75, v75, v75
	v_pk_min_f16 v80, v68, v130
	v_pk_add_f16 v68, v13, v19
	v_pk_min_f16 v69, v69, v137
	v_pk_min_f16 v79, v67, v71
	v_pk_max_f16 v65, v65, v65
	v_pk_add_f16 v67, v15, v19
	v_pk_min_f16 v66, v66, v125
	v_pk_max_f16 v64, v64, v64
	ds_read2_b64 v[22:25], v47 offset0:48 offset1:56
	v_pk_max_f16 v70, v70, v70
	v_pk_add_f16 v141, v8, v18
	v_pk_add_f16 v142, v2, v18
	;; [unrolled: 1-line block ×3, first 2 shown]
	v_pk_max_f16 v72, v72, v72
	v_pk_min_f16 v75, v75, v139
	v_pk_min_f16 v77, v69, v68
	;; [unrolled: 1-line block ×3, first 2 shown]
	v_pk_add_f16 v68, v17, v19
	v_pk_min_f16 v78, v66, v67
	v_pk_add_f16 v66, v7, v19
	v_pk_min_f16 v64, v64, v140
	v_pk_max_f16 v60, v60, v60
	v_pk_min_f16 v70, v70, v127
	v_pk_add_f16 v127, v10, v20
	v_pk_min_f16 v72, v72, v131
	v_pk_min_f16 v87, v75, v87
	;; [unrolled: 1-line block ×4, first 2 shown]
	v_pk_add_f16 v64, v9, v19
	v_pk_add_f16 v65, v3, v19
	;; [unrolled: 1-line block ×3, first 2 shown]
	v_pk_min_f16 v18, v60, v18
	v_pk_max_f16 v59, v59, v59
	v_pk_min_f16 v89, v70, v84
	v_pk_add_f16 v70, v12, v20
	v_pk_add_f16 v131, v14, v20
	v_pk_min_f16 v84, v72, v128
	v_pk_min_f16 v72, v18, v19
	v_pk_max_f16 v18, v61, v61
	v_pk_add_f16 v19, v11, v21
	v_pk_min_f16 v59, v59, v127
	v_pk_max_f16 v58, v58, v58
	v_pk_add_f16 v60, v13, v21
	v_pk_min_f16 v18, v18, v70
	v_pk_add_f16 v139, v16, v20
	v_pk_min_f16 v71, v59, v19
	;; [unrolled: 2-line block ×3, first 2 shown]
	v_pk_add_f16 v128, v6, v20
	v_pk_add_f16 v132, v8, v20
	;; [unrolled: 1-line block ×4, first 2 shown]
	s_waitcnt lgkmcnt(0)
	v_pk_add_f16 v129, v10, v22
	v_pk_add_f16 v133, v12, v22
	;; [unrolled: 1-line block ×8, first 2 shown]
	v_pk_min_f16 v70, v18, v60
	v_pk_add_f16 v60, v2, v24
	v_pk_min_f16 v69, v58, v19
	v_pk_add_f16 v2, v4, v24
	v_pk_max_f16 v4, v55, v55
	v_pk_max_f16 v19, v54, v54
	;; [unrolled: 1-line block ×3, first 2 shown]
	v_pk_add_f16 v54, v7, v21
	v_pk_add_f16 v55, v9, v21
	v_pk_min_f16 v4, v4, v128
	v_pk_min_f16 v19, v19, v132
	v_pk_add_f16 v10, v10, v24
	v_pk_add_f16 v12, v12, v24
	;; [unrolled: 1-line block ×6, first 2 shown]
	v_pk_min_f16 v18, v18, v139
	v_pk_add_f16 v24, v17, v21
	v_pk_min_f16 v67, v4, v54
	v_pk_max_f16 v4, v51, v51
	v_pk_min_f16 v66, v19, v55
	v_pk_max_f16 v19, v50, v50
	v_pk_max_f16 v63, v63, v63
	v_pk_add_f16 v57, v3, v21
	v_pk_min_f16 v68, v18, v24
	v_pk_add_f16 v18, v5, v21
	v_pk_min_f16 v4, v4, v20
	v_pk_max_f16 v20, v49, v49
	v_pk_add_f16 v21, v11, v23
	v_pk_min_f16 v19, v19, v129
	v_pk_min_f16 v63, v63, v141
	v_pk_max_f16 v53, v53, v53
	v_pk_max_f16 v24, v34, v34
	v_pk_add_f16 v34, v13, v23
	v_pk_min_f16 v20, v20, v133
	v_pk_min_f16 v61, v19, v21
	v_pk_max_f16 v19, v31, v31
	v_pk_min_f16 v74, v63, v64
	v_pk_min_f16 v53, v53, v134
	v_pk_add_f16 v49, v15, v23
	v_pk_min_f16 v24, v24, v135
	v_pk_min_f16 v64, v4, v18
	v_pk_max_f16 v4, v33, v33
	v_pk_min_f16 v59, v20, v34
	v_pk_max_f16 v20, v29, v29
	v_pk_add_f16 v21, v7, v23
	v_pk_min_f16 v19, v19, v130
	v_pk_min_f16 v63, v53, v57
	;; [unrolled: 1-line block ×3, first 2 shown]
	v_pk_add_f16 v18, v17, v23
	v_pk_min_f16 v4, v4, v126
	v_pk_max_f16 v24, v27, v27
	v_pk_add_f16 v27, v9, v23
	v_pk_min_f16 v20, v20, v136
	v_pk_min_f16 v54, v19, v21
	v_pk_max_f16 v19, v52, v52
	v_pk_min_f16 v55, v4, v18
	v_pk_max_f16 v4, v26, v26
	;; [unrolled: 2-line block ×3, first 2 shown]
	v_pk_add_f16 v11, v11, v25
	v_pk_min_f16 v10, v19, v10
	v_pk_add_f16 v18, v5, v23
	v_pk_min_f16 v4, v4, v22
	;; [unrolled: 2-line block ×3, first 2 shown]
	v_pk_min_f16 v50, v10, v11
	v_pk_max_f16 v10, v36, v36
	v_pk_max_f16 v62, v62, v62
	;; [unrolled: 1-line block ×3, first 2 shown]
	v_pk_min_f16 v52, v4, v18
	v_pk_max_f16 v4, v48, v48
	v_pk_min_f16 v49, v12, v13
	v_pk_max_f16 v12, v32, v32
	;; [unrolled: 2-line block ×3, first 2 shown]
	v_pk_max_f16 v13, v28, v28
	v_add_co_u32 v37, s3, v37, 16
	v_pk_min_f16 v62, v62, v142
	v_pk_add_f16 v29, v3, v23
	v_pk_min_f16 v24, v24, v125
	v_pk_add_f16 v15, v15, v25
	;; [unrolled: 2-line block ×4, first 2 shown]
	v_pk_add_f16 v9, v9, v25
	v_pk_min_f16 v8, v12, v8
	v_pk_add_f16 v3, v3, v25
	v_pk_min_f16 v10, v10, v60
	;; [unrolled: 2-line block ×3, first 2 shown]
	v_add_co_ci_u32_e64 v38, null, 0, v38, s3
	v_add_co_u32 v110, s3, v110, s8
	v_add_co_ci_u32_e64 v111, null, s9, v111, s3
	v_add_co_u32 v112, s3, v112, s8
	v_pk_min_f16 v73, v62, v65
	v_pk_min_f16 v51, v24, v29
	v_pk_min_f16 v48, v14, v15
	v_pk_min_f16 v65, v4, v11
	v_pk_min_f16 v62, v6, v7
	v_pk_min_f16 v60, v8, v9
	v_pk_min_f16 v58, v10, v3
	v_pk_min_f16 v56, v2, v5
	v_add_co_ci_u32_e64 v113, null, s9, v113, s3
	s_add_i32 s19, s19, 8
	s_waitcnt vmcnt(0)
	ds_write_b16 v91, v120
	ds_write_b16 v91, v122 offset:512
	ds_write_b16 v91, v121 offset:1024
	;; [unrolled: 1-line block ×3, first 2 shown]
	ds_write_b16 v103, v123
	s_cmp_ge_i32 s19, s18
	s_waitcnt lgkmcnt(0)
	s_barrier
	buffer_gl0_inv
	s_cbranch_scc1 .LBB262_50
.LBB262_30:                             ; =>This Inner Loop Header: Depth=1
	v_add_nc_u32_e32 v15, s19, v41
	v_mov_b32_e32 v16, 0x7c00
	v_mov_b32_e32 v121, 0x7c00
	v_add_nc_u32_e32 v2, 8, v15
	v_cmp_le_i32_e64 s3, s14, v2
	s_nor_b32 s6, vcc_lo, s3
	s_and_saveexec_b32 s20, s6
	s_cbranch_execz .LBB262_32
; %bb.31:                               ;   in Loop: Header=BB262_30 Depth=1
	v_add_co_u32 v2, s6, v110, v39
	v_add_co_ci_u32_e64 v3, null, v111, v40, s6
	global_load_ushort v121, v[2:3], off
.LBB262_32:                             ;   in Loop: Header=BB262_30 Depth=1
	s_or_b32 exec_lo, exec_lo, s20
	s_nor_b32 s6, s0, s3
	s_and_saveexec_b32 s20, s6
	s_cbranch_execz .LBB262_34
; %bb.33:                               ;   in Loop: Header=BB262_30 Depth=1
	v_add_co_u32 v2, s6, v110, v39
	v_add_co_ci_u32_e64 v3, null, v111, v40, s6
	global_load_ushort v16, v[2:3], off offset:128
.LBB262_34:                             ;   in Loop: Header=BB262_30 Depth=1
	s_or_b32 exec_lo, exec_lo, s20
	v_mov_b32_e32 v122, 0x7c00
	v_mov_b32_e32 v123, 0x7c00
	s_nor_b32 s6, s1, s3
	s_and_saveexec_b32 s20, s6
	s_cbranch_execz .LBB262_36
; %bb.35:                               ;   in Loop: Header=BB262_30 Depth=1
	v_add_co_u32 v2, s6, v110, v39
	v_add_co_ci_u32_e64 v3, null, v111, v40, s6
	global_load_ushort v123, v[2:3], off offset:256
.LBB262_36:                             ;   in Loop: Header=BB262_30 Depth=1
	s_or_b32 exec_lo, exec_lo, s20
	s_nor_b32 s3, s2, s3
	s_and_saveexec_b32 s6, s3
	s_cbranch_execz .LBB262_38
; %bb.37:                               ;   in Loop: Header=BB262_30 Depth=1
	v_add_co_u32 v2, s3, v110, v39
	v_add_co_ci_u32_e64 v3, null, v111, v40, s3
	global_load_ushort v122, v[2:3], off offset:384
.LBB262_38:                             ;   in Loop: Header=BB262_30 Depth=1
	s_or_b32 exec_lo, exec_lo, s6
	v_add_nc_u32_e32 v14, s19, v44
	v_mov_b32_e32 v120, 0x7c00
	v_mov_b32_e32 v124, 0x7c00
	v_add_nc_u32_e32 v2, 8, v14
	v_cmp_gt_i32_e64 s3, s14, v2
	s_and_b32 s6, s3, s27
	s_and_saveexec_b32 s3, s6
	s_cbranch_execz .LBB262_40
; %bb.39:                               ;   in Loop: Header=BB262_30 Depth=1
	global_load_ushort v124, v[37:38], off
.LBB262_40:                             ;   in Loop: Header=BB262_30 Depth=1
	s_or_b32 exec_lo, exec_lo, s3
	ds_read2_b64 v[2:5], v107 offset1:32
	ds_read2_b64 v[29:32], v107 offset0:64 offset1:96
	ds_read2_b64 v[21:24], v107 offset0:128 offset1:160
	;; [unrolled: 1-line block ×3, first 2 shown]
	ds_read2_b64 v[33:36], v109 offset1:8
	ds_read2_b64 v[10:13], v109 offset0:16 offset1:24
	ds_read2_b64 v[6:9], v109 offset0:32 offset1:40
	;; [unrolled: 1-line block ×3, first 2 shown]
	v_add_nc_u32_e32 v15, 12, v15
	s_waitcnt vmcnt(0)
	ds_write_b16 v45, v121
	ds_write_b16 v45, v16 offset:512
	ds_write_b16 v45, v123 offset:1024
	;; [unrolled: 1-line block ×3, first 2 shown]
	ds_write_b16 v46, v124
	s_waitcnt lgkmcnt(0)
	s_barrier
	v_cmp_le_i32_e64 s3, s14, v15
	buffer_gl0_inv
	s_nor_b32 s6, vcc_lo, s3
	s_and_saveexec_b32 s20, s6
	s_cbranch_execz .LBB262_42
; %bb.41:                               ;   in Loop: Header=BB262_30 Depth=1
	v_add_co_u32 v15, s6, v112, v39
	v_add_co_ci_u32_e64 v16, null, v113, v40, s6
	global_load_ushort v120, v[15:16], off
.LBB262_42:                             ;   in Loop: Header=BB262_30 Depth=1
	s_or_b32 exec_lo, exec_lo, s20
	v_mov_b32_e32 v121, 0x7c00
	v_mov_b32_e32 v122, 0x7c00
	s_nor_b32 s6, s0, s3
	s_and_saveexec_b32 s20, s6
	s_cbranch_execz .LBB262_44
; %bb.43:                               ;   in Loop: Header=BB262_30 Depth=1
	v_add_co_u32 v15, s6, v112, v39
	v_add_co_ci_u32_e64 v16, null, v113, v40, s6
	global_load_ushort v122, v[15:16], off offset:128
.LBB262_44:                             ;   in Loop: Header=BB262_30 Depth=1
	s_or_b32 exec_lo, exec_lo, s20
	s_nor_b32 s6, s1, s3
	s_and_saveexec_b32 s20, s6
	s_cbranch_execz .LBB262_46
; %bb.45:                               ;   in Loop: Header=BB262_30 Depth=1
	v_add_co_u32 v15, s6, v112, v39
	v_add_co_ci_u32_e64 v16, null, v113, v40, s6
	global_load_ushort v121, v[15:16], off offset:256
.LBB262_46:                             ;   in Loop: Header=BB262_30 Depth=1
	s_or_b32 exec_lo, exec_lo, s20
	v_mov_b32_e32 v123, 0x7c00
	v_mov_b32_e32 v124, 0x7c00
	s_nor_b32 s3, s2, s3
	s_and_saveexec_b32 s6, s3
	s_cbranch_execz .LBB262_48
; %bb.47:                               ;   in Loop: Header=BB262_30 Depth=1
	v_add_co_u32 v15, s3, v112, v39
	v_add_co_ci_u32_e64 v16, null, v113, v40, s3
	global_load_ushort v124, v[15:16], off offset:384
.LBB262_48:                             ;   in Loop: Header=BB262_30 Depth=1
	s_or_b32 exec_lo, exec_lo, s6
	v_add_nc_u32_e32 v14, 12, v14
	v_cmp_gt_i32_e64 s3, s14, v14
	s_and_b32 s6, s3, s27
	s_and_saveexec_b32 s3, s6
	s_cbranch_execz .LBB262_29
; %bb.49:                               ;   in Loop: Header=BB262_30 Depth=1
	global_load_ushort v123, v[37:38], off offset:8
	s_branch .LBB262_29
.LBB262_50:
	s_clause 0x2
	s_load_dwordx2 s[2:3], s[4:5], 0x70
	s_load_dword s14, s[4:5], 0x50
	s_load_dword s9, s[4:5], 0x68
	v_add_nc_u32_e32 v2, 0x800, v43
	v_add_nc_u32_e32 v103, s26, v1
	v_add_nc_u32_e32 v4, 0x1000, v42
	v_add_nc_u32_e32 v32, s25, v0
	ds_read2_b64 v[16:19], v2 offset1:32
	ds_read2_b64 v[12:15], v2 offset0:64 offset1:96
	ds_read2_b64 v[8:11], v2 offset0:128 offset1:160
	;; [unrolled: 1-line block ×7, first 2 shown]
	v_cmp_gt_i32_e64 s8, s13, v103
	v_cndmask_b32_e64 v91, 0, 1, s24
	v_cmp_gt_i32_e64 s0, s12, v32
	v_ashrrev_i32_e32 v33, 31, v32
	s_waitcnt lgkmcnt(0)
	s_mul_i32 s1, s3, s7
	v_mad_i64_i32 v[34:35], null, v103, s14, 0
	v_mad_i64_i32 v[36:37], null, v103, s9, 0
	s_mul_hi_u32 s3, s2, s7
	s_mul_i32 s2, s2, s7
	s_add_i32 s3, s3, s1
	s_lshl_b64 s[2:3], s[2:3], 1
	v_lshlrev_b64 v[34:35], 1, v[34:35]
	v_lshlrev_b64 v[36:37], 1, v[36:37]
	s_add_u32 s10, s10, s2
	s_addc_u32 s11, s11, s3
	s_and_b32 s2, s0, s8
	v_add_co_u32 v110, vcc_lo, s16, v34
	v_add_co_ci_u32_e64 v111, null, s17, v35, vcc_lo
	v_add_co_u32 v107, vcc_lo, s10, v36
	v_add_co_ci_u32_e64 v109, null, s11, v37, vcc_lo
	s_and_saveexec_b32 s1, s2
	s_cbranch_execz .LBB262_56
; %bb.51:
	s_andn2_b32 vcc_lo, exec_lo, s24
	s_cbranch_vccnz .LBB262_54
; %bb.52:
	v_lshlrev_b64 v[34:35], 1, v[32:33]
	v_add_co_u32 v34, vcc_lo, v110, v34
	v_add_co_ci_u32_e64 v35, null, v111, v35, vcc_lo
	global_load_ushort v34, v[34:35], off
	s_waitcnt vmcnt(0)
	v_mul_f16_e32 v34, s15, v34
	v_cvt_f32_f16_e32 v34, v34
	s_branch .LBB262_55
.LBB262_53:
	s_mov_b64 s[18:19], 0
	s_andn2_b32 vcc_lo, exec_lo, s8
	s_mov_b32 s0, -1
	s_cbranch_vccz .LBB262_2
	s_branch .LBB262_3
.LBB262_54:
	v_mov_b32_e32 v34, 0
.LBB262_55:
	v_pk_add_f16 v35, v16, v28
	v_pk_add_f16 v36, v17, v29
	v_max_f16_e32 v37, v119, v119
	v_lshrrev_b32_e32 v38, 16, v119
	v_max_f32_e32 v34, v34, v34
	v_lshrrev_b32_e32 v39, 16, v35
	v_lshrrev_b32_e32 v40, 16, v36
	v_min_f16_e32 v35, v37, v35
	v_min3_f16 v37, v38, v39, v40
	v_min3_f16 v35, v35, v36, v37
	v_cvt_f32_f16_e32 v35, v35
	v_min_f32_e32 v36, v34, v35
	v_lshlrev_b64 v[34:35], 1, v[32:33]
	v_cvt_f16_f32_e32 v36, v36
	v_add_co_u32 v34, vcc_lo, v107, v34
	v_add_co_ci_u32_e64 v35, null, v109, v35, vcc_lo
	global_store_short v[34:35], v36, off
.LBB262_56:
	s_or_b32 exec_lo, exec_lo, s1
	v_add_nc_u32_e32 v34, 32, v32
	v_cmp_gt_i32_e64 s1, s12, v34
	v_ashrrev_i32_e32 v35, 31, v34
	s_and_b32 s3, s1, s8
	s_and_saveexec_b32 s2, s3
	s_cbranch_execz .LBB262_61
; %bb.57:
	v_cmp_ne_u32_e32 vcc_lo, 1, v91
	s_cbranch_vccnz .LBB262_59
; %bb.58:
	v_lshlrev_b64 v[36:37], 1, v[34:35]
	v_add_co_u32 v36, vcc_lo, v110, v36
	v_add_co_ci_u32_e64 v37, null, v111, v37, vcc_lo
	global_load_ushort v36, v[36:37], off
	s_waitcnt vmcnt(0)
	v_mul_f16_e32 v36, s15, v36
	v_cvt_f32_f16_e32 v36, v36
	s_branch .LBB262_60
.LBB262_59:
	v_mov_b32_e32 v36, 0
.LBB262_60:
	v_pk_add_f16 v37, v18, v28
	v_pk_add_f16 v38, v19, v29
	v_max_f16_e32 v39, v118, v118
	v_lshrrev_b32_e32 v40, 16, v118
	v_max_f32_e32 v36, v36, v36
	v_lshrrev_b32_e32 v41, 16, v37
	v_lshrrev_b32_e32 v42, 16, v38
	v_min_f16_e32 v37, v39, v37
	v_min3_f16 v39, v40, v41, v42
	v_min3_f16 v37, v37, v38, v39
	v_cvt_f32_f16_e32 v37, v37
	v_min_f32_e32 v38, v36, v37
	v_lshlrev_b64 v[36:37], 1, v[34:35]
	v_cvt_f16_f32_e32 v38, v38
	v_add_co_u32 v36, vcc_lo, v107, v36
	v_add_co_ci_u32_e64 v37, null, v109, v37, vcc_lo
	global_store_short v[36:37], v38, off
.LBB262_61:
	s_or_b32 exec_lo, exec_lo, s2
	v_add_nc_u32_e32 v36, 64, v32
	v_cmp_gt_i32_e64 s2, s12, v36
	v_ashrrev_i32_e32 v37, 31, v36
	s_and_b32 s4, s2, s8
	s_and_saveexec_b32 s3, s4
	s_cbranch_execz .LBB262_66
; %bb.62:
	v_cmp_ne_u32_e32 vcc_lo, 1, v91
	s_cbranch_vccnz .LBB262_64
; %bb.63:
	v_lshlrev_b64 v[38:39], 1, v[36:37]
	v_add_co_u32 v38, vcc_lo, v110, v38
	v_add_co_ci_u32_e64 v39, null, v111, v39, vcc_lo
	global_load_ushort v38, v[38:39], off
	s_waitcnt vmcnt(0)
	v_mul_f16_e32 v38, s15, v38
	v_cvt_f32_f16_e32 v38, v38
	s_branch .LBB262_65
.LBB262_64:
	v_mov_b32_e32 v38, 0
.LBB262_65:
	v_pk_add_f16 v39, v12, v28
	v_pk_add_f16 v40, v13, v29
	v_max_f16_e32 v41, v117, v117
	v_lshrrev_b32_e32 v42, 16, v117
	v_max_f32_e32 v38, v38, v38
	v_lshrrev_b32_e32 v43, 16, v39
	v_lshrrev_b32_e32 v44, 16, v40
	v_min_f16_e32 v39, v41, v39
	v_min3_f16 v41, v42, v43, v44
	v_min3_f16 v39, v39, v40, v41
	v_cvt_f32_f16_e32 v39, v39
	v_min_f32_e32 v40, v38, v39
	v_lshlrev_b64 v[38:39], 1, v[36:37]
	v_cvt_f16_f32_e32 v40, v40
	v_add_co_u32 v38, vcc_lo, v107, v38
	v_add_co_ci_u32_e64 v39, null, v109, v39, vcc_lo
	global_store_short v[38:39], v40, off
.LBB262_66:
	s_or_b32 exec_lo, exec_lo, s3
	v_add_nc_u32_e32 v38, 0x60, v32
	v_cmp_gt_i32_e64 s3, s12, v38
	v_ashrrev_i32_e32 v39, 31, v38
	s_and_b32 s5, s3, s8
	s_and_saveexec_b32 s4, s5
	s_cbranch_execz .LBB262_71
; %bb.67:
	v_cmp_ne_u32_e32 vcc_lo, 1, v91
	s_cbranch_vccnz .LBB262_69
; %bb.68:
	v_lshlrev_b64 v[40:41], 1, v[38:39]
	v_add_co_u32 v40, vcc_lo, v110, v40
	v_add_co_ci_u32_e64 v41, null, v111, v41, vcc_lo
	global_load_ushort v40, v[40:41], off
	s_waitcnt vmcnt(0)
	v_mul_f16_e32 v40, s15, v40
	v_cvt_f32_f16_e32 v40, v40
	s_branch .LBB262_70
.LBB262_69:
	v_mov_b32_e32 v40, 0
.LBB262_70:
	v_pk_add_f16 v41, v14, v28
	v_pk_add_f16 v42, v15, v29
	v_max_f16_e32 v43, v116, v116
	v_lshrrev_b32_e32 v44, 16, v116
	v_max_f32_e32 v40, v40, v40
	v_lshrrev_b32_e32 v45, 16, v41
	v_lshrrev_b32_e32 v46, 16, v42
	v_min_f16_e32 v41, v43, v41
	v_min3_f16 v43, v44, v45, v46
	v_min3_f16 v41, v41, v42, v43
	v_cvt_f32_f16_e32 v41, v41
	v_min_f32_e32 v42, v40, v41
	v_lshlrev_b64 v[40:41], 1, v[38:39]
	v_cvt_f16_f32_e32 v42, v42
	v_add_co_u32 v40, vcc_lo, v107, v40
	v_add_co_ci_u32_e64 v41, null, v109, v41, vcc_lo
	global_store_short v[40:41], v42, off
.LBB262_71:
	s_or_b32 exec_lo, exec_lo, s4
	v_add_nc_u32_e32 v40, 0x80, v32
	v_cmp_gt_i32_e64 s4, s12, v40
	v_ashrrev_i32_e32 v41, 31, v40
	s_and_b32 s6, s4, s8
	s_and_saveexec_b32 s5, s6
	s_cbranch_execz .LBB262_76
; %bb.72:
	v_cmp_ne_u32_e32 vcc_lo, 1, v91
	s_cbranch_vccnz .LBB262_74
; %bb.73:
	v_lshlrev_b64 v[42:43], 1, v[40:41]
	v_add_co_u32 v42, vcc_lo, v110, v42
	v_add_co_ci_u32_e64 v43, null, v111, v43, vcc_lo
	global_load_ushort v42, v[42:43], off
	s_waitcnt vmcnt(0)
	v_mul_f16_e32 v42, s15, v42
	v_cvt_f32_f16_e32 v42, v42
	s_branch .LBB262_75
.LBB262_74:
	v_mov_b32_e32 v42, 0
.LBB262_75:
	v_pk_add_f16 v43, v8, v28
	v_pk_add_f16 v44, v9, v29
	v_max_f16_e32 v45, v115, v115
	v_lshrrev_b32_e32 v46, 16, v115
	v_max_f32_e32 v42, v42, v42
	v_lshrrev_b32_e32 v47, 16, v43
	v_lshrrev_b32_e32 v112, 16, v44
	v_min_f16_e32 v43, v45, v43
	v_min3_f16 v45, v46, v47, v112
	v_min3_f16 v43, v43, v44, v45
	v_cvt_f32_f16_e32 v43, v43
	v_min_f32_e32 v44, v42, v43
	v_lshlrev_b64 v[42:43], 1, v[40:41]
	v_cvt_f16_f32_e32 v44, v44
	v_add_co_u32 v42, vcc_lo, v107, v42
	v_add_co_ci_u32_e64 v43, null, v109, v43, vcc_lo
	global_store_short v[42:43], v44, off
.LBB262_76:
	s_or_b32 exec_lo, exec_lo, s5
	v_add_nc_u32_e32 v42, 0xa0, v32
	v_cmp_gt_i32_e64 s5, s12, v42
	v_ashrrev_i32_e32 v43, 31, v42
	s_and_b32 s7, s5, s8
	s_and_saveexec_b32 s6, s7
	s_cbranch_execz .LBB262_81
; %bb.77:
	v_cmp_ne_u32_e32 vcc_lo, 1, v91
	s_cbranch_vccnz .LBB262_79
; %bb.78:
	v_lshlrev_b64 v[44:45], 1, v[42:43]
	v_add_co_u32 v44, vcc_lo, v110, v44
	v_add_co_ci_u32_e64 v45, null, v111, v45, vcc_lo
	global_load_ushort v44, v[44:45], off
	s_waitcnt vmcnt(0)
	v_mul_f16_e32 v44, s15, v44
	v_cvt_f32_f16_e32 v44, v44
	s_branch .LBB262_80
.LBB262_79:
	v_mov_b32_e32 v44, 0
.LBB262_80:
	v_pk_add_f16 v45, v10, v28
	v_pk_add_f16 v46, v11, v29
	v_max_f16_e32 v47, v114, v114
	v_lshrrev_b32_e32 v112, 16, v114
	v_max_f32_e32 v44, v44, v44
	v_lshrrev_b32_e32 v113, 16, v45
	v_lshrrev_b32_e32 v114, 16, v46
	v_min_f16_e32 v45, v47, v45
	v_min3_f16 v47, v112, v113, v114
	v_min3_f16 v45, v45, v46, v47
	v_cvt_f32_f16_e32 v45, v45
	v_min_f32_e32 v46, v44, v45
	v_lshlrev_b64 v[44:45], 1, v[42:43]
	v_cvt_f16_f32_e32 v46, v46
	v_add_co_u32 v44, vcc_lo, v107, v44
	v_add_co_ci_u32_e64 v45, null, v109, v45, vcc_lo
	global_store_short v[44:45], v46, off
.LBB262_81:
	s_or_b32 exec_lo, exec_lo, s6
	v_add_nc_u32_e32 v44, 0xc0, v32
	v_cmp_gt_i32_e64 s6, s12, v44
	v_ashrrev_i32_e32 v45, 31, v44
	s_and_b32 s18, s6, s8
	s_and_saveexec_b32 s7, s18
	s_cbranch_execz .LBB262_86
; %bb.82:
	v_cmp_ne_u32_e32 vcc_lo, 1, v91
	s_cbranch_vccnz .LBB262_84
; %bb.83:
	v_lshlrev_b64 v[46:47], 1, v[44:45]
	v_add_co_u32 v46, vcc_lo, v110, v46
	v_add_co_ci_u32_e64 v47, null, v111, v47, vcc_lo
	global_load_ushort v46, v[46:47], off
	s_waitcnt vmcnt(0)
	v_mul_f16_e32 v46, s15, v46
	v_cvt_f32_f16_e32 v46, v46
	s_branch .LBB262_85
.LBB262_84:
	v_mov_b32_e32 v46, 0
.LBB262_85:
	v_pk_add_f16 v47, v0, v28
	v_pk_add_f16 v112, v1, v29
	v_max_f16_e32 v113, v108, v108
	v_lshrrev_b32_e32 v108, 16, v108
	v_max_f32_e32 v46, v46, v46
	v_lshrrev_b32_e32 v114, 16, v47
	v_lshrrev_b32_e32 v115, 16, v112
	v_min_f16_e32 v47, v113, v47
	v_min3_f16 v108, v108, v114, v115
	v_min3_f16 v47, v47, v112, v108
	v_cvt_f32_f16_e32 v47, v47
	v_min_f32_e32 v108, v46, v47
	v_lshlrev_b64 v[46:47], 1, v[44:45]
	v_cvt_f16_f32_e32 v108, v108
	v_add_co_u32 v46, vcc_lo, v107, v46
	v_add_co_ci_u32_e64 v47, null, v109, v47, vcc_lo
	global_store_short v[46:47], v108, off
.LBB262_86:
	s_or_b32 exec_lo, exec_lo, s7
	v_add_nc_u32_e32 v46, 0xe0, v32
	v_cmp_gt_i32_e64 s7, s12, v46
	v_ashrrev_i32_e32 v47, 31, v46
	s_and_b32 s12, s7, s8
	s_and_saveexec_b32 s8, s12
	s_cbranch_execz .LBB262_91
; %bb.87:
	v_cmp_ne_u32_e32 vcc_lo, 1, v91
	s_cbranch_vccnz .LBB262_89
; %bb.88:
	v_lshlrev_b64 v[112:113], 1, v[46:47]
	v_add_co_u32 v110, vcc_lo, v110, v112
	v_add_co_ci_u32_e64 v111, null, v111, v113, vcc_lo
	global_load_ushort v108, v[110:111], off
	s_waitcnt vmcnt(0)
	v_mul_f16_e32 v108, s15, v108
	v_cvt_f32_f16_e32 v108, v108
	s_branch .LBB262_90
.LBB262_89:
	v_mov_b32_e32 v108, 0
.LBB262_90:
	v_pk_add_f16 v28, v2, v28
	v_pk_add_f16 v29, v3, v29
	v_max_f16_e32 v110, v106, v106
	v_lshrrev_b32_e32 v106, 16, v106
	v_lshrrev_b32_e32 v111, 16, v28
	;; [unrolled: 1-line block ×3, first 2 shown]
	v_min_f16_e32 v28, v110, v28
	v_min3_f16 v106, v106, v111, v112
	v_min3_f16 v28, v28, v29, v106
	v_max_f32_e32 v29, v108, v108
	v_cvt_f32_f16_e32 v28, v28
	v_min_f32_e32 v106, v29, v28
	v_lshlrev_b64 v[28:29], 1, v[46:47]
	v_cvt_f16_f32_e32 v106, v106
	v_add_co_u32 v28, vcc_lo, v107, v28
	v_add_co_ci_u32_e64 v29, null, v109, v29, vcc_lo
	global_store_short v[28:29], v106, off
.LBB262_91:
	s_or_b32 exec_lo, exec_lo, s8
	v_add_nc_u32_e32 v108, 8, v103
	v_mad_i64_i32 v[28:29], null, v108, s14, 0
	v_mad_i64_i32 v[106:107], null, v108, s9, 0
	v_cmp_gt_i32_e64 s8, s13, v108
	v_lshlrev_b64 v[28:29], 1, v[28:29]
	s_and_b32 s18, s0, s8
	v_lshlrev_b64 v[108:109], 1, v[106:107]
	v_add_co_u32 v106, vcc_lo, s16, v28
	v_add_co_ci_u32_e64 v107, null, s17, v29, vcc_lo
	v_add_co_u32 v28, vcc_lo, s10, v108
	v_add_co_ci_u32_e64 v29, null, s11, v109, vcc_lo
	s_and_saveexec_b32 s12, s18
	s_cbranch_execnz .LBB262_99
; %bb.92:
	s_or_b32 exec_lo, exec_lo, s12
	s_and_b32 s18, s1, s8
	s_and_saveexec_b32 s12, s18
	s_cbranch_execnz .LBB262_103
.LBB262_93:
	s_or_b32 exec_lo, exec_lo, s12
	s_and_b32 s18, s2, s8
	s_and_saveexec_b32 s12, s18
	s_cbranch_execnz .LBB262_107
.LBB262_94:
	s_or_b32 exec_lo, exec_lo, s12
	s_and_b32 s18, s3, s8
	s_and_saveexec_b32 s12, s18
	s_cbranch_execnz .LBB262_111
.LBB262_95:
	s_or_b32 exec_lo, exec_lo, s12
	s_and_b32 s18, s4, s8
	s_and_saveexec_b32 s12, s18
	s_cbranch_execnz .LBB262_115
.LBB262_96:
	s_or_b32 exec_lo, exec_lo, s12
	s_and_b32 s18, s5, s8
	s_and_saveexec_b32 s12, s18
	s_cbranch_execnz .LBB262_119
.LBB262_97:
	s_or_b32 exec_lo, exec_lo, s12
	s_and_b32 s18, s6, s8
	s_and_saveexec_b32 s12, s18
	s_cbranch_execnz .LBB262_123
.LBB262_98:
	s_or_b32 exec_lo, exec_lo, s12
	s_and_b32 s12, s7, s8
	s_and_saveexec_b32 s8, s12
	s_cbranch_execnz .LBB262_127
	s_branch .LBB262_131
.LBB262_99:
	v_cmp_ne_u32_e32 vcc_lo, 1, v91
	s_cbranch_vccnz .LBB262_101
; %bb.100:
	v_lshlrev_b64 v[108:109], 1, v[32:33]
	v_add_co_u32 v108, vcc_lo, v106, v108
	v_add_co_ci_u32_e64 v109, null, v107, v109, vcc_lo
	global_load_ushort v108, v[108:109], off
	s_waitcnt vmcnt(0)
	v_mul_f16_e32 v108, s15, v108
	v_cvt_f32_f16_e32 v108, v108
	s_branch .LBB262_102
.LBB262_101:
	v_mov_b32_e32 v108, 0
.LBB262_102:
	v_pk_add_f16 v109, v16, v30
	v_pk_add_f16 v110, v17, v31
	v_max_f16_e32 v111, v105, v105
	v_lshrrev_b32_e32 v105, 16, v105
	v_max_f32_e32 v108, v108, v108
	v_lshrrev_b32_e32 v112, 16, v109
	v_lshrrev_b32_e32 v113, 16, v110
	v_min_f16_e32 v109, v111, v109
	v_min3_f16 v105, v105, v112, v113
	v_min3_f16 v105, v109, v110, v105
	v_cvt_f32_f16_e32 v105, v105
	v_min_f32_e32 v105, v108, v105
	v_lshlrev_b64 v[108:109], 1, v[32:33]
	v_cvt_f16_f32_e32 v105, v105
	v_add_co_u32 v108, vcc_lo, v28, v108
	v_add_co_ci_u32_e64 v109, null, v29, v109, vcc_lo
	global_store_short v[108:109], v105, off
	s_or_b32 exec_lo, exec_lo, s12
	s_and_b32 s18, s1, s8
	s_and_saveexec_b32 s12, s18
	s_cbranch_execz .LBB262_93
.LBB262_103:
	v_cmp_ne_u32_e32 vcc_lo, 1, v91
	s_cbranch_vccnz .LBB262_105
; %bb.104:
	v_lshlrev_b64 v[108:109], 1, v[34:35]
	v_add_co_u32 v108, vcc_lo, v106, v108
	v_add_co_ci_u32_e64 v109, null, v107, v109, vcc_lo
	global_load_ushort v105, v[108:109], off
	s_waitcnt vmcnt(0)
	v_mul_f16_e32 v105, s15, v105
	v_cvt_f32_f16_e32 v105, v105
	s_branch .LBB262_106
.LBB262_105:
	v_mov_b32_e32 v105, 0
.LBB262_106:
	v_pk_add_f16 v108, v18, v30
	v_pk_add_f16 v109, v19, v31
	v_max_f16_e32 v110, v104, v104
	v_lshrrev_b32_e32 v104, 16, v104
	v_max_f32_e32 v105, v105, v105
	v_lshrrev_b32_e32 v111, 16, v108
	v_lshrrev_b32_e32 v112, 16, v109
	v_min_f16_e32 v108, v110, v108
	v_min3_f16 v104, v104, v111, v112
	v_min3_f16 v104, v108, v109, v104
	v_cvt_f32_f16_e32 v104, v104
	v_min_f32_e32 v108, v105, v104
	v_lshlrev_b64 v[104:105], 1, v[34:35]
	v_cvt_f16_f32_e32 v108, v108
	v_add_co_u32 v104, vcc_lo, v28, v104
	v_add_co_ci_u32_e64 v105, null, v29, v105, vcc_lo
	global_store_short v[104:105], v108, off
	s_or_b32 exec_lo, exec_lo, s12
	s_and_b32 s18, s2, s8
	s_and_saveexec_b32 s12, s18
	s_cbranch_execz .LBB262_94
.LBB262_107:
	v_cmp_ne_u32_e32 vcc_lo, 1, v91
	s_cbranch_vccnz .LBB262_109
; %bb.108:
	v_lshlrev_b64 v[104:105], 1, v[36:37]
	v_add_co_u32 v104, vcc_lo, v106, v104
	v_add_co_ci_u32_e64 v105, null, v107, v105, vcc_lo
	global_load_ushort v104, v[104:105], off
	s_waitcnt vmcnt(0)
	v_mul_f16_e32 v104, s15, v104
	v_cvt_f32_f16_e32 v104, v104
	s_branch .LBB262_110
.LBB262_109:
	v_mov_b32_e32 v104, 0
.LBB262_110:
	v_pk_add_f16 v105, v12, v30
	v_pk_add_f16 v108, v13, v31
	v_max_f16_e32 v109, v102, v102
	v_lshrrev_b32_e32 v102, 16, v102
	v_max_f32_e32 v104, v104, v104
	v_lshrrev_b32_e32 v110, 16, v105
	v_lshrrev_b32_e32 v111, 16, v108
	v_min_f16_e32 v105, v109, v105
	v_min3_f16 v102, v102, v110, v111
	v_min3_f16 v102, v105, v108, v102
	v_cvt_f32_f16_e32 v102, v102
	v_min_f32_e32 v102, v104, v102
	v_lshlrev_b64 v[104:105], 1, v[36:37]
	v_cvt_f16_f32_e32 v102, v102
	v_add_co_u32 v104, vcc_lo, v28, v104
	v_add_co_ci_u32_e64 v105, null, v29, v105, vcc_lo
	global_store_short v[104:105], v102, off
	s_or_b32 exec_lo, exec_lo, s12
	s_and_b32 s18, s3, s8
	s_and_saveexec_b32 s12, s18
	s_cbranch_execz .LBB262_95
.LBB262_111:
	v_cmp_ne_u32_e32 vcc_lo, 1, v91
	s_cbranch_vccnz .LBB262_113
; %bb.112:
	v_lshlrev_b64 v[104:105], 1, v[38:39]
	v_add_co_u32 v104, vcc_lo, v106, v104
	v_add_co_ci_u32_e64 v105, null, v107, v105, vcc_lo
	global_load_ushort v102, v[104:105], off
	s_waitcnt vmcnt(0)
	v_mul_f16_e32 v102, s15, v102
	v_cvt_f32_f16_e32 v102, v102
	s_branch .LBB262_114
.LBB262_113:
	v_mov_b32_e32 v102, 0
.LBB262_114:
	v_pk_add_f16 v104, v14, v30
	v_pk_add_f16 v105, v15, v31
	v_max_f16_e32 v108, v101, v101
	v_lshrrev_b32_e32 v101, 16, v101
	v_max_f32_e32 v102, v102, v102
	v_lshrrev_b32_e32 v109, 16, v104
	v_lshrrev_b32_e32 v110, 16, v105
	v_min_f16_e32 v104, v108, v104
	v_min3_f16 v101, v101, v109, v110
	v_min3_f16 v101, v104, v105, v101
	v_cvt_f32_f16_e32 v101, v101
	v_min_f32_e32 v104, v102, v101
	v_lshlrev_b64 v[101:102], 1, v[38:39]
	v_cvt_f16_f32_e32 v104, v104
	v_add_co_u32 v101, vcc_lo, v28, v101
	v_add_co_ci_u32_e64 v102, null, v29, v102, vcc_lo
	global_store_short v[101:102], v104, off
	s_or_b32 exec_lo, exec_lo, s12
	s_and_b32 s18, s4, s8
	s_and_saveexec_b32 s12, s18
	s_cbranch_execz .LBB262_96
.LBB262_115:
	v_cmp_ne_u32_e32 vcc_lo, 1, v91
	s_cbranch_vccnz .LBB262_117
; %bb.116:
	v_lshlrev_b64 v[101:102], 1, v[40:41]
	v_add_co_u32 v101, vcc_lo, v106, v101
	v_add_co_ci_u32_e64 v102, null, v107, v102, vcc_lo
	global_load_ushort v101, v[101:102], off
	s_waitcnt vmcnt(0)
	v_mul_f16_e32 v101, s15, v101
	v_cvt_f32_f16_e32 v101, v101
	s_branch .LBB262_118
.LBB262_117:
	v_mov_b32_e32 v101, 0
.LBB262_118:
	v_pk_add_f16 v102, v8, v30
	v_pk_add_f16 v104, v9, v31
	v_max_f16_e32 v105, v100, v100
	v_lshrrev_b32_e32 v100, 16, v100
	v_max_f32_e32 v101, v101, v101
	v_lshrrev_b32_e32 v108, 16, v102
	v_lshrrev_b32_e32 v109, 16, v104
	v_min_f16_e32 v102, v105, v102
	v_min3_f16 v100, v100, v108, v109
	v_min3_f16 v100, v102, v104, v100
	v_cvt_f32_f16_e32 v100, v100
	v_min_f32_e32 v102, v101, v100
	v_lshlrev_b64 v[100:101], 1, v[40:41]
	v_cvt_f16_f32_e32 v102, v102
	v_add_co_u32 v100, vcc_lo, v28, v100
	v_add_co_ci_u32_e64 v101, null, v29, v101, vcc_lo
	global_store_short v[100:101], v102, off
	s_or_b32 exec_lo, exec_lo, s12
	s_and_b32 s18, s5, s8
	s_and_saveexec_b32 s12, s18
	s_cbranch_execz .LBB262_97
.LBB262_119:
	v_cmp_ne_u32_e32 vcc_lo, 1, v91
	s_cbranch_vccnz .LBB262_121
; %bb.120:
	v_lshlrev_b64 v[100:101], 1, v[42:43]
	v_add_co_u32 v100, vcc_lo, v106, v100
	v_add_co_ci_u32_e64 v101, null, v107, v101, vcc_lo
	global_load_ushort v100, v[100:101], off
	s_waitcnt vmcnt(0)
	v_mul_f16_e32 v100, s15, v100
	v_cvt_f32_f16_e32 v100, v100
	s_branch .LBB262_122
.LBB262_121:
	v_mov_b32_e32 v100, 0
.LBB262_122:
	v_pk_add_f16 v101, v10, v30
	v_pk_add_f16 v102, v11, v31
	v_max_f16_e32 v104, v99, v99
	v_lshrrev_b32_e32 v99, 16, v99
	v_max_f32_e32 v100, v100, v100
	v_lshrrev_b32_e32 v105, 16, v101
	v_lshrrev_b32_e32 v108, 16, v102
	v_min_f16_e32 v101, v104, v101
	v_min3_f16 v99, v99, v105, v108
	v_min3_f16 v99, v101, v102, v99
	v_cvt_f32_f16_e32 v99, v99
	v_min_f32_e32 v101, v100, v99
	v_lshlrev_b64 v[99:100], 1, v[42:43]
	v_cvt_f16_f32_e32 v101, v101
	v_add_co_u32 v99, vcc_lo, v28, v99
	v_add_co_ci_u32_e64 v100, null, v29, v100, vcc_lo
	global_store_short v[99:100], v101, off
	s_or_b32 exec_lo, exec_lo, s12
	s_and_b32 s18, s6, s8
	s_and_saveexec_b32 s12, s18
	s_cbranch_execz .LBB262_98
.LBB262_123:
	v_cmp_ne_u32_e32 vcc_lo, 1, v91
	s_cbranch_vccnz .LBB262_125
; %bb.124:
	v_lshlrev_b64 v[99:100], 1, v[44:45]
	v_add_co_u32 v99, vcc_lo, v106, v99
	v_add_co_ci_u32_e64 v100, null, v107, v100, vcc_lo
	global_load_ushort v99, v[99:100], off
	s_waitcnt vmcnt(0)
	v_mul_f16_e32 v99, s15, v99
	v_cvt_f32_f16_e32 v99, v99
	s_branch .LBB262_126
.LBB262_125:
	v_mov_b32_e32 v99, 0
.LBB262_126:
	v_pk_add_f16 v100, v0, v30
	v_pk_add_f16 v101, v1, v31
	v_max_f16_e32 v102, v98, v98
	v_lshrrev_b32_e32 v98, 16, v98
	v_max_f32_e32 v99, v99, v99
	v_lshrrev_b32_e32 v104, 16, v100
	v_lshrrev_b32_e32 v105, 16, v101
	v_min_f16_e32 v100, v102, v100
	v_min3_f16 v98, v98, v104, v105
	v_min3_f16 v98, v100, v101, v98
	v_cvt_f32_f16_e32 v98, v98
	v_min_f32_e32 v100, v99, v98
	v_lshlrev_b64 v[98:99], 1, v[44:45]
	v_cvt_f16_f32_e32 v100, v100
	v_add_co_u32 v98, vcc_lo, v28, v98
	v_add_co_ci_u32_e64 v99, null, v29, v99, vcc_lo
	global_store_short v[98:99], v100, off
	s_or_b32 exec_lo, exec_lo, s12
	s_and_b32 s12, s7, s8
	s_and_saveexec_b32 s8, s12
	s_cbranch_execz .LBB262_131
.LBB262_127:
	v_cmp_ne_u32_e32 vcc_lo, 1, v91
	s_cbranch_vccnz .LBB262_129
; %bb.128:
	v_lshlrev_b64 v[98:99], 1, v[46:47]
	v_add_co_u32 v98, vcc_lo, v106, v98
	v_add_co_ci_u32_e64 v99, null, v107, v99, vcc_lo
	global_load_ushort v98, v[98:99], off
	s_waitcnt vmcnt(0)
	v_mul_f16_e32 v98, s15, v98
	v_cvt_f32_f16_e32 v98, v98
	s_branch .LBB262_130
.LBB262_129:
	v_mov_b32_e32 v98, 0
.LBB262_130:
	v_pk_add_f16 v30, v2, v30
	v_pk_add_f16 v31, v3, v31
	v_max_f16_e32 v99, v97, v97
	v_lshrrev_b32_e32 v97, 16, v97
	v_lshrrev_b32_e32 v100, 16, v30
	;; [unrolled: 1-line block ×3, first 2 shown]
	v_min_f16_e32 v30, v99, v30
	v_min3_f16 v97, v97, v100, v101
	v_min3_f16 v30, v30, v31, v97
	v_max_f32_e32 v31, v98, v98
	v_cvt_f32_f16_e32 v30, v30
	v_min_f32_e32 v97, v31, v30
	v_lshlrev_b64 v[30:31], 1, v[46:47]
	v_cvt_f16_f32_e32 v97, v97
	v_add_co_u32 v28, vcc_lo, v28, v30
	v_add_co_ci_u32_e64 v29, null, v29, v31, vcc_lo
	global_store_short v[28:29], v97, off
.LBB262_131:
	s_or_b32 exec_lo, exec_lo, s8
	v_add_nc_u32_e32 v97, 16, v103
	v_mad_i64_i32 v[28:29], null, v97, s14, 0
	v_mad_i64_i32 v[30:31], null, v97, s9, 0
	v_cmp_gt_i32_e64 s8, s13, v97
	v_lshlrev_b64 v[28:29], 1, v[28:29]
	s_and_b32 s18, s0, s8
	v_lshlrev_b64 v[97:98], 1, v[30:31]
	v_add_co_u32 v30, vcc_lo, s16, v28
	v_add_co_ci_u32_e64 v31, null, s17, v29, vcc_lo
	v_add_co_u32 v28, vcc_lo, s10, v97
	v_add_co_ci_u32_e64 v29, null, s11, v98, vcc_lo
	s_and_saveexec_b32 s12, s18
	s_cbranch_execnz .LBB262_139
; %bb.132:
	s_or_b32 exec_lo, exec_lo, s12
	s_and_b32 s18, s1, s8
	s_and_saveexec_b32 s12, s18
	s_cbranch_execnz .LBB262_143
.LBB262_133:
	s_or_b32 exec_lo, exec_lo, s12
	s_and_b32 s18, s2, s8
	s_and_saveexec_b32 s12, s18
	s_cbranch_execnz .LBB262_147
.LBB262_134:
	s_or_b32 exec_lo, exec_lo, s12
	s_and_b32 s18, s3, s8
	s_and_saveexec_b32 s12, s18
	s_cbranch_execnz .LBB262_151
.LBB262_135:
	s_or_b32 exec_lo, exec_lo, s12
	s_and_b32 s18, s4, s8
	s_and_saveexec_b32 s12, s18
	s_cbranch_execnz .LBB262_155
.LBB262_136:
	s_or_b32 exec_lo, exec_lo, s12
	s_and_b32 s18, s5, s8
	s_and_saveexec_b32 s12, s18
	s_cbranch_execnz .LBB262_159
.LBB262_137:
	s_or_b32 exec_lo, exec_lo, s12
	s_and_b32 s18, s6, s8
	s_and_saveexec_b32 s12, s18
	s_cbranch_execnz .LBB262_163
.LBB262_138:
	s_or_b32 exec_lo, exec_lo, s12
	s_and_b32 s12, s7, s8
	s_and_saveexec_b32 s8, s12
	s_cbranch_execnz .LBB262_167
	s_branch .LBB262_171
.LBB262_139:
	v_cmp_ne_u32_e32 vcc_lo, 1, v91
	s_cbranch_vccnz .LBB262_141
; %bb.140:
	v_lshlrev_b64 v[97:98], 1, v[32:33]
	v_add_co_u32 v97, vcc_lo, v30, v97
	v_add_co_ci_u32_e64 v98, null, v31, v98, vcc_lo
	global_load_ushort v97, v[97:98], off
	s_waitcnt vmcnt(0)
	v_mul_f16_e32 v97, s15, v97
	v_cvt_f32_f16_e32 v97, v97
	s_branch .LBB262_142
.LBB262_141:
	v_mov_b32_e32 v97, 0
.LBB262_142:
	v_pk_add_f16 v98, v16, v24
	v_pk_add_f16 v99, v17, v25
	v_max_f16_e32 v100, v94, v94
	v_lshrrev_b32_e32 v94, 16, v94
	v_max_f32_e32 v97, v97, v97
	v_lshrrev_b32_e32 v101, 16, v98
	v_lshrrev_b32_e32 v102, 16, v99
	v_min_f16_e32 v98, v100, v98
	v_min3_f16 v94, v94, v101, v102
	v_min3_f16 v94, v98, v99, v94
	v_cvt_f32_f16_e32 v94, v94
	v_min_f32_e32 v94, v97, v94
	v_lshlrev_b64 v[97:98], 1, v[32:33]
	v_cvt_f16_f32_e32 v94, v94
	v_add_co_u32 v97, vcc_lo, v28, v97
	v_add_co_ci_u32_e64 v98, null, v29, v98, vcc_lo
	global_store_short v[97:98], v94, off
	s_or_b32 exec_lo, exec_lo, s12
	s_and_b32 s18, s1, s8
	s_and_saveexec_b32 s12, s18
	s_cbranch_execz .LBB262_133
.LBB262_143:
	v_cmp_ne_u32_e32 vcc_lo, 1, v91
	s_cbranch_vccnz .LBB262_145
; %bb.144:
	v_lshlrev_b64 v[97:98], 1, v[34:35]
	v_add_co_u32 v97, vcc_lo, v30, v97
	v_add_co_ci_u32_e64 v98, null, v31, v98, vcc_lo
	global_load_ushort v94, v[97:98], off
	s_waitcnt vmcnt(0)
	v_mul_f16_e32 v94, s15, v94
	v_cvt_f32_f16_e32 v94, v94
	s_branch .LBB262_146
.LBB262_145:
	v_mov_b32_e32 v94, 0
.LBB262_146:
	v_pk_add_f16 v97, v18, v24
	v_pk_add_f16 v98, v19, v25
	v_max_f16_e32 v99, v93, v93
	v_lshrrev_b32_e32 v93, 16, v93
	v_max_f32_e32 v94, v94, v94
	v_lshrrev_b32_e32 v100, 16, v97
	v_lshrrev_b32_e32 v101, 16, v98
	v_min_f16_e32 v97, v99, v97
	v_min3_f16 v93, v93, v100, v101
	v_min3_f16 v93, v97, v98, v93
	v_cvt_f32_f16_e32 v93, v93
	v_min_f32_e32 v97, v94, v93
	v_lshlrev_b64 v[93:94], 1, v[34:35]
	v_cvt_f16_f32_e32 v97, v97
	v_add_co_u32 v93, vcc_lo, v28, v93
	v_add_co_ci_u32_e64 v94, null, v29, v94, vcc_lo
	global_store_short v[93:94], v97, off
	s_or_b32 exec_lo, exec_lo, s12
	s_and_b32 s18, s2, s8
	s_and_saveexec_b32 s12, s18
	s_cbranch_execz .LBB262_134
.LBB262_147:
	v_cmp_ne_u32_e32 vcc_lo, 1, v91
	s_cbranch_vccnz .LBB262_149
; %bb.148:
	v_lshlrev_b64 v[93:94], 1, v[36:37]
	v_add_co_u32 v93, vcc_lo, v30, v93
	v_add_co_ci_u32_e64 v94, null, v31, v94, vcc_lo
	global_load_ushort v93, v[93:94], off
	s_waitcnt vmcnt(0)
	v_mul_f16_e32 v93, s15, v93
	v_cvt_f32_f16_e32 v93, v93
	s_branch .LBB262_150
.LBB262_149:
	v_mov_b32_e32 v93, 0
.LBB262_150:
	v_pk_add_f16 v94, v12, v24
	v_pk_add_f16 v97, v13, v25
	v_max_f16_e32 v98, v90, v90
	v_lshrrev_b32_e32 v90, 16, v90
	v_max_f32_e32 v93, v93, v93
	v_lshrrev_b32_e32 v99, 16, v94
	v_lshrrev_b32_e32 v100, 16, v97
	v_min_f16_e32 v94, v98, v94
	v_min3_f16 v90, v90, v99, v100
	v_min3_f16 v90, v94, v97, v90
	v_cvt_f32_f16_e32 v90, v90
	v_min_f32_e32 v90, v93, v90
	v_lshlrev_b64 v[93:94], 1, v[36:37]
	v_cvt_f16_f32_e32 v90, v90
	v_add_co_u32 v93, vcc_lo, v28, v93
	v_add_co_ci_u32_e64 v94, null, v29, v94, vcc_lo
	global_store_short v[93:94], v90, off
	s_or_b32 exec_lo, exec_lo, s12
	s_and_b32 s18, s3, s8
	s_and_saveexec_b32 s12, s18
	s_cbranch_execz .LBB262_135
.LBB262_151:
	v_cmp_ne_u32_e32 vcc_lo, 1, v91
	s_cbranch_vccnz .LBB262_153
; %bb.152:
	v_lshlrev_b64 v[93:94], 1, v[38:39]
	v_add_co_u32 v93, vcc_lo, v30, v93
	v_add_co_ci_u32_e64 v94, null, v31, v94, vcc_lo
	global_load_ushort v90, v[93:94], off
	s_waitcnt vmcnt(0)
	v_mul_f16_e32 v90, s15, v90
	v_cvt_f32_f16_e32 v90, v90
	s_branch .LBB262_154
.LBB262_153:
	v_mov_b32_e32 v90, 0
.LBB262_154:
	v_pk_add_f16 v93, v14, v24
	v_pk_add_f16 v94, v15, v25
	v_max_f16_e32 v97, v88, v88
	v_lshrrev_b32_e32 v88, 16, v88
	v_max_f32_e32 v90, v90, v90
	v_lshrrev_b32_e32 v98, 16, v93
	v_lshrrev_b32_e32 v99, 16, v94
	v_min_f16_e32 v93, v97, v93
	v_min3_f16 v88, v88, v98, v99
	v_min3_f16 v88, v93, v94, v88
	v_lshlrev_b64 v[93:94], 1, v[38:39]
	v_cvt_f32_f16_e32 v88, v88
	v_add_co_u32 v93, vcc_lo, v28, v93
	v_add_co_ci_u32_e64 v94, null, v29, v94, vcc_lo
	v_min_f32_e32 v88, v90, v88
	v_cvt_f16_f32_e32 v88, v88
	global_store_short v[93:94], v88, off
	s_or_b32 exec_lo, exec_lo, s12
	s_and_b32 s18, s4, s8
	s_and_saveexec_b32 s12, s18
	s_cbranch_execz .LBB262_136
.LBB262_155:
	v_cmp_ne_u32_e32 vcc_lo, 1, v91
	s_cbranch_vccnz .LBB262_157
; %bb.156:
	v_lshlrev_b64 v[93:94], 1, v[40:41]
	v_add_co_u32 v93, vcc_lo, v30, v93
	v_add_co_ci_u32_e64 v94, null, v31, v94, vcc_lo
	global_load_ushort v88, v[93:94], off
	s_waitcnt vmcnt(0)
	v_mul_f16_e32 v88, s15, v88
	v_cvt_f32_f16_e32 v88, v88
	s_branch .LBB262_158
.LBB262_157:
	v_mov_b32_e32 v88, 0
.LBB262_158:
	v_pk_add_f16 v90, v8, v24
	v_pk_add_f16 v93, v9, v25
	v_max_f16_e32 v94, v85, v85
	v_lshrrev_b32_e32 v85, 16, v85
	v_max_f32_e32 v88, v88, v88
	v_lshrrev_b32_e32 v97, 16, v90
	v_lshrrev_b32_e32 v98, 16, v93
	v_min_f16_e32 v90, v94, v90
	v_min3_f16 v85, v85, v97, v98
	v_min3_f16 v85, v90, v93, v85
	v_lshlrev_b64 v[93:94], 1, v[40:41]
	v_cvt_f32_f16_e32 v85, v85
	v_add_co_u32 v93, vcc_lo, v28, v93
	v_add_co_ci_u32_e64 v94, null, v29, v94, vcc_lo
	v_min_f32_e32 v85, v88, v85
	v_cvt_f16_f32_e32 v85, v85
	global_store_short v[93:94], v85, off
	s_or_b32 exec_lo, exec_lo, s12
	s_and_b32 s18, s5, s8
	s_and_saveexec_b32 s12, s18
	s_cbranch_execz .LBB262_137
.LBB262_159:
	v_cmp_ne_u32_e32 vcc_lo, 1, v91
	s_cbranch_vccnz .LBB262_161
; %bb.160:
	v_lshlrev_b64 v[93:94], 1, v[42:43]
	v_add_co_u32 v93, vcc_lo, v30, v93
	v_add_co_ci_u32_e64 v94, null, v31, v94, vcc_lo
	global_load_ushort v85, v[93:94], off
	s_waitcnt vmcnt(0)
	v_mul_f16_e32 v85, s15, v85
	v_cvt_f32_f16_e32 v85, v85
	s_branch .LBB262_162
.LBB262_161:
	v_mov_b32_e32 v85, 0
.LBB262_162:
	v_pk_add_f16 v88, v10, v24
	v_pk_add_f16 v90, v11, v25
	v_max_f16_e32 v93, v86, v86
	v_lshrrev_b32_e32 v86, 16, v86
	v_max_f32_e32 v85, v85, v85
	v_lshrrev_b32_e32 v94, 16, v88
	v_lshrrev_b32_e32 v97, 16, v90
	v_min_f16_e32 v88, v93, v88
	v_min3_f16 v86, v86, v94, v97
	v_min3_f16 v86, v88, v90, v86
	v_cvt_f32_f16_e32 v86, v86
	v_min_f32_e32 v88, v85, v86
	v_lshlrev_b64 v[85:86], 1, v[42:43]
	v_cvt_f16_f32_e32 v88, v88
	v_add_co_u32 v85, vcc_lo, v28, v85
	v_add_co_ci_u32_e64 v86, null, v29, v86, vcc_lo
	global_store_short v[85:86], v88, off
	s_or_b32 exec_lo, exec_lo, s12
	s_and_b32 s18, s6, s8
	s_and_saveexec_b32 s12, s18
	s_cbranch_execz .LBB262_138
.LBB262_163:
	v_cmp_ne_u32_e32 vcc_lo, 1, v91
	s_cbranch_vccnz .LBB262_165
; %bb.164:
	v_lshlrev_b64 v[85:86], 1, v[44:45]
	v_add_co_u32 v85, vcc_lo, v30, v85
	v_add_co_ci_u32_e64 v86, null, v31, v86, vcc_lo
	global_load_ushort v85, v[85:86], off
	s_waitcnt vmcnt(0)
	v_mul_f16_e32 v85, s15, v85
	v_cvt_f32_f16_e32 v85, v85
	s_branch .LBB262_166
.LBB262_165:
	v_mov_b32_e32 v85, 0
.LBB262_166:
	v_pk_add_f16 v86, v0, v24
	v_pk_add_f16 v88, v1, v25
	v_max_f16_e32 v90, v96, v96
	v_lshrrev_b32_e32 v93, 16, v96
	v_max_f32_e32 v85, v85, v85
	v_lshrrev_b32_e32 v94, 16, v86
	v_lshrrev_b32_e32 v96, 16, v88
	v_min_f16_e32 v86, v90, v86
	v_min3_f16 v90, v93, v94, v96
	v_min3_f16 v86, v86, v88, v90
	v_cvt_f32_f16_e32 v86, v86
	v_min_f32_e32 v88, v85, v86
	v_lshlrev_b64 v[85:86], 1, v[44:45]
	v_cvt_f16_f32_e32 v88, v88
	v_add_co_u32 v85, vcc_lo, v28, v85
	v_add_co_ci_u32_e64 v86, null, v29, v86, vcc_lo
	global_store_short v[85:86], v88, off
	s_or_b32 exec_lo, exec_lo, s12
	s_and_b32 s12, s7, s8
	s_and_saveexec_b32 s8, s12
	s_cbranch_execz .LBB262_171
.LBB262_167:
	v_cmp_ne_u32_e32 vcc_lo, 1, v91
	s_cbranch_vccnz .LBB262_169
; %bb.168:
	v_lshlrev_b64 v[85:86], 1, v[46:47]
	v_add_co_u32 v30, vcc_lo, v30, v85
	v_add_co_ci_u32_e64 v31, null, v31, v86, vcc_lo
	global_load_ushort v30, v[30:31], off
	s_waitcnt vmcnt(0)
	v_mul_f16_e32 v30, s15, v30
	v_cvt_f32_f16_e32 v30, v30
	s_branch .LBB262_170
.LBB262_169:
	v_mov_b32_e32 v30, 0
.LBB262_170:
	v_pk_add_f16 v24, v2, v24
	v_pk_add_f16 v25, v3, v25
	v_max_f16_e32 v31, v95, v95
	v_lshrrev_b32_e32 v85, 16, v95
	v_lshrrev_b32_e32 v86, 16, v24
	;; [unrolled: 1-line block ×3, first 2 shown]
	v_min_f16_e32 v24, v31, v24
	v_min3_f16 v31, v85, v86, v88
	v_min3_f16 v24, v24, v25, v31
	v_max_f32_e32 v25, v30, v30
	v_cvt_f32_f16_e32 v24, v24
	v_min_f32_e32 v30, v25, v24
	v_lshlrev_b64 v[24:25], 1, v[46:47]
	v_cvt_f16_f32_e32 v30, v30
	v_add_co_u32 v24, vcc_lo, v28, v24
	v_add_co_ci_u32_e64 v25, null, v29, v25, vcc_lo
	global_store_short v[24:25], v30, off
.LBB262_171:
	s_or_b32 exec_lo, exec_lo, s8
	v_add_nc_u32_e32 v30, 24, v103
	v_mad_i64_i32 v[24:25], null, v30, s14, 0
	v_mad_i64_i32 v[28:29], null, v30, s9, 0
	v_cmp_gt_i32_e64 s8, s13, v30
	v_lshlrev_b64 v[24:25], 1, v[24:25]
	s_and_b32 s18, s0, s8
	v_lshlrev_b64 v[30:31], 1, v[28:29]
	v_add_co_u32 v28, vcc_lo, s16, v24
	v_add_co_ci_u32_e64 v29, null, s17, v25, vcc_lo
	v_add_co_u32 v24, vcc_lo, s10, v30
	v_add_co_ci_u32_e64 v25, null, s11, v31, vcc_lo
	s_and_saveexec_b32 s12, s18
	s_cbranch_execnz .LBB262_179
; %bb.172:
	s_or_b32 exec_lo, exec_lo, s12
	s_and_b32 s18, s1, s8
	s_and_saveexec_b32 s12, s18
	s_cbranch_execnz .LBB262_183
.LBB262_173:
	s_or_b32 exec_lo, exec_lo, s12
	s_and_b32 s18, s2, s8
	s_and_saveexec_b32 s12, s18
	s_cbranch_execnz .LBB262_187
.LBB262_174:
	s_or_b32 exec_lo, exec_lo, s12
	s_and_b32 s18, s3, s8
	s_and_saveexec_b32 s12, s18
	s_cbranch_execnz .LBB262_191
.LBB262_175:
	s_or_b32 exec_lo, exec_lo, s12
	s_and_b32 s18, s4, s8
	s_and_saveexec_b32 s12, s18
	s_cbranch_execnz .LBB262_195
.LBB262_176:
	s_or_b32 exec_lo, exec_lo, s12
	s_and_b32 s18, s5, s8
	s_and_saveexec_b32 s12, s18
	s_cbranch_execnz .LBB262_199
.LBB262_177:
	s_or_b32 exec_lo, exec_lo, s12
	s_and_b32 s18, s6, s8
	s_and_saveexec_b32 s12, s18
	s_cbranch_execnz .LBB262_203
.LBB262_178:
	s_or_b32 exec_lo, exec_lo, s12
	s_and_b32 s12, s7, s8
	s_and_saveexec_b32 s8, s12
	s_cbranch_execnz .LBB262_207
	s_branch .LBB262_211
.LBB262_179:
	v_cmp_ne_u32_e32 vcc_lo, 1, v91
	s_cbranch_vccnz .LBB262_181
; %bb.180:
	v_lshlrev_b64 v[30:31], 1, v[32:33]
	v_add_co_u32 v30, vcc_lo, v28, v30
	v_add_co_ci_u32_e64 v31, null, v29, v31, vcc_lo
	global_load_ushort v30, v[30:31], off
	s_waitcnt vmcnt(0)
	v_mul_f16_e32 v30, s15, v30
	v_cvt_f32_f16_e32 v30, v30
	s_branch .LBB262_182
.LBB262_181:
	v_mov_b32_e32 v30, 0
.LBB262_182:
	v_pk_add_f16 v31, v16, v26
	v_pk_add_f16 v85, v17, v27
	v_max_f16_e32 v86, v92, v92
	v_lshrrev_b32_e32 v88, 16, v92
	v_max_f32_e32 v30, v30, v30
	v_lshrrev_b32_e32 v90, 16, v31
	v_lshrrev_b32_e32 v92, 16, v85
	v_min_f16_e32 v31, v86, v31
	v_min3_f16 v86, v88, v90, v92
	v_min3_f16 v31, v31, v85, v86
	v_cvt_f32_f16_e32 v31, v31
	v_min_f32_e32 v85, v30, v31
	v_lshlrev_b64 v[30:31], 1, v[32:33]
	v_cvt_f16_f32_e32 v85, v85
	v_add_co_u32 v30, vcc_lo, v24, v30
	v_add_co_ci_u32_e64 v31, null, v25, v31, vcc_lo
	global_store_short v[30:31], v85, off
	s_or_b32 exec_lo, exec_lo, s12
	s_and_b32 s18, s1, s8
	s_and_saveexec_b32 s12, s18
	s_cbranch_execz .LBB262_173
.LBB262_183:
	v_cmp_ne_u32_e32 vcc_lo, 1, v91
	s_cbranch_vccnz .LBB262_185
; %bb.184:
	v_lshlrev_b64 v[30:31], 1, v[34:35]
	v_add_co_u32 v30, vcc_lo, v28, v30
	v_add_co_ci_u32_e64 v31, null, v29, v31, vcc_lo
	global_load_ushort v30, v[30:31], off
	s_waitcnt vmcnt(0)
	v_mul_f16_e32 v30, s15, v30
	v_cvt_f32_f16_e32 v30, v30
	s_branch .LBB262_186
.LBB262_185:
	v_mov_b32_e32 v30, 0
.LBB262_186:
	v_pk_add_f16 v31, v18, v26
	v_pk_add_f16 v85, v19, v27
	v_max_f16_e32 v86, v89, v89
	v_lshrrev_b32_e32 v88, 16, v89
	v_max_f32_e32 v30, v30, v30
	v_lshrrev_b32_e32 v89, 16, v31
	v_lshrrev_b32_e32 v90, 16, v85
	v_min_f16_e32 v31, v86, v31
	v_min3_f16 v86, v88, v89, v90
	v_min3_f16 v31, v31, v85, v86
	v_cvt_f32_f16_e32 v31, v31
	v_min_f32_e32 v85, v30, v31
	v_lshlrev_b64 v[30:31], 1, v[34:35]
	v_cvt_f16_f32_e32 v85, v85
	v_add_co_u32 v30, vcc_lo, v24, v30
	v_add_co_ci_u32_e64 v31, null, v25, v31, vcc_lo
	global_store_short v[30:31], v85, off
	s_or_b32 exec_lo, exec_lo, s12
	s_and_b32 s18, s2, s8
	s_and_saveexec_b32 s12, s18
	s_cbranch_execz .LBB262_174
.LBB262_187:
	v_cmp_ne_u32_e32 vcc_lo, 1, v91
	s_cbranch_vccnz .LBB262_189
; %bb.188:
	v_lshlrev_b64 v[30:31], 1, v[36:37]
	v_add_co_u32 v30, vcc_lo, v28, v30
	v_add_co_ci_u32_e64 v31, null, v29, v31, vcc_lo
	global_load_ushort v30, v[30:31], off
	s_waitcnt vmcnt(0)
	v_mul_f16_e32 v30, s15, v30
	v_cvt_f32_f16_e32 v30, v30
	s_branch .LBB262_190
.LBB262_189:
	v_mov_b32_e32 v30, 0
.LBB262_190:
	v_pk_add_f16 v31, v12, v26
	v_pk_add_f16 v85, v13, v27
	v_max_f16_e32 v86, v87, v87
	v_lshrrev_b32_e32 v87, 16, v87
	v_max_f32_e32 v30, v30, v30
	v_lshrrev_b32_e32 v88, 16, v31
	v_lshrrev_b32_e32 v89, 16, v85
	v_min_f16_e32 v31, v86, v31
	v_min3_f16 v86, v87, v88, v89
	v_min3_f16 v31, v31, v85, v86
	v_cvt_f32_f16_e32 v31, v31
	v_min_f32_e32 v85, v30, v31
	v_lshlrev_b64 v[30:31], 1, v[36:37]
	v_cvt_f16_f32_e32 v85, v85
	v_add_co_u32 v30, vcc_lo, v24, v30
	v_add_co_ci_u32_e64 v31, null, v25, v31, vcc_lo
	global_store_short v[30:31], v85, off
	s_or_b32 exec_lo, exec_lo, s12
	s_and_b32 s18, s3, s8
	s_and_saveexec_b32 s12, s18
	s_cbranch_execz .LBB262_175
.LBB262_191:
	v_cmp_ne_u32_e32 vcc_lo, 1, v91
	s_cbranch_vccnz .LBB262_193
; %bb.192:
	v_lshlrev_b64 v[30:31], 1, v[38:39]
	v_add_co_u32 v30, vcc_lo, v28, v30
	v_add_co_ci_u32_e64 v31, null, v29, v31, vcc_lo
	global_load_ushort v30, v[30:31], off
	s_waitcnt vmcnt(0)
	v_mul_f16_e32 v30, s15, v30
	v_cvt_f32_f16_e32 v30, v30
	s_branch .LBB262_194
.LBB262_193:
	v_mov_b32_e32 v30, 0
.LBB262_194:
	v_pk_add_f16 v31, v14, v26
	v_pk_add_f16 v85, v15, v27
	v_max_f16_e32 v86, v84, v84
	v_lshrrev_b32_e32 v84, 16, v84
	v_max_f32_e32 v30, v30, v30
	v_lshrrev_b32_e32 v87, 16, v31
	v_lshrrev_b32_e32 v88, 16, v85
	v_min_f16_e32 v31, v86, v31
	v_min3_f16 v84, v84, v87, v88
	v_min3_f16 v31, v31, v85, v84
	v_cvt_f32_f16_e32 v31, v31
	v_min_f32_e32 v84, v30, v31
	v_lshlrev_b64 v[30:31], 1, v[38:39]
	v_cvt_f16_f32_e32 v84, v84
	v_add_co_u32 v30, vcc_lo, v24, v30
	v_add_co_ci_u32_e64 v31, null, v25, v31, vcc_lo
	global_store_short v[30:31], v84, off
	s_or_b32 exec_lo, exec_lo, s12
	s_and_b32 s18, s4, s8
	s_and_saveexec_b32 s12, s18
	s_cbranch_execz .LBB262_176
.LBB262_195:
	v_cmp_ne_u32_e32 vcc_lo, 1, v91
	s_cbranch_vccnz .LBB262_197
; %bb.196:
	v_lshlrev_b64 v[30:31], 1, v[40:41]
	v_add_co_u32 v30, vcc_lo, v28, v30
	v_add_co_ci_u32_e64 v31, null, v29, v31, vcc_lo
	global_load_ushort v30, v[30:31], off
	s_waitcnt vmcnt(0)
	v_mul_f16_e32 v30, s15, v30
	v_cvt_f32_f16_e32 v30, v30
	s_branch .LBB262_198
.LBB262_197:
	v_mov_b32_e32 v30, 0
.LBB262_198:
	v_pk_add_f16 v31, v8, v26
	v_pk_add_f16 v84, v9, v27
	v_max_f16_e32 v85, v83, v83
	v_lshrrev_b32_e32 v83, 16, v83
	v_max_f32_e32 v30, v30, v30
	v_lshrrev_b32_e32 v86, 16, v31
	v_lshrrev_b32_e32 v87, 16, v84
	v_min_f16_e32 v31, v85, v31
	v_min3_f16 v83, v83, v86, v87
	v_min3_f16 v31, v31, v84, v83
	v_cvt_f32_f16_e32 v31, v31
	v_min_f32_e32 v83, v30, v31
	v_lshlrev_b64 v[30:31], 1, v[40:41]
	v_cvt_f16_f32_e32 v83, v83
	v_add_co_u32 v30, vcc_lo, v24, v30
	v_add_co_ci_u32_e64 v31, null, v25, v31, vcc_lo
	global_store_short v[30:31], v83, off
	s_or_b32 exec_lo, exec_lo, s12
	s_and_b32 s18, s5, s8
	s_and_saveexec_b32 s12, s18
	s_cbranch_execz .LBB262_177
.LBB262_199:
	v_cmp_ne_u32_e32 vcc_lo, 1, v91
	s_cbranch_vccnz .LBB262_201
; %bb.200:
	v_lshlrev_b64 v[30:31], 1, v[42:43]
	v_add_co_u32 v30, vcc_lo, v28, v30
	v_add_co_ci_u32_e64 v31, null, v29, v31, vcc_lo
	global_load_ushort v30, v[30:31], off
	s_waitcnt vmcnt(0)
	v_mul_f16_e32 v30, s15, v30
	v_cvt_f32_f16_e32 v30, v30
	s_branch .LBB262_202
.LBB262_201:
	v_mov_b32_e32 v30, 0
.LBB262_202:
	v_pk_add_f16 v31, v10, v26
	v_pk_add_f16 v83, v11, v27
	v_max_f16_e32 v84, v82, v82
	v_lshrrev_b32_e32 v82, 16, v82
	v_max_f32_e32 v30, v30, v30
	v_lshrrev_b32_e32 v85, 16, v31
	v_lshrrev_b32_e32 v86, 16, v83
	v_min_f16_e32 v31, v84, v31
	v_min3_f16 v82, v82, v85, v86
	v_min3_f16 v31, v31, v83, v82
	v_cvt_f32_f16_e32 v31, v31
	v_min_f32_e32 v82, v30, v31
	v_lshlrev_b64 v[30:31], 1, v[42:43]
	v_cvt_f16_f32_e32 v82, v82
	v_add_co_u32 v30, vcc_lo, v24, v30
	v_add_co_ci_u32_e64 v31, null, v25, v31, vcc_lo
	global_store_short v[30:31], v82, off
	s_or_b32 exec_lo, exec_lo, s12
	s_and_b32 s18, s6, s8
	s_and_saveexec_b32 s12, s18
	s_cbranch_execz .LBB262_178
.LBB262_203:
	v_cmp_ne_u32_e32 vcc_lo, 1, v91
	s_cbranch_vccnz .LBB262_205
; %bb.204:
	v_lshlrev_b64 v[30:31], 1, v[44:45]
	v_add_co_u32 v30, vcc_lo, v28, v30
	v_add_co_ci_u32_e64 v31, null, v29, v31, vcc_lo
	global_load_ushort v30, v[30:31], off
	s_waitcnt vmcnt(0)
	v_mul_f16_e32 v30, s15, v30
	v_cvt_f32_f16_e32 v30, v30
	s_branch .LBB262_206
.LBB262_205:
	v_mov_b32_e32 v30, 0
.LBB262_206:
	v_pk_add_f16 v31, v0, v26
	v_pk_add_f16 v82, v1, v27
	v_max_f16_e32 v83, v81, v81
	v_lshrrev_b32_e32 v81, 16, v81
	v_max_f32_e32 v30, v30, v30
	v_lshrrev_b32_e32 v84, 16, v31
	v_lshrrev_b32_e32 v85, 16, v82
	v_min_f16_e32 v31, v83, v31
	v_min3_f16 v81, v81, v84, v85
	v_min3_f16 v31, v31, v82, v81
	v_cvt_f32_f16_e32 v31, v31
	v_min_f32_e32 v81, v30, v31
	v_lshlrev_b64 v[30:31], 1, v[44:45]
	v_cvt_f16_f32_e32 v81, v81
	v_add_co_u32 v30, vcc_lo, v24, v30
	v_add_co_ci_u32_e64 v31, null, v25, v31, vcc_lo
	global_store_short v[30:31], v81, off
	s_or_b32 exec_lo, exec_lo, s12
	s_and_b32 s12, s7, s8
	s_and_saveexec_b32 s8, s12
	s_cbranch_execz .LBB262_211
.LBB262_207:
	v_cmp_ne_u32_e32 vcc_lo, 1, v91
	s_cbranch_vccnz .LBB262_209
; %bb.208:
	v_lshlrev_b64 v[30:31], 1, v[46:47]
	v_add_co_u32 v28, vcc_lo, v28, v30
	v_add_co_ci_u32_e64 v29, null, v29, v31, vcc_lo
	global_load_ushort v28, v[28:29], off
	s_waitcnt vmcnt(0)
	v_mul_f16_e32 v28, s15, v28
	v_cvt_f32_f16_e32 v28, v28
	s_branch .LBB262_210
.LBB262_209:
	v_mov_b32_e32 v28, 0
.LBB262_210:
	v_pk_add_f16 v26, v2, v26
	v_pk_add_f16 v27, v3, v27
	v_max_f16_e32 v29, v80, v80
	v_lshrrev_b32_e32 v30, 16, v80
	v_lshrrev_b32_e32 v31, 16, v26
	;; [unrolled: 1-line block ×3, first 2 shown]
	v_min_f16_e32 v26, v29, v26
	v_min3_f16 v29, v30, v31, v80
	v_min3_f16 v26, v26, v27, v29
	v_max_f32_e32 v27, v28, v28
	v_cvt_f32_f16_e32 v26, v26
	v_min_f32_e32 v28, v27, v26
	v_lshlrev_b64 v[26:27], 1, v[46:47]
	v_cvt_f16_f32_e32 v28, v28
	v_add_co_u32 v24, vcc_lo, v24, v26
	v_add_co_ci_u32_e64 v25, null, v25, v27, vcc_lo
	global_store_short v[24:25], v28, off
.LBB262_211:
	s_or_b32 exec_lo, exec_lo, s8
	v_add_nc_u32_e32 v28, 32, v103
	v_mad_i64_i32 v[24:25], null, v28, s14, 0
	v_mad_i64_i32 v[26:27], null, v28, s9, 0
	v_cmp_gt_i32_e64 s8, s13, v28
	v_lshlrev_b64 v[24:25], 1, v[24:25]
	s_and_b32 s18, s0, s8
	v_lshlrev_b64 v[28:29], 1, v[26:27]
	v_add_co_u32 v26, vcc_lo, s16, v24
	v_add_co_ci_u32_e64 v27, null, s17, v25, vcc_lo
	v_add_co_u32 v24, vcc_lo, s10, v28
	v_add_co_ci_u32_e64 v25, null, s11, v29, vcc_lo
	s_and_saveexec_b32 s12, s18
	s_cbranch_execnz .LBB262_219
; %bb.212:
	s_or_b32 exec_lo, exec_lo, s12
	s_and_b32 s18, s1, s8
	s_and_saveexec_b32 s12, s18
	s_cbranch_execnz .LBB262_223
.LBB262_213:
	s_or_b32 exec_lo, exec_lo, s12
	s_and_b32 s18, s2, s8
	s_and_saveexec_b32 s12, s18
	s_cbranch_execnz .LBB262_227
.LBB262_214:
	s_or_b32 exec_lo, exec_lo, s12
	s_and_b32 s18, s3, s8
	s_and_saveexec_b32 s12, s18
	s_cbranch_execnz .LBB262_231
.LBB262_215:
	s_or_b32 exec_lo, exec_lo, s12
	s_and_b32 s18, s4, s8
	s_and_saveexec_b32 s12, s18
	s_cbranch_execnz .LBB262_235
.LBB262_216:
	s_or_b32 exec_lo, exec_lo, s12
	s_and_b32 s18, s5, s8
	s_and_saveexec_b32 s12, s18
	s_cbranch_execnz .LBB262_239
.LBB262_217:
	s_or_b32 exec_lo, exec_lo, s12
	s_and_b32 s18, s6, s8
	s_and_saveexec_b32 s12, s18
	s_cbranch_execnz .LBB262_243
.LBB262_218:
	s_or_b32 exec_lo, exec_lo, s12
	s_and_b32 s12, s7, s8
	s_and_saveexec_b32 s8, s12
	s_cbranch_execnz .LBB262_247
	s_branch .LBB262_251
.LBB262_219:
	v_cmp_ne_u32_e32 vcc_lo, 1, v91
	s_cbranch_vccnz .LBB262_221
; %bb.220:
	v_lshlrev_b64 v[28:29], 1, v[32:33]
	v_add_co_u32 v28, vcc_lo, v26, v28
	v_add_co_ci_u32_e64 v29, null, v27, v29, vcc_lo
	global_load_ushort v28, v[28:29], off
	s_waitcnt vmcnt(0)
	v_mul_f16_e32 v28, s15, v28
	v_cvt_f32_f16_e32 v28, v28
	s_branch .LBB262_222
.LBB262_221:
	v_mov_b32_e32 v28, 0
.LBB262_222:
	v_pk_add_f16 v29, v16, v20
	v_pk_add_f16 v30, v17, v21
	v_max_f16_e32 v31, v79, v79
	v_lshrrev_b32_e32 v79, 16, v79
	v_max_f32_e32 v28, v28, v28
	v_lshrrev_b32_e32 v80, 16, v29
	v_lshrrev_b32_e32 v81, 16, v30
	v_min_f16_e32 v29, v31, v29
	v_min3_f16 v31, v79, v80, v81
	v_min3_f16 v29, v29, v30, v31
	v_cvt_f32_f16_e32 v29, v29
	v_min_f32_e32 v30, v28, v29
	v_lshlrev_b64 v[28:29], 1, v[32:33]
	v_cvt_f16_f32_e32 v30, v30
	v_add_co_u32 v28, vcc_lo, v24, v28
	v_add_co_ci_u32_e64 v29, null, v25, v29, vcc_lo
	global_store_short v[28:29], v30, off
	s_or_b32 exec_lo, exec_lo, s12
	s_and_b32 s18, s1, s8
	s_and_saveexec_b32 s12, s18
	s_cbranch_execz .LBB262_213
.LBB262_223:
	v_cmp_ne_u32_e32 vcc_lo, 1, v91
	s_cbranch_vccnz .LBB262_225
; %bb.224:
	v_lshlrev_b64 v[28:29], 1, v[34:35]
	v_add_co_u32 v28, vcc_lo, v26, v28
	v_add_co_ci_u32_e64 v29, null, v27, v29, vcc_lo
	global_load_ushort v28, v[28:29], off
	s_waitcnt vmcnt(0)
	v_mul_f16_e32 v28, s15, v28
	v_cvt_f32_f16_e32 v28, v28
	s_branch .LBB262_226
.LBB262_225:
	v_mov_b32_e32 v28, 0
.LBB262_226:
	v_pk_add_f16 v29, v18, v20
	v_pk_add_f16 v30, v19, v21
	v_max_f16_e32 v31, v77, v77
	v_lshrrev_b32_e32 v77, 16, v77
	v_max_f32_e32 v28, v28, v28
	v_lshrrev_b32_e32 v79, 16, v29
	v_lshrrev_b32_e32 v80, 16, v30
	v_min_f16_e32 v29, v31, v29
	v_min3_f16 v31, v77, v79, v80
	v_min3_f16 v29, v29, v30, v31
	v_cvt_f32_f16_e32 v29, v29
	v_min_f32_e32 v30, v28, v29
	v_lshlrev_b64 v[28:29], 1, v[34:35]
	v_cvt_f16_f32_e32 v30, v30
	v_add_co_u32 v28, vcc_lo, v24, v28
	v_add_co_ci_u32_e64 v29, null, v25, v29, vcc_lo
	global_store_short v[28:29], v30, off
	s_or_b32 exec_lo, exec_lo, s12
	s_and_b32 s18, s2, s8
	s_and_saveexec_b32 s12, s18
	s_cbranch_execz .LBB262_214
.LBB262_227:
	v_cmp_ne_u32_e32 vcc_lo, 1, v91
	s_cbranch_vccnz .LBB262_229
; %bb.228:
	v_lshlrev_b64 v[28:29], 1, v[36:37]
	v_add_co_u32 v28, vcc_lo, v26, v28
	v_add_co_ci_u32_e64 v29, null, v27, v29, vcc_lo
	global_load_ushort v28, v[28:29], off
	s_waitcnt vmcnt(0)
	v_mul_f16_e32 v28, s15, v28
	v_cvt_f32_f16_e32 v28, v28
	s_branch .LBB262_230
.LBB262_229:
	v_mov_b32_e32 v28, 0
.LBB262_230:
	v_pk_add_f16 v29, v12, v20
	v_pk_add_f16 v30, v13, v21
	v_max_f16_e32 v31, v78, v78
	v_lshrrev_b32_e32 v77, 16, v78
	v_max_f32_e32 v28, v28, v28
	v_lshrrev_b32_e32 v78, 16, v29
	v_lshrrev_b32_e32 v79, 16, v30
	v_min_f16_e32 v29, v31, v29
	v_min3_f16 v31, v77, v78, v79
	v_min3_f16 v29, v29, v30, v31
	v_cvt_f32_f16_e32 v29, v29
	v_min_f32_e32 v30, v28, v29
	v_lshlrev_b64 v[28:29], 1, v[36:37]
	v_cvt_f16_f32_e32 v30, v30
	v_add_co_u32 v28, vcc_lo, v24, v28
	v_add_co_ci_u32_e64 v29, null, v25, v29, vcc_lo
	global_store_short v[28:29], v30, off
	s_or_b32 exec_lo, exec_lo, s12
	s_and_b32 s18, s3, s8
	s_and_saveexec_b32 s12, s18
	s_cbranch_execz .LBB262_215
.LBB262_231:
	v_cmp_ne_u32_e32 vcc_lo, 1, v91
	s_cbranch_vccnz .LBB262_233
; %bb.232:
	v_lshlrev_b64 v[28:29], 1, v[38:39]
	v_add_co_u32 v28, vcc_lo, v26, v28
	v_add_co_ci_u32_e64 v29, null, v27, v29, vcc_lo
	global_load_ushort v28, v[28:29], off
	s_waitcnt vmcnt(0)
	v_mul_f16_e32 v28, s15, v28
	v_cvt_f32_f16_e32 v28, v28
	s_branch .LBB262_234
.LBB262_233:
	v_mov_b32_e32 v28, 0
.LBB262_234:
	v_pk_add_f16 v29, v14, v20
	v_pk_add_f16 v30, v15, v21
	v_max_f16_e32 v31, v76, v76
	v_lshrrev_b32_e32 v76, 16, v76
	v_max_f32_e32 v28, v28, v28
	v_lshrrev_b32_e32 v77, 16, v29
	v_lshrrev_b32_e32 v78, 16, v30
	v_min_f16_e32 v29, v31, v29
	v_min3_f16 v31, v76, v77, v78
	v_min3_f16 v29, v29, v30, v31
	v_cvt_f32_f16_e32 v29, v29
	v_min_f32_e32 v30, v28, v29
	v_lshlrev_b64 v[28:29], 1, v[38:39]
	v_cvt_f16_f32_e32 v30, v30
	v_add_co_u32 v28, vcc_lo, v24, v28
	v_add_co_ci_u32_e64 v29, null, v25, v29, vcc_lo
	global_store_short v[28:29], v30, off
	s_or_b32 exec_lo, exec_lo, s12
	s_and_b32 s18, s4, s8
	s_and_saveexec_b32 s12, s18
	s_cbranch_execz .LBB262_216
.LBB262_235:
	v_cmp_ne_u32_e32 vcc_lo, 1, v91
	s_cbranch_vccnz .LBB262_237
; %bb.236:
	v_lshlrev_b64 v[28:29], 1, v[40:41]
	v_add_co_u32 v28, vcc_lo, v26, v28
	v_add_co_ci_u32_e64 v29, null, v27, v29, vcc_lo
	global_load_ushort v28, v[28:29], off
	s_waitcnt vmcnt(0)
	v_mul_f16_e32 v28, s15, v28
	v_cvt_f32_f16_e32 v28, v28
	s_branch .LBB262_238
.LBB262_237:
	v_mov_b32_e32 v28, 0
.LBB262_238:
	v_pk_add_f16 v29, v8, v20
	v_pk_add_f16 v30, v9, v21
	v_max_f16_e32 v31, v75, v75
	v_lshrrev_b32_e32 v75, 16, v75
	v_max_f32_e32 v28, v28, v28
	v_lshrrev_b32_e32 v76, 16, v29
	v_lshrrev_b32_e32 v77, 16, v30
	v_min_f16_e32 v29, v31, v29
	v_min3_f16 v31, v75, v76, v77
	v_min3_f16 v29, v29, v30, v31
	v_cvt_f32_f16_e32 v29, v29
	v_min_f32_e32 v30, v28, v29
	v_lshlrev_b64 v[28:29], 1, v[40:41]
	v_cvt_f16_f32_e32 v30, v30
	v_add_co_u32 v28, vcc_lo, v24, v28
	v_add_co_ci_u32_e64 v29, null, v25, v29, vcc_lo
	global_store_short v[28:29], v30, off
	s_or_b32 exec_lo, exec_lo, s12
	s_and_b32 s18, s5, s8
	s_and_saveexec_b32 s12, s18
	s_cbranch_execz .LBB262_217
.LBB262_239:
	v_cmp_ne_u32_e32 vcc_lo, 1, v91
	s_cbranch_vccnz .LBB262_241
; %bb.240:
	v_lshlrev_b64 v[28:29], 1, v[42:43]
	v_add_co_u32 v28, vcc_lo, v26, v28
	v_add_co_ci_u32_e64 v29, null, v27, v29, vcc_lo
	global_load_ushort v28, v[28:29], off
	s_waitcnt vmcnt(0)
	v_mul_f16_e32 v28, s15, v28
	v_cvt_f32_f16_e32 v28, v28
	s_branch .LBB262_242
.LBB262_241:
	v_mov_b32_e32 v28, 0
.LBB262_242:
	v_pk_add_f16 v29, v10, v20
	v_pk_add_f16 v30, v11, v21
	v_max_f16_e32 v31, v74, v74
	v_lshrrev_b32_e32 v74, 16, v74
	v_max_f32_e32 v28, v28, v28
	v_lshrrev_b32_e32 v75, 16, v29
	v_lshrrev_b32_e32 v76, 16, v30
	v_min_f16_e32 v29, v31, v29
	v_min3_f16 v31, v74, v75, v76
	v_min3_f16 v29, v29, v30, v31
	v_cvt_f32_f16_e32 v29, v29
	v_min_f32_e32 v30, v28, v29
	v_lshlrev_b64 v[28:29], 1, v[42:43]
	v_cvt_f16_f32_e32 v30, v30
	v_add_co_u32 v28, vcc_lo, v24, v28
	v_add_co_ci_u32_e64 v29, null, v25, v29, vcc_lo
	global_store_short v[28:29], v30, off
	s_or_b32 exec_lo, exec_lo, s12
	s_and_b32 s18, s6, s8
	s_and_saveexec_b32 s12, s18
	s_cbranch_execz .LBB262_218
.LBB262_243:
	v_cmp_ne_u32_e32 vcc_lo, 1, v91
	s_cbranch_vccnz .LBB262_245
; %bb.244:
	v_lshlrev_b64 v[28:29], 1, v[44:45]
	v_add_co_u32 v28, vcc_lo, v26, v28
	v_add_co_ci_u32_e64 v29, null, v27, v29, vcc_lo
	global_load_ushort v28, v[28:29], off
	s_waitcnt vmcnt(0)
	v_mul_f16_e32 v28, s15, v28
	v_cvt_f32_f16_e32 v28, v28
	s_branch .LBB262_246
.LBB262_245:
	v_mov_b32_e32 v28, 0
.LBB262_246:
	v_pk_add_f16 v29, v0, v20
	v_pk_add_f16 v30, v1, v21
	v_max_f16_e32 v31, v73, v73
	v_lshrrev_b32_e32 v73, 16, v73
	v_max_f32_e32 v28, v28, v28
	v_lshrrev_b32_e32 v74, 16, v29
	v_lshrrev_b32_e32 v75, 16, v30
	v_min_f16_e32 v29, v31, v29
	v_min3_f16 v31, v73, v74, v75
	v_min3_f16 v29, v29, v30, v31
	v_cvt_f32_f16_e32 v29, v29
	v_min_f32_e32 v30, v28, v29
	v_lshlrev_b64 v[28:29], 1, v[44:45]
	v_cvt_f16_f32_e32 v30, v30
	v_add_co_u32 v28, vcc_lo, v24, v28
	v_add_co_ci_u32_e64 v29, null, v25, v29, vcc_lo
	global_store_short v[28:29], v30, off
	s_or_b32 exec_lo, exec_lo, s12
	s_and_b32 s12, s7, s8
	s_and_saveexec_b32 s8, s12
	s_cbranch_execz .LBB262_251
.LBB262_247:
	v_cmp_ne_u32_e32 vcc_lo, 1, v91
	s_cbranch_vccnz .LBB262_249
; %bb.248:
	v_lshlrev_b64 v[28:29], 1, v[46:47]
	v_add_co_u32 v26, vcc_lo, v26, v28
	v_add_co_ci_u32_e64 v27, null, v27, v29, vcc_lo
	global_load_ushort v26, v[26:27], off
	s_waitcnt vmcnt(0)
	v_mul_f16_e32 v26, s15, v26
	v_cvt_f32_f16_e32 v26, v26
	s_branch .LBB262_250
.LBB262_249:
	v_mov_b32_e32 v26, 0
.LBB262_250:
	v_pk_add_f16 v20, v2, v20
	v_pk_add_f16 v21, v3, v21
	v_max_f16_e32 v27, v72, v72
	v_lshrrev_b32_e32 v28, 16, v72
	v_lshrrev_b32_e32 v29, 16, v20
	;; [unrolled: 1-line block ×3, first 2 shown]
	v_min_f16_e32 v20, v27, v20
	v_min3_f16 v27, v28, v29, v30
	v_min3_f16 v20, v20, v21, v27
	v_max_f32_e32 v21, v26, v26
	v_cvt_f32_f16_e32 v20, v20
	v_min_f32_e32 v26, v21, v20
	v_lshlrev_b64 v[20:21], 1, v[46:47]
	v_cvt_f16_f32_e32 v26, v26
	v_add_co_u32 v20, vcc_lo, v24, v20
	v_add_co_ci_u32_e64 v21, null, v25, v21, vcc_lo
	global_store_short v[20:21], v26, off
.LBB262_251:
	s_or_b32 exec_lo, exec_lo, s8
	v_add_nc_u32_e32 v26, 40, v103
	v_mad_i64_i32 v[20:21], null, v26, s14, 0
	v_mad_i64_i32 v[24:25], null, v26, s9, 0
	v_cmp_gt_i32_e64 s8, s13, v26
	v_lshlrev_b64 v[20:21], 1, v[20:21]
	s_and_b32 s18, s0, s8
	v_lshlrev_b64 v[26:27], 1, v[24:25]
	v_add_co_u32 v24, vcc_lo, s16, v20
	v_add_co_ci_u32_e64 v25, null, s17, v21, vcc_lo
	v_add_co_u32 v20, vcc_lo, s10, v26
	v_add_co_ci_u32_e64 v21, null, s11, v27, vcc_lo
	s_and_saveexec_b32 s12, s18
	s_cbranch_execnz .LBB262_259
; %bb.252:
	s_or_b32 exec_lo, exec_lo, s12
	s_and_b32 s18, s1, s8
	s_and_saveexec_b32 s12, s18
	s_cbranch_execnz .LBB262_263
.LBB262_253:
	s_or_b32 exec_lo, exec_lo, s12
	s_and_b32 s18, s2, s8
	s_and_saveexec_b32 s12, s18
	s_cbranch_execnz .LBB262_267
.LBB262_254:
	s_or_b32 exec_lo, exec_lo, s12
	s_and_b32 s18, s3, s8
	s_and_saveexec_b32 s12, s18
	s_cbranch_execnz .LBB262_271
.LBB262_255:
	s_or_b32 exec_lo, exec_lo, s12
	s_and_b32 s18, s4, s8
	s_and_saveexec_b32 s12, s18
	s_cbranch_execnz .LBB262_275
.LBB262_256:
	s_or_b32 exec_lo, exec_lo, s12
	s_and_b32 s18, s5, s8
	s_and_saveexec_b32 s12, s18
	s_cbranch_execnz .LBB262_279
.LBB262_257:
	s_or_b32 exec_lo, exec_lo, s12
	s_and_b32 s18, s6, s8
	s_and_saveexec_b32 s12, s18
	s_cbranch_execnz .LBB262_283
.LBB262_258:
	s_or_b32 exec_lo, exec_lo, s12
	s_and_b32 s12, s7, s8
	s_and_saveexec_b32 s8, s12
	s_cbranch_execnz .LBB262_287
	s_branch .LBB262_291
.LBB262_259:
	v_cmp_ne_u32_e32 vcc_lo, 1, v91
	s_cbranch_vccnz .LBB262_261
; %bb.260:
	v_lshlrev_b64 v[26:27], 1, v[32:33]
	v_add_co_u32 v26, vcc_lo, v24, v26
	v_add_co_ci_u32_e64 v27, null, v25, v27, vcc_lo
	global_load_ushort v26, v[26:27], off
	s_waitcnt vmcnt(0)
	v_mul_f16_e32 v26, s15, v26
	v_cvt_f32_f16_e32 v26, v26
	s_branch .LBB262_262
.LBB262_261:
	v_mov_b32_e32 v26, 0
.LBB262_262:
	v_pk_add_f16 v27, v16, v22
	v_pk_add_f16 v28, v17, v23
	v_max_f16_e32 v29, v71, v71
	v_lshrrev_b32_e32 v30, 16, v71
	v_max_f32_e32 v26, v26, v26
	v_lshrrev_b32_e32 v31, 16, v27
	v_lshrrev_b32_e32 v71, 16, v28
	v_min_f16_e32 v27, v29, v27
	v_min3_f16 v29, v30, v31, v71
	v_min3_f16 v27, v27, v28, v29
	v_cvt_f32_f16_e32 v27, v27
	v_min_f32_e32 v28, v26, v27
	v_lshlrev_b64 v[26:27], 1, v[32:33]
	v_cvt_f16_f32_e32 v28, v28
	v_add_co_u32 v26, vcc_lo, v20, v26
	v_add_co_ci_u32_e64 v27, null, v21, v27, vcc_lo
	global_store_short v[26:27], v28, off
	s_or_b32 exec_lo, exec_lo, s12
	s_and_b32 s18, s1, s8
	s_and_saveexec_b32 s12, s18
	s_cbranch_execz .LBB262_253
.LBB262_263:
	v_cmp_ne_u32_e32 vcc_lo, 1, v91
	s_cbranch_vccnz .LBB262_265
; %bb.264:
	v_lshlrev_b64 v[26:27], 1, v[34:35]
	v_add_co_u32 v26, vcc_lo, v24, v26
	v_add_co_ci_u32_e64 v27, null, v25, v27, vcc_lo
	global_load_ushort v26, v[26:27], off
	s_waitcnt vmcnt(0)
	v_mul_f16_e32 v26, s15, v26
	v_cvt_f32_f16_e32 v26, v26
	s_branch .LBB262_266
.LBB262_265:
	v_mov_b32_e32 v26, 0
.LBB262_266:
	v_pk_add_f16 v27, v18, v22
	v_pk_add_f16 v28, v19, v23
	v_max_f16_e32 v29, v70, v70
	v_lshrrev_b32_e32 v30, 16, v70
	v_max_f32_e32 v26, v26, v26
	v_lshrrev_b32_e32 v31, 16, v27
	v_lshrrev_b32_e32 v70, 16, v28
	v_min_f16_e32 v27, v29, v27
	v_min3_f16 v29, v30, v31, v70
	v_min3_f16 v27, v27, v28, v29
	v_cvt_f32_f16_e32 v27, v27
	v_min_f32_e32 v28, v26, v27
	v_lshlrev_b64 v[26:27], 1, v[34:35]
	v_cvt_f16_f32_e32 v28, v28
	v_add_co_u32 v26, vcc_lo, v20, v26
	v_add_co_ci_u32_e64 v27, null, v21, v27, vcc_lo
	global_store_short v[26:27], v28, off
	s_or_b32 exec_lo, exec_lo, s12
	s_and_b32 s18, s2, s8
	s_and_saveexec_b32 s12, s18
	s_cbranch_execz .LBB262_254
.LBB262_267:
	v_cmp_ne_u32_e32 vcc_lo, 1, v91
	s_cbranch_vccnz .LBB262_269
; %bb.268:
	v_lshlrev_b64 v[26:27], 1, v[36:37]
	v_add_co_u32 v26, vcc_lo, v24, v26
	v_add_co_ci_u32_e64 v27, null, v25, v27, vcc_lo
	global_load_ushort v26, v[26:27], off
	s_waitcnt vmcnt(0)
	v_mul_f16_e32 v26, s15, v26
	v_cvt_f32_f16_e32 v26, v26
	s_branch .LBB262_270
.LBB262_269:
	v_mov_b32_e32 v26, 0
.LBB262_270:
	v_pk_add_f16 v27, v12, v22
	v_pk_add_f16 v28, v13, v23
	v_max_f16_e32 v29, v69, v69
	v_lshrrev_b32_e32 v30, 16, v69
	v_max_f32_e32 v26, v26, v26
	v_lshrrev_b32_e32 v31, 16, v27
	v_lshrrev_b32_e32 v69, 16, v28
	v_min_f16_e32 v27, v29, v27
	v_min3_f16 v29, v30, v31, v69
	v_min3_f16 v27, v27, v28, v29
	v_cvt_f32_f16_e32 v27, v27
	v_min_f32_e32 v28, v26, v27
	v_lshlrev_b64 v[26:27], 1, v[36:37]
	v_cvt_f16_f32_e32 v28, v28
	v_add_co_u32 v26, vcc_lo, v20, v26
	v_add_co_ci_u32_e64 v27, null, v21, v27, vcc_lo
	global_store_short v[26:27], v28, off
	s_or_b32 exec_lo, exec_lo, s12
	s_and_b32 s18, s3, s8
	s_and_saveexec_b32 s12, s18
	s_cbranch_execz .LBB262_255
.LBB262_271:
	v_cmp_ne_u32_e32 vcc_lo, 1, v91
	s_cbranch_vccnz .LBB262_273
; %bb.272:
	v_lshlrev_b64 v[26:27], 1, v[38:39]
	v_add_co_u32 v26, vcc_lo, v24, v26
	v_add_co_ci_u32_e64 v27, null, v25, v27, vcc_lo
	global_load_ushort v26, v[26:27], off
	s_waitcnt vmcnt(0)
	v_mul_f16_e32 v26, s15, v26
	v_cvt_f32_f16_e32 v26, v26
	s_branch .LBB262_274
.LBB262_273:
	v_mov_b32_e32 v26, 0
.LBB262_274:
	v_pk_add_f16 v27, v14, v22
	v_pk_add_f16 v28, v15, v23
	v_max_f16_e32 v29, v68, v68
	v_lshrrev_b32_e32 v30, 16, v68
	v_max_f32_e32 v26, v26, v26
	v_lshrrev_b32_e32 v31, 16, v27
	v_lshrrev_b32_e32 v68, 16, v28
	v_min_f16_e32 v27, v29, v27
	v_min3_f16 v29, v30, v31, v68
	v_min3_f16 v27, v27, v28, v29
	v_cvt_f32_f16_e32 v27, v27
	v_min_f32_e32 v28, v26, v27
	v_lshlrev_b64 v[26:27], 1, v[38:39]
	v_cvt_f16_f32_e32 v28, v28
	v_add_co_u32 v26, vcc_lo, v20, v26
	v_add_co_ci_u32_e64 v27, null, v21, v27, vcc_lo
	global_store_short v[26:27], v28, off
	s_or_b32 exec_lo, exec_lo, s12
	s_and_b32 s18, s4, s8
	s_and_saveexec_b32 s12, s18
	s_cbranch_execz .LBB262_256
.LBB262_275:
	v_cmp_ne_u32_e32 vcc_lo, 1, v91
	s_cbranch_vccnz .LBB262_277
; %bb.276:
	v_lshlrev_b64 v[26:27], 1, v[40:41]
	v_add_co_u32 v26, vcc_lo, v24, v26
	v_add_co_ci_u32_e64 v27, null, v25, v27, vcc_lo
	global_load_ushort v26, v[26:27], off
	s_waitcnt vmcnt(0)
	v_mul_f16_e32 v26, s15, v26
	v_cvt_f32_f16_e32 v26, v26
	s_branch .LBB262_278
.LBB262_277:
	v_mov_b32_e32 v26, 0
.LBB262_278:
	v_pk_add_f16 v27, v8, v22
	v_pk_add_f16 v28, v9, v23
	v_max_f16_e32 v29, v67, v67
	v_lshrrev_b32_e32 v30, 16, v67
	v_max_f32_e32 v26, v26, v26
	v_lshrrev_b32_e32 v31, 16, v27
	v_lshrrev_b32_e32 v67, 16, v28
	v_min_f16_e32 v27, v29, v27
	v_min3_f16 v29, v30, v31, v67
	v_min3_f16 v27, v27, v28, v29
	v_cvt_f32_f16_e32 v27, v27
	v_min_f32_e32 v28, v26, v27
	v_lshlrev_b64 v[26:27], 1, v[40:41]
	v_cvt_f16_f32_e32 v28, v28
	v_add_co_u32 v26, vcc_lo, v20, v26
	v_add_co_ci_u32_e64 v27, null, v21, v27, vcc_lo
	global_store_short v[26:27], v28, off
	s_or_b32 exec_lo, exec_lo, s12
	s_and_b32 s18, s5, s8
	s_and_saveexec_b32 s12, s18
	s_cbranch_execz .LBB262_257
.LBB262_279:
	v_cmp_ne_u32_e32 vcc_lo, 1, v91
	s_cbranch_vccnz .LBB262_281
; %bb.280:
	v_lshlrev_b64 v[26:27], 1, v[42:43]
	v_add_co_u32 v26, vcc_lo, v24, v26
	v_add_co_ci_u32_e64 v27, null, v25, v27, vcc_lo
	global_load_ushort v26, v[26:27], off
	s_waitcnt vmcnt(0)
	v_mul_f16_e32 v26, s15, v26
	v_cvt_f32_f16_e32 v26, v26
	s_branch .LBB262_282
.LBB262_281:
	v_mov_b32_e32 v26, 0
.LBB262_282:
	v_pk_add_f16 v27, v10, v22
	v_pk_add_f16 v28, v11, v23
	v_max_f16_e32 v29, v66, v66
	v_lshrrev_b32_e32 v30, 16, v66
	v_max_f32_e32 v26, v26, v26
	v_lshrrev_b32_e32 v31, 16, v27
	v_lshrrev_b32_e32 v66, 16, v28
	v_min_f16_e32 v27, v29, v27
	v_min3_f16 v29, v30, v31, v66
	v_min3_f16 v27, v27, v28, v29
	v_cvt_f32_f16_e32 v27, v27
	v_min_f32_e32 v28, v26, v27
	v_lshlrev_b64 v[26:27], 1, v[42:43]
	v_cvt_f16_f32_e32 v28, v28
	v_add_co_u32 v26, vcc_lo, v20, v26
	v_add_co_ci_u32_e64 v27, null, v21, v27, vcc_lo
	global_store_short v[26:27], v28, off
	s_or_b32 exec_lo, exec_lo, s12
	s_and_b32 s18, s6, s8
	s_and_saveexec_b32 s12, s18
	s_cbranch_execz .LBB262_258
.LBB262_283:
	v_cmp_ne_u32_e32 vcc_lo, 1, v91
	s_cbranch_vccnz .LBB262_285
; %bb.284:
	v_lshlrev_b64 v[26:27], 1, v[44:45]
	v_add_co_u32 v26, vcc_lo, v24, v26
	v_add_co_ci_u32_e64 v27, null, v25, v27, vcc_lo
	global_load_ushort v26, v[26:27], off
	s_waitcnt vmcnt(0)
	v_mul_f16_e32 v26, s15, v26
	v_cvt_f32_f16_e32 v26, v26
	s_branch .LBB262_286
.LBB262_285:
	v_mov_b32_e32 v26, 0
.LBB262_286:
	v_pk_add_f16 v27, v0, v22
	v_pk_add_f16 v28, v1, v23
	v_max_f16_e32 v29, v63, v63
	v_lshrrev_b32_e32 v30, 16, v63
	v_max_f32_e32 v26, v26, v26
	v_lshrrev_b32_e32 v31, 16, v27
	v_lshrrev_b32_e32 v63, 16, v28
	v_min_f16_e32 v27, v29, v27
	v_min3_f16 v29, v30, v31, v63
	v_min3_f16 v27, v27, v28, v29
	v_cvt_f32_f16_e32 v27, v27
	v_min_f32_e32 v28, v26, v27
	v_lshlrev_b64 v[26:27], 1, v[44:45]
	v_cvt_f16_f32_e32 v28, v28
	v_add_co_u32 v26, vcc_lo, v20, v26
	v_add_co_ci_u32_e64 v27, null, v21, v27, vcc_lo
	global_store_short v[26:27], v28, off
	s_or_b32 exec_lo, exec_lo, s12
	s_and_b32 s12, s7, s8
	s_and_saveexec_b32 s8, s12
	s_cbranch_execz .LBB262_291
.LBB262_287:
	v_cmp_ne_u32_e32 vcc_lo, 1, v91
	s_cbranch_vccnz .LBB262_289
; %bb.288:
	v_lshlrev_b64 v[26:27], 1, v[46:47]
	v_add_co_u32 v24, vcc_lo, v24, v26
	v_add_co_ci_u32_e64 v25, null, v25, v27, vcc_lo
	global_load_ushort v24, v[24:25], off
	s_waitcnt vmcnt(0)
	v_mul_f16_e32 v24, s15, v24
	v_cvt_f32_f16_e32 v24, v24
	s_branch .LBB262_290
.LBB262_289:
	v_mov_b32_e32 v24, 0
.LBB262_290:
	v_pk_add_f16 v22, v2, v22
	v_pk_add_f16 v23, v3, v23
	v_max_f16_e32 v25, v64, v64
	v_lshrrev_b32_e32 v26, 16, v64
	v_lshrrev_b32_e32 v27, 16, v22
	;; [unrolled: 1-line block ×3, first 2 shown]
	v_min_f16_e32 v22, v25, v22
	v_min3_f16 v25, v26, v27, v28
	v_min3_f16 v22, v22, v23, v25
	v_max_f32_e32 v23, v24, v24
	v_cvt_f32_f16_e32 v22, v22
	v_min_f32_e32 v24, v23, v22
	v_lshlrev_b64 v[22:23], 1, v[46:47]
	v_cvt_f16_f32_e32 v24, v24
	v_add_co_u32 v20, vcc_lo, v20, v22
	v_add_co_ci_u32_e64 v21, null, v21, v23, vcc_lo
	global_store_short v[20:21], v24, off
.LBB262_291:
	s_or_b32 exec_lo, exec_lo, s8
	v_add_nc_u32_e32 v24, 48, v103
	v_mad_i64_i32 v[20:21], null, v24, s14, 0
	v_mad_i64_i32 v[22:23], null, v24, s9, 0
	v_cmp_gt_i32_e64 s8, s13, v24
	v_lshlrev_b64 v[20:21], 1, v[20:21]
	s_and_b32 s18, s0, s8
	v_lshlrev_b64 v[24:25], 1, v[22:23]
	v_add_co_u32 v22, vcc_lo, s16, v20
	v_add_co_ci_u32_e64 v23, null, s17, v21, vcc_lo
	v_add_co_u32 v20, vcc_lo, s10, v24
	v_add_co_ci_u32_e64 v21, null, s11, v25, vcc_lo
	s_and_saveexec_b32 s12, s18
	s_cbranch_execnz .LBB262_299
; %bb.292:
	s_or_b32 exec_lo, exec_lo, s12
	s_and_b32 s18, s1, s8
	s_and_saveexec_b32 s12, s18
	s_cbranch_execnz .LBB262_303
.LBB262_293:
	s_or_b32 exec_lo, exec_lo, s12
	s_and_b32 s18, s2, s8
	s_and_saveexec_b32 s12, s18
	s_cbranch_execnz .LBB262_307
.LBB262_294:
	s_or_b32 exec_lo, exec_lo, s12
	s_and_b32 s18, s3, s8
	s_and_saveexec_b32 s12, s18
	s_cbranch_execnz .LBB262_311
.LBB262_295:
	s_or_b32 exec_lo, exec_lo, s12
	s_and_b32 s18, s4, s8
	s_and_saveexec_b32 s12, s18
	s_cbranch_execnz .LBB262_315
.LBB262_296:
	s_or_b32 exec_lo, exec_lo, s12
	s_and_b32 s18, s5, s8
	s_and_saveexec_b32 s12, s18
	s_cbranch_execnz .LBB262_319
.LBB262_297:
	s_or_b32 exec_lo, exec_lo, s12
	s_and_b32 s18, s6, s8
	s_and_saveexec_b32 s12, s18
	s_cbranch_execnz .LBB262_323
.LBB262_298:
	s_or_b32 exec_lo, exec_lo, s12
	s_and_b32 s12, s7, s8
	s_and_saveexec_b32 s8, s12
	s_cbranch_execnz .LBB262_327
	s_branch .LBB262_331
.LBB262_299:
	v_cmp_ne_u32_e32 vcc_lo, 1, v91
	s_cbranch_vccnz .LBB262_301
; %bb.300:
	v_lshlrev_b64 v[24:25], 1, v[32:33]
	v_add_co_u32 v24, vcc_lo, v22, v24
	v_add_co_ci_u32_e64 v25, null, v23, v25, vcc_lo
	global_load_ushort v24, v[24:25], off
	s_waitcnt vmcnt(0)
	v_mul_f16_e32 v24, s15, v24
	v_cvt_f32_f16_e32 v24, v24
	s_branch .LBB262_302
.LBB262_301:
	v_mov_b32_e32 v24, 0
.LBB262_302:
	v_pk_add_f16 v25, v16, v4
	v_pk_add_f16 v26, v17, v5
	v_max_f16_e32 v27, v61, v61
	v_lshrrev_b32_e32 v28, 16, v61
	v_max_f32_e32 v24, v24, v24
	v_lshrrev_b32_e32 v29, 16, v25
	v_lshrrev_b32_e32 v30, 16, v26
	v_min_f16_e32 v25, v27, v25
	v_min3_f16 v27, v28, v29, v30
	v_min3_f16 v25, v25, v26, v27
	v_cvt_f32_f16_e32 v25, v25
	v_min_f32_e32 v26, v24, v25
	v_lshlrev_b64 v[24:25], 1, v[32:33]
	v_cvt_f16_f32_e32 v26, v26
	v_add_co_u32 v24, vcc_lo, v20, v24
	v_add_co_ci_u32_e64 v25, null, v21, v25, vcc_lo
	global_store_short v[24:25], v26, off
	s_or_b32 exec_lo, exec_lo, s12
	s_and_b32 s18, s1, s8
	s_and_saveexec_b32 s12, s18
	s_cbranch_execz .LBB262_293
.LBB262_303:
	v_cmp_ne_u32_e32 vcc_lo, 1, v91
	s_cbranch_vccnz .LBB262_305
; %bb.304:
	v_lshlrev_b64 v[24:25], 1, v[34:35]
	v_add_co_u32 v24, vcc_lo, v22, v24
	v_add_co_ci_u32_e64 v25, null, v23, v25, vcc_lo
	global_load_ushort v24, v[24:25], off
	s_waitcnt vmcnt(0)
	v_mul_f16_e32 v24, s15, v24
	v_cvt_f32_f16_e32 v24, v24
	s_branch .LBB262_306
.LBB262_305:
	v_mov_b32_e32 v24, 0
.LBB262_306:
	v_pk_add_f16 v25, v18, v4
	v_pk_add_f16 v26, v19, v5
	v_max_f16_e32 v27, v59, v59
	v_lshrrev_b32_e32 v28, 16, v59
	v_max_f32_e32 v24, v24, v24
	v_lshrrev_b32_e32 v29, 16, v25
	v_lshrrev_b32_e32 v30, 16, v26
	v_min_f16_e32 v25, v27, v25
	v_min3_f16 v27, v28, v29, v30
	v_min3_f16 v25, v25, v26, v27
	v_cvt_f32_f16_e32 v25, v25
	v_min_f32_e32 v26, v24, v25
	v_lshlrev_b64 v[24:25], 1, v[34:35]
	v_cvt_f16_f32_e32 v26, v26
	v_add_co_u32 v24, vcc_lo, v20, v24
	v_add_co_ci_u32_e64 v25, null, v21, v25, vcc_lo
	global_store_short v[24:25], v26, off
	s_or_b32 exec_lo, exec_lo, s12
	s_and_b32 s18, s2, s8
	s_and_saveexec_b32 s12, s18
	s_cbranch_execz .LBB262_294
.LBB262_307:
	v_cmp_ne_u32_e32 vcc_lo, 1, v91
	s_cbranch_vccnz .LBB262_309
; %bb.308:
	v_lshlrev_b64 v[24:25], 1, v[36:37]
	v_add_co_u32 v24, vcc_lo, v22, v24
	v_add_co_ci_u32_e64 v25, null, v23, v25, vcc_lo
	global_load_ushort v24, v[24:25], off
	s_waitcnt vmcnt(0)
	v_mul_f16_e32 v24, s15, v24
	v_cvt_f32_f16_e32 v24, v24
	s_branch .LBB262_310
.LBB262_309:
	v_mov_b32_e32 v24, 0
.LBB262_310:
	v_pk_add_f16 v25, v12, v4
	v_pk_add_f16 v26, v13, v5
	v_max_f16_e32 v27, v57, v57
	v_lshrrev_b32_e32 v28, 16, v57
	v_max_f32_e32 v24, v24, v24
	v_lshrrev_b32_e32 v29, 16, v25
	v_lshrrev_b32_e32 v30, 16, v26
	v_min_f16_e32 v25, v27, v25
	v_min3_f16 v27, v28, v29, v30
	v_min3_f16 v25, v25, v26, v27
	v_cvt_f32_f16_e32 v25, v25
	v_min_f32_e32 v26, v24, v25
	v_lshlrev_b64 v[24:25], 1, v[36:37]
	v_cvt_f16_f32_e32 v26, v26
	v_add_co_u32 v24, vcc_lo, v20, v24
	v_add_co_ci_u32_e64 v25, null, v21, v25, vcc_lo
	global_store_short v[24:25], v26, off
	s_or_b32 exec_lo, exec_lo, s12
	s_and_b32 s18, s3, s8
	s_and_saveexec_b32 s12, s18
	s_cbranch_execz .LBB262_295
.LBB262_311:
	v_cmp_ne_u32_e32 vcc_lo, 1, v91
	s_cbranch_vccnz .LBB262_313
; %bb.312:
	v_lshlrev_b64 v[24:25], 1, v[38:39]
	v_add_co_u32 v24, vcc_lo, v22, v24
	v_add_co_ci_u32_e64 v25, null, v23, v25, vcc_lo
	global_load_ushort v24, v[24:25], off
	s_waitcnt vmcnt(0)
	v_mul_f16_e32 v24, s15, v24
	v_cvt_f32_f16_e32 v24, v24
	s_branch .LBB262_314
.LBB262_313:
	v_mov_b32_e32 v24, 0
.LBB262_314:
	v_pk_add_f16 v25, v14, v4
	v_pk_add_f16 v26, v15, v5
	v_max_f16_e32 v27, v55, v55
	v_lshrrev_b32_e32 v28, 16, v55
	v_max_f32_e32 v24, v24, v24
	v_lshrrev_b32_e32 v29, 16, v25
	v_lshrrev_b32_e32 v30, 16, v26
	v_min_f16_e32 v25, v27, v25
	v_min3_f16 v27, v28, v29, v30
	v_min3_f16 v25, v25, v26, v27
	v_cvt_f32_f16_e32 v25, v25
	v_min_f32_e32 v26, v24, v25
	v_lshlrev_b64 v[24:25], 1, v[38:39]
	v_cvt_f16_f32_e32 v26, v26
	v_add_co_u32 v24, vcc_lo, v20, v24
	v_add_co_ci_u32_e64 v25, null, v21, v25, vcc_lo
	global_store_short v[24:25], v26, off
	s_or_b32 exec_lo, exec_lo, s12
	s_and_b32 s18, s4, s8
	s_and_saveexec_b32 s12, s18
	s_cbranch_execz .LBB262_296
.LBB262_315:
	v_cmp_ne_u32_e32 vcc_lo, 1, v91
	s_cbranch_vccnz .LBB262_317
; %bb.316:
	v_lshlrev_b64 v[24:25], 1, v[40:41]
	v_add_co_u32 v24, vcc_lo, v22, v24
	v_add_co_ci_u32_e64 v25, null, v23, v25, vcc_lo
	global_load_ushort v24, v[24:25], off
	s_waitcnt vmcnt(0)
	v_mul_f16_e32 v24, s15, v24
	v_cvt_f32_f16_e32 v24, v24
	s_branch .LBB262_318
.LBB262_317:
	v_mov_b32_e32 v24, 0
.LBB262_318:
	v_pk_add_f16 v25, v8, v4
	v_pk_add_f16 v26, v9, v5
	v_max_f16_e32 v27, v54, v54
	v_lshrrev_b32_e32 v28, 16, v54
	v_max_f32_e32 v24, v24, v24
	v_lshrrev_b32_e32 v29, 16, v25
	v_lshrrev_b32_e32 v30, 16, v26
	v_min_f16_e32 v25, v27, v25
	v_min3_f16 v27, v28, v29, v30
	v_min3_f16 v25, v25, v26, v27
	v_cvt_f32_f16_e32 v25, v25
	v_min_f32_e32 v26, v24, v25
	v_lshlrev_b64 v[24:25], 1, v[40:41]
	v_cvt_f16_f32_e32 v26, v26
	v_add_co_u32 v24, vcc_lo, v20, v24
	v_add_co_ci_u32_e64 v25, null, v21, v25, vcc_lo
	global_store_short v[24:25], v26, off
	s_or_b32 exec_lo, exec_lo, s12
	s_and_b32 s18, s5, s8
	s_and_saveexec_b32 s12, s18
	s_cbranch_execz .LBB262_297
.LBB262_319:
	v_cmp_ne_u32_e32 vcc_lo, 1, v91
	s_cbranch_vccnz .LBB262_321
; %bb.320:
	v_lshlrev_b64 v[24:25], 1, v[42:43]
	v_add_co_u32 v24, vcc_lo, v22, v24
	v_add_co_ci_u32_e64 v25, null, v23, v25, vcc_lo
	global_load_ushort v24, v[24:25], off
	s_waitcnt vmcnt(0)
	v_mul_f16_e32 v24, s15, v24
	v_cvt_f32_f16_e32 v24, v24
	s_branch .LBB262_322
.LBB262_321:
	v_mov_b32_e32 v24, 0
.LBB262_322:
	v_pk_add_f16 v25, v10, v4
	v_pk_add_f16 v26, v11, v5
	v_max_f16_e32 v27, v53, v53
	v_lshrrev_b32_e32 v28, 16, v53
	v_max_f32_e32 v24, v24, v24
	v_lshrrev_b32_e32 v29, 16, v25
	v_lshrrev_b32_e32 v30, 16, v26
	v_min_f16_e32 v25, v27, v25
	v_min3_f16 v27, v28, v29, v30
	v_min3_f16 v25, v25, v26, v27
	v_cvt_f32_f16_e32 v25, v25
	v_min_f32_e32 v26, v24, v25
	v_lshlrev_b64 v[24:25], 1, v[42:43]
	v_cvt_f16_f32_e32 v26, v26
	v_add_co_u32 v24, vcc_lo, v20, v24
	v_add_co_ci_u32_e64 v25, null, v21, v25, vcc_lo
	global_store_short v[24:25], v26, off
	s_or_b32 exec_lo, exec_lo, s12
	s_and_b32 s18, s6, s8
	s_and_saveexec_b32 s12, s18
	s_cbranch_execz .LBB262_298
.LBB262_323:
	v_cmp_ne_u32_e32 vcc_lo, 1, v91
	s_cbranch_vccnz .LBB262_325
; %bb.324:
	v_lshlrev_b64 v[24:25], 1, v[44:45]
	v_add_co_u32 v24, vcc_lo, v22, v24
	v_add_co_ci_u32_e64 v25, null, v23, v25, vcc_lo
	global_load_ushort v24, v[24:25], off
	s_waitcnt vmcnt(0)
	v_mul_f16_e32 v24, s15, v24
	v_cvt_f32_f16_e32 v24, v24
	s_branch .LBB262_326
.LBB262_325:
	v_mov_b32_e32 v24, 0
.LBB262_326:
	v_pk_add_f16 v25, v0, v4
	v_pk_add_f16 v26, v1, v5
	v_max_f16_e32 v27, v51, v51
	v_lshrrev_b32_e32 v28, 16, v51
	v_max_f32_e32 v24, v24, v24
	v_lshrrev_b32_e32 v29, 16, v25
	v_lshrrev_b32_e32 v30, 16, v26
	v_min_f16_e32 v25, v27, v25
	v_min3_f16 v27, v28, v29, v30
	v_min3_f16 v25, v25, v26, v27
	v_cvt_f32_f16_e32 v25, v25
	v_min_f32_e32 v26, v24, v25
	v_lshlrev_b64 v[24:25], 1, v[44:45]
	v_cvt_f16_f32_e32 v26, v26
	v_add_co_u32 v24, vcc_lo, v20, v24
	v_add_co_ci_u32_e64 v25, null, v21, v25, vcc_lo
	global_store_short v[24:25], v26, off
	s_or_b32 exec_lo, exec_lo, s12
	s_and_b32 s12, s7, s8
	s_and_saveexec_b32 s8, s12
	s_cbranch_execz .LBB262_331
.LBB262_327:
	v_cmp_ne_u32_e32 vcc_lo, 1, v91
	s_cbranch_vccnz .LBB262_329
; %bb.328:
	v_lshlrev_b64 v[24:25], 1, v[46:47]
	v_add_co_u32 v22, vcc_lo, v22, v24
	v_add_co_ci_u32_e64 v23, null, v23, v25, vcc_lo
	global_load_ushort v22, v[22:23], off
	s_waitcnt vmcnt(0)
	v_mul_f16_e32 v22, s15, v22
	v_cvt_f32_f16_e32 v22, v22
	s_branch .LBB262_330
.LBB262_329:
	v_mov_b32_e32 v22, 0
.LBB262_330:
	v_pk_add_f16 v4, v2, v4
	v_pk_add_f16 v5, v3, v5
	v_max_f16_e32 v23, v52, v52
	v_lshrrev_b32_e32 v24, 16, v52
	v_lshrrev_b32_e32 v25, 16, v4
	;; [unrolled: 1-line block ×3, first 2 shown]
	v_min_f16_e32 v4, v23, v4
	v_min3_f16 v23, v24, v25, v26
	v_min3_f16 v4, v4, v5, v23
	v_max_f32_e32 v5, v22, v22
	v_cvt_f32_f16_e32 v4, v4
	v_min_f32_e32 v22, v5, v4
	v_lshlrev_b64 v[4:5], 1, v[46:47]
	v_cvt_f16_f32_e32 v22, v22
	v_add_co_u32 v4, vcc_lo, v20, v4
	v_add_co_ci_u32_e64 v5, null, v21, v5, vcc_lo
	global_store_short v[4:5], v22, off
.LBB262_331:
	s_or_b32 exec_lo, exec_lo, s8
	v_add_nc_u32_e32 v22, 56, v103
	v_mad_i64_i32 v[4:5], null, v22, s14, 0
	v_mad_i64_i32 v[20:21], null, v22, s9, 0
	v_cmp_gt_i32_e64 s8, s13, v22
	v_lshlrev_b64 v[4:5], 1, v[4:5]
	s_and_b32 s9, s0, s8
	v_lshlrev_b64 v[20:21], 1, v[20:21]
	v_add_co_u32 v22, vcc_lo, s16, v4
	v_add_co_ci_u32_e64 v23, null, s17, v5, vcc_lo
	v_add_co_u32 v20, vcc_lo, s10, v20
	v_add_co_ci_u32_e64 v21, null, s11, v21, vcc_lo
	s_and_saveexec_b32 s0, s9
	s_cbranch_execnz .LBB262_340
; %bb.332:
	s_or_b32 exec_lo, exec_lo, s0
	s_and_b32 s1, s1, s8
	s_and_saveexec_b32 s0, s1
	s_cbranch_execnz .LBB262_344
.LBB262_333:
	s_or_b32 exec_lo, exec_lo, s0
	s_and_b32 s1, s2, s8
	s_and_saveexec_b32 s0, s1
	s_cbranch_execnz .LBB262_348
.LBB262_334:
	s_or_b32 exec_lo, exec_lo, s0
	s_and_b32 s1, s3, s8
	s_and_saveexec_b32 s0, s1
	s_cbranch_execnz .LBB262_352
.LBB262_335:
	s_or_b32 exec_lo, exec_lo, s0
	s_and_b32 s1, s4, s8
	s_and_saveexec_b32 s0, s1
	s_cbranch_execnz .LBB262_356
.LBB262_336:
	s_or_b32 exec_lo, exec_lo, s0
	s_and_b32 s1, s5, s8
	s_and_saveexec_b32 s0, s1
	s_cbranch_execnz .LBB262_360
.LBB262_337:
	s_or_b32 exec_lo, exec_lo, s0
	s_and_b32 s1, s6, s8
	s_and_saveexec_b32 s0, s1
	s_cbranch_execnz .LBB262_364
.LBB262_338:
	s_or_b32 exec_lo, exec_lo, s0
	s_and_b32 s0, s7, s8
	s_and_saveexec_b32 s1, s0
	s_cbranch_execnz .LBB262_368
.LBB262_339:
	s_endpgm
.LBB262_340:
	v_cmp_ne_u32_e32 vcc_lo, 1, v91
	v_lshlrev_b64 v[4:5], 1, v[32:33]
	s_cbranch_vccnz .LBB262_342
; %bb.341:
	v_add_co_u32 v24, vcc_lo, v22, v4
	v_add_co_ci_u32_e64 v25, null, v23, v5, vcc_lo
	global_load_ushort v24, v[24:25], off
	s_waitcnt vmcnt(0)
	v_mul_f16_e32 v24, s15, v24
	v_cvt_f32_f16_e32 v24, v24
	s_branch .LBB262_343
.LBB262_342:
	v_mov_b32_e32 v24, 0
.LBB262_343:
	v_pk_add_f16 v16, v16, v6
	v_pk_add_f16 v17, v17, v7
	v_max_f16_e32 v25, v50, v50
	v_lshrrev_b32_e32 v26, 16, v50
	v_add_co_u32 v4, vcc_lo, v20, v4
	v_lshrrev_b32_e32 v27, 16, v16
	v_lshrrev_b32_e32 v28, 16, v17
	v_min_f16_e32 v16, v25, v16
	v_add_co_ci_u32_e64 v5, null, v21, v5, vcc_lo
	v_min3_f16 v25, v26, v27, v28
	v_min3_f16 v16, v16, v17, v25
	v_max_f32_e32 v17, v24, v24
	v_cvt_f32_f16_e32 v16, v16
	v_min_f32_e32 v16, v17, v16
	v_cvt_f16_f32_e32 v16, v16
	global_store_short v[4:5], v16, off
	s_or_b32 exec_lo, exec_lo, s0
	s_and_b32 s1, s1, s8
	s_and_saveexec_b32 s0, s1
	s_cbranch_execz .LBB262_333
.LBB262_344:
	v_cmp_ne_u32_e32 vcc_lo, 1, v91
	v_lshlrev_b64 v[4:5], 1, v[34:35]
	s_cbranch_vccnz .LBB262_346
; %bb.345:
	v_add_co_u32 v16, vcc_lo, v22, v4
	v_add_co_ci_u32_e64 v17, null, v23, v5, vcc_lo
	global_load_ushort v16, v[16:17], off
	s_waitcnt vmcnt(0)
	v_mul_f16_e32 v16, s15, v16
	v_cvt_f32_f16_e32 v16, v16
	s_branch .LBB262_347
.LBB262_346:
	v_mov_b32_e32 v16, 0
.LBB262_347:
	v_pk_add_f16 v17, v18, v6
	v_pk_add_f16 v18, v19, v7
	v_max_f16_e32 v19, v49, v49
	v_lshrrev_b32_e32 v24, 16, v49
	v_max_f32_e32 v16, v16, v16
	v_lshrrev_b32_e32 v25, 16, v17
	v_lshrrev_b32_e32 v26, 16, v18
	v_min_f16_e32 v17, v19, v17
	v_add_co_u32 v4, vcc_lo, v20, v4
	v_add_co_ci_u32_e64 v5, null, v21, v5, vcc_lo
	v_min3_f16 v19, v24, v25, v26
	v_min3_f16 v17, v17, v18, v19
	v_cvt_f32_f16_e32 v17, v17
	v_min_f32_e32 v16, v16, v17
	v_cvt_f16_f32_e32 v16, v16
	global_store_short v[4:5], v16, off
	s_or_b32 exec_lo, exec_lo, s0
	s_and_b32 s1, s2, s8
	s_and_saveexec_b32 s0, s1
	s_cbranch_execz .LBB262_334
.LBB262_348:
	v_cmp_ne_u32_e32 vcc_lo, 1, v91
	v_lshlrev_b64 v[4:5], 1, v[36:37]
	s_cbranch_vccnz .LBB262_350
; %bb.349:
	v_add_co_u32 v16, vcc_lo, v22, v4
	v_add_co_ci_u32_e64 v17, null, v23, v5, vcc_lo
	global_load_ushort v16, v[16:17], off
	s_waitcnt vmcnt(0)
	v_mul_f16_e32 v16, s15, v16
	v_cvt_f32_f16_e32 v16, v16
	s_branch .LBB262_351
.LBB262_350:
	v_mov_b32_e32 v16, 0
.LBB262_351:
	v_pk_add_f16 v12, v12, v6
	v_pk_add_f16 v13, v13, v7
	v_max_f16_e32 v17, v48, v48
	v_lshrrev_b32_e32 v18, 16, v48
	v_add_co_u32 v4, vcc_lo, v20, v4
	v_lshrrev_b32_e32 v19, 16, v12
	v_lshrrev_b32_e32 v24, 16, v13
	v_min_f16_e32 v12, v17, v12
	v_add_co_ci_u32_e64 v5, null, v21, v5, vcc_lo
	v_min3_f16 v17, v18, v19, v24
	v_min3_f16 v12, v12, v13, v17
	v_max_f32_e32 v13, v16, v16
	v_cvt_f32_f16_e32 v12, v12
	v_min_f32_e32 v12, v13, v12
	v_cvt_f16_f32_e32 v12, v12
	global_store_short v[4:5], v12, off
	s_or_b32 exec_lo, exec_lo, s0
	s_and_b32 s1, s3, s8
	s_and_saveexec_b32 s0, s1
	s_cbranch_execz .LBB262_335
.LBB262_352:
	v_cmp_ne_u32_e32 vcc_lo, 1, v91
	v_lshlrev_b64 v[4:5], 1, v[38:39]
	s_cbranch_vccnz .LBB262_354
; %bb.353:
	v_add_co_u32 v12, vcc_lo, v22, v4
	v_add_co_ci_u32_e64 v13, null, v23, v5, vcc_lo
	global_load_ushort v12, v[12:13], off
	s_waitcnt vmcnt(0)
	v_mul_f16_e32 v12, s15, v12
	v_cvt_f32_f16_e32 v12, v12
	s_branch .LBB262_355
.LBB262_354:
	v_mov_b32_e32 v12, 0
.LBB262_355:
	v_pk_add_f16 v13, v14, v6
	v_pk_add_f16 v14, v15, v7
	v_max_f16_e32 v15, v65, v65
	v_lshrrev_b32_e32 v16, 16, v65
	v_max_f32_e32 v12, v12, v12
	v_lshrrev_b32_e32 v17, 16, v13
	v_lshrrev_b32_e32 v18, 16, v14
	v_min_f16_e32 v13, v15, v13
	v_add_co_u32 v4, vcc_lo, v20, v4
	v_add_co_ci_u32_e64 v5, null, v21, v5, vcc_lo
	v_min3_f16 v15, v16, v17, v18
	v_min3_f16 v13, v13, v14, v15
	v_cvt_f32_f16_e32 v13, v13
	v_min_f32_e32 v12, v12, v13
	v_cvt_f16_f32_e32 v12, v12
	global_store_short v[4:5], v12, off
	s_or_b32 exec_lo, exec_lo, s0
	s_and_b32 s1, s4, s8
	s_and_saveexec_b32 s0, s1
	s_cbranch_execz .LBB262_336
.LBB262_356:
	v_cmp_ne_u32_e32 vcc_lo, 1, v91
	v_lshlrev_b64 v[4:5], 1, v[40:41]
	s_cbranch_vccnz .LBB262_358
; %bb.357:
	v_add_co_u32 v12, vcc_lo, v22, v4
	v_add_co_ci_u32_e64 v13, null, v23, v5, vcc_lo
	global_load_ushort v12, v[12:13], off
	s_waitcnt vmcnt(0)
	v_mul_f16_e32 v12, s15, v12
	v_cvt_f32_f16_e32 v12, v12
	s_branch .LBB262_359
.LBB262_358:
	v_mov_b32_e32 v12, 0
.LBB262_359:
	v_pk_add_f16 v8, v8, v6
	v_pk_add_f16 v9, v9, v7
	v_max_f16_e32 v13, v62, v62
	v_lshrrev_b32_e32 v14, 16, v62
	v_add_co_u32 v4, vcc_lo, v20, v4
	v_lshrrev_b32_e32 v15, 16, v8
	v_lshrrev_b32_e32 v16, 16, v9
	v_min_f16_e32 v8, v13, v8
	v_add_co_ci_u32_e64 v5, null, v21, v5, vcc_lo
	v_min3_f16 v13, v14, v15, v16
	v_min3_f16 v8, v8, v9, v13
	v_max_f32_e32 v9, v12, v12
	v_cvt_f32_f16_e32 v8, v8
	v_min_f32_e32 v8, v9, v8
	v_cvt_f16_f32_e32 v8, v8
	global_store_short v[4:5], v8, off
	s_or_b32 exec_lo, exec_lo, s0
	s_and_b32 s1, s5, s8
	s_and_saveexec_b32 s0, s1
	s_cbranch_execz .LBB262_337
.LBB262_360:
	v_cmp_ne_u32_e32 vcc_lo, 1, v91
	v_lshlrev_b64 v[4:5], 1, v[42:43]
	s_cbranch_vccnz .LBB262_362
; %bb.361:
	v_add_co_u32 v8, vcc_lo, v22, v4
	v_add_co_ci_u32_e64 v9, null, v23, v5, vcc_lo
	global_load_ushort v8, v[8:9], off
	s_waitcnt vmcnt(0)
	v_mul_f16_e32 v8, s15, v8
	v_cvt_f32_f16_e32 v8, v8
	s_branch .LBB262_363
.LBB262_362:
	v_mov_b32_e32 v8, 0
.LBB262_363:
	v_pk_add_f16 v9, v10, v6
	v_pk_add_f16 v10, v11, v7
	v_max_f16_e32 v11, v60, v60
	v_lshrrev_b32_e32 v12, 16, v60
	v_max_f32_e32 v8, v8, v8
	v_lshrrev_b32_e32 v13, 16, v9
	v_lshrrev_b32_e32 v14, 16, v10
	v_min_f16_e32 v9, v11, v9
	v_add_co_u32 v4, vcc_lo, v20, v4
	v_add_co_ci_u32_e64 v5, null, v21, v5, vcc_lo
	v_min3_f16 v11, v12, v13, v14
	v_min3_f16 v9, v9, v10, v11
	v_cvt_f32_f16_e32 v9, v9
	v_min_f32_e32 v8, v8, v9
	v_cvt_f16_f32_e32 v8, v8
	global_store_short v[4:5], v8, off
	s_or_b32 exec_lo, exec_lo, s0
	s_and_b32 s1, s6, s8
	s_and_saveexec_b32 s0, s1
	s_cbranch_execz .LBB262_338
.LBB262_364:
	v_cmp_ne_u32_e32 vcc_lo, 1, v91
	v_lshlrev_b64 v[4:5], 1, v[44:45]
	s_cbranch_vccnz .LBB262_366
; %bb.365:
	v_add_co_u32 v8, vcc_lo, v22, v4
	v_add_co_ci_u32_e64 v9, null, v23, v5, vcc_lo
	global_load_ushort v8, v[8:9], off
	s_waitcnt vmcnt(0)
	v_mul_f16_e32 v8, s15, v8
	v_cvt_f32_f16_e32 v8, v8
	s_branch .LBB262_367
.LBB262_366:
	v_mov_b32_e32 v8, 0
.LBB262_367:
	v_pk_add_f16 v0, v0, v6
	v_pk_add_f16 v1, v1, v7
	v_max_f16_e32 v9, v58, v58
	v_lshrrev_b32_e32 v10, 16, v58
	v_lshrrev_b32_e32 v11, 16, v0
	;; [unrolled: 1-line block ×3, first 2 shown]
	v_min_f16_e32 v0, v9, v0
	v_min3_f16 v9, v10, v11, v12
	v_min3_f16 v0, v0, v1, v9
	v_max_f32_e32 v1, v8, v8
	v_cvt_f32_f16_e32 v0, v0
	v_min_f32_e32 v0, v1, v0
	v_cvt_f16_f32_e32 v8, v0
	v_add_co_u32 v0, vcc_lo, v20, v4
	v_add_co_ci_u32_e64 v1, null, v21, v5, vcc_lo
	global_store_short v[0:1], v8, off
	s_or_b32 exec_lo, exec_lo, s0
	s_and_b32 s0, s7, s8
	s_and_saveexec_b32 s1, s0
	s_cbranch_execz .LBB262_339
.LBB262_368:
	v_cmp_ne_u32_e32 vcc_lo, 1, v91
	v_lshlrev_b64 v[0:1], 1, v[46:47]
	s_cbranch_vccnz .LBB262_370
; %bb.369:
	v_add_co_u32 v4, vcc_lo, v22, v0
	v_add_co_ci_u32_e64 v5, null, v23, v1, vcc_lo
	global_load_ushort v4, v[4:5], off
	s_waitcnt vmcnt(0)
	v_mul_f16_e32 v4, s15, v4
	v_cvt_f32_f16_e32 v4, v4
	s_branch .LBB262_371
.LBB262_370:
	v_mov_b32_e32 v4, 0
.LBB262_371:
	v_pk_add_f16 v2, v2, v6
	v_pk_add_f16 v3, v3, v7
	v_max_f16_e32 v5, v56, v56
	v_lshrrev_b32_e32 v6, 16, v56
	v_add_co_u32 v0, vcc_lo, v20, v0
	v_lshrrev_b32_e32 v7, 16, v2
	v_lshrrev_b32_e32 v8, 16, v3
	v_min_f16_e32 v2, v5, v2
	v_add_co_ci_u32_e64 v1, null, v21, v1, vcc_lo
	v_min3_f16 v5, v6, v7, v8
	v_min3_f16 v2, v2, v3, v5
	v_max_f32_e32 v3, v4, v4
	v_cvt_f32_f16_e32 v2, v2
	v_min_f32_e32 v2, v3, v2
	v_cvt_f16_f32_e32 v2, v2
	global_store_short v[0:1], v2, off
	s_endpgm
	.section	.rodata,"a",@progbits
	.p2align	6, 0x0
	.amdhsa_kernel _ZN12_GLOBAL__N_120geam_min_plus_kernelIDF16_Dv2_DF16_S1_Li32ELi8ELi256ELi64ELi4ELi64ELi4ELi4ELi64ELc78ELc78ELb1ELb1ELb1EDF16_KDF16_DF16_EEviiiT16_PT17_ilS5_ilS3_S5_ilPT18_ili26rocblas_geam_ex_operation_
		.amdhsa_group_segment_fixed_size 5120
		.amdhsa_private_segment_fixed_size 0
		.amdhsa_kernarg_size 128
		.amdhsa_user_sgpr_count 6
		.amdhsa_user_sgpr_private_segment_buffer 1
		.amdhsa_user_sgpr_dispatch_ptr 0
		.amdhsa_user_sgpr_queue_ptr 0
		.amdhsa_user_sgpr_kernarg_segment_ptr 1
		.amdhsa_user_sgpr_dispatch_id 0
		.amdhsa_user_sgpr_flat_scratch_init 0
		.amdhsa_user_sgpr_private_segment_size 0
		.amdhsa_wavefront_size32 1
		.amdhsa_uses_dynamic_stack 0
		.amdhsa_system_sgpr_private_segment_wavefront_offset 0
		.amdhsa_system_sgpr_workgroup_id_x 1
		.amdhsa_system_sgpr_workgroup_id_y 0
		.amdhsa_system_sgpr_workgroup_id_z 1
		.amdhsa_system_sgpr_workgroup_info 0
		.amdhsa_system_vgpr_workitem_id 1
		.amdhsa_next_free_vgpr 156
		.amdhsa_next_free_sgpr 28
		.amdhsa_reserve_vcc 1
		.amdhsa_reserve_flat_scratch 0
		.amdhsa_float_round_mode_32 0
		.amdhsa_float_round_mode_16_64 0
		.amdhsa_float_denorm_mode_32 3
		.amdhsa_float_denorm_mode_16_64 3
		.amdhsa_dx10_clamp 1
		.amdhsa_ieee_mode 1
		.amdhsa_fp16_overflow 0
		.amdhsa_workgroup_processor_mode 1
		.amdhsa_memory_ordered 1
		.amdhsa_forward_progress 1
		.amdhsa_shared_vgpr_count 0
		.amdhsa_exception_fp_ieee_invalid_op 0
		.amdhsa_exception_fp_denorm_src 0
		.amdhsa_exception_fp_ieee_div_zero 0
		.amdhsa_exception_fp_ieee_overflow 0
		.amdhsa_exception_fp_ieee_underflow 0
		.amdhsa_exception_fp_ieee_inexact 0
		.amdhsa_exception_int_div_zero 0
	.end_amdhsa_kernel
	.section	.text._ZN12_GLOBAL__N_120geam_min_plus_kernelIDF16_Dv2_DF16_S1_Li32ELi8ELi256ELi64ELi4ELi64ELi4ELi4ELi64ELc78ELc78ELb1ELb1ELb1EDF16_KDF16_DF16_EEviiiT16_PT17_ilS5_ilS3_S5_ilPT18_ili26rocblas_geam_ex_operation_,"axG",@progbits,_ZN12_GLOBAL__N_120geam_min_plus_kernelIDF16_Dv2_DF16_S1_Li32ELi8ELi256ELi64ELi4ELi64ELi4ELi4ELi64ELc78ELc78ELb1ELb1ELb1EDF16_KDF16_DF16_EEviiiT16_PT17_ilS5_ilS3_S5_ilPT18_ili26rocblas_geam_ex_operation_,comdat
.Lfunc_end262:
	.size	_ZN12_GLOBAL__N_120geam_min_plus_kernelIDF16_Dv2_DF16_S1_Li32ELi8ELi256ELi64ELi4ELi64ELi4ELi4ELi64ELc78ELc78ELb1ELb1ELb1EDF16_KDF16_DF16_EEviiiT16_PT17_ilS5_ilS3_S5_ilPT18_ili26rocblas_geam_ex_operation_, .Lfunc_end262-_ZN12_GLOBAL__N_120geam_min_plus_kernelIDF16_Dv2_DF16_S1_Li32ELi8ELi256ELi64ELi4ELi64ELi4ELi4ELi64ELc78ELc78ELb1ELb1ELb1EDF16_KDF16_DF16_EEviiiT16_PT17_ilS5_ilS3_S5_ilPT18_ili26rocblas_geam_ex_operation_
                                        ; -- End function
	.set _ZN12_GLOBAL__N_120geam_min_plus_kernelIDF16_Dv2_DF16_S1_Li32ELi8ELi256ELi64ELi4ELi64ELi4ELi4ELi64ELc78ELc78ELb1ELb1ELb1EDF16_KDF16_DF16_EEviiiT16_PT17_ilS5_ilS3_S5_ilPT18_ili26rocblas_geam_ex_operation_.num_vgpr, 156
	.set _ZN12_GLOBAL__N_120geam_min_plus_kernelIDF16_Dv2_DF16_S1_Li32ELi8ELi256ELi64ELi4ELi64ELi4ELi4ELi64ELc78ELc78ELb1ELb1ELb1EDF16_KDF16_DF16_EEviiiT16_PT17_ilS5_ilS3_S5_ilPT18_ili26rocblas_geam_ex_operation_.num_agpr, 0
	.set _ZN12_GLOBAL__N_120geam_min_plus_kernelIDF16_Dv2_DF16_S1_Li32ELi8ELi256ELi64ELi4ELi64ELi4ELi4ELi64ELc78ELc78ELb1ELb1ELb1EDF16_KDF16_DF16_EEviiiT16_PT17_ilS5_ilS3_S5_ilPT18_ili26rocblas_geam_ex_operation_.numbered_sgpr, 28
	.set _ZN12_GLOBAL__N_120geam_min_plus_kernelIDF16_Dv2_DF16_S1_Li32ELi8ELi256ELi64ELi4ELi64ELi4ELi4ELi64ELc78ELc78ELb1ELb1ELb1EDF16_KDF16_DF16_EEviiiT16_PT17_ilS5_ilS3_S5_ilPT18_ili26rocblas_geam_ex_operation_.num_named_barrier, 0
	.set _ZN12_GLOBAL__N_120geam_min_plus_kernelIDF16_Dv2_DF16_S1_Li32ELi8ELi256ELi64ELi4ELi64ELi4ELi4ELi64ELc78ELc78ELb1ELb1ELb1EDF16_KDF16_DF16_EEviiiT16_PT17_ilS5_ilS3_S5_ilPT18_ili26rocblas_geam_ex_operation_.private_seg_size, 0
	.set _ZN12_GLOBAL__N_120geam_min_plus_kernelIDF16_Dv2_DF16_S1_Li32ELi8ELi256ELi64ELi4ELi64ELi4ELi4ELi64ELc78ELc78ELb1ELb1ELb1EDF16_KDF16_DF16_EEviiiT16_PT17_ilS5_ilS3_S5_ilPT18_ili26rocblas_geam_ex_operation_.uses_vcc, 1
	.set _ZN12_GLOBAL__N_120geam_min_plus_kernelIDF16_Dv2_DF16_S1_Li32ELi8ELi256ELi64ELi4ELi64ELi4ELi4ELi64ELc78ELc78ELb1ELb1ELb1EDF16_KDF16_DF16_EEviiiT16_PT17_ilS5_ilS3_S5_ilPT18_ili26rocblas_geam_ex_operation_.uses_flat_scratch, 0
	.set _ZN12_GLOBAL__N_120geam_min_plus_kernelIDF16_Dv2_DF16_S1_Li32ELi8ELi256ELi64ELi4ELi64ELi4ELi4ELi64ELc78ELc78ELb1ELb1ELb1EDF16_KDF16_DF16_EEviiiT16_PT17_ilS5_ilS3_S5_ilPT18_ili26rocblas_geam_ex_operation_.has_dyn_sized_stack, 0
	.set _ZN12_GLOBAL__N_120geam_min_plus_kernelIDF16_Dv2_DF16_S1_Li32ELi8ELi256ELi64ELi4ELi64ELi4ELi4ELi64ELc78ELc78ELb1ELb1ELb1EDF16_KDF16_DF16_EEviiiT16_PT17_ilS5_ilS3_S5_ilPT18_ili26rocblas_geam_ex_operation_.has_recursion, 0
	.set _ZN12_GLOBAL__N_120geam_min_plus_kernelIDF16_Dv2_DF16_S1_Li32ELi8ELi256ELi64ELi4ELi64ELi4ELi4ELi64ELc78ELc78ELb1ELb1ELb1EDF16_KDF16_DF16_EEviiiT16_PT17_ilS5_ilS3_S5_ilPT18_ili26rocblas_geam_ex_operation_.has_indirect_call, 0
	.section	.AMDGPU.csdata,"",@progbits
; Kernel info:
; codeLenInByte = 22860
; TotalNumSgprs: 30
; NumVgprs: 156
; ScratchSize: 0
; MemoryBound: 0
; FloatMode: 240
; IeeeMode: 1
; LDSByteSize: 5120 bytes/workgroup (compile time only)
; SGPRBlocks: 0
; VGPRBlocks: 19
; NumSGPRsForWavesPerEU: 30
; NumVGPRsForWavesPerEU: 156
; Occupancy: 6
; WaveLimiterHint : 0
; COMPUTE_PGM_RSRC2:SCRATCH_EN: 0
; COMPUTE_PGM_RSRC2:USER_SGPR: 6
; COMPUTE_PGM_RSRC2:TRAP_HANDLER: 0
; COMPUTE_PGM_RSRC2:TGID_X_EN: 1
; COMPUTE_PGM_RSRC2:TGID_Y_EN: 0
; COMPUTE_PGM_RSRC2:TGID_Z_EN: 1
; COMPUTE_PGM_RSRC2:TIDIG_COMP_CNT: 1
	.section	.text._ZN12_GLOBAL__N_120geam_min_plus_kernelIDF16_Dv2_DF16_S1_Li32ELi8ELi256ELi64ELi4ELi64ELi4ELi4ELi64ELc78ELc78ELb0ELb1ELb1EDF16_KDF16_DF16_EEviiiT16_PT17_ilS5_ilS3_S5_ilPT18_ili26rocblas_geam_ex_operation_,"axG",@progbits,_ZN12_GLOBAL__N_120geam_min_plus_kernelIDF16_Dv2_DF16_S1_Li32ELi8ELi256ELi64ELi4ELi64ELi4ELi4ELi64ELc78ELc78ELb0ELb1ELb1EDF16_KDF16_DF16_EEviiiT16_PT17_ilS5_ilS3_S5_ilPT18_ili26rocblas_geam_ex_operation_,comdat
	.globl	_ZN12_GLOBAL__N_120geam_min_plus_kernelIDF16_Dv2_DF16_S1_Li32ELi8ELi256ELi64ELi4ELi64ELi4ELi4ELi64ELc78ELc78ELb0ELb1ELb1EDF16_KDF16_DF16_EEviiiT16_PT17_ilS5_ilS3_S5_ilPT18_ili26rocblas_geam_ex_operation_ ; -- Begin function _ZN12_GLOBAL__N_120geam_min_plus_kernelIDF16_Dv2_DF16_S1_Li32ELi8ELi256ELi64ELi4ELi64ELi4ELi4ELi64ELc78ELc78ELb0ELb1ELb1EDF16_KDF16_DF16_EEviiiT16_PT17_ilS5_ilS3_S5_ilPT18_ili26rocblas_geam_ex_operation_
	.p2align	8
	.type	_ZN12_GLOBAL__N_120geam_min_plus_kernelIDF16_Dv2_DF16_S1_Li32ELi8ELi256ELi64ELi4ELi64ELi4ELi4ELi64ELc78ELc78ELb0ELb1ELb1EDF16_KDF16_DF16_EEviiiT16_PT17_ilS5_ilS3_S5_ilPT18_ili26rocblas_geam_ex_operation_,@function
_ZN12_GLOBAL__N_120geam_min_plus_kernelIDF16_Dv2_DF16_S1_Li32ELi8ELi256ELi64ELi4ELi64ELi4ELi4ELi64ELc78ELc78ELb0ELb1ELb1EDF16_KDF16_DF16_EEviiiT16_PT17_ilS5_ilS3_S5_ilPT18_ili26rocblas_geam_ex_operation_: ; @_ZN12_GLOBAL__N_120geam_min_plus_kernelIDF16_Dv2_DF16_S1_Li32ELi8ELi256ELi64ELi4ELi64ELi4ELi4ELi64ELc78ELc78ELb0ELb1ELb1EDF16_KDF16_DF16_EEviiiT16_PT17_ilS5_ilS3_S5_ilPT18_ili26rocblas_geam_ex_operation_
; %bb.0:
	s_clause 0x1
	s_load_dwordx4 s[12:15], s[4:5], 0x0
	s_load_dwordx4 s[0:3], s[4:5], 0x20
	s_waitcnt lgkmcnt(0)
	v_cmp_eq_f16_e64 s8, s15, 0
	s_and_b32 vcc_lo, exec_lo, s8
	s_cbranch_vccnz .LBB263_53
; %bb.1:
	s_load_dwordx2 s[10:11], s[4:5], 0x10
	s_mul_i32 s1, s1, s7
	s_mul_hi_u32 s9, s0, s7
	s_mul_i32 s0, s0, s7
	s_add_i32 s1, s9, s1
	s_lshl_b64 s[0:1], s[0:1], 1
	s_waitcnt lgkmcnt(0)
	s_add_u32 s18, s10, s0
	s_addc_u32 s19, s11, s1
	s_andn2_b32 vcc_lo, exec_lo, s8
	s_mov_b32 s0, -1
	s_cbranch_vccnz .LBB263_3
.LBB263_2:
	s_mov_b32 s0, 0
.LBB263_3:
	s_mov_b64 s[16:17], 0
	s_andn2_b32 vcc_lo, exec_lo, s0
	s_mov_b64 s[20:21], 0
	s_cbranch_vccnz .LBB263_5
; %bb.4:
	s_load_dwordx2 s[0:1], s[4:5], 0x38
	s_waitcnt lgkmcnt(0)
	s_mul_i32 s1, s1, s7
	s_mul_hi_u32 s8, s0, s7
	s_mul_i32 s0, s0, s7
	s_add_i32 s1, s8, s1
	s_lshl_b64 s[0:1], s[0:1], 1
	s_add_u32 s20, s2, s0
	s_addc_u32 s21, s3, s1
.LBB263_5:
	s_clause 0x1
	s_load_dword s22, s[4:5], 0x40
	s_load_dwordx4 s[8:11], s[4:5], 0x58
	s_waitcnt lgkmcnt(0)
	v_cmp_eq_f16_e64 s0, s22, 0
	v_cmp_neq_f16_e64 s23, s22, 0
	s_and_b32 vcc_lo, exec_lo, s0
	s_cbranch_vccnz .LBB263_7
; %bb.6:
	s_load_dwordx2 s[0:1], s[4:5], 0x48
	s_mul_i32 s2, s9, s7
	s_mul_hi_u32 s3, s8, s7
	s_add_i32 s3, s3, s2
	s_mul_i32 s2, s8, s7
	s_lshl_b64 s[2:3], s[2:3], 1
	s_waitcnt lgkmcnt(0)
	s_add_u32 s16, s0, s2
	s_addc_u32 s17, s1, s3
.LBB263_7:
	s_add_i32 s8, s12, -1
	s_load_dword s25, s[4:5], 0x18
	s_ashr_i32 s0, s8, 31
	v_lshl_add_u32 v7, v1, 5, v0
	s_lshr_b32 s0, s0, 24
	v_cmp_eq_f16_e64 s27, s15, 0
	s_add_i32 s0, s8, s0
	v_lshrrev_b32_e32 v47, 6, v7
	s_ashr_i32 s0, s0, 8
	s_add_i32 s1, s0, 1
	s_not_b32 s0, s0
	v_cvt_f32_u32_e32 v2, s1
	v_rcp_iflag_f32_e32 v2, v2
	v_mul_f32_e32 v2, 0x4f7ffffe, v2
	v_cvt_u32_f32_e32 v2, v2
	v_readfirstlane_b32 s2, v2
	v_and_b32_e32 v2, 63, v7
	s_mul_i32 s0, s0, s2
	s_mul_hi_u32 s0, s2, s0
	s_add_i32 s2, s2, s0
	s_mul_hi_u32 s0, s6, s2
	s_mul_i32 s2, s0, s1
	s_add_i32 s3, s0, 1
	s_sub_i32 s2, s6, s2
	s_sub_i32 s9, s2, s1
	s_cmp_ge_u32 s2, s1
	s_cselect_b32 s0, s3, s0
	s_cselect_b32 s2, s9, s2
	s_add_i32 s3, s0, 1
	s_cmp_ge_u32 s2, s1
	s_cselect_b32 s24, s3, s0
	s_add_i32 s26, s14, -1
	s_mul_i32 s0, s24, s1
	v_min_i32_e32 v3, s26, v47
	s_sub_i32 s0, s6, s0
	v_cmp_le_i32_e64 s3, s14, v47
	s_lshl_b32 s9, s0, 8
	s_waitcnt lgkmcnt(0)
	v_mad_i64_i32 v[3:4], null, s25, v3, 0
	v_or_b32_e32 v22, s9, v2
	v_cmp_le_i32_e32 vcc_lo, s12, v22
	v_lshlrev_b64 v[4:5], 1, v[3:4]
	v_ashrrev_i32_e32 v23, 31, v22
	s_or_b32 s1, vcc_lo, s3
	v_add_co_u32 v8, s0, s18, v4
	v_cndmask_b32_e64 v3, 0, 0x7c00, s1
	v_add_co_ci_u32_e64 v9, null, s19, v5, s0
	s_nor_b32 s0, s27, s1
	s_and_saveexec_b32 s1, s0
	s_cbranch_execz .LBB263_9
; %bb.8:
	v_lshlrev_b64 v[3:4], 1, v[22:23]
	v_add_co_u32 v3, s0, v8, v3
	v_add_co_ci_u32_e64 v4, null, v9, v4, s0
	global_load_ushort v3, v[3:4], off
	s_waitcnt vmcnt(0)
	v_mul_f16_e32 v3, s15, v3
.LBB263_9:
	s_or_b32 exec_lo, exec_lo, s1
	v_or_b32_e32 v4, 64, v22
	v_cmp_le_i32_e64 s0, s12, v4
	v_min_i32_e32 v24, s8, v4
	s_or_b32 s1, s0, s3
	v_ashrrev_i32_e32 v25, 31, v24
	v_cndmask_b32_e64 v4, 0, 0x7c00, s1
	s_nor_b32 s1, s1, s27
	s_and_saveexec_b32 s2, s1
	s_cbranch_execz .LBB263_11
; %bb.10:
	v_lshlrev_b64 v[4:5], 1, v[24:25]
	v_add_co_u32 v4, s1, v8, v4
	v_add_co_ci_u32_e64 v5, null, v9, v5, s1
	global_load_ushort v4, v[4:5], off
	s_waitcnt vmcnt(0)
	v_mul_f16_e32 v4, s15, v4
.LBB263_11:
	s_or_b32 exec_lo, exec_lo, s2
	v_or_b32_e32 v5, 0x80, v22
	v_cmp_le_i32_e64 s1, s12, v5
	v_min_i32_e32 v26, s8, v5
	s_or_b32 s2, s1, s3
	v_ashrrev_i32_e32 v27, 31, v26
	v_cndmask_b32_e64 v5, 0, 0x7c00, s2
	;; [unrolled: 18-line block ×3, first 2 shown]
	s_nor_b32 s3, s3, s27
	s_and_saveexec_b32 s6, s3
	s_cbranch_execz .LBB263_15
; %bb.14:
	v_lshlrev_b64 v[10:11], 1, v[28:29]
	v_add_co_u32 v8, s3, v8, v10
	v_add_co_ci_u32_e64 v9, null, v9, v11, s3
	global_load_ushort v6, v[8:9], off
	s_waitcnt vmcnt(0)
	v_mul_f16_e32 v6, s15, v6
.LBB263_15:
	s_or_b32 exec_lo, exec_lo, s6
	v_lshrrev_b32_e32 v7, 2, v7
	s_load_dword s28, s[4:5], 0x30
	s_lshl_b32 s24, s24, 6
	v_and_b32_e32 v78, 3, v0
	v_add_nc_u32_e32 v30, s24, v7
	v_cmp_le_i32_e64 s6, s14, v78
	v_cmp_le_i32_e64 s3, s13, v30
	s_or_b32 s6, s6, s3
	v_cndmask_b32_e64 v8, 0, 0x7c00, s6
	s_nor_b32 s6, s27, s6
	s_and_saveexec_b32 s8, s6
	s_cbranch_execz .LBB263_17
; %bb.16:
	s_waitcnt lgkmcnt(0)
	v_mad_i64_i32 v[8:9], null, v30, s28, 0
	v_min_u32_e32 v10, s26, v78
	v_lshlrev_b32_e32 v10, 1, v10
	v_lshlrev_b64 v[8:9], 1, v[8:9]
	v_add_co_u32 v8, s6, s20, v8
	v_add_co_ci_u32_e64 v9, null, s21, v9, s6
	v_add_co_u32 v8, s6, v8, v10
	v_add_co_ci_u32_e64 v9, null, 0, v9, s6
	global_load_ushort v8, v[8:9], off
	s_waitcnt vmcnt(0)
	v_mul_f16_e32 v8, s15, v8
.LBB263_17:
	s_or_b32 exec_lo, exec_lo, s8
	v_add_nc_u32_e32 v11, 4, v47
	v_min_i32_e32 v9, s26, v11
	v_cmp_le_i32_e64 s6, s14, v11
	v_mad_i64_i32 v[9:10], null, s25, v9, 0
	v_lshlrev_b64 v[9:10], 1, v[9:10]
	v_add_co_u32 v9, s8, s18, v9
	v_add_co_ci_u32_e64 v10, null, s19, v10, s8
	s_or_b32 s8, vcc_lo, s6
	v_cndmask_b32_e64 v31, 0, 0x7c00, s8
	s_nor_b32 s8, s27, s8
	s_and_saveexec_b32 s29, s8
	s_cbranch_execz .LBB263_19
; %bb.18:
	v_lshlrev_b64 v[11:12], 1, v[22:23]
	v_add_co_u32 v11, s8, v9, v11
	v_add_co_ci_u32_e64 v12, null, v10, v12, s8
	global_load_ushort v11, v[11:12], off
	s_waitcnt vmcnt(0)
	v_mul_f16_e32 v31, s15, v11
.LBB263_19:
	s_or_b32 exec_lo, exec_lo, s29
	s_or_b32 s8, s0, s6
	v_cndmask_b32_e64 v32, 0, 0x7c00, s8
	s_nor_b32 s8, s8, s27
	s_and_saveexec_b32 s29, s8
	s_cbranch_execz .LBB263_21
; %bb.20:
	v_lshlrev_b64 v[11:12], 1, v[24:25]
	v_add_co_u32 v11, s8, v9, v11
	v_add_co_ci_u32_e64 v12, null, v10, v12, s8
	global_load_ushort v11, v[11:12], off
	s_waitcnt vmcnt(0)
	v_mul_f16_e32 v32, s15, v11
.LBB263_21:
	s_or_b32 exec_lo, exec_lo, s29
	s_or_b32 s8, s1, s6
	;; [unrolled: 14-line block ×3, first 2 shown]
	v_cndmask_b32_e64 v34, 0, 0x7c00, s6
	s_nor_b32 s6, s6, s27
	s_and_saveexec_b32 s8, s6
	s_cbranch_execz .LBB263_25
; %bb.24:
	v_lshlrev_b64 v[11:12], 1, v[28:29]
	v_add_co_u32 v9, s6, v9, v11
	v_add_co_ci_u32_e64 v10, null, v10, v12, s6
	global_load_ushort v9, v[9:10], off
	s_waitcnt vmcnt(0)
	v_mul_f16_e32 v34, s15, v9
.LBB263_25:
	s_or_b32 exec_lo, exec_lo, s8
	v_or_b32_e32 v9, 4, v78
	v_cmp_le_i32_e64 s6, s14, v9
	s_or_b32 s6, s6, s3
	v_cndmask_b32_e64 v36, 0, 0x7c00, s6
	s_nor_b32 s6, s27, s6
	s_and_saveexec_b32 s8, s6
	s_cbranch_execz .LBB263_27
; %bb.26:
	s_waitcnt lgkmcnt(0)
	v_mad_i64_i32 v[10:11], null, v30, s28, 0
	v_min_u32_e32 v12, s26, v9
	v_lshlrev_b64 v[9:10], 1, v[10:11]
	v_lshlrev_b32_e32 v11, 1, v12
	v_add_co_u32 v9, s6, s20, v9
	v_add_co_ci_u32_e64 v10, null, s21, v10, s6
	v_add_co_u32 v9, s6, v9, v11
	v_add_co_ci_u32_e64 v10, null, 0, v10, s6
	global_load_ushort v9, v[9:10], off
	s_waitcnt vmcnt(0)
	v_mul_f16_e32 v36, s15, v9
.LBB263_27:
	s_or_b32 exec_lo, exec_lo, s8
	v_lshlrev_b32_e32 v2, 3, v2
	v_lshlrev_b32_e32 v35, 1, v78
	;; [unrolled: 1-line block ×4, first 2 shown]
	s_cmp_lt_i32 s14, 9
	v_lshl_add_u32 v83, v47, 1, v2
	v_lshl_or_b32 v37, v7, 3, v35
	ds_write_b16 v83, v3
	ds_write_b16 v83, v4 offset:512
	ds_write_b16 v83, v5 offset:1024
	;; [unrolled: 1-line block ×4, first 2 shown]
	v_add_nc_u32_e32 v6, 0x1000, v75
	s_waitcnt lgkmcnt(0)
	s_barrier
	buffer_gl0_inv
	ds_read2_b64 v[18:21], v76 offset1:32
	ds_read2_b64 v[38:41], v6 offset1:8
	ds_read2_b64 v[14:17], v76 offset0:64 offset1:96
	ds_read2_b64 v[10:13], v76 offset0:128 offset1:160
	;; [unrolled: 1-line block ×6, first 2 shown]
	ds_write_b16 v83, v31 offset:2048
	ds_write_b16 v83, v32 offset:2560
	;; [unrolled: 1-line block ×5, first 2 shown]
	s_waitcnt lgkmcnt(0)
	s_barrier
	buffer_gl0_inv
	v_pk_add_f16 v46, v18, v38
	v_pk_add_f16 v52, v20, v38
	;; [unrolled: 1-line block ×64, first 2 shown]
	v_pk_min_f16 v46, 0x7c00, v46 op_sel_hi:[0,1]
	v_pk_add_f16 v86, v21, v39
	v_pk_min_f16 v52, 0x7c00, v52 op_sel_hi:[0,1]
	v_pk_add_f16 v87, v15, v39
	;; [unrolled: 2-line block ×3, first 2 shown]
	v_pk_add_f16 v4, v11, v39
	v_pk_min_f16 v8, 0x7c00, v55 op_sel_hi:[0,1]
	v_pk_add_f16 v88, v17, v39
	v_pk_min_f16 v54, 0x7c00, v54 op_sel_hi:[0,1]
	v_pk_min_f16 v121, v46, v85
	v_pk_min_f16 v120, v52, v86
	;; [unrolled: 1-line block ×3, first 2 shown]
	v_pk_add_f16 v46, v13, v39
	v_pk_min_f16 v52, 0x7c00, v56 op_sel_hi:[0,1]
	v_pk_add_f16 v53, v3, v39
	v_pk_add_f16 v39, v5, v39
	v_pk_min_f16 v38, 0x7c00, v38 op_sel_hi:[0,1]
	v_pk_min_f16 v117, v8, v4
	v_pk_add_f16 v4, v21, v41
	v_pk_min_f16 v8, 0x7c00, v59 op_sel_hi:[0,1]
	v_pk_min_f16 v118, v54, v88
	v_pk_min_f16 v54, 0x7c00, v57 op_sel_hi:[0,1]
	v_pk_add_f16 v55, v19, v41
	v_pk_min_f16 v56, 0x7c00, v58 op_sel_hi:[0,1]
	v_pk_min_f16 v116, v52, v46
	v_pk_min_f16 v108, v38, v39
	v_pk_add_f16 v38, v15, v41
	v_pk_min_f16 v39, 0x7c00, v60 op_sel_hi:[0,1]
	v_pk_add_f16 v46, v17, v41
	v_pk_min_f16 v52, 0x7c00, v61 op_sel_hi:[0,1]
	v_pk_min_f16 v106, v8, v4
	v_pk_add_f16 v4, v3, v41
	v_pk_min_f16 v8, 0x7c00, v64 op_sel_hi:[0,1]
	v_pk_min_f16 v109, v54, v53
	v_pk_min_f16 v107, v56, v55
	v_pk_add_f16 v53, v11, v41
	v_pk_min_f16 v54, 0x7c00, v62 op_sel_hi:[0,1]
	v_pk_add_f16 v55, v13, v41
	v_pk_min_f16 v105, v39, v38
	v_pk_min_f16 v104, v52, v46
	v_pk_add_f16 v38, v5, v41
	v_pk_min_f16 v39, 0x7c00, v40 op_sel_hi:[0,1]
	v_pk_add_f16 v40, v19, v43
	v_pk_min_f16 v41, 0x7c00, v65 op_sel_hi:[0,1]
	;; [unrolled: 2-line block ×3, first 2 shown]
	v_pk_min_f16 v98, v8, v4
	v_pk_add_f16 v4, v17, v43
	v_pk_min_f16 v8, 0x7c00, v68 op_sel_hi:[0,1]
	v_pk_min_f16 v103, v54, v53
	v_pk_add_f16 v53, v15, v43
	v_pk_min_f16 v99, v39, v38
	v_pk_min_f16 v96, v41, v40
	;; [unrolled: 1-line block ×3, first 2 shown]
	v_pk_add_f16 v38, v11, v43
	v_pk_min_f16 v39, 0x7c00, v69 op_sel_hi:[0,1]
	v_pk_add_f16 v40, v13, v43
	v_pk_min_f16 v41, 0x7c00, v70 op_sel_hi:[0,1]
	v_pk_add_f16 v46, v3, v43
	v_pk_add_f16 v43, v5, v43
	v_pk_min_f16 v42, 0x7c00, v42 op_sel_hi:[0,1]
	v_pk_min_f16 v92, v8, v4
	v_pk_add_f16 v4, v19, v45
	v_pk_min_f16 v8, 0x7c00, v72 op_sel_hi:[0,1]
	v_pk_min_f16 v52, 0x7c00, v71 op_sel_hi:[0,1]
	v_pk_min_f16 v102, v39, v38
	v_pk_min_f16 v101, v41, v40
	;; [unrolled: 1-line block ×3, first 2 shown]
	v_pk_add_f16 v38, v21, v45
	v_pk_min_f16 v39, 0x7c00, v73 op_sel_hi:[0,1]
	v_pk_add_f16 v40, v15, v45
	v_pk_min_f16 v41, 0x7c00, v74 op_sel_hi:[0,1]
	;; [unrolled: 2-line block ×3, first 2 shown]
	v_pk_min_f16 v94, v8, v4
	v_pk_add_f16 v4, v13, v45
	v_pk_min_f16 v8, 0x7c00, v80 op_sel_hi:[0,1]
	v_pk_min_f16 v97, v52, v46
	v_pk_add_f16 v46, v11, v45
	v_pk_min_f16 v91, v39, v38
	v_pk_min_f16 v89, v41, v40
	v_pk_min_f16 v88, v43, v42
	v_pk_add_f16 v38, v3, v45
	v_pk_min_f16 v39, 0x7c00, v81 op_sel_hi:[0,1]
	v_pk_add_f16 v40, v5, v45
	v_pk_min_f16 v41, 0x7c00, v44 op_sel_hi:[0,1]
	;; [unrolled: 2-line block ×4, first 2 shown]
	v_pk_min_f16 v86, v8, v4
	v_pk_add_f16 v4, v15, v49
	v_pk_min_f16 v8, 0x7c00, v110 op_sel_hi:[0,1]
	v_pk_min_f16 v85, v39, v38
	v_pk_min_f16 v84, v41, v40
	v_pk_min_f16 v82, v43, v42
	v_pk_min_f16 v81, v45, v44
	v_pk_add_f16 v38, v17, v49
	v_pk_min_f16 v39, 0x7c00, v111 op_sel_hi:[0,1]
	v_pk_add_f16 v40, v11, v49
	v_pk_min_f16 v41, 0x7c00, v112 op_sel_hi:[0,1]
	v_pk_add_f16 v42, v13, v49
	v_pk_min_f16 v43, 0x7c00, v113 op_sel_hi:[0,1]
	v_pk_add_f16 v44, v3, v49
	v_pk_min_f16 v45, 0x7c00, v114 op_sel_hi:[0,1]
	v_pk_min_f16 v80, v8, v4
	v_pk_add_f16 v4, v5, v49
	v_pk_min_f16 v8, 0x7c00, v48 op_sel_hi:[0,1]
	v_pk_min_f16 v52, 0x7c00, v79 op_sel_hi:[0,1]
	v_pk_min_f16 v79, v39, v38
	v_pk_min_f16 v77, v41, v40
	v_pk_min_f16 v74, v43, v42
	v_pk_min_f16 v72, v45, v44
	v_pk_add_f16 v38, v19, v51
	v_pk_min_f16 v39, 0x7c00, v115 op_sel_hi:[0,1]
	v_pk_add_f16 v40, v21, v51
	v_pk_min_f16 v41, 0x7c00, v122 op_sel_hi:[0,1]
	v_pk_add_f16 v42, v15, v51
	v_pk_min_f16 v43, 0x7c00, v123 op_sel_hi:[0,1]
	v_pk_add_f16 v44, v17, v51
	v_pk_min_f16 v45, 0x7c00, v124 op_sel_hi:[0,1]
	v_pk_min_f16 v73, v8, v4
	v_pk_add_f16 v4, v11, v51
	v_pk_min_f16 v8, 0x7c00, v125 op_sel_hi:[0,1]
	;; [unrolled: 16-line block ×3, first 2 shown]
	v_pk_min_f16 v56, 0x7c00, v63 op_sel_hi:[0,1]
	v_pk_min_f16 v66, v39, v38
	v_pk_min_f16 v65, v41, v40
	;; [unrolled: 1-line block ×4, first 2 shown]
	v_pk_add_f16 v38, v15, v7
	v_pk_add_f16 v40, v17, v7
	;; [unrolled: 1-line block ×4, first 2 shown]
	v_pk_min_f16 v59, v8, v4
	v_pk_add_f16 v4, v3, v7
	v_pk_min_f16 v8, 0x7c00, v134 op_sel_hi:[0,1]
	v_pk_add_f16 v7, v5, v7
	v_pk_min_f16 v6, 0x7c00, v6 op_sel_hi:[0,1]
	v_pk_min_f16 v90, v54, v53
	v_pk_min_f16 v39, 0x7c00, v130 op_sel_hi:[0,1]
	v_pk_min_f16 v41, 0x7c00, v131 op_sel_hi:[0,1]
	;; [unrolled: 1-line block ×4, first 2 shown]
	v_pk_add_f16 v19, v19, v9
	v_pk_min_f16 v18, 0x7c00, v18 op_sel_hi:[0,1]
	v_pk_add_f16 v21, v21, v9
	v_pk_min_f16 v20, 0x7c00, v20 op_sel_hi:[0,1]
	;; [unrolled: 2-line block ×3, first 2 shown]
	v_pk_min_f16 v51, v8, v4
	v_pk_min_f16 v53, v6, v7
	v_pk_add_f16 v4, v17, v9
	v_pk_min_f16 v6, 0x7c00, v16 op_sel_hi:[0,1]
	v_pk_add_f16 v7, v11, v9
	v_pk_min_f16 v8, 0x7c00, v10 op_sel_hi:[0,1]
	;; [unrolled: 2-line block ×5, first 2 shown]
	v_pk_min_f16 v100, v56, v55
	v_pk_min_f16 v87, v52, v46
	;; [unrolled: 1-line block ×14, first 2 shown]
	s_cbranch_scc1 .LBB263_50
; %bb.28:
	v_mad_i64_i32 v[2:3], null, s28, v30, 0
	v_add_nc_u32_e32 v110, 0x1000, v37
	v_add_nc_u32_e32 v113, 0x1200, v37
	v_lshlrev_b64 v[37:38], 1, v[22:23]
	v_lshlrev_b64 v[39:40], 1, v[24:25]
	;; [unrolled: 1-line block ×5, first 2 shown]
	v_or_b32_e32 v111, 0x1000, v75
	v_or_b32_e32 v112, 0x800, v83
	v_lshl_or_b32 v114, v0, 3, 0x800
	v_lshl_add_u32 v115, v1, 3, 0x1200
	v_add_co_u32 v2, s6, v2, v35
	v_add_co_ci_u32_e64 v3, null, 0, v3, s6
	v_add_co_u32 v2, s6, s20, v2
	v_add_co_ci_u32_e64 v3, null, s21, v3, s6
	s_add_i32 s20, s14, -8
	v_add_co_u32 v45, s6, v2, 16
	v_add_co_ci_u32_e64 v46, null, 0, v3, s6
	s_mov_b32 s21, 0
	s_branch .LBB263_30
.LBB263_29:                             ;   in Loop: Header=BB263_30 Depth=1
	s_or_b32 exec_lo, exec_lo, s6
	v_pk_add_f16 v6, v7, v33
	v_pk_max_f16 v15, v121, v121
	v_pk_add_f16 v16, v9, v33
	v_pk_max_f16 v120, v120, v120
	;; [unrolled: 2-line block ×3, first 2 shown]
	v_pk_min_f16 v139, v15, v6
	v_pk_max_f16 v6, v119, v119
	v_pk_add_f16 v15, v4, v33
	v_pk_add_f16 v119, v25, v33
	v_pk_max_f16 v117, v117, v117
	v_pk_add_f16 v127, v27, v33
	v_pk_max_f16 v116, v116, v116
	v_pk_min_f16 v146, v120, v16
	v_pk_min_f16 v128, v6, v121
	;; [unrolled: 1-line block ×4, first 2 shown]
	v_pk_add_f16 v6, v17, v33
	v_pk_max_f16 v15, v109, v109
	v_pk_add_f16 v16, v19, v33
	v_pk_max_f16 v33, v108, v108
	;; [unrolled: 2-line block ×3, first 2 shown]
	v_pk_min_f16 v131, v116, v127
	v_pk_add_f16 v108, v7, v35
	v_pk_max_f16 v109, v107, v107
	v_pk_add_f16 v116, v9, v35
	v_pk_min_f16 v148, v15, v6
	v_pk_min_f16 v107, v33, v16
	;; [unrolled: 1-line block ×3, first 2 shown]
	v_pk_add_f16 v6, v4, v35
	v_pk_max_f16 v15, v104, v104
	v_pk_add_f16 v16, v25, v35
	v_pk_max_f16 v33, v103, v103
	v_pk_add_f16 v103, v27, v35
	v_pk_add_f16 v105, v17, v35
	;; [unrolled: 1-line block ×3, first 2 shown]
	v_pk_max_f16 v99, v99, v99
	v_pk_max_f16 v104, v100, v100
	v_pk_min_f16 v149, v15, v6
	v_pk_min_f16 v100, v33, v16
	v_pk_add_f16 v6, v7, v29
	v_pk_min_f16 v141, v99, v35
	v_pk_max_f16 v15, v96, v96
	v_pk_add_f16 v16, v9, v29
	v_pk_max_f16 v33, v93, v93
	v_pk_add_f16 v35, v2, v29
	;; [unrolled: 2-line block ×3, first 2 shown]
	v_pk_add_f16 v96, v25, v29
	v_pk_min_f16 v143, v15, v6
	v_pk_min_f16 v134, v33, v16
	;; [unrolled: 1-line block ×3, first 2 shown]
	v_pk_add_f16 v6, v27, v29
	v_pk_max_f16 v15, v101, v101
	v_pk_add_f16 v16, v17, v29
	v_pk_max_f16 v33, v97, v97
	;; [unrolled: 2-line block ×3, first 2 shown]
	v_pk_max_f16 v106, v106, v106
	v_pk_max_f16 v92, v92, v92
	v_pk_min_f16 v142, v15, v6
	v_pk_min_f16 v119, v33, v16
	;; [unrolled: 1-line block ×3, first 2 shown]
	v_pk_add_f16 v6, v2, v31
	v_pk_max_f16 v15, v89, v89
	v_pk_add_f16 v16, v4, v31
	v_pk_max_f16 v29, v88, v88
	v_pk_add_f16 v33, v25, v31
	v_pk_max_f16 v35, v87, v87
	v_pk_min_f16 v108, v109, v108
	v_pk_min_f16 v144, v106, v116
	v_pk_max_f16 v98, v98, v98
	v_pk_min_f16 v136, v92, v93
	v_pk_add_f16 v90, v7, v31
	v_pk_add_f16 v93, v9, v31
	;; [unrolled: 1-line block ×4, first 2 shown]
	v_pk_min_f16 v138, v15, v6
	v_pk_min_f16 v109, v29, v16
	;; [unrolled: 1-line block ×3, first 2 shown]
	v_pk_add_f16 v6, v19, v31
	v_pk_max_f16 v15, v84, v84
	v_pk_add_f16 v16, v7, v11
	v_pk_max_f16 v29, v82, v82
	;; [unrolled: 2-line block ×4, first 2 shown]
	v_pk_min_f16 v127, v104, v103
	v_pk_min_f16 v140, v98, v105
	v_pk_max_f16 v98, v102, v102
	v_pk_add_f16 v81, v4, v11
	v_pk_max_f16 v82, v79, v79
	v_pk_min_f16 v133, v15, v6
	v_pk_min_f16 v79, v29, v16
	v_pk_min_f16 v102, v33, v31
	v_pk_min_f16 v103, v80, v35
	v_pk_add_f16 v6, v25, v11
	v_pk_max_f16 v15, v77, v77
	v_pk_add_f16 v16, v27, v11
	v_pk_max_f16 v29, v74, v74
	v_pk_add_f16 v31, v17, v11
	v_pk_add_f16 v11, v19, v11
	v_pk_max_f16 v35, v73, v73
	v_pk_max_f16 v33, v72, v72
	v_pk_min_f16 v106, v15, v6
	v_pk_min_f16 v95, v29, v16
	v_pk_add_f16 v6, v9, v13
	v_pk_min_f16 v97, v35, v11
	v_pk_max_f16 v11, v70, v70
	v_pk_add_f16 v15, v2, v13
	v_pk_max_f16 v16, v69, v69
	v_pk_min_f16 v137, v98, v96
	v_pk_max_f16 v92, v94, v94
	v_pk_max_f16 v91, v91, v91
	v_pk_add_f16 v72, v7, v13
	v_pk_min_f16 v96, v33, v31
	v_pk_add_f16 v29, v4, v13
	v_pk_max_f16 v31, v68, v68
	v_pk_add_f16 v35, v25, v13
	v_pk_max_f16 v67, v67, v67
	v_pk_add_f16 v68, v27, v13
	v_pk_min_f16 v105, v11, v6
	v_pk_min_f16 v33, v16, v15
	v_pk_add_f16 v6, v17, v13
	v_pk_max_f16 v11, v65, v65
	v_pk_add_f16 v13, v19, v13
	v_pk_max_f16 v15, v63, v63
	v_pk_min_f16 v121, v92, v90
	v_pk_min_f16 v132, v91, v93
	v_pk_max_f16 v85, v85, v85
	v_pk_min_f16 v92, v31, v29
	v_pk_min_f16 v93, v67, v35
	v_pk_add_f16 v29, v7, v21
	v_pk_max_f16 v31, v61, v61
	v_pk_add_f16 v35, v9, v21
	v_pk_add_f16 v61, v2, v21
	v_pk_min_f16 v99, v11, v6
	v_pk_min_f16 v16, v15, v13
	v_pk_add_f16 v6, v4, v21
	v_pk_max_f16 v11, v55, v55
	v_pk_add_f16 v13, v25, v21
	v_pk_max_f16 v15, v54, v54
	v_pk_add_f16 v54, v27, v21
	v_pk_add_f16 v55, v17, v21
	v_pk_max_f16 v51, v51, v51
	v_pk_add_f16 v21, v19, v21
	v_pk_max_f16 v53, v53, v53
	v_pk_min_f16 v118, v85, v88
	v_pk_max_f16 v52, v52, v52
	v_pk_min_f16 v88, v11, v6
	v_pk_min_f16 v6, v15, v13
	;; [unrolled: 1-line block ×4, first 2 shown]
	v_pk_add_f16 v7, v7, v23
	v_pk_max_f16 v21, v50, v50
	v_pk_add_f16 v9, v9, v23
	v_pk_max_f16 v49, v49, v49
	v_pk_add_f16 v4, v4, v23
	v_pk_max_f16 v51, v64, v64
	v_pk_min_f16 v11, v52, v54
	v_pk_add_f16 v50, v2, v23
	v_pk_max_f16 v48, v48, v48
	v_pk_add_f16 v52, v25, v23
	v_pk_min_f16 v2, v21, v7
	v_pk_min_f16 v49, v49, v9
	;; [unrolled: 1-line block ×3, first 2 shown]
	v_pk_add_f16 v4, v27, v23
	v_pk_max_f16 v7, v60, v60
	v_pk_add_f16 v9, v17, v23
	v_pk_max_f16 v17, v58, v58
	v_pk_min_f16 v84, v48, v50
	v_pk_add_f16 v27, v8, v34
	v_pk_add_f16 v48, v10, v34
	v_pk_min_f16 v150, v7, v4
	v_pk_min_f16 v151, v17, v9
	v_pk_add_f16 v4, v3, v34
	v_pk_add_f16 v7, v5, v34
	;; [unrolled: 1-line block ×3, first 2 shown]
	v_pk_min_f16 v152, v139, v27
	v_pk_min_f16 v153, v146, v48
	;; [unrolled: 1-line block ×5, first 2 shown]
	v_pk_add_f16 v4, v20, v34
	v_pk_add_f16 v7, v8, v36
	v_pk_add_f16 v9, v10, v36
	v_pk_add_f16 v19, v19, v23
	v_pk_max_f16 v23, v56, v56
	v_pk_add_f16 v17, v28, v34
	v_pk_min_f16 v129, v107, v4
	v_pk_min_f16 v108, v108, v7
	;; [unrolled: 1-line block ×3, first 2 shown]
	v_pk_add_f16 v4, v26, v36
	v_pk_add_f16 v7, v28, v36
	;; [unrolled: 1-line block ×3, first 2 shown]
	v_pk_max_f16 v86, v86, v86
	v_pk_min_f16 v19, v23, v19
	v_pk_add_f16 v23, v18, v34
	v_pk_min_f16 v131, v131, v17
	v_pk_add_f16 v17, v3, v36
	v_pk_min_f16 v128, v100, v4
	v_pk_min_f16 v127, v127, v7
	;; [unrolled: 1-line block ×3, first 2 shown]
	v_pk_add_f16 v4, v10, v30
	v_pk_add_f16 v7, v3, v30
	;; [unrolled: 1-line block ×3, first 2 shown]
	v_pk_min_f16 v117, v86, v87
	v_pk_min_f16 v130, v148, v23
	v_pk_add_f16 v23, v5, v36
	v_pk_min_f16 v101, v145, v17
	v_pk_add_f16 v17, v20, v36
	v_pk_min_f16 v91, v134, v4
	v_pk_min_f16 v86, v135, v7
	;; [unrolled: 1-line block ×3, first 2 shown]
	v_pk_add_f16 v4, v18, v30
	v_pk_add_f16 v7, v20, v30
	;; [unrolled: 1-line block ×3, first 2 shown]
	v_pk_min_f16 v104, v82, v81
	v_pk_max_f16 v71, v71, v71
	v_pk_min_f16 v90, v149, v23
	v_pk_add_f16 v23, v8, v30
	v_pk_min_f16 v89, v141, v17
	v_pk_add_f16 v17, v26, v30
	v_pk_add_f16 v27, v28, v30
	v_pk_min_f16 v81, v119, v4
	v_pk_min_f16 v80, v120, v7
	;; [unrolled: 1-line block ×3, first 2 shown]
	v_pk_add_f16 v4, v5, v32
	v_pk_add_f16 v7, v26, v32
	;; [unrolled: 1-line block ×3, first 2 shown]
	v_pk_min_f16 v98, v71, v72
	v_pk_min_f16 v87, v143, v23
	;; [unrolled: 1-line block ×4, first 2 shown]
	v_pk_add_f16 v17, v10, v32
	v_pk_add_f16 v27, v3, v32
	v_pk_min_f16 v73, v109, v4
	v_pk_min_f16 v71, v116, v7
	;; [unrolled: 1-line block ×3, first 2 shown]
	v_pk_add_f16 v4, v8, v12
	v_pk_add_f16 v7, v10, v12
	;; [unrolled: 1-line block ×3, first 2 shown]
	v_pk_max_f16 v66, v66, v66
	v_pk_max_f16 v59, v59, v59
	;; [unrolled: 1-line block ×3, first 2 shown]
	v_pk_min_f16 v74, v132, v17
	v_pk_min_f16 v72, v138, v27
	v_pk_add_f16 v17, v18, v32
	v_pk_add_f16 v27, v20, v32
	v_pk_min_f16 v79, v79, v4
	v_pk_min_f16 v69, v102, v7
	;; [unrolled: 1-line block ×3, first 2 shown]
	v_pk_add_f16 v4, v28, v12
	v_pk_add_f16 v7, v18, v12
	;; [unrolled: 1-line block ×3, first 2 shown]
	v_pk_min_f16 v94, v66, v68
	v_pk_min_f16 v29, v31, v29
	;; [unrolled: 1-line block ×4, first 2 shown]
	v_pk_max_f16 v53, v62, v62
	v_pk_min_f16 v68, v118, v17
	v_pk_min_f16 v66, v133, v27
	v_pk_add_f16 v17, v5, v12
	v_pk_add_f16 v27, v26, v12
	;; [unrolled: 1-line block ×3, first 2 shown]
	v_pk_min_f16 v65, v95, v4
	v_pk_min_f16 v62, v96, v7
	v_pk_min_f16 v61, v97, v9
	v_pk_add_f16 v4, v3, v14
	v_pk_add_f16 v7, v5, v14
	;; [unrolled: 1-line block ×3, first 2 shown]
	v_pk_min_f16 v21, v53, v52
	v_pk_min_f16 v64, v104, v17
	v_pk_add_f16 v17, v10, v14
	v_pk_min_f16 v59, v98, v12
	v_pk_add_f16 v12, v28, v14
	v_pk_min_f16 v55, v33, v4
	v_pk_min_f16 v54, v92, v7
	;; [unrolled: 1-line block ×3, first 2 shown]
	v_pk_add_f16 v4, v20, v14
	v_pk_add_f16 v7, v8, v22
	;; [unrolled: 1-line block ×3, first 2 shown]
	v_pk_min_f16 v57, v105, v17
	v_pk_add_f16 v17, v18, v14
	v_pk_min_f16 v52, v94, v12
	v_pk_add_f16 v12, v3, v22
	v_pk_min_f16 v51, v16, v4
	v_pk_min_f16 v34, v29, v7
	;; [unrolled: 1-line block ×3, first 2 shown]
	v_pk_add_f16 v4, v26, v22
	v_pk_add_f16 v7, v28, v22
	;; [unrolled: 1-line block ×4, first 2 shown]
	v_pk_min_f16 v50, v99, v17
	v_pk_min_f16 v29, v35, v12
	;; [unrolled: 1-line block ×6, first 2 shown]
	ds_read2_b64 v[6:9], v76 offset1:32
	ds_read2_b64 v[96:99], v111 offset1:8
	v_pk_add_f16 v14, v5, v22
	v_pk_add_f16 v12, v20, v22
	v_pk_min_f16 v63, v106, v27
	v_pk_add_f16 v22, v10, v24
	v_pk_add_f16 v32, v3, v24
	v_pk_min_f16 v27, v88, v14
	v_pk_min_f16 v31, v15, v12
	ds_read2_b64 v[14:17], v76 offset0:64 offset1:96
	ds_read2_b64 v[10:13], v76 offset0:128 offset1:160
	v_pk_add_f16 v56, v5, v24
	ds_read2_b64 v[2:5], v76 offset0:192 offset1:224
	v_pk_min_f16 v60, v49, v22
	v_pk_add_f16 v22, v26, v24
	v_pk_min_f16 v49, v84, v32
	v_pk_max_f16 v84, v152, v152
	v_pk_add_f16 v26, v28, v24
	v_pk_add_f16 v18, v18, v24
	v_pk_min_f16 v58, v21, v22
	v_pk_add_f16 v20, v20, v24
	s_waitcnt lgkmcnt(3)
	v_pk_add_f16 v22, v6, v96
	v_pk_add_f16 v24, v8, v96
	v_pk_max_f16 v94, v153, v153
	v_pk_add_f16 v95, v7, v97
	v_pk_min_f16 v56, v25, v56
	v_pk_min_f16 v22, v84, v22
	v_pk_add_f16 v103, v6, v98
	v_pk_add_f16 v104, v8, v98
	s_waitcnt lgkmcnt(2)
	v_pk_add_f16 v25, v14, v96
	v_pk_add_f16 v105, v14, v98
	;; [unrolled: 1-line block ×3, first 2 shown]
	s_waitcnt lgkmcnt(1)
	v_pk_add_f16 v141, v10, v98
	v_pk_add_f16 v142, v12, v98
	s_waitcnt lgkmcnt(0)
	v_pk_add_f16 v143, v2, v98
	v_pk_add_f16 v144, v4, v98
	;; [unrolled: 1-line block ×3, first 2 shown]
	v_pk_min_f16 v24, v94, v24
	v_pk_min_f16 v121, v22, v95
	v_pk_max_f16 v22, v147, v147
	v_pk_add_f16 v88, v16, v96
	v_pk_add_f16 v92, v10, v96
	v_pk_min_f16 v120, v24, v98
	v_pk_max_f16 v24, v146, v146
	v_pk_add_f16 v95, v15, v97
	v_pk_min_f16 v22, v22, v25
	v_pk_max_f16 v25, v139, v139
	v_pk_add_f16 v93, v12, v96
	v_pk_min_f16 v24, v24, v88
	v_pk_add_f16 v88, v17, v97
	v_pk_min_f16 v119, v22, v95
	;; [unrolled: 2-line block ×4, first 2 shown]
	v_pk_max_f16 v24, v131, v131
	v_pk_add_f16 v96, v4, v96
	v_pk_min_f16 v117, v25, v22
	v_pk_max_f16 v22, v130, v130
	v_pk_add_f16 v25, v13, v97
	v_pk_min_f16 v24, v24, v93
	;; [unrolled: 3-line block ×3, first 2 shown]
	ds_read2_b64 v[135:138], v111 offset0:16 offset1:24
	v_pk_min_f16 v116, v24, v25
	v_pk_add_f16 v24, v5, v97
	v_pk_min_f16 v25, v92, v96
	v_pk_min_f16 v109, v22, v93
	v_pk_max_f16 v22, v108, v108
	v_pk_max_f16 v92, v101, v101
	v_pk_add_f16 v93, v9, v99
	v_pk_min_f16 v108, v25, v24
	v_pk_add_f16 v25, v7, v99
	v_pk_min_f16 v22, v22, v103
	v_pk_max_f16 v24, v107, v107
	v_pk_min_f16 v28, v150, v26
	v_pk_min_f16 v32, v151, v18
	;; [unrolled: 1-line block ×4, first 2 shown]
	v_pk_add_f16 v22, v15, v99
	v_pk_min_f16 v25, v92, v105
	v_pk_min_f16 v24, v24, v104
	ds_read2_b64 v[18:21], v111 offset0:32 offset1:40
	v_pk_add_f16 v96, v13, v99
	s_waitcnt lgkmcnt(1)
	v_pk_add_f16 v148, v8, v135
	v_pk_min_f16 v105, v25, v22
	v_pk_max_f16 v22, v128, v128
	v_pk_min_f16 v106, v24, v93
	v_pk_max_f16 v24, v90, v90
	v_pk_max_f16 v25, v127, v127
	v_pk_add_f16 v93, v11, v99
	v_pk_min_f16 v22, v22, v141
	v_pk_add_f16 v90, v17, v99
	v_pk_min_f16 v24, v24, v140
	v_pk_min_f16 v25, v25, v142
	v_pk_add_f16 v149, v14, v135
	v_pk_min_f16 v103, v22, v93
	v_pk_max_f16 v22, v89, v89
	v_pk_max_f16 v92, v100, v100
	v_pk_min_f16 v104, v24, v90
	v_pk_min_f16 v100, v25, v96
	v_pk_add_f16 v24, v5, v99
	v_pk_max_f16 v25, v87, v87
	v_pk_min_f16 v22, v22, v144
	v_pk_max_f16 v87, v91, v91
	v_pk_max_f16 v86, v86, v86
	v_pk_add_f16 v145, v6, v135
	v_pk_add_f16 v150, v16, v135
	v_pk_add_f16 v151, v10, v135
	v_pk_add_f16 v84, v12, v135
	v_pk_add_f16 v94, v2, v135
	v_pk_add_f16 v95, v4, v135
	v_pk_add_f16 v135, v12, v137
	v_pk_add_f16 v97, v3, v99
	v_pk_add_f16 v90, v9, v136
	v_pk_min_f16 v87, v87, v148
	v_pk_add_f16 v91, v15, v136
	v_pk_min_f16 v86, v86, v149
	v_pk_min_f16 v99, v22, v24
	v_pk_max_f16 v22, v85, v85
	v_pk_max_f16 v70, v70, v70
	v_pk_add_f16 v134, v2, v137
	v_pk_add_f16 v133, v4, v137
	v_pk_min_f16 v92, v92, v143
	v_pk_min_f16 v93, v87, v90
	;; [unrolled: 1-line block ×3, first 2 shown]
	v_pk_add_f16 v85, v17, v136
	v_pk_min_f16 v86, v22, v150
	v_pk_add_f16 v141, v13, v138
	v_pk_min_f16 v70, v70, v135
	v_pk_max_f16 v68, v68, v68
	v_pk_max_f16 v66, v66, v66
	v_pk_add_f16 v88, v6, v137
	v_pk_add_f16 v130, v8, v137
	;; [unrolled: 1-line block ×5, first 2 shown]
	v_pk_min_f16 v98, v92, v97
	v_pk_add_f16 v89, v7, v136
	v_pk_add_f16 v87, v11, v136
	;; [unrolled: 1-line block ×12, first 2 shown]
	s_waitcnt lgkmcnt(0)
	v_pk_add_f16 v143, v6, v18
	v_pk_min_f16 v92, v86, v85
	v_pk_max_f16 v82, v82, v82
	v_pk_min_f16 v86, v70, v141
	v_pk_min_f16 v68, v68, v134
	v_pk_max_f16 v70, v79, v79
	v_pk_min_f16 v66, v66, v133
	v_pk_min_f16 v25, v25, v145
	v_pk_add_f16 v144, v8, v18
	v_pk_max_f16 v81, v81, v81
	v_pk_min_f16 v82, v82, v84
	v_pk_min_f16 v85, v68, v142
	v_pk_add_f16 v68, v7, v19
	v_pk_min_f16 v70, v70, v143
	v_pk_min_f16 v84, v66, v138
	v_pk_max_f16 v66, v69, v69
	v_pk_min_f16 v96, v25, v89
	v_pk_max_f16 v89, v23, v23
	ds_read2_b64 v[22:25], v111 offset0:48 offset1:56
	v_pk_add_f16 v146, v16, v18
	v_pk_min_f16 v81, v81, v94
	v_pk_min_f16 v101, v82, v91
	;; [unrolled: 1-line block ×3, first 2 shown]
	v_pk_add_f16 v68, v9, v19
	v_pk_min_f16 v66, v66, v144
	v_pk_max_f16 v64, v64, v64
	v_pk_min_f16 v97, v81, v97
	v_pk_max_f16 v72, v72, v72
	v_pk_min_f16 v89, v89, v151
	v_pk_min_f16 v81, v66, v68
	v_pk_add_f16 v66, v17, v19
	v_pk_min_f16 v64, v64, v146
	v_pk_max_f16 v80, v80, v80
	v_pk_add_f16 v148, v12, v18
	v_pk_max_f16 v77, v77, v77
	v_pk_max_f16 v74, v74, v74
	v_pk_min_f16 v72, v72, v131
	v_pk_max_f16 v73, v73, v73
	v_pk_max_f16 v71, v71, v71
	v_pk_min_f16 v79, v64, v66
	v_pk_max_f16 v64, v65, v65
	v_pk_min_f16 v102, v89, v87
	v_pk_add_f16 v147, v10, v18
	v_pk_min_f16 v80, v80, v95
	v_pk_min_f16 v77, v77, v88
	;; [unrolled: 1-line block ×6, first 2 shown]
	v_pk_max_f16 v63, v63, v63
	v_pk_min_f16 v64, v64, v148
	v_pk_add_f16 v66, v13, v19
	v_pk_add_f16 v145, v14, v18
	;; [unrolled: 1-line block ×4, first 2 shown]
	v_pk_min_f16 v95, v80, v127
	v_pk_add_f16 v127, v6, v20
	v_pk_add_f16 v150, v8, v20
	;; [unrolled: 1-line block ×3, first 2 shown]
	v_pk_min_f16 v94, v77, v128
	v_pk_add_f16 v128, v16, v20
	v_pk_add_f16 v131, v10, v20
	v_pk_min_f16 v91, v74, v136
	v_pk_add_f16 v136, v12, v20
	v_pk_add_f16 v137, v2, v20
	;; [unrolled: 1-line block ×3, first 2 shown]
	s_waitcnt lgkmcnt(0)
	v_pk_add_f16 v129, v6, v22
	v_pk_min_f16 v88, v72, v139
	v_pk_add_f16 v132, v8, v22
	v_pk_add_f16 v135, v14, v22
	v_pk_min_f16 v87, v71, v140
	v_pk_add_f16 v139, v16, v22
	v_pk_add_f16 v140, v10, v22
	;; [unrolled: 1-line block ×6, first 2 shown]
	v_pk_min_f16 v63, v63, v147
	v_pk_min_f16 v74, v64, v66
	v_pk_max_f16 v61, v61, v61
	v_pk_add_f16 v64, v2, v24
	v_pk_add_f16 v2, v4, v24
	v_pk_max_f16 v4, v59, v59
	v_pk_add_f16 v6, v6, v24
	v_pk_add_f16 v8, v8, v24
	;; [unrolled: 1-line block ×6, first 2 shown]
	v_pk_min_f16 v77, v63, v65
	v_pk_add_f16 v63, v3, v19
	v_pk_add_f16 v12, v12, v24
	v_pk_min_f16 v18, v61, v18
	v_pk_max_f16 v24, v57, v57
	v_pk_add_f16 v19, v5, v19
	v_pk_min_f16 v4, v4, v127
	v_pk_add_f16 v57, v7, v21
	v_pk_max_f16 v67, v67, v67
	v_pk_min_f16 v24, v24, v150
	v_pk_add_f16 v59, v9, v21
	v_pk_min_f16 v73, v18, v19
	v_pk_min_f16 v71, v4, v57
	v_pk_max_f16 v4, v54, v54
	v_pk_max_f16 v19, v53, v53
	v_pk_min_f16 v67, v67, v145
	v_pk_min_f16 v70, v24, v59
	v_pk_add_f16 v18, v17, v21
	v_pk_min_f16 v4, v4, v128
	v_pk_max_f16 v24, v52, v52
	v_pk_add_f16 v52, v11, v21
	v_pk_min_f16 v19, v19, v131
	v_pk_min_f16 v80, v67, v69
	v_pk_max_f16 v55, v55, v55
	v_pk_min_f16 v68, v4, v18
	v_pk_max_f16 v4, v51, v51
	;; [unrolled: 2-line block ×3, first 2 shown]
	v_pk_max_f16 v62, v62, v62
	v_pk_min_f16 v55, v55, v130
	v_pk_add_f16 v61, v15, v21
	v_pk_add_f16 v53, v13, v21
	v_pk_min_f16 v24, v24, v136
	v_pk_add_f16 v54, v3, v21
	v_pk_add_f16 v18, v5, v21
	v_pk_min_f16 v4, v4, v20
	v_pk_max_f16 v20, v33, v33
	v_pk_add_f16 v21, v7, v23
	v_pk_min_f16 v19, v19, v129
	v_pk_min_f16 v62, v62, v149
	;; [unrolled: 1-line block ×3, first 2 shown]
	v_pk_max_f16 v50, v50, v50
	v_pk_min_f16 v66, v24, v53
	v_pk_max_f16 v24, v29, v29
	v_pk_add_f16 v29, v9, v23
	v_pk_min_f16 v20, v20, v132
	v_pk_min_f16 v61, v19, v21
	v_pk_max_f16 v19, v48, v48
	v_pk_min_f16 v72, v62, v63
	v_pk_min_f16 v50, v50, v137
	;; [unrolled: 1-line block ×3, first 2 shown]
	v_pk_max_f16 v4, v27, v27
	v_pk_min_f16 v59, v20, v29
	v_pk_max_f16 v20, v36, v36
	v_pk_add_f16 v21, v11, v23
	v_pk_min_f16 v19, v19, v140
	v_pk_min_f16 v65, v50, v54
	v_pk_add_f16 v18, v17, v23
	v_pk_min_f16 v4, v4, v139
	v_pk_add_f16 v27, v13, v23
	v_pk_min_f16 v20, v20, v134
	v_pk_min_f16 v54, v19, v21
	v_pk_max_f16 v19, v30, v30
	v_pk_min_f16 v55, v4, v18
	v_pk_max_f16 v4, v31, v31
	;; [unrolled: 2-line block ×3, first 2 shown]
	v_pk_add_f16 v7, v7, v25
	v_pk_min_f16 v6, v19, v6
	v_pk_add_f16 v33, v15, v23
	v_pk_min_f16 v24, v24, v135
	v_pk_add_f16 v18, v5, v23
	v_pk_min_f16 v4, v4, v22
	v_pk_add_f16 v9, v9, v25
	v_pk_min_f16 v8, v20, v8
	v_pk_min_f16 v50, v6, v7
	v_pk_max_f16 v6, v58, v58
	v_pk_min_f16 v57, v24, v33
	v_pk_max_f16 v24, v35, v35
	v_pk_max_f16 v21, v49, v49
	v_pk_min_f16 v53, v4, v18
	v_pk_max_f16 v4, v56, v56
	v_pk_min_f16 v49, v8, v9
	v_pk_add_f16 v8, v11, v25
	v_pk_max_f16 v9, v28, v28
	v_pk_min_f16 v6, v6, v10
	v_pk_max_f16 v10, v32, v32
	v_pk_add_f16 v11, v13, v25
	v_pk_max_f16 v13, v26, v26
	v_pk_add_f16 v29, v3, v23
	v_pk_min_f16 v24, v24, v133
	v_pk_add_f16 v15, v15, v25
	v_pk_min_f16 v14, v21, v14
	;; [unrolled: 2-line block ×3, first 2 shown]
	v_pk_min_f16 v9, v9, v12
	v_pk_add_f16 v3, v3, v25
	v_pk_min_f16 v10, v10, v64
	v_pk_add_f16 v5, v5, v25
	v_pk_min_f16 v2, v13, v2
	v_add_co_u32 v45, s6, v45, 16
	v_pk_min_f16 v51, v24, v29
	v_pk_min_f16 v48, v14, v15
	;; [unrolled: 1-line block ×7, first 2 shown]
	v_add_co_ci_u32_e64 v46, null, 0, v46, s6
	s_add_i32 s21, s21, 8
	ds_write_b16 v112, v122
	ds_write_b16 v112, v123 offset:512
	ds_write_b16 v112, v124 offset:1024
	;; [unrolled: 1-line block ×3, first 2 shown]
	ds_write_b16 v113, v126
	s_cmp_ge_i32 s21, s20
	s_waitcnt lgkmcnt(0)
	s_barrier
	buffer_gl0_inv
	s_cbranch_scc1 .LBB263_50
.LBB263_30:                             ; =>This Inner Loop Header: Depth=1
	v_add_nc_u32_e32 v2, s21, v47
	v_add_nc_u32_e32 v5, 8, v2
	v_min_i32_e32 v3, s26, v5
	v_cmp_le_i32_e64 s6, s14, v5
	v_mad_i64_i32 v[3:4], null, v3, s25, 0
	v_lshlrev_b64 v[3:4], 1, v[3:4]
	v_add_co_u32 v3, s8, s18, v3
	v_add_co_ci_u32_e64 v4, null, s19, v4, s8
	s_or_b32 s8, vcc_lo, s6
	v_cndmask_b32_e64 v15, 0, 0x7c00, s8
	s_nor_b32 s8, s27, s8
	s_and_saveexec_b32 s28, s8
	s_cbranch_execz .LBB263_32
; %bb.31:                               ;   in Loop: Header=BB263_30 Depth=1
	v_add_co_u32 v5, s8, v3, v37
	v_add_co_ci_u32_e64 v6, null, v4, v38, s8
	global_load_ushort v5, v[5:6], off
	s_waitcnt vmcnt(0)
	v_mul_f16_e32 v15, s15, v5
.LBB263_32:                             ;   in Loop: Header=BB263_30 Depth=1
	s_or_b32 exec_lo, exec_lo, s28
	s_or_b32 s8, s0, s6
	v_cndmask_b32_e64 v16, 0, 0x7c00, s8
	s_nor_b32 s8, s8, s27
	s_and_saveexec_b32 s28, s8
	s_cbranch_execz .LBB263_34
; %bb.33:                               ;   in Loop: Header=BB263_30 Depth=1
	v_add_co_u32 v5, s8, v3, v39
	v_add_co_ci_u32_e64 v6, null, v4, v40, s8
	global_load_ushort v5, v[5:6], off
	s_waitcnt vmcnt(0)
	v_mul_f16_e32 v16, s15, v5
.LBB263_34:                             ;   in Loop: Header=BB263_30 Depth=1
	s_or_b32 exec_lo, exec_lo, s28
	s_or_b32 s8, s1, s6
	;; [unrolled: 13-line block ×3, first 2 shown]
	v_cndmask_b32_e64 v123, 0, 0x7c00, s6
	s_nor_b32 s6, s6, s27
	s_and_saveexec_b32 s8, s6
	s_cbranch_execz .LBB263_38
; %bb.37:                               ;   in Loop: Header=BB263_30 Depth=1
	v_add_co_u32 v3, s6, v3, v43
	v_add_co_ci_u32_e64 v4, null, v4, v44, s6
	global_load_ushort v3, v[3:4], off
	s_waitcnt vmcnt(0)
	v_mul_f16_e32 v123, s15, v3
.LBB263_38:                             ;   in Loop: Header=BB263_30 Depth=1
	s_or_b32 exec_lo, exec_lo, s8
	v_add_nc_u32_e32 v6, s21, v78
	v_add_nc_u32_e32 v3, 8, v6
	v_cmp_le_i32_e64 s6, s14, v3
	s_or_b32 s6, s6, s3
	v_cndmask_b32_e64 v124, 0, 0x7c00, s6
	s_nor_b32 s8, s27, s6
	s_and_saveexec_b32 s6, s8
	s_cbranch_execz .LBB263_40
; %bb.39:                               ;   in Loop: Header=BB263_30 Depth=1
	global_load_ushort v3, v[45:46], off
	s_waitcnt vmcnt(0)
	v_mul_f16_e32 v124, s15, v3
.LBB263_40:                             ;   in Loop: Header=BB263_30 Depth=1
	s_or_b32 exec_lo, exec_lo, s6
	v_add_nc_u32_e32 v127, 12, v2
	ds_read2_b64 v[7:10], v114 offset1:32
	ds_read2_b64 v[2:5], v114 offset0:64 offset1:96
	ds_read2_b64 v[25:28], v114 offset0:128 offset1:160
	;; [unrolled: 1-line block ×3, first 2 shown]
	ds_read2_b64 v[33:36], v115 offset1:8
	v_min_i32_e32 v11, s26, v127
	v_cmp_le_i32_e64 s6, s14, v127
	v_mad_i64_i32 v[125:126], null, v11, s25, 0
	ds_read2_b64 v[29:32], v115 offset0:16 offset1:24
	ds_read2_b64 v[11:14], v115 offset0:32 offset1:40
	;; [unrolled: 1-line block ×3, first 2 shown]
	ds_write_b16 v83, v15
	ds_write_b16 v83, v16 offset:512
	ds_write_b16 v83, v122 offset:1024
	ds_write_b16 v83, v123 offset:1536
	ds_write_b16 v110, v124
	s_waitcnt lgkmcnt(0)
	s_barrier
	buffer_gl0_inv
	v_lshlrev_b64 v[15:16], 1, v[125:126]
	v_add_co_u32 v15, s8, s18, v15
	v_add_co_ci_u32_e64 v16, null, s19, v16, s8
	s_or_b32 s8, vcc_lo, s6
	v_cndmask_b32_e64 v122, 0, 0x7c00, s8
	s_nor_b32 s8, s27, s8
	s_and_saveexec_b32 s28, s8
	s_cbranch_execz .LBB263_42
; %bb.41:                               ;   in Loop: Header=BB263_30 Depth=1
	v_add_co_u32 v122, s8, v15, v37
	v_add_co_ci_u32_e64 v123, null, v16, v38, s8
	global_load_ushort v122, v[122:123], off
	s_waitcnt vmcnt(0)
	v_mul_f16_e32 v122, s15, v122
.LBB263_42:                             ;   in Loop: Header=BB263_30 Depth=1
	s_or_b32 exec_lo, exec_lo, s28
	s_or_b32 s8, s0, s6
	v_cndmask_b32_e64 v123, 0, 0x7c00, s8
	s_nor_b32 s8, s8, s27
	s_and_saveexec_b32 s28, s8
	s_cbranch_execz .LBB263_44
; %bb.43:                               ;   in Loop: Header=BB263_30 Depth=1
	v_add_co_u32 v123, s8, v15, v39
	v_add_co_ci_u32_e64 v124, null, v16, v40, s8
	global_load_ushort v123, v[123:124], off
	s_waitcnt vmcnt(0)
	v_mul_f16_e32 v123, s15, v123
.LBB263_44:                             ;   in Loop: Header=BB263_30 Depth=1
	s_or_b32 exec_lo, exec_lo, s28
	s_or_b32 s8, s1, s6
	;; [unrolled: 13-line block ×3, first 2 shown]
	v_cndmask_b32_e64 v125, 0, 0x7c00, s6
	s_nor_b32 s6, s6, s27
	s_and_saveexec_b32 s8, s6
	s_cbranch_execz .LBB263_48
; %bb.47:                               ;   in Loop: Header=BB263_30 Depth=1
	v_add_co_u32 v15, s6, v15, v43
	v_add_co_ci_u32_e64 v16, null, v16, v44, s6
	global_load_ushort v15, v[15:16], off
	s_waitcnt vmcnt(0)
	v_mul_f16_e32 v125, s15, v15
.LBB263_48:                             ;   in Loop: Header=BB263_30 Depth=1
	s_or_b32 exec_lo, exec_lo, s8
	v_add_nc_u32_e32 v6, 12, v6
	v_cmp_le_i32_e64 s6, s14, v6
	s_or_b32 s6, s6, s3
	v_cndmask_b32_e64 v126, 0, 0x7c00, s6
	s_nor_b32 s8, s27, s6
	s_and_saveexec_b32 s6, s8
	s_cbranch_execz .LBB263_29
; %bb.49:                               ;   in Loop: Header=BB263_30 Depth=1
	global_load_ushort v6, v[45:46], off offset:8
	s_waitcnt vmcnt(0)
	v_mul_f16_e32 v126, s15, v6
	s_branch .LBB263_29
.LBB263_50:
	s_clause 0x2
	s_load_dwordx2 s[2:3], s[4:5], 0x70
	s_load_dword s15, s[4:5], 0x50
	s_load_dword s14, s[4:5], 0x68
	v_add_nc_u32_e32 v2, 0x800, v76
	v_add_nc_u32_e32 v76, s24, v1
	;; [unrolled: 1-line block ×4, first 2 shown]
	ds_read2_b64 v[16:19], v2 offset1:32
	ds_read2_b64 v[12:15], v2 offset0:64 offset1:96
	ds_read2_b64 v[8:11], v2 offset0:128 offset1:160
	;; [unrolled: 1-line block ×7, first 2 shown]
	v_cmp_gt_i32_e64 s8, s13, v76
	v_cndmask_b32_e64 v75, 0, 1, s23
	v_cmp_gt_i32_e64 s0, s12, v32
	v_ashrrev_i32_e32 v33, 31, v32
	s_waitcnt lgkmcnt(0)
	s_mul_i32 s1, s3, s7
	v_mad_i64_i32 v[34:35], null, v76, s15, 0
	v_mad_i64_i32 v[36:37], null, v76, s14, 0
	s_mul_hi_u32 s3, s2, s7
	s_mul_i32 s2, s2, s7
	s_add_i32 s3, s3, s1
	s_lshl_b64 s[2:3], s[2:3], 1
	v_lshlrev_b64 v[34:35], 1, v[34:35]
	v_lshlrev_b64 v[36:37], 1, v[36:37]
	s_add_u32 s9, s10, s2
	s_addc_u32 s10, s11, s3
	s_and_b32 s2, s0, s8
	v_add_co_u32 v110, vcc_lo, s16, v34
	v_add_co_ci_u32_e64 v111, null, s17, v35, vcc_lo
	v_add_co_u32 v78, vcc_lo, s9, v36
	v_add_co_ci_u32_e64 v83, null, s10, v37, vcc_lo
	s_and_saveexec_b32 s1, s2
	s_cbranch_execz .LBB263_56
; %bb.51:
	s_andn2_b32 vcc_lo, exec_lo, s23
	s_cbranch_vccnz .LBB263_54
; %bb.52:
	v_lshlrev_b64 v[34:35], 1, v[32:33]
	v_add_co_u32 v34, vcc_lo, v110, v34
	v_add_co_ci_u32_e64 v35, null, v111, v35, vcc_lo
	global_load_ushort v34, v[34:35], off
	s_waitcnt vmcnt(0)
	v_mul_f16_e32 v34, s22, v34
	v_cvt_f32_f16_e32 v34, v34
	s_branch .LBB263_55
.LBB263_53:
	s_mov_b64 s[18:19], 0
	s_andn2_b32 vcc_lo, exec_lo, s8
	s_mov_b32 s0, -1
	s_cbranch_vccz .LBB263_2
	s_branch .LBB263_3
.LBB263_54:
	v_mov_b32_e32 v34, 0
.LBB263_55:
	v_pk_add_f16 v35, v16, v28
	v_pk_add_f16 v36, v17, v29
	v_max_f16_e32 v37, v121, v121
	v_lshrrev_b32_e32 v38, 16, v121
	v_max_f32_e32 v34, v34, v34
	v_lshrrev_b32_e32 v39, 16, v35
	v_lshrrev_b32_e32 v40, 16, v36
	v_min_f16_e32 v35, v37, v35
	v_min3_f16 v37, v38, v39, v40
	v_min3_f16 v35, v35, v36, v37
	v_cvt_f32_f16_e32 v35, v35
	v_min_f32_e32 v36, v34, v35
	v_lshlrev_b64 v[34:35], 1, v[32:33]
	v_cvt_f16_f32_e32 v36, v36
	v_add_co_u32 v34, vcc_lo, v78, v34
	v_add_co_ci_u32_e64 v35, null, v83, v35, vcc_lo
	global_store_short v[34:35], v36, off
.LBB263_56:
	s_or_b32 exec_lo, exec_lo, s1
	v_add_nc_u32_e32 v34, 32, v32
	v_cmp_gt_i32_e64 s1, s12, v34
	v_ashrrev_i32_e32 v35, 31, v34
	s_and_b32 s3, s1, s8
	s_and_saveexec_b32 s2, s3
	s_cbranch_execz .LBB263_61
; %bb.57:
	v_cmp_ne_u32_e32 vcc_lo, 1, v75
	s_cbranch_vccnz .LBB263_59
; %bb.58:
	v_lshlrev_b64 v[36:37], 1, v[34:35]
	v_add_co_u32 v36, vcc_lo, v110, v36
	v_add_co_ci_u32_e64 v37, null, v111, v37, vcc_lo
	global_load_ushort v36, v[36:37], off
	s_waitcnt vmcnt(0)
	v_mul_f16_e32 v36, s22, v36
	v_cvt_f32_f16_e32 v36, v36
	s_branch .LBB263_60
.LBB263_59:
	v_mov_b32_e32 v36, 0
.LBB263_60:
	v_pk_add_f16 v37, v18, v28
	v_pk_add_f16 v38, v19, v29
	v_max_f16_e32 v39, v120, v120
	v_lshrrev_b32_e32 v40, 16, v120
	v_max_f32_e32 v36, v36, v36
	v_lshrrev_b32_e32 v41, 16, v37
	v_lshrrev_b32_e32 v42, 16, v38
	v_min_f16_e32 v37, v39, v37
	v_min3_f16 v39, v40, v41, v42
	v_min3_f16 v37, v37, v38, v39
	v_cvt_f32_f16_e32 v37, v37
	v_min_f32_e32 v38, v36, v37
	v_lshlrev_b64 v[36:37], 1, v[34:35]
	v_cvt_f16_f32_e32 v38, v38
	v_add_co_u32 v36, vcc_lo, v78, v36
	v_add_co_ci_u32_e64 v37, null, v83, v37, vcc_lo
	global_store_short v[36:37], v38, off
.LBB263_61:
	s_or_b32 exec_lo, exec_lo, s2
	v_add_nc_u32_e32 v36, 64, v32
	v_cmp_gt_i32_e64 s2, s12, v36
	v_ashrrev_i32_e32 v37, 31, v36
	s_and_b32 s4, s2, s8
	s_and_saveexec_b32 s3, s4
	s_cbranch_execz .LBB263_66
; %bb.62:
	v_cmp_ne_u32_e32 vcc_lo, 1, v75
	s_cbranch_vccnz .LBB263_64
; %bb.63:
	v_lshlrev_b64 v[38:39], 1, v[36:37]
	v_add_co_u32 v38, vcc_lo, v110, v38
	v_add_co_ci_u32_e64 v39, null, v111, v39, vcc_lo
	global_load_ushort v38, v[38:39], off
	s_waitcnt vmcnt(0)
	v_mul_f16_e32 v38, s22, v38
	v_cvt_f32_f16_e32 v38, v38
	s_branch .LBB263_65
.LBB263_64:
	v_mov_b32_e32 v38, 0
.LBB263_65:
	v_pk_add_f16 v39, v12, v28
	v_pk_add_f16 v40, v13, v29
	v_max_f16_e32 v41, v119, v119
	v_lshrrev_b32_e32 v42, 16, v119
	v_max_f32_e32 v38, v38, v38
	v_lshrrev_b32_e32 v43, 16, v39
	v_lshrrev_b32_e32 v44, 16, v40
	v_min_f16_e32 v39, v41, v39
	v_min3_f16 v41, v42, v43, v44
	v_min3_f16 v39, v39, v40, v41
	v_cvt_f32_f16_e32 v39, v39
	v_min_f32_e32 v40, v38, v39
	v_lshlrev_b64 v[38:39], 1, v[36:37]
	v_cvt_f16_f32_e32 v40, v40
	v_add_co_u32 v38, vcc_lo, v78, v38
	v_add_co_ci_u32_e64 v39, null, v83, v39, vcc_lo
	global_store_short v[38:39], v40, off
.LBB263_66:
	;; [unrolled: 40-line block ×6, first 2 shown]
	s_or_b32 exec_lo, exec_lo, s7
	v_add_nc_u32_e32 v46, 0xe0, v32
	v_cmp_gt_i32_e64 s7, s12, v46
	v_ashrrev_i32_e32 v47, 31, v46
	s_and_b32 s11, s7, s8
	s_and_saveexec_b32 s8, s11
	s_cbranch_execz .LBB263_91
; %bb.87:
	v_cmp_ne_u32_e32 vcc_lo, 1, v75
	s_cbranch_vccnz .LBB263_89
; %bb.88:
	v_lshlrev_b64 v[112:113], 1, v[46:47]
	v_add_co_u32 v109, vcc_lo, v110, v112
	v_add_co_ci_u32_e64 v110, null, v111, v113, vcc_lo
	global_load_ushort v109, v[109:110], off
	s_waitcnt vmcnt(0)
	v_mul_f16_e32 v109, s22, v109
	v_cvt_f32_f16_e32 v109, v109
	s_branch .LBB263_90
.LBB263_89:
	v_mov_b32_e32 v109, 0
.LBB263_90:
	v_pk_add_f16 v28, v2, v28
	v_pk_add_f16 v29, v3, v29
	v_max_f16_e32 v110, v108, v108
	v_lshrrev_b32_e32 v108, 16, v108
	v_lshrrev_b32_e32 v111, 16, v28
	v_lshrrev_b32_e32 v112, 16, v29
	v_min_f16_e32 v28, v110, v28
	v_min3_f16 v108, v108, v111, v112
	v_min3_f16 v28, v28, v29, v108
	v_max_f32_e32 v29, v109, v109
	v_cvt_f32_f16_e32 v28, v28
	v_min_f32_e32 v108, v29, v28
	v_lshlrev_b64 v[28:29], 1, v[46:47]
	v_cvt_f16_f32_e32 v108, v108
	v_add_co_u32 v28, vcc_lo, v78, v28
	v_add_co_ci_u32_e64 v29, null, v83, v29, vcc_lo
	global_store_short v[28:29], v108, off
.LBB263_91:
	s_or_b32 exec_lo, exec_lo, s8
	v_add_nc_u32_e32 v78, 8, v76
	v_mad_i64_i32 v[28:29], null, v78, s15, 0
	v_mad_i64_i32 v[108:109], null, v78, s14, 0
	v_cmp_gt_i32_e64 s8, s13, v78
	v_lshlrev_b64 v[28:29], 1, v[28:29]
	s_and_b32 s12, s0, s8
	v_lshlrev_b64 v[108:109], 1, v[108:109]
	v_add_co_u32 v78, vcc_lo, s16, v28
	v_add_co_ci_u32_e64 v83, null, s17, v29, vcc_lo
	v_add_co_u32 v28, vcc_lo, s9, v108
	v_add_co_ci_u32_e64 v29, null, s10, v109, vcc_lo
	s_and_saveexec_b32 s11, s12
	s_cbranch_execnz .LBB263_99
; %bb.92:
	s_or_b32 exec_lo, exec_lo, s11
	s_and_b32 s12, s1, s8
	s_and_saveexec_b32 s11, s12
	s_cbranch_execnz .LBB263_103
.LBB263_93:
	s_or_b32 exec_lo, exec_lo, s11
	s_and_b32 s12, s2, s8
	s_and_saveexec_b32 s11, s12
	s_cbranch_execnz .LBB263_107
.LBB263_94:
	s_or_b32 exec_lo, exec_lo, s11
	s_and_b32 s12, s3, s8
	s_and_saveexec_b32 s11, s12
	s_cbranch_execnz .LBB263_111
.LBB263_95:
	s_or_b32 exec_lo, exec_lo, s11
	s_and_b32 s12, s4, s8
	s_and_saveexec_b32 s11, s12
	s_cbranch_execnz .LBB263_115
.LBB263_96:
	s_or_b32 exec_lo, exec_lo, s11
	s_and_b32 s12, s5, s8
	s_and_saveexec_b32 s11, s12
	s_cbranch_execnz .LBB263_119
.LBB263_97:
	s_or_b32 exec_lo, exec_lo, s11
	s_and_b32 s12, s6, s8
	s_and_saveexec_b32 s11, s12
	s_cbranch_execnz .LBB263_123
.LBB263_98:
	s_or_b32 exec_lo, exec_lo, s11
	s_and_b32 s11, s7, s8
	s_and_saveexec_b32 s8, s11
	s_cbranch_execnz .LBB263_127
	s_branch .LBB263_131
.LBB263_99:
	v_cmp_ne_u32_e32 vcc_lo, 1, v75
	s_cbranch_vccnz .LBB263_101
; %bb.100:
	v_lshlrev_b64 v[108:109], 1, v[32:33]
	v_add_co_u32 v108, vcc_lo, v78, v108
	v_add_co_ci_u32_e64 v109, null, v83, v109, vcc_lo
	global_load_ushort v108, v[108:109], off
	s_waitcnt vmcnt(0)
	v_mul_f16_e32 v108, s22, v108
	v_cvt_f32_f16_e32 v108, v108
	s_branch .LBB263_102
.LBB263_101:
	v_mov_b32_e32 v108, 0
.LBB263_102:
	v_pk_add_f16 v109, v16, v30
	v_pk_add_f16 v110, v17, v31
	v_max_f16_e32 v111, v107, v107
	v_lshrrev_b32_e32 v107, 16, v107
	v_max_f32_e32 v108, v108, v108
	v_lshrrev_b32_e32 v112, 16, v109
	v_lshrrev_b32_e32 v113, 16, v110
	v_min_f16_e32 v109, v111, v109
	v_min3_f16 v107, v107, v112, v113
	v_min3_f16 v107, v109, v110, v107
	v_cvt_f32_f16_e32 v107, v107
	v_min_f32_e32 v109, v108, v107
	v_lshlrev_b64 v[107:108], 1, v[32:33]
	v_cvt_f16_f32_e32 v109, v109
	v_add_co_u32 v107, vcc_lo, v28, v107
	v_add_co_ci_u32_e64 v108, null, v29, v108, vcc_lo
	global_store_short v[107:108], v109, off
	s_or_b32 exec_lo, exec_lo, s11
	s_and_b32 s12, s1, s8
	s_and_saveexec_b32 s11, s12
	s_cbranch_execz .LBB263_93
.LBB263_103:
	v_cmp_ne_u32_e32 vcc_lo, 1, v75
	s_cbranch_vccnz .LBB263_105
; %bb.104:
	v_lshlrev_b64 v[107:108], 1, v[34:35]
	v_add_co_u32 v107, vcc_lo, v78, v107
	v_add_co_ci_u32_e64 v108, null, v83, v108, vcc_lo
	global_load_ushort v107, v[107:108], off
	s_waitcnt vmcnt(0)
	v_mul_f16_e32 v107, s22, v107
	v_cvt_f32_f16_e32 v107, v107
	s_branch .LBB263_106
.LBB263_105:
	v_mov_b32_e32 v107, 0
.LBB263_106:
	v_pk_add_f16 v108, v18, v30
	v_pk_add_f16 v109, v19, v31
	v_max_f16_e32 v110, v106, v106
	v_lshrrev_b32_e32 v106, 16, v106
	v_max_f32_e32 v107, v107, v107
	v_lshrrev_b32_e32 v111, 16, v108
	v_lshrrev_b32_e32 v112, 16, v109
	v_min_f16_e32 v108, v110, v108
	v_min3_f16 v106, v106, v111, v112
	v_min3_f16 v106, v108, v109, v106
	v_cvt_f32_f16_e32 v106, v106
	v_min_f32_e32 v108, v107, v106
	v_lshlrev_b64 v[106:107], 1, v[34:35]
	v_cvt_f16_f32_e32 v108, v108
	v_add_co_u32 v106, vcc_lo, v28, v106
	v_add_co_ci_u32_e64 v107, null, v29, v107, vcc_lo
	global_store_short v[106:107], v108, off
	s_or_b32 exec_lo, exec_lo, s11
	s_and_b32 s12, s2, s8
	s_and_saveexec_b32 s11, s12
	s_cbranch_execz .LBB263_94
.LBB263_107:
	v_cmp_ne_u32_e32 vcc_lo, 1, v75
	s_cbranch_vccnz .LBB263_109
; %bb.108:
	v_lshlrev_b64 v[106:107], 1, v[36:37]
	v_add_co_u32 v106, vcc_lo, v78, v106
	v_add_co_ci_u32_e64 v107, null, v83, v107, vcc_lo
	global_load_ushort v106, v[106:107], off
	s_waitcnt vmcnt(0)
	v_mul_f16_e32 v106, s22, v106
	v_cvt_f32_f16_e32 v106, v106
	s_branch .LBB263_110
.LBB263_109:
	v_mov_b32_e32 v106, 0
.LBB263_110:
	v_pk_add_f16 v107, v12, v30
	v_pk_add_f16 v108, v13, v31
	v_max_f16_e32 v109, v105, v105
	v_lshrrev_b32_e32 v105, 16, v105
	v_max_f32_e32 v106, v106, v106
	v_lshrrev_b32_e32 v110, 16, v107
	v_lshrrev_b32_e32 v111, 16, v108
	v_min_f16_e32 v107, v109, v107
	v_min3_f16 v105, v105, v110, v111
	v_min3_f16 v105, v107, v108, v105
	v_cvt_f32_f16_e32 v105, v105
	v_min_f32_e32 v107, v106, v105
	v_lshlrev_b64 v[105:106], 1, v[36:37]
	v_cvt_f16_f32_e32 v107, v107
	v_add_co_u32 v105, vcc_lo, v28, v105
	v_add_co_ci_u32_e64 v106, null, v29, v106, vcc_lo
	global_store_short v[105:106], v107, off
	s_or_b32 exec_lo, exec_lo, s11
	s_and_b32 s12, s3, s8
	s_and_saveexec_b32 s11, s12
	s_cbranch_execz .LBB263_95
.LBB263_111:
	v_cmp_ne_u32_e32 vcc_lo, 1, v75
	s_cbranch_vccnz .LBB263_113
; %bb.112:
	v_lshlrev_b64 v[105:106], 1, v[38:39]
	v_add_co_u32 v105, vcc_lo, v78, v105
	v_add_co_ci_u32_e64 v106, null, v83, v106, vcc_lo
	global_load_ushort v105, v[105:106], off
	s_waitcnt vmcnt(0)
	v_mul_f16_e32 v105, s22, v105
	v_cvt_f32_f16_e32 v105, v105
	s_branch .LBB263_114
.LBB263_113:
	v_mov_b32_e32 v105, 0
.LBB263_114:
	v_pk_add_f16 v106, v14, v30
	v_pk_add_f16 v107, v15, v31
	v_max_f16_e32 v108, v104, v104
	v_lshrrev_b32_e32 v104, 16, v104
	v_max_f32_e32 v105, v105, v105
	v_lshrrev_b32_e32 v109, 16, v106
	v_lshrrev_b32_e32 v110, 16, v107
	v_min_f16_e32 v106, v108, v106
	v_min3_f16 v104, v104, v109, v110
	v_min3_f16 v104, v106, v107, v104
	v_cvt_f32_f16_e32 v104, v104
	v_min_f32_e32 v106, v105, v104
	v_lshlrev_b64 v[104:105], 1, v[38:39]
	v_cvt_f16_f32_e32 v106, v106
	v_add_co_u32 v104, vcc_lo, v28, v104
	v_add_co_ci_u32_e64 v105, null, v29, v105, vcc_lo
	global_store_short v[104:105], v106, off
	s_or_b32 exec_lo, exec_lo, s11
	s_and_b32 s12, s4, s8
	s_and_saveexec_b32 s11, s12
	s_cbranch_execz .LBB263_96
.LBB263_115:
	v_cmp_ne_u32_e32 vcc_lo, 1, v75
	s_cbranch_vccnz .LBB263_117
; %bb.116:
	v_lshlrev_b64 v[104:105], 1, v[40:41]
	v_add_co_u32 v104, vcc_lo, v78, v104
	v_add_co_ci_u32_e64 v105, null, v83, v105, vcc_lo
	global_load_ushort v104, v[104:105], off
	s_waitcnt vmcnt(0)
	v_mul_f16_e32 v104, s22, v104
	v_cvt_f32_f16_e32 v104, v104
	s_branch .LBB263_118
.LBB263_117:
	v_mov_b32_e32 v104, 0
.LBB263_118:
	v_pk_add_f16 v105, v8, v30
	v_pk_add_f16 v106, v9, v31
	v_max_f16_e32 v107, v103, v103
	v_lshrrev_b32_e32 v103, 16, v103
	v_max_f32_e32 v104, v104, v104
	v_lshrrev_b32_e32 v108, 16, v105
	v_lshrrev_b32_e32 v109, 16, v106
	v_min_f16_e32 v105, v107, v105
	v_min3_f16 v103, v103, v108, v109
	v_min3_f16 v103, v105, v106, v103
	v_cvt_f32_f16_e32 v103, v103
	v_min_f32_e32 v105, v104, v103
	v_lshlrev_b64 v[103:104], 1, v[40:41]
	v_cvt_f16_f32_e32 v105, v105
	v_add_co_u32 v103, vcc_lo, v28, v103
	v_add_co_ci_u32_e64 v104, null, v29, v104, vcc_lo
	global_store_short v[103:104], v105, off
	s_or_b32 exec_lo, exec_lo, s11
	s_and_b32 s12, s5, s8
	s_and_saveexec_b32 s11, s12
	s_cbranch_execz .LBB263_97
.LBB263_119:
	v_cmp_ne_u32_e32 vcc_lo, 1, v75
	s_cbranch_vccnz .LBB263_121
; %bb.120:
	v_lshlrev_b64 v[103:104], 1, v[42:43]
	v_add_co_u32 v103, vcc_lo, v78, v103
	v_add_co_ci_u32_e64 v104, null, v83, v104, vcc_lo
	global_load_ushort v103, v[103:104], off
	s_waitcnt vmcnt(0)
	v_mul_f16_e32 v103, s22, v103
	v_cvt_f32_f16_e32 v103, v103
	s_branch .LBB263_122
.LBB263_121:
	v_mov_b32_e32 v103, 0
.LBB263_122:
	v_pk_add_f16 v104, v10, v30
	v_pk_add_f16 v105, v11, v31
	v_max_f16_e32 v106, v100, v100
	v_lshrrev_b32_e32 v100, 16, v100
	v_max_f32_e32 v103, v103, v103
	v_lshrrev_b32_e32 v107, 16, v104
	v_lshrrev_b32_e32 v108, 16, v105
	v_min_f16_e32 v104, v106, v104
	v_min3_f16 v100, v100, v107, v108
	v_min3_f16 v100, v104, v105, v100
	v_cvt_f32_f16_e32 v100, v100
	v_min_f32_e32 v100, v103, v100
	v_lshlrev_b64 v[103:104], 1, v[42:43]
	v_cvt_f16_f32_e32 v100, v100
	v_add_co_u32 v103, vcc_lo, v28, v103
	v_add_co_ci_u32_e64 v104, null, v29, v104, vcc_lo
	global_store_short v[103:104], v100, off
	s_or_b32 exec_lo, exec_lo, s11
	s_and_b32 s12, s6, s8
	s_and_saveexec_b32 s11, s12
	s_cbranch_execz .LBB263_98
.LBB263_123:
	v_cmp_ne_u32_e32 vcc_lo, 1, v75
	s_cbranch_vccnz .LBB263_125
; %bb.124:
	v_lshlrev_b64 v[103:104], 1, v[44:45]
	v_add_co_u32 v103, vcc_lo, v78, v103
	v_add_co_ci_u32_e64 v104, null, v83, v104, vcc_lo
	global_load_ushort v100, v[103:104], off
	s_waitcnt vmcnt(0)
	v_mul_f16_e32 v100, s22, v100
	v_cvt_f32_f16_e32 v100, v100
	s_branch .LBB263_126
.LBB263_125:
	v_mov_b32_e32 v100, 0
.LBB263_126:
	v_pk_add_f16 v103, v0, v30
	v_pk_add_f16 v104, v1, v31
	v_max_f16_e32 v105, v98, v98
	v_lshrrev_b32_e32 v98, 16, v98
	v_max_f32_e32 v100, v100, v100
	v_lshrrev_b32_e32 v106, 16, v103
	v_lshrrev_b32_e32 v107, 16, v104
	v_min_f16_e32 v103, v105, v103
	v_min3_f16 v98, v98, v106, v107
	v_min3_f16 v98, v103, v104, v98
	v_lshlrev_b64 v[103:104], 1, v[44:45]
	v_cvt_f32_f16_e32 v98, v98
	v_add_co_u32 v103, vcc_lo, v28, v103
	v_add_co_ci_u32_e64 v104, null, v29, v104, vcc_lo
	v_min_f32_e32 v98, v100, v98
	v_cvt_f16_f32_e32 v98, v98
	global_store_short v[103:104], v98, off
	s_or_b32 exec_lo, exec_lo, s11
	s_and_b32 s11, s7, s8
	s_and_saveexec_b32 s8, s11
	s_cbranch_execz .LBB263_131
.LBB263_127:
	v_cmp_ne_u32_e32 vcc_lo, 1, v75
	s_cbranch_vccnz .LBB263_129
; %bb.128:
	v_lshlrev_b64 v[103:104], 1, v[46:47]
	v_add_co_u32 v103, vcc_lo, v78, v103
	v_add_co_ci_u32_e64 v104, null, v83, v104, vcc_lo
	global_load_ushort v78, v[103:104], off
	s_waitcnt vmcnt(0)
	v_mul_f16_e32 v78, s22, v78
	v_cvt_f32_f16_e32 v78, v78
	s_branch .LBB263_130
.LBB263_129:
	v_mov_b32_e32 v78, 0
.LBB263_130:
	v_pk_add_f16 v30, v2, v30
	v_pk_add_f16 v31, v3, v31
	v_max_f16_e32 v83, v99, v99
	v_lshrrev_b32_e32 v98, 16, v99
	v_lshrrev_b32_e32 v99, 16, v30
	v_lshrrev_b32_e32 v100, 16, v31
	v_min_f16_e32 v30, v83, v30
	v_min3_f16 v83, v98, v99, v100
	v_min3_f16 v30, v30, v31, v83
	v_max_f32_e32 v31, v78, v78
	v_cvt_f32_f16_e32 v30, v30
	v_min_f32_e32 v78, v31, v30
	v_lshlrev_b64 v[30:31], 1, v[46:47]
	v_cvt_f16_f32_e32 v78, v78
	v_add_co_u32 v28, vcc_lo, v28, v30
	v_add_co_ci_u32_e64 v29, null, v29, v31, vcc_lo
	global_store_short v[28:29], v78, off
.LBB263_131:
	s_or_b32 exec_lo, exec_lo, s8
	v_add_nc_u32_e32 v78, 16, v76
	v_mad_i64_i32 v[28:29], null, v78, s15, 0
	v_mad_i64_i32 v[30:31], null, v78, s14, 0
	v_cmp_gt_i32_e64 s8, s13, v78
	v_lshlrev_b64 v[28:29], 1, v[28:29]
	s_and_b32 s12, s0, s8
	v_lshlrev_b64 v[98:99], 1, v[30:31]
	v_add_co_u32 v30, vcc_lo, s16, v28
	v_add_co_ci_u32_e64 v31, null, s17, v29, vcc_lo
	v_add_co_u32 v28, vcc_lo, s9, v98
	v_add_co_ci_u32_e64 v29, null, s10, v99, vcc_lo
	s_and_saveexec_b32 s11, s12
	s_cbranch_execnz .LBB263_139
; %bb.132:
	s_or_b32 exec_lo, exec_lo, s11
	s_and_b32 s12, s1, s8
	s_and_saveexec_b32 s11, s12
	s_cbranch_execnz .LBB263_143
.LBB263_133:
	s_or_b32 exec_lo, exec_lo, s11
	s_and_b32 s12, s2, s8
	s_and_saveexec_b32 s11, s12
	s_cbranch_execnz .LBB263_147
.LBB263_134:
	s_or_b32 exec_lo, exec_lo, s11
	s_and_b32 s12, s3, s8
	s_and_saveexec_b32 s11, s12
	s_cbranch_execnz .LBB263_151
.LBB263_135:
	s_or_b32 exec_lo, exec_lo, s11
	s_and_b32 s12, s4, s8
	s_and_saveexec_b32 s11, s12
	s_cbranch_execnz .LBB263_155
.LBB263_136:
	s_or_b32 exec_lo, exec_lo, s11
	s_and_b32 s12, s5, s8
	s_and_saveexec_b32 s11, s12
	s_cbranch_execnz .LBB263_159
.LBB263_137:
	s_or_b32 exec_lo, exec_lo, s11
	s_and_b32 s12, s6, s8
	s_and_saveexec_b32 s11, s12
	s_cbranch_execnz .LBB263_163
.LBB263_138:
	s_or_b32 exec_lo, exec_lo, s11
	s_and_b32 s11, s7, s8
	s_and_saveexec_b32 s8, s11
	s_cbranch_execnz .LBB263_167
	s_branch .LBB263_171
.LBB263_139:
	v_cmp_ne_u32_e32 vcc_lo, 1, v75
	s_cbranch_vccnz .LBB263_141
; %bb.140:
	v_lshlrev_b64 v[98:99], 1, v[32:33]
	v_add_co_u32 v98, vcc_lo, v30, v98
	v_add_co_ci_u32_e64 v99, null, v31, v99, vcc_lo
	global_load_ushort v78, v[98:99], off
	s_waitcnt vmcnt(0)
	v_mul_f16_e32 v78, s22, v78
	v_cvt_f32_f16_e32 v78, v78
	s_branch .LBB263_142
.LBB263_141:
	v_mov_b32_e32 v78, 0
.LBB263_142:
	v_pk_add_f16 v83, v16, v24
	v_pk_add_f16 v98, v17, v25
	v_max_f16_e32 v99, v96, v96
	v_lshrrev_b32_e32 v96, 16, v96
	v_max_f32_e32 v78, v78, v78
	v_lshrrev_b32_e32 v100, 16, v83
	v_lshrrev_b32_e32 v103, 16, v98
	v_min_f16_e32 v83, v99, v83
	v_min3_f16 v96, v96, v100, v103
	v_min3_f16 v83, v83, v98, v96
	v_lshlrev_b64 v[98:99], 1, v[32:33]
	v_cvt_f32_f16_e32 v83, v83
	v_add_co_u32 v98, vcc_lo, v28, v98
	v_add_co_ci_u32_e64 v99, null, v29, v99, vcc_lo
	v_min_f32_e32 v78, v78, v83
	v_cvt_f16_f32_e32 v78, v78
	global_store_short v[98:99], v78, off
	s_or_b32 exec_lo, exec_lo, s11
	s_and_b32 s12, s1, s8
	s_and_saveexec_b32 s11, s12
	s_cbranch_execz .LBB263_133
.LBB263_143:
	v_cmp_ne_u32_e32 vcc_lo, 1, v75
	s_cbranch_vccnz .LBB263_145
; %bb.144:
	v_lshlrev_b64 v[98:99], 1, v[34:35]
	v_add_co_u32 v98, vcc_lo, v30, v98
	v_add_co_ci_u32_e64 v99, null, v31, v99, vcc_lo
	global_load_ushort v78, v[98:99], off
	s_waitcnt vmcnt(0)
	v_mul_f16_e32 v78, s22, v78
	v_cvt_f32_f16_e32 v78, v78
	s_branch .LBB263_146
.LBB263_145:
	v_mov_b32_e32 v78, 0
.LBB263_146:
	v_pk_add_f16 v83, v18, v24
	v_pk_add_f16 v96, v19, v25
	v_max_f16_e32 v98, v93, v93
	v_lshrrev_b32_e32 v93, 16, v93
	v_max_f32_e32 v78, v78, v78
	v_lshrrev_b32_e32 v99, 16, v83
	v_lshrrev_b32_e32 v100, 16, v96
	v_min_f16_e32 v83, v98, v83
	v_min3_f16 v93, v93, v99, v100
	v_lshlrev_b64 v[98:99], 1, v[34:35]
	v_min3_f16 v83, v83, v96, v93
	v_add_co_u32 v98, vcc_lo, v28, v98
	v_add_co_ci_u32_e64 v99, null, v29, v99, vcc_lo
	v_cvt_f32_f16_e32 v83, v83
	v_min_f32_e32 v78, v78, v83
	v_cvt_f16_f32_e32 v78, v78
	global_store_short v[98:99], v78, off
	s_or_b32 exec_lo, exec_lo, s11
	s_and_b32 s12, s2, s8
	s_and_saveexec_b32 s11, s12
	s_cbranch_execz .LBB263_134
.LBB263_147:
	v_cmp_ne_u32_e32 vcc_lo, 1, v75
	s_cbranch_vccnz .LBB263_149
; %bb.148:
	v_lshlrev_b64 v[98:99], 1, v[36:37]
	v_add_co_u32 v98, vcc_lo, v30, v98
	v_add_co_ci_u32_e64 v99, null, v31, v99, vcc_lo
	global_load_ushort v78, v[98:99], off
	s_waitcnt vmcnt(0)
	v_mul_f16_e32 v78, s22, v78
	v_cvt_f32_f16_e32 v78, v78
	s_branch .LBB263_150
.LBB263_149:
	v_mov_b32_e32 v78, 0
.LBB263_150:
	v_pk_add_f16 v83, v12, v24
	v_pk_add_f16 v93, v13, v25
	v_max_f16_e32 v96, v90, v90
	v_lshrrev_b32_e32 v90, 16, v90
	v_max_f32_e32 v78, v78, v78
	v_lshrrev_b32_e32 v98, 16, v83
	v_lshrrev_b32_e32 v99, 16, v93
	v_min_f16_e32 v83, v96, v83
	v_min3_f16 v90, v90, v98, v99
	v_lshlrev_b64 v[98:99], 1, v[36:37]
	v_min3_f16 v83, v83, v93, v90
	v_add_co_u32 v98, vcc_lo, v28, v98
	v_add_co_ci_u32_e64 v99, null, v29, v99, vcc_lo
	v_cvt_f32_f16_e32 v83, v83
	v_min_f32_e32 v78, v78, v83
	v_cvt_f16_f32_e32 v78, v78
	global_store_short v[98:99], v78, off
	s_or_b32 exec_lo, exec_lo, s11
	s_and_b32 s12, s3, s8
	s_and_saveexec_b32 s11, s12
	s_cbranch_execz .LBB263_135
.LBB263_151:
	v_cmp_ne_u32_e32 vcc_lo, 1, v75
	s_cbranch_vccnz .LBB263_153
; %bb.152:
	v_lshlrev_b64 v[98:99], 1, v[38:39]
	v_add_co_u32 v98, vcc_lo, v30, v98
	v_add_co_ci_u32_e64 v99, null, v31, v99, vcc_lo
	global_load_ushort v78, v[98:99], off
	s_waitcnt vmcnt(0)
	v_mul_f16_e32 v78, s22, v78
	v_cvt_f32_f16_e32 v78, v78
	s_branch .LBB263_154
.LBB263_153:
	v_mov_b32_e32 v78, 0
.LBB263_154:
	v_pk_add_f16 v83, v14, v24
	v_pk_add_f16 v90, v15, v25
	v_max_f16_e32 v93, v92, v92
	v_lshrrev_b32_e32 v92, 16, v92
	v_max_f32_e32 v78, v78, v78
	v_lshrrev_b32_e32 v96, 16, v83
	v_lshrrev_b32_e32 v98, 16, v90
	v_min_f16_e32 v83, v93, v83
	v_min3_f16 v92, v92, v96, v98
	v_min3_f16 v83, v83, v90, v92
	v_lshlrev_b64 v[92:93], 1, v[38:39]
	v_cvt_f32_f16_e32 v83, v83
	v_add_co_u32 v92, vcc_lo, v28, v92
	v_add_co_ci_u32_e64 v93, null, v29, v93, vcc_lo
	v_min_f32_e32 v78, v78, v83
	v_cvt_f16_f32_e32 v78, v78
	global_store_short v[92:93], v78, off
	s_or_b32 exec_lo, exec_lo, s11
	s_and_b32 s12, s4, s8
	s_and_saveexec_b32 s11, s12
	s_cbranch_execz .LBB263_136
.LBB263_155:
	v_cmp_ne_u32_e32 vcc_lo, 1, v75
	s_cbranch_vccnz .LBB263_157
; %bb.156:
	v_lshlrev_b64 v[92:93], 1, v[40:41]
	v_add_co_u32 v92, vcc_lo, v30, v92
	v_add_co_ci_u32_e64 v93, null, v31, v93, vcc_lo
	global_load_ushort v78, v[92:93], off
	s_waitcnt vmcnt(0)
	v_mul_f16_e32 v78, s22, v78
	v_cvt_f32_f16_e32 v78, v78
	s_branch .LBB263_158
.LBB263_157:
	v_mov_b32_e32 v78, 0
.LBB263_158:
	v_pk_add_f16 v83, v8, v24
	v_pk_add_f16 v90, v9, v25
	v_max_f16_e32 v92, v102, v102
	v_lshrrev_b32_e32 v93, 16, v102
	v_max_f32_e32 v78, v78, v78
	v_lshrrev_b32_e32 v96, 16, v83
	v_lshrrev_b32_e32 v98, 16, v90
	v_min_f16_e32 v83, v92, v83
	v_min3_f16 v92, v93, v96, v98
	v_min3_f16 v83, v83, v90, v92
	v_lshlrev_b64 v[92:93], 1, v[40:41]
	v_cvt_f32_f16_e32 v83, v83
	v_add_co_u32 v92, vcc_lo, v28, v92
	v_add_co_ci_u32_e64 v93, null, v29, v93, vcc_lo
	v_min_f32_e32 v78, v78, v83
	v_cvt_f16_f32_e32 v78, v78
	global_store_short v[92:93], v78, off
	s_or_b32 exec_lo, exec_lo, s11
	s_and_b32 s12, s5, s8
	s_and_saveexec_b32 s11, s12
	s_cbranch_execz .LBB263_137
.LBB263_159:
	v_cmp_ne_u32_e32 vcc_lo, 1, v75
	s_cbranch_vccnz .LBB263_161
; %bb.160:
	v_lshlrev_b64 v[92:93], 1, v[42:43]
	v_add_co_u32 v92, vcc_lo, v30, v92
	v_add_co_ci_u32_e64 v93, null, v31, v93, vcc_lo
	global_load_ushort v78, v[92:93], off
	s_waitcnt vmcnt(0)
	v_mul_f16_e32 v78, s22, v78
	v_cvt_f32_f16_e32 v78, v78
	s_branch .LBB263_162
.LBB263_161:
	v_mov_b32_e32 v78, 0
.LBB263_162:
	v_pk_add_f16 v83, v10, v24
	v_pk_add_f16 v90, v11, v25
	v_max_f16_e32 v92, v101, v101
	v_lshrrev_b32_e32 v93, 16, v101
	v_max_f32_e32 v78, v78, v78
	v_lshrrev_b32_e32 v96, 16, v83
	v_lshrrev_b32_e32 v98, 16, v90
	v_min_f16_e32 v83, v92, v83
	v_min3_f16 v92, v93, v96, v98
	v_min3_f16 v83, v83, v90, v92
	v_lshlrev_b64 v[92:93], 1, v[42:43]
	v_cvt_f32_f16_e32 v83, v83
	v_add_co_u32 v92, vcc_lo, v28, v92
	v_add_co_ci_u32_e64 v93, null, v29, v93, vcc_lo
	v_min_f32_e32 v78, v78, v83
	v_cvt_f16_f32_e32 v78, v78
	global_store_short v[92:93], v78, off
	s_or_b32 exec_lo, exec_lo, s11
	s_and_b32 s12, s6, s8
	s_and_saveexec_b32 s11, s12
	s_cbranch_execz .LBB263_138
.LBB263_163:
	v_cmp_ne_u32_e32 vcc_lo, 1, v75
	s_cbranch_vccnz .LBB263_165
; %bb.164:
	v_lshlrev_b64 v[92:93], 1, v[44:45]
	v_add_co_u32 v92, vcc_lo, v30, v92
	v_add_co_ci_u32_e64 v93, null, v31, v93, vcc_lo
	global_load_ushort v78, v[92:93], off
	s_waitcnt vmcnt(0)
	v_mul_f16_e32 v78, s22, v78
	v_cvt_f32_f16_e32 v78, v78
	s_branch .LBB263_166
.LBB263_165:
	v_mov_b32_e32 v78, 0
.LBB263_166:
	v_pk_add_f16 v83, v0, v24
	v_pk_add_f16 v90, v1, v25
	v_max_f16_e32 v92, v97, v97
	v_lshrrev_b32_e32 v93, 16, v97
	v_max_f32_e32 v78, v78, v78
	v_lshrrev_b32_e32 v96, 16, v83
	v_lshrrev_b32_e32 v97, 16, v90
	v_min_f16_e32 v83, v92, v83
	v_min3_f16 v92, v93, v96, v97
	v_min3_f16 v83, v83, v90, v92
	v_lshlrev_b64 v[92:93], 1, v[44:45]
	v_cvt_f32_f16_e32 v83, v83
	v_add_co_u32 v92, vcc_lo, v28, v92
	v_add_co_ci_u32_e64 v93, null, v29, v93, vcc_lo
	v_min_f32_e32 v78, v78, v83
	v_cvt_f16_f32_e32 v78, v78
	global_store_short v[92:93], v78, off
	s_or_b32 exec_lo, exec_lo, s11
	s_and_b32 s11, s7, s8
	s_and_saveexec_b32 s8, s11
	s_cbranch_execz .LBB263_171
.LBB263_167:
	v_cmp_ne_u32_e32 vcc_lo, 1, v75
	s_cbranch_vccnz .LBB263_169
; %bb.168:
	v_lshlrev_b64 v[92:93], 1, v[46:47]
	v_add_co_u32 v30, vcc_lo, v30, v92
	v_add_co_ci_u32_e64 v31, null, v31, v93, vcc_lo
	global_load_ushort v30, v[30:31], off
	s_waitcnt vmcnt(0)
	v_mul_f16_e32 v30, s22, v30
	v_cvt_f32_f16_e32 v30, v30
	s_branch .LBB263_170
.LBB263_169:
	v_mov_b32_e32 v30, 0
.LBB263_170:
	v_pk_add_f16 v24, v2, v24
	v_pk_add_f16 v25, v3, v25
	v_max_f16_e32 v31, v95, v95
	v_lshrrev_b32_e32 v78, 16, v95
	v_lshrrev_b32_e32 v83, 16, v24
	;; [unrolled: 1-line block ×3, first 2 shown]
	v_min_f16_e32 v24, v31, v24
	v_min3_f16 v31, v78, v83, v90
	v_min3_f16 v24, v24, v25, v31
	v_max_f32_e32 v25, v30, v30
	v_cvt_f32_f16_e32 v24, v24
	v_min_f32_e32 v30, v25, v24
	v_lshlrev_b64 v[24:25], 1, v[46:47]
	v_cvt_f16_f32_e32 v30, v30
	v_add_co_u32 v24, vcc_lo, v28, v24
	v_add_co_ci_u32_e64 v25, null, v29, v25, vcc_lo
	global_store_short v[24:25], v30, off
.LBB263_171:
	s_or_b32 exec_lo, exec_lo, s8
	v_add_nc_u32_e32 v30, 24, v76
	v_mad_i64_i32 v[24:25], null, v30, s15, 0
	v_mad_i64_i32 v[28:29], null, v30, s14, 0
	v_cmp_gt_i32_e64 s8, s13, v30
	v_lshlrev_b64 v[24:25], 1, v[24:25]
	s_and_b32 s12, s0, s8
	v_lshlrev_b64 v[30:31], 1, v[28:29]
	v_add_co_u32 v28, vcc_lo, s16, v24
	v_add_co_ci_u32_e64 v29, null, s17, v25, vcc_lo
	v_add_co_u32 v24, vcc_lo, s9, v30
	v_add_co_ci_u32_e64 v25, null, s10, v31, vcc_lo
	s_and_saveexec_b32 s11, s12
	s_cbranch_execnz .LBB263_179
; %bb.172:
	s_or_b32 exec_lo, exec_lo, s11
	s_and_b32 s12, s1, s8
	s_and_saveexec_b32 s11, s12
	s_cbranch_execnz .LBB263_183
.LBB263_173:
	s_or_b32 exec_lo, exec_lo, s11
	s_and_b32 s12, s2, s8
	s_and_saveexec_b32 s11, s12
	s_cbranch_execnz .LBB263_187
.LBB263_174:
	s_or_b32 exec_lo, exec_lo, s11
	s_and_b32 s12, s3, s8
	s_and_saveexec_b32 s11, s12
	s_cbranch_execnz .LBB263_191
.LBB263_175:
	s_or_b32 exec_lo, exec_lo, s11
	s_and_b32 s12, s4, s8
	s_and_saveexec_b32 s11, s12
	s_cbranch_execnz .LBB263_195
.LBB263_176:
	s_or_b32 exec_lo, exec_lo, s11
	s_and_b32 s12, s5, s8
	s_and_saveexec_b32 s11, s12
	s_cbranch_execnz .LBB263_199
.LBB263_177:
	s_or_b32 exec_lo, exec_lo, s11
	s_and_b32 s12, s6, s8
	s_and_saveexec_b32 s11, s12
	s_cbranch_execnz .LBB263_203
.LBB263_178:
	s_or_b32 exec_lo, exec_lo, s11
	s_and_b32 s11, s7, s8
	s_and_saveexec_b32 s8, s11
	s_cbranch_execnz .LBB263_207
	s_branch .LBB263_211
.LBB263_179:
	v_cmp_ne_u32_e32 vcc_lo, 1, v75
	s_cbranch_vccnz .LBB263_181
; %bb.180:
	v_lshlrev_b64 v[30:31], 1, v[32:33]
	v_add_co_u32 v30, vcc_lo, v28, v30
	v_add_co_ci_u32_e64 v31, null, v29, v31, vcc_lo
	global_load_ushort v30, v[30:31], off
	s_waitcnt vmcnt(0)
	v_mul_f16_e32 v30, s22, v30
	v_cvt_f32_f16_e32 v30, v30
	s_branch .LBB263_182
.LBB263_181:
	v_mov_b32_e32 v30, 0
.LBB263_182:
	v_pk_add_f16 v31, v16, v26
	v_pk_add_f16 v78, v17, v27
	v_max_f16_e32 v83, v94, v94
	v_lshrrev_b32_e32 v90, 16, v94
	v_max_f32_e32 v30, v30, v30
	v_lshrrev_b32_e32 v92, 16, v31
	v_lshrrev_b32_e32 v93, 16, v78
	v_min_f16_e32 v31, v83, v31
	v_min3_f16 v83, v90, v92, v93
	v_min3_f16 v31, v31, v78, v83
	v_cvt_f32_f16_e32 v31, v31
	v_min_f32_e32 v78, v30, v31
	v_lshlrev_b64 v[30:31], 1, v[32:33]
	v_cvt_f16_f32_e32 v78, v78
	v_add_co_u32 v30, vcc_lo, v24, v30
	v_add_co_ci_u32_e64 v31, null, v25, v31, vcc_lo
	global_store_short v[30:31], v78, off
	s_or_b32 exec_lo, exec_lo, s11
	s_and_b32 s12, s1, s8
	s_and_saveexec_b32 s11, s12
	s_cbranch_execz .LBB263_173
.LBB263_183:
	v_cmp_ne_u32_e32 vcc_lo, 1, v75
	s_cbranch_vccnz .LBB263_185
; %bb.184:
	v_lshlrev_b64 v[30:31], 1, v[34:35]
	v_add_co_u32 v30, vcc_lo, v28, v30
	v_add_co_ci_u32_e64 v31, null, v29, v31, vcc_lo
	global_load_ushort v30, v[30:31], off
	s_waitcnt vmcnt(0)
	v_mul_f16_e32 v30, s22, v30
	v_cvt_f32_f16_e32 v30, v30
	s_branch .LBB263_186
.LBB263_185:
	v_mov_b32_e32 v30, 0
.LBB263_186:
	v_pk_add_f16 v31, v18, v26
	v_pk_add_f16 v78, v19, v27
	v_max_f16_e32 v83, v91, v91
	v_lshrrev_b32_e32 v90, 16, v91
	v_max_f32_e32 v30, v30, v30
	v_lshrrev_b32_e32 v91, 16, v31
	v_lshrrev_b32_e32 v92, 16, v78
	v_min_f16_e32 v31, v83, v31
	v_min3_f16 v83, v90, v91, v92
	v_min3_f16 v31, v31, v78, v83
	v_cvt_f32_f16_e32 v31, v31
	v_min_f32_e32 v78, v30, v31
	v_lshlrev_b64 v[30:31], 1, v[34:35]
	v_cvt_f16_f32_e32 v78, v78
	v_add_co_u32 v30, vcc_lo, v24, v30
	v_add_co_ci_u32_e64 v31, null, v25, v31, vcc_lo
	global_store_short v[30:31], v78, off
	s_or_b32 exec_lo, exec_lo, s11
	s_and_b32 s12, s2, s8
	s_and_saveexec_b32 s11, s12
	s_cbranch_execz .LBB263_174
.LBB263_187:
	v_cmp_ne_u32_e32 vcc_lo, 1, v75
	s_cbranch_vccnz .LBB263_189
; %bb.188:
	v_lshlrev_b64 v[30:31], 1, v[36:37]
	v_add_co_u32 v30, vcc_lo, v28, v30
	v_add_co_ci_u32_e64 v31, null, v29, v31, vcc_lo
	global_load_ushort v30, v[30:31], off
	s_waitcnt vmcnt(0)
	v_mul_f16_e32 v30, s22, v30
	v_cvt_f32_f16_e32 v30, v30
	s_branch .LBB263_190
.LBB263_189:
	v_mov_b32_e32 v30, 0
.LBB263_190:
	v_pk_add_f16 v31, v12, v26
	v_pk_add_f16 v78, v13, v27
	v_max_f16_e32 v83, v89, v89
	v_lshrrev_b32_e32 v89, 16, v89
	v_max_f32_e32 v30, v30, v30
	v_lshrrev_b32_e32 v90, 16, v31
	v_lshrrev_b32_e32 v91, 16, v78
	v_min_f16_e32 v31, v83, v31
	v_min3_f16 v83, v89, v90, v91
	v_min3_f16 v31, v31, v78, v83
	v_cvt_f32_f16_e32 v31, v31
	v_min_f32_e32 v78, v30, v31
	v_lshlrev_b64 v[30:31], 1, v[36:37]
	v_cvt_f16_f32_e32 v78, v78
	v_add_co_u32 v30, vcc_lo, v24, v30
	v_add_co_ci_u32_e64 v31, null, v25, v31, vcc_lo
	global_store_short v[30:31], v78, off
	s_or_b32 exec_lo, exec_lo, s11
	s_and_b32 s12, s3, s8
	s_and_saveexec_b32 s11, s12
	s_cbranch_execz .LBB263_175
.LBB263_191:
	v_cmp_ne_u32_e32 vcc_lo, 1, v75
	s_cbranch_vccnz .LBB263_193
; %bb.192:
	v_lshlrev_b64 v[30:31], 1, v[38:39]
	v_add_co_u32 v30, vcc_lo, v28, v30
	v_add_co_ci_u32_e64 v31, null, v29, v31, vcc_lo
	global_load_ushort v30, v[30:31], off
	s_waitcnt vmcnt(0)
	v_mul_f16_e32 v30, s22, v30
	v_cvt_f32_f16_e32 v30, v30
	s_branch .LBB263_194
.LBB263_193:
	v_mov_b32_e32 v30, 0
.LBB263_194:
	v_pk_add_f16 v31, v14, v26
	v_pk_add_f16 v78, v15, v27
	v_max_f16_e32 v83, v88, v88
	v_lshrrev_b32_e32 v88, 16, v88
	v_max_f32_e32 v30, v30, v30
	v_lshrrev_b32_e32 v89, 16, v31
	v_lshrrev_b32_e32 v90, 16, v78
	v_min_f16_e32 v31, v83, v31
	v_min3_f16 v83, v88, v89, v90
	v_min3_f16 v31, v31, v78, v83
	v_cvt_f32_f16_e32 v31, v31
	v_min_f32_e32 v78, v30, v31
	v_lshlrev_b64 v[30:31], 1, v[38:39]
	v_cvt_f16_f32_e32 v78, v78
	v_add_co_u32 v30, vcc_lo, v24, v30
	v_add_co_ci_u32_e64 v31, null, v25, v31, vcc_lo
	global_store_short v[30:31], v78, off
	s_or_b32 exec_lo, exec_lo, s11
	s_and_b32 s12, s4, s8
	s_and_saveexec_b32 s11, s12
	s_cbranch_execz .LBB263_176
.LBB263_195:
	v_cmp_ne_u32_e32 vcc_lo, 1, v75
	s_cbranch_vccnz .LBB263_197
; %bb.196:
	v_lshlrev_b64 v[30:31], 1, v[40:41]
	v_add_co_u32 v30, vcc_lo, v28, v30
	v_add_co_ci_u32_e64 v31, null, v29, v31, vcc_lo
	global_load_ushort v30, v[30:31], off
	s_waitcnt vmcnt(0)
	v_mul_f16_e32 v30, s22, v30
	v_cvt_f32_f16_e32 v30, v30
	s_branch .LBB263_198
.LBB263_197:
	v_mov_b32_e32 v30, 0
.LBB263_198:
	v_pk_add_f16 v31, v8, v26
	v_pk_add_f16 v78, v9, v27
	v_max_f16_e32 v83, v87, v87
	v_lshrrev_b32_e32 v87, 16, v87
	v_max_f32_e32 v30, v30, v30
	v_lshrrev_b32_e32 v88, 16, v31
	v_lshrrev_b32_e32 v89, 16, v78
	v_min_f16_e32 v31, v83, v31
	v_min3_f16 v83, v87, v88, v89
	v_min3_f16 v31, v31, v78, v83
	v_cvt_f32_f16_e32 v31, v31
	v_min_f32_e32 v78, v30, v31
	v_lshlrev_b64 v[30:31], 1, v[40:41]
	v_cvt_f16_f32_e32 v78, v78
	v_add_co_u32 v30, vcc_lo, v24, v30
	v_add_co_ci_u32_e64 v31, null, v25, v31, vcc_lo
	global_store_short v[30:31], v78, off
	s_or_b32 exec_lo, exec_lo, s11
	s_and_b32 s12, s5, s8
	s_and_saveexec_b32 s11, s12
	s_cbranch_execz .LBB263_177
.LBB263_199:
	v_cmp_ne_u32_e32 vcc_lo, 1, v75
	s_cbranch_vccnz .LBB263_201
; %bb.200:
	v_lshlrev_b64 v[30:31], 1, v[42:43]
	v_add_co_u32 v30, vcc_lo, v28, v30
	v_add_co_ci_u32_e64 v31, null, v29, v31, vcc_lo
	global_load_ushort v30, v[30:31], off
	s_waitcnt vmcnt(0)
	v_mul_f16_e32 v30, s22, v30
	v_cvt_f32_f16_e32 v30, v30
	s_branch .LBB263_202
.LBB263_201:
	v_mov_b32_e32 v30, 0
.LBB263_202:
	v_pk_add_f16 v31, v10, v26
	v_pk_add_f16 v78, v11, v27
	v_max_f16_e32 v83, v86, v86
	v_lshrrev_b32_e32 v86, 16, v86
	v_max_f32_e32 v30, v30, v30
	v_lshrrev_b32_e32 v87, 16, v31
	v_lshrrev_b32_e32 v88, 16, v78
	v_min_f16_e32 v31, v83, v31
	v_min3_f16 v83, v86, v87, v88
	v_min3_f16 v31, v31, v78, v83
	v_cvt_f32_f16_e32 v31, v31
	v_min_f32_e32 v78, v30, v31
	v_lshlrev_b64 v[30:31], 1, v[42:43]
	v_cvt_f16_f32_e32 v78, v78
	v_add_co_u32 v30, vcc_lo, v24, v30
	v_add_co_ci_u32_e64 v31, null, v25, v31, vcc_lo
	global_store_short v[30:31], v78, off
	s_or_b32 exec_lo, exec_lo, s11
	s_and_b32 s12, s6, s8
	s_and_saveexec_b32 s11, s12
	s_cbranch_execz .LBB263_178
.LBB263_203:
	v_cmp_ne_u32_e32 vcc_lo, 1, v75
	s_cbranch_vccnz .LBB263_205
; %bb.204:
	v_lshlrev_b64 v[30:31], 1, v[44:45]
	v_add_co_u32 v30, vcc_lo, v28, v30
	v_add_co_ci_u32_e64 v31, null, v29, v31, vcc_lo
	global_load_ushort v30, v[30:31], off
	s_waitcnt vmcnt(0)
	v_mul_f16_e32 v30, s22, v30
	v_cvt_f32_f16_e32 v30, v30
	s_branch .LBB263_206
.LBB263_205:
	v_mov_b32_e32 v30, 0
.LBB263_206:
	v_pk_add_f16 v31, v0, v26
	v_pk_add_f16 v78, v1, v27
	v_max_f16_e32 v83, v85, v85
	v_lshrrev_b32_e32 v85, 16, v85
	v_max_f32_e32 v30, v30, v30
	v_lshrrev_b32_e32 v86, 16, v31
	v_lshrrev_b32_e32 v87, 16, v78
	v_min_f16_e32 v31, v83, v31
	v_min3_f16 v83, v85, v86, v87
	v_min3_f16 v31, v31, v78, v83
	v_cvt_f32_f16_e32 v31, v31
	v_min_f32_e32 v78, v30, v31
	v_lshlrev_b64 v[30:31], 1, v[44:45]
	v_cvt_f16_f32_e32 v78, v78
	v_add_co_u32 v30, vcc_lo, v24, v30
	v_add_co_ci_u32_e64 v31, null, v25, v31, vcc_lo
	global_store_short v[30:31], v78, off
	s_or_b32 exec_lo, exec_lo, s11
	s_and_b32 s11, s7, s8
	s_and_saveexec_b32 s8, s11
	s_cbranch_execz .LBB263_211
.LBB263_207:
	v_cmp_ne_u32_e32 vcc_lo, 1, v75
	s_cbranch_vccnz .LBB263_209
; %bb.208:
	v_lshlrev_b64 v[30:31], 1, v[46:47]
	v_add_co_u32 v28, vcc_lo, v28, v30
	v_add_co_ci_u32_e64 v29, null, v29, v31, vcc_lo
	global_load_ushort v28, v[28:29], off
	s_waitcnt vmcnt(0)
	v_mul_f16_e32 v28, s22, v28
	v_cvt_f32_f16_e32 v28, v28
	s_branch .LBB263_210
.LBB263_209:
	v_mov_b32_e32 v28, 0
.LBB263_210:
	v_pk_add_f16 v26, v2, v26
	v_pk_add_f16 v27, v3, v27
	v_max_f16_e32 v29, v84, v84
	v_lshrrev_b32_e32 v30, 16, v84
	v_lshrrev_b32_e32 v31, 16, v26
	;; [unrolled: 1-line block ×3, first 2 shown]
	v_min_f16_e32 v26, v29, v26
	v_min3_f16 v29, v30, v31, v78
	v_min3_f16 v26, v26, v27, v29
	v_max_f32_e32 v27, v28, v28
	v_cvt_f32_f16_e32 v26, v26
	v_min_f32_e32 v28, v27, v26
	v_lshlrev_b64 v[26:27], 1, v[46:47]
	v_cvt_f16_f32_e32 v28, v28
	v_add_co_u32 v24, vcc_lo, v24, v26
	v_add_co_ci_u32_e64 v25, null, v25, v27, vcc_lo
	global_store_short v[24:25], v28, off
.LBB263_211:
	s_or_b32 exec_lo, exec_lo, s8
	v_add_nc_u32_e32 v28, 32, v76
	v_mad_i64_i32 v[24:25], null, v28, s15, 0
	v_mad_i64_i32 v[26:27], null, v28, s14, 0
	v_cmp_gt_i32_e64 s8, s13, v28
	v_lshlrev_b64 v[24:25], 1, v[24:25]
	s_and_b32 s12, s0, s8
	v_lshlrev_b64 v[28:29], 1, v[26:27]
	v_add_co_u32 v26, vcc_lo, s16, v24
	v_add_co_ci_u32_e64 v27, null, s17, v25, vcc_lo
	v_add_co_u32 v24, vcc_lo, s9, v28
	v_add_co_ci_u32_e64 v25, null, s10, v29, vcc_lo
	s_and_saveexec_b32 s11, s12
	s_cbranch_execnz .LBB263_219
; %bb.212:
	s_or_b32 exec_lo, exec_lo, s11
	s_and_b32 s12, s1, s8
	s_and_saveexec_b32 s11, s12
	s_cbranch_execnz .LBB263_223
.LBB263_213:
	s_or_b32 exec_lo, exec_lo, s11
	s_and_b32 s12, s2, s8
	s_and_saveexec_b32 s11, s12
	s_cbranch_execnz .LBB263_227
.LBB263_214:
	s_or_b32 exec_lo, exec_lo, s11
	s_and_b32 s12, s3, s8
	s_and_saveexec_b32 s11, s12
	s_cbranch_execnz .LBB263_231
.LBB263_215:
	s_or_b32 exec_lo, exec_lo, s11
	s_and_b32 s12, s4, s8
	s_and_saveexec_b32 s11, s12
	s_cbranch_execnz .LBB263_235
.LBB263_216:
	s_or_b32 exec_lo, exec_lo, s11
	s_and_b32 s12, s5, s8
	s_and_saveexec_b32 s11, s12
	s_cbranch_execnz .LBB263_239
.LBB263_217:
	s_or_b32 exec_lo, exec_lo, s11
	s_and_b32 s12, s6, s8
	s_and_saveexec_b32 s11, s12
	s_cbranch_execnz .LBB263_243
.LBB263_218:
	s_or_b32 exec_lo, exec_lo, s11
	s_and_b32 s11, s7, s8
	s_and_saveexec_b32 s8, s11
	s_cbranch_execnz .LBB263_247
	s_branch .LBB263_251
.LBB263_219:
	v_cmp_ne_u32_e32 vcc_lo, 1, v75
	s_cbranch_vccnz .LBB263_221
; %bb.220:
	v_lshlrev_b64 v[28:29], 1, v[32:33]
	v_add_co_u32 v28, vcc_lo, v26, v28
	v_add_co_ci_u32_e64 v29, null, v27, v29, vcc_lo
	global_load_ushort v28, v[28:29], off
	s_waitcnt vmcnt(0)
	v_mul_f16_e32 v28, s22, v28
	v_cvt_f32_f16_e32 v28, v28
	s_branch .LBB263_222
.LBB263_221:
	v_mov_b32_e32 v28, 0
.LBB263_222:
	v_pk_add_f16 v29, v16, v20
	v_pk_add_f16 v30, v17, v21
	v_max_f16_e32 v31, v82, v82
	v_lshrrev_b32_e32 v78, 16, v82
	v_max_f32_e32 v28, v28, v28
	v_lshrrev_b32_e32 v82, 16, v29
	v_lshrrev_b32_e32 v83, 16, v30
	v_min_f16_e32 v29, v31, v29
	v_min3_f16 v31, v78, v82, v83
	v_min3_f16 v29, v29, v30, v31
	v_cvt_f32_f16_e32 v29, v29
	v_min_f32_e32 v30, v28, v29
	v_lshlrev_b64 v[28:29], 1, v[32:33]
	v_cvt_f16_f32_e32 v30, v30
	v_add_co_u32 v28, vcc_lo, v24, v28
	v_add_co_ci_u32_e64 v29, null, v25, v29, vcc_lo
	global_store_short v[28:29], v30, off
	s_or_b32 exec_lo, exec_lo, s11
	s_and_b32 s12, s1, s8
	s_and_saveexec_b32 s11, s12
	s_cbranch_execz .LBB263_213
.LBB263_223:
	v_cmp_ne_u32_e32 vcc_lo, 1, v75
	s_cbranch_vccnz .LBB263_225
; %bb.224:
	v_lshlrev_b64 v[28:29], 1, v[34:35]
	v_add_co_u32 v28, vcc_lo, v26, v28
	v_add_co_ci_u32_e64 v29, null, v27, v29, vcc_lo
	global_load_ushort v28, v[28:29], off
	s_waitcnt vmcnt(0)
	v_mul_f16_e32 v28, s22, v28
	v_cvt_f32_f16_e32 v28, v28
	s_branch .LBB263_226
.LBB263_225:
	v_mov_b32_e32 v28, 0
.LBB263_226:
	v_pk_add_f16 v29, v18, v20
	v_pk_add_f16 v30, v19, v21
	v_max_f16_e32 v31, v81, v81
	v_lshrrev_b32_e32 v78, 16, v81
	v_max_f32_e32 v28, v28, v28
	v_lshrrev_b32_e32 v81, 16, v29
	v_lshrrev_b32_e32 v82, 16, v30
	v_min_f16_e32 v29, v31, v29
	v_min3_f16 v31, v78, v81, v82
	v_min3_f16 v29, v29, v30, v31
	v_cvt_f32_f16_e32 v29, v29
	v_min_f32_e32 v30, v28, v29
	v_lshlrev_b64 v[28:29], 1, v[34:35]
	v_cvt_f16_f32_e32 v30, v30
	v_add_co_u32 v28, vcc_lo, v24, v28
	v_add_co_ci_u32_e64 v29, null, v25, v29, vcc_lo
	global_store_short v[28:29], v30, off
	s_or_b32 exec_lo, exec_lo, s11
	s_and_b32 s12, s2, s8
	s_and_saveexec_b32 s11, s12
	s_cbranch_execz .LBB263_214
.LBB263_227:
	v_cmp_ne_u32_e32 vcc_lo, 1, v75
	s_cbranch_vccnz .LBB263_229
; %bb.228:
	v_lshlrev_b64 v[28:29], 1, v[36:37]
	v_add_co_u32 v28, vcc_lo, v26, v28
	v_add_co_ci_u32_e64 v29, null, v27, v29, vcc_lo
	global_load_ushort v28, v[28:29], off
	s_waitcnt vmcnt(0)
	v_mul_f16_e32 v28, s22, v28
	v_cvt_f32_f16_e32 v28, v28
	s_branch .LBB263_230
.LBB263_229:
	v_mov_b32_e32 v28, 0
.LBB263_230:
	v_pk_add_f16 v29, v12, v20
	v_pk_add_f16 v30, v13, v21
	v_max_f16_e32 v31, v80, v80
	v_lshrrev_b32_e32 v78, 16, v80
	v_max_f32_e32 v28, v28, v28
	v_lshrrev_b32_e32 v80, 16, v29
	v_lshrrev_b32_e32 v81, 16, v30
	v_min_f16_e32 v29, v31, v29
	v_min3_f16 v31, v78, v80, v81
	v_min3_f16 v29, v29, v30, v31
	v_cvt_f32_f16_e32 v29, v29
	v_min_f32_e32 v30, v28, v29
	v_lshlrev_b64 v[28:29], 1, v[36:37]
	v_cvt_f16_f32_e32 v30, v30
	v_add_co_u32 v28, vcc_lo, v24, v28
	v_add_co_ci_u32_e64 v29, null, v25, v29, vcc_lo
	global_store_short v[28:29], v30, off
	s_or_b32 exec_lo, exec_lo, s11
	s_and_b32 s12, s3, s8
	s_and_saveexec_b32 s11, s12
	s_cbranch_execz .LBB263_215
.LBB263_231:
	v_cmp_ne_u32_e32 vcc_lo, 1, v75
	s_cbranch_vccnz .LBB263_233
; %bb.232:
	v_lshlrev_b64 v[28:29], 1, v[38:39]
	v_add_co_u32 v28, vcc_lo, v26, v28
	v_add_co_ci_u32_e64 v29, null, v27, v29, vcc_lo
	global_load_ushort v28, v[28:29], off
	s_waitcnt vmcnt(0)
	v_mul_f16_e32 v28, s22, v28
	v_cvt_f32_f16_e32 v28, v28
	s_branch .LBB263_234
.LBB263_233:
	v_mov_b32_e32 v28, 0
.LBB263_234:
	v_pk_add_f16 v29, v14, v20
	v_pk_add_f16 v30, v15, v21
	v_max_f16_e32 v31, v79, v79
	v_lshrrev_b32_e32 v78, 16, v79
	v_max_f32_e32 v28, v28, v28
	v_lshrrev_b32_e32 v79, 16, v29
	v_lshrrev_b32_e32 v80, 16, v30
	v_min_f16_e32 v29, v31, v29
	v_min3_f16 v31, v78, v79, v80
	v_min3_f16 v29, v29, v30, v31
	v_cvt_f32_f16_e32 v29, v29
	v_min_f32_e32 v30, v28, v29
	v_lshlrev_b64 v[28:29], 1, v[38:39]
	v_cvt_f16_f32_e32 v30, v30
	v_add_co_u32 v28, vcc_lo, v24, v28
	v_add_co_ci_u32_e64 v29, null, v25, v29, vcc_lo
	global_store_short v[28:29], v30, off
	s_or_b32 exec_lo, exec_lo, s11
	s_and_b32 s12, s4, s8
	s_and_saveexec_b32 s11, s12
	s_cbranch_execz .LBB263_216
.LBB263_235:
	v_cmp_ne_u32_e32 vcc_lo, 1, v75
	s_cbranch_vccnz .LBB263_237
; %bb.236:
	v_lshlrev_b64 v[28:29], 1, v[40:41]
	v_add_co_u32 v28, vcc_lo, v26, v28
	v_add_co_ci_u32_e64 v29, null, v27, v29, vcc_lo
	global_load_ushort v28, v[28:29], off
	s_waitcnt vmcnt(0)
	v_mul_f16_e32 v28, s22, v28
	v_cvt_f32_f16_e32 v28, v28
	s_branch .LBB263_238
.LBB263_237:
	v_mov_b32_e32 v28, 0
.LBB263_238:
	v_pk_add_f16 v29, v8, v20
	v_pk_add_f16 v30, v9, v21
	v_max_f16_e32 v31, v77, v77
	v_lshrrev_b32_e32 v77, 16, v77
	v_max_f32_e32 v28, v28, v28
	v_lshrrev_b32_e32 v78, 16, v29
	v_lshrrev_b32_e32 v79, 16, v30
	v_min_f16_e32 v29, v31, v29
	v_min3_f16 v31, v77, v78, v79
	v_min3_f16 v29, v29, v30, v31
	v_cvt_f32_f16_e32 v29, v29
	v_min_f32_e32 v30, v28, v29
	v_lshlrev_b64 v[28:29], 1, v[40:41]
	v_cvt_f16_f32_e32 v30, v30
	v_add_co_u32 v28, vcc_lo, v24, v28
	v_add_co_ci_u32_e64 v29, null, v25, v29, vcc_lo
	global_store_short v[28:29], v30, off
	s_or_b32 exec_lo, exec_lo, s11
	s_and_b32 s12, s5, s8
	s_and_saveexec_b32 s11, s12
	s_cbranch_execz .LBB263_217
.LBB263_239:
	v_cmp_ne_u32_e32 vcc_lo, 1, v75
	s_cbranch_vccnz .LBB263_241
; %bb.240:
	v_lshlrev_b64 v[28:29], 1, v[42:43]
	v_add_co_u32 v28, vcc_lo, v26, v28
	v_add_co_ci_u32_e64 v29, null, v27, v29, vcc_lo
	global_load_ushort v28, v[28:29], off
	s_waitcnt vmcnt(0)
	v_mul_f16_e32 v28, s22, v28
	v_cvt_f32_f16_e32 v28, v28
	s_branch .LBB263_242
.LBB263_241:
	v_mov_b32_e32 v28, 0
.LBB263_242:
	v_pk_add_f16 v29, v10, v20
	v_pk_add_f16 v30, v11, v21
	v_max_f16_e32 v31, v74, v74
	v_lshrrev_b32_e32 v74, 16, v74
	v_max_f32_e32 v28, v28, v28
	v_lshrrev_b32_e32 v77, 16, v29
	v_lshrrev_b32_e32 v78, 16, v30
	v_min_f16_e32 v29, v31, v29
	v_min3_f16 v31, v74, v77, v78
	v_min3_f16 v29, v29, v30, v31
	v_cvt_f32_f16_e32 v29, v29
	v_min_f32_e32 v30, v28, v29
	v_lshlrev_b64 v[28:29], 1, v[42:43]
	v_cvt_f16_f32_e32 v30, v30
	v_add_co_u32 v28, vcc_lo, v24, v28
	v_add_co_ci_u32_e64 v29, null, v25, v29, vcc_lo
	global_store_short v[28:29], v30, off
	s_or_b32 exec_lo, exec_lo, s11
	s_and_b32 s12, s6, s8
	s_and_saveexec_b32 s11, s12
	s_cbranch_execz .LBB263_218
.LBB263_243:
	v_cmp_ne_u32_e32 vcc_lo, 1, v75
	s_cbranch_vccnz .LBB263_245
; %bb.244:
	v_lshlrev_b64 v[28:29], 1, v[44:45]
	v_add_co_u32 v28, vcc_lo, v26, v28
	v_add_co_ci_u32_e64 v29, null, v27, v29, vcc_lo
	global_load_ushort v28, v[28:29], off
	s_waitcnt vmcnt(0)
	v_mul_f16_e32 v28, s22, v28
	v_cvt_f32_f16_e32 v28, v28
	s_branch .LBB263_246
.LBB263_245:
	v_mov_b32_e32 v28, 0
.LBB263_246:
	v_pk_add_f16 v29, v0, v20
	v_pk_add_f16 v30, v1, v21
	v_max_f16_e32 v31, v72, v72
	v_lshrrev_b32_e32 v72, 16, v72
	v_max_f32_e32 v28, v28, v28
	v_lshrrev_b32_e32 v74, 16, v29
	v_lshrrev_b32_e32 v77, 16, v30
	v_min_f16_e32 v29, v31, v29
	v_min3_f16 v31, v72, v74, v77
	v_min3_f16 v29, v29, v30, v31
	v_cvt_f32_f16_e32 v29, v29
	v_min_f32_e32 v30, v28, v29
	v_lshlrev_b64 v[28:29], 1, v[44:45]
	v_cvt_f16_f32_e32 v30, v30
	v_add_co_u32 v28, vcc_lo, v24, v28
	v_add_co_ci_u32_e64 v29, null, v25, v29, vcc_lo
	global_store_short v[28:29], v30, off
	s_or_b32 exec_lo, exec_lo, s11
	s_and_b32 s11, s7, s8
	s_and_saveexec_b32 s8, s11
	s_cbranch_execz .LBB263_251
.LBB263_247:
	v_cmp_ne_u32_e32 vcc_lo, 1, v75
	s_cbranch_vccnz .LBB263_249
; %bb.248:
	v_lshlrev_b64 v[28:29], 1, v[46:47]
	v_add_co_u32 v26, vcc_lo, v26, v28
	v_add_co_ci_u32_e64 v27, null, v27, v29, vcc_lo
	global_load_ushort v26, v[26:27], off
	s_waitcnt vmcnt(0)
	v_mul_f16_e32 v26, s22, v26
	v_cvt_f32_f16_e32 v26, v26
	s_branch .LBB263_250
.LBB263_249:
	v_mov_b32_e32 v26, 0
.LBB263_250:
	v_pk_add_f16 v20, v2, v20
	v_pk_add_f16 v21, v3, v21
	v_max_f16_e32 v27, v73, v73
	v_lshrrev_b32_e32 v28, 16, v73
	v_lshrrev_b32_e32 v29, 16, v20
	;; [unrolled: 1-line block ×3, first 2 shown]
	v_min_f16_e32 v20, v27, v20
	v_min3_f16 v27, v28, v29, v30
	v_min3_f16 v20, v20, v21, v27
	v_max_f32_e32 v21, v26, v26
	v_cvt_f32_f16_e32 v20, v20
	v_min_f32_e32 v26, v21, v20
	v_lshlrev_b64 v[20:21], 1, v[46:47]
	v_cvt_f16_f32_e32 v26, v26
	v_add_co_u32 v20, vcc_lo, v24, v20
	v_add_co_ci_u32_e64 v21, null, v25, v21, vcc_lo
	global_store_short v[20:21], v26, off
.LBB263_251:
	s_or_b32 exec_lo, exec_lo, s8
	v_add_nc_u32_e32 v26, 40, v76
	v_mad_i64_i32 v[20:21], null, v26, s15, 0
	v_mad_i64_i32 v[24:25], null, v26, s14, 0
	v_cmp_gt_i32_e64 s8, s13, v26
	v_lshlrev_b64 v[20:21], 1, v[20:21]
	s_and_b32 s12, s0, s8
	v_lshlrev_b64 v[26:27], 1, v[24:25]
	v_add_co_u32 v24, vcc_lo, s16, v20
	v_add_co_ci_u32_e64 v25, null, s17, v21, vcc_lo
	v_add_co_u32 v20, vcc_lo, s9, v26
	v_add_co_ci_u32_e64 v21, null, s10, v27, vcc_lo
	s_and_saveexec_b32 s11, s12
	s_cbranch_execnz .LBB263_259
; %bb.252:
	s_or_b32 exec_lo, exec_lo, s11
	s_and_b32 s12, s1, s8
	s_and_saveexec_b32 s11, s12
	s_cbranch_execnz .LBB263_263
.LBB263_253:
	s_or_b32 exec_lo, exec_lo, s11
	s_and_b32 s12, s2, s8
	s_and_saveexec_b32 s11, s12
	s_cbranch_execnz .LBB263_267
.LBB263_254:
	s_or_b32 exec_lo, exec_lo, s11
	s_and_b32 s12, s3, s8
	s_and_saveexec_b32 s11, s12
	s_cbranch_execnz .LBB263_271
.LBB263_255:
	s_or_b32 exec_lo, exec_lo, s11
	s_and_b32 s12, s4, s8
	s_and_saveexec_b32 s11, s12
	s_cbranch_execnz .LBB263_275
.LBB263_256:
	s_or_b32 exec_lo, exec_lo, s11
	s_and_b32 s12, s5, s8
	s_and_saveexec_b32 s11, s12
	s_cbranch_execnz .LBB263_279
.LBB263_257:
	s_or_b32 exec_lo, exec_lo, s11
	s_and_b32 s12, s6, s8
	s_and_saveexec_b32 s11, s12
	s_cbranch_execnz .LBB263_283
.LBB263_258:
	s_or_b32 exec_lo, exec_lo, s11
	s_and_b32 s11, s7, s8
	s_and_saveexec_b32 s8, s11
	s_cbranch_execnz .LBB263_287
	s_branch .LBB263_291
.LBB263_259:
	v_cmp_ne_u32_e32 vcc_lo, 1, v75
	s_cbranch_vccnz .LBB263_261
; %bb.260:
	v_lshlrev_b64 v[26:27], 1, v[32:33]
	v_add_co_u32 v26, vcc_lo, v24, v26
	v_add_co_ci_u32_e64 v27, null, v25, v27, vcc_lo
	global_load_ushort v26, v[26:27], off
	s_waitcnt vmcnt(0)
	v_mul_f16_e32 v26, s22, v26
	v_cvt_f32_f16_e32 v26, v26
	s_branch .LBB263_262
.LBB263_261:
	v_mov_b32_e32 v26, 0
.LBB263_262:
	v_pk_add_f16 v27, v16, v22
	v_pk_add_f16 v28, v17, v23
	v_max_f16_e32 v29, v71, v71
	v_lshrrev_b32_e32 v30, 16, v71
	v_max_f32_e32 v26, v26, v26
	v_lshrrev_b32_e32 v31, 16, v27
	v_lshrrev_b32_e32 v71, 16, v28
	v_min_f16_e32 v27, v29, v27
	v_min3_f16 v29, v30, v31, v71
	v_min3_f16 v27, v27, v28, v29
	v_cvt_f32_f16_e32 v27, v27
	v_min_f32_e32 v28, v26, v27
	v_lshlrev_b64 v[26:27], 1, v[32:33]
	v_cvt_f16_f32_e32 v28, v28
	v_add_co_u32 v26, vcc_lo, v20, v26
	v_add_co_ci_u32_e64 v27, null, v21, v27, vcc_lo
	global_store_short v[26:27], v28, off
	s_or_b32 exec_lo, exec_lo, s11
	s_and_b32 s12, s1, s8
	s_and_saveexec_b32 s11, s12
	s_cbranch_execz .LBB263_253
.LBB263_263:
	v_cmp_ne_u32_e32 vcc_lo, 1, v75
	s_cbranch_vccnz .LBB263_265
; %bb.264:
	v_lshlrev_b64 v[26:27], 1, v[34:35]
	v_add_co_u32 v26, vcc_lo, v24, v26
	v_add_co_ci_u32_e64 v27, null, v25, v27, vcc_lo
	global_load_ushort v26, v[26:27], off
	s_waitcnt vmcnt(0)
	v_mul_f16_e32 v26, s22, v26
	v_cvt_f32_f16_e32 v26, v26
	s_branch .LBB263_266
.LBB263_265:
	v_mov_b32_e32 v26, 0
.LBB263_266:
	v_pk_add_f16 v27, v18, v22
	v_pk_add_f16 v28, v19, v23
	v_max_f16_e32 v29, v70, v70
	v_lshrrev_b32_e32 v30, 16, v70
	v_max_f32_e32 v26, v26, v26
	v_lshrrev_b32_e32 v31, 16, v27
	v_lshrrev_b32_e32 v70, 16, v28
	v_min_f16_e32 v27, v29, v27
	v_min3_f16 v29, v30, v31, v70
	v_min3_f16 v27, v27, v28, v29
	v_cvt_f32_f16_e32 v27, v27
	v_min_f32_e32 v28, v26, v27
	v_lshlrev_b64 v[26:27], 1, v[34:35]
	v_cvt_f16_f32_e32 v28, v28
	v_add_co_u32 v26, vcc_lo, v20, v26
	v_add_co_ci_u32_e64 v27, null, v21, v27, vcc_lo
	global_store_short v[26:27], v28, off
	s_or_b32 exec_lo, exec_lo, s11
	s_and_b32 s12, s2, s8
	s_and_saveexec_b32 s11, s12
	s_cbranch_execz .LBB263_254
.LBB263_267:
	v_cmp_ne_u32_e32 vcc_lo, 1, v75
	s_cbranch_vccnz .LBB263_269
; %bb.268:
	v_lshlrev_b64 v[26:27], 1, v[36:37]
	v_add_co_u32 v26, vcc_lo, v24, v26
	v_add_co_ci_u32_e64 v27, null, v25, v27, vcc_lo
	global_load_ushort v26, v[26:27], off
	s_waitcnt vmcnt(0)
	v_mul_f16_e32 v26, s22, v26
	v_cvt_f32_f16_e32 v26, v26
	s_branch .LBB263_270
.LBB263_269:
	v_mov_b32_e32 v26, 0
.LBB263_270:
	v_pk_add_f16 v27, v12, v22
	v_pk_add_f16 v28, v13, v23
	v_max_f16_e32 v29, v69, v69
	v_lshrrev_b32_e32 v30, 16, v69
	v_max_f32_e32 v26, v26, v26
	v_lshrrev_b32_e32 v31, 16, v27
	v_lshrrev_b32_e32 v69, 16, v28
	v_min_f16_e32 v27, v29, v27
	v_min3_f16 v29, v30, v31, v69
	v_min3_f16 v27, v27, v28, v29
	v_cvt_f32_f16_e32 v27, v27
	v_min_f32_e32 v28, v26, v27
	v_lshlrev_b64 v[26:27], 1, v[36:37]
	v_cvt_f16_f32_e32 v28, v28
	v_add_co_u32 v26, vcc_lo, v20, v26
	v_add_co_ci_u32_e64 v27, null, v21, v27, vcc_lo
	global_store_short v[26:27], v28, off
	s_or_b32 exec_lo, exec_lo, s11
	s_and_b32 s12, s3, s8
	s_and_saveexec_b32 s11, s12
	s_cbranch_execz .LBB263_255
.LBB263_271:
	v_cmp_ne_u32_e32 vcc_lo, 1, v75
	s_cbranch_vccnz .LBB263_273
; %bb.272:
	v_lshlrev_b64 v[26:27], 1, v[38:39]
	v_add_co_u32 v26, vcc_lo, v24, v26
	v_add_co_ci_u32_e64 v27, null, v25, v27, vcc_lo
	global_load_ushort v26, v[26:27], off
	s_waitcnt vmcnt(0)
	v_mul_f16_e32 v26, s22, v26
	v_cvt_f32_f16_e32 v26, v26
	s_branch .LBB263_274
.LBB263_273:
	v_mov_b32_e32 v26, 0
.LBB263_274:
	v_pk_add_f16 v27, v14, v22
	v_pk_add_f16 v28, v15, v23
	v_max_f16_e32 v29, v68, v68
	v_lshrrev_b32_e32 v30, 16, v68
	v_max_f32_e32 v26, v26, v26
	v_lshrrev_b32_e32 v31, 16, v27
	v_lshrrev_b32_e32 v68, 16, v28
	v_min_f16_e32 v27, v29, v27
	v_min3_f16 v29, v30, v31, v68
	v_min3_f16 v27, v27, v28, v29
	v_cvt_f32_f16_e32 v27, v27
	v_min_f32_e32 v28, v26, v27
	v_lshlrev_b64 v[26:27], 1, v[38:39]
	v_cvt_f16_f32_e32 v28, v28
	v_add_co_u32 v26, vcc_lo, v20, v26
	v_add_co_ci_u32_e64 v27, null, v21, v27, vcc_lo
	global_store_short v[26:27], v28, off
	s_or_b32 exec_lo, exec_lo, s11
	s_and_b32 s12, s4, s8
	s_and_saveexec_b32 s11, s12
	s_cbranch_execz .LBB263_256
.LBB263_275:
	v_cmp_ne_u32_e32 vcc_lo, 1, v75
	s_cbranch_vccnz .LBB263_277
; %bb.276:
	v_lshlrev_b64 v[26:27], 1, v[40:41]
	v_add_co_u32 v26, vcc_lo, v24, v26
	v_add_co_ci_u32_e64 v27, null, v25, v27, vcc_lo
	global_load_ushort v26, v[26:27], off
	s_waitcnt vmcnt(0)
	v_mul_f16_e32 v26, s22, v26
	v_cvt_f32_f16_e32 v26, v26
	s_branch .LBB263_278
.LBB263_277:
	v_mov_b32_e32 v26, 0
.LBB263_278:
	v_pk_add_f16 v27, v8, v22
	v_pk_add_f16 v28, v9, v23
	v_max_f16_e32 v29, v67, v67
	v_lshrrev_b32_e32 v30, 16, v67
	v_max_f32_e32 v26, v26, v26
	v_lshrrev_b32_e32 v31, 16, v27
	v_lshrrev_b32_e32 v67, 16, v28
	v_min_f16_e32 v27, v29, v27
	v_min3_f16 v29, v30, v31, v67
	v_min3_f16 v27, v27, v28, v29
	v_cvt_f32_f16_e32 v27, v27
	v_min_f32_e32 v28, v26, v27
	v_lshlrev_b64 v[26:27], 1, v[40:41]
	v_cvt_f16_f32_e32 v28, v28
	v_add_co_u32 v26, vcc_lo, v20, v26
	v_add_co_ci_u32_e64 v27, null, v21, v27, vcc_lo
	global_store_short v[26:27], v28, off
	s_or_b32 exec_lo, exec_lo, s11
	s_and_b32 s12, s5, s8
	s_and_saveexec_b32 s11, s12
	s_cbranch_execz .LBB263_257
.LBB263_279:
	v_cmp_ne_u32_e32 vcc_lo, 1, v75
	s_cbranch_vccnz .LBB263_281
; %bb.280:
	v_lshlrev_b64 v[26:27], 1, v[42:43]
	v_add_co_u32 v26, vcc_lo, v24, v26
	v_add_co_ci_u32_e64 v27, null, v25, v27, vcc_lo
	global_load_ushort v26, v[26:27], off
	s_waitcnt vmcnt(0)
	v_mul_f16_e32 v26, s22, v26
	v_cvt_f32_f16_e32 v26, v26
	s_branch .LBB263_282
.LBB263_281:
	v_mov_b32_e32 v26, 0
.LBB263_282:
	v_pk_add_f16 v27, v10, v22
	v_pk_add_f16 v28, v11, v23
	v_max_f16_e32 v29, v66, v66
	v_lshrrev_b32_e32 v30, 16, v66
	v_max_f32_e32 v26, v26, v26
	v_lshrrev_b32_e32 v31, 16, v27
	v_lshrrev_b32_e32 v66, 16, v28
	v_min_f16_e32 v27, v29, v27
	v_min3_f16 v29, v30, v31, v66
	v_min3_f16 v27, v27, v28, v29
	v_cvt_f32_f16_e32 v27, v27
	v_min_f32_e32 v28, v26, v27
	v_lshlrev_b64 v[26:27], 1, v[42:43]
	v_cvt_f16_f32_e32 v28, v28
	v_add_co_u32 v26, vcc_lo, v20, v26
	v_add_co_ci_u32_e64 v27, null, v21, v27, vcc_lo
	global_store_short v[26:27], v28, off
	s_or_b32 exec_lo, exec_lo, s11
	s_and_b32 s12, s6, s8
	s_and_saveexec_b32 s11, s12
	s_cbranch_execz .LBB263_258
.LBB263_283:
	v_cmp_ne_u32_e32 vcc_lo, 1, v75
	s_cbranch_vccnz .LBB263_285
; %bb.284:
	v_lshlrev_b64 v[26:27], 1, v[44:45]
	v_add_co_u32 v26, vcc_lo, v24, v26
	v_add_co_ci_u32_e64 v27, null, v25, v27, vcc_lo
	global_load_ushort v26, v[26:27], off
	s_waitcnt vmcnt(0)
	v_mul_f16_e32 v26, s22, v26
	v_cvt_f32_f16_e32 v26, v26
	s_branch .LBB263_286
.LBB263_285:
	v_mov_b32_e32 v26, 0
.LBB263_286:
	v_pk_add_f16 v27, v0, v22
	v_pk_add_f16 v28, v1, v23
	v_max_f16_e32 v29, v65, v65
	v_lshrrev_b32_e32 v30, 16, v65
	v_max_f32_e32 v26, v26, v26
	v_lshrrev_b32_e32 v31, 16, v27
	v_lshrrev_b32_e32 v65, 16, v28
	v_min_f16_e32 v27, v29, v27
	v_min3_f16 v29, v30, v31, v65
	v_min3_f16 v27, v27, v28, v29
	v_cvt_f32_f16_e32 v27, v27
	v_min_f32_e32 v28, v26, v27
	v_lshlrev_b64 v[26:27], 1, v[44:45]
	v_cvt_f16_f32_e32 v28, v28
	v_add_co_u32 v26, vcc_lo, v20, v26
	v_add_co_ci_u32_e64 v27, null, v21, v27, vcc_lo
	global_store_short v[26:27], v28, off
	s_or_b32 exec_lo, exec_lo, s11
	s_and_b32 s11, s7, s8
	s_and_saveexec_b32 s8, s11
	s_cbranch_execz .LBB263_291
.LBB263_287:
	v_cmp_ne_u32_e32 vcc_lo, 1, v75
	s_cbranch_vccnz .LBB263_289
; %bb.288:
	v_lshlrev_b64 v[26:27], 1, v[46:47]
	v_add_co_u32 v24, vcc_lo, v24, v26
	v_add_co_ci_u32_e64 v25, null, v25, v27, vcc_lo
	global_load_ushort v24, v[24:25], off
	s_waitcnt vmcnt(0)
	v_mul_f16_e32 v24, s22, v24
	v_cvt_f32_f16_e32 v24, v24
	s_branch .LBB263_290
.LBB263_289:
	v_mov_b32_e32 v24, 0
.LBB263_290:
	v_pk_add_f16 v22, v2, v22
	v_pk_add_f16 v23, v3, v23
	v_max_f16_e32 v25, v63, v63
	v_lshrrev_b32_e32 v26, 16, v63
	v_lshrrev_b32_e32 v27, 16, v22
	;; [unrolled: 1-line block ×3, first 2 shown]
	v_min_f16_e32 v22, v25, v22
	v_min3_f16 v25, v26, v27, v28
	v_min3_f16 v22, v22, v23, v25
	v_max_f32_e32 v23, v24, v24
	v_cvt_f32_f16_e32 v22, v22
	v_min_f32_e32 v24, v23, v22
	v_lshlrev_b64 v[22:23], 1, v[46:47]
	v_cvt_f16_f32_e32 v24, v24
	v_add_co_u32 v20, vcc_lo, v20, v22
	v_add_co_ci_u32_e64 v21, null, v21, v23, vcc_lo
	global_store_short v[20:21], v24, off
.LBB263_291:
	s_or_b32 exec_lo, exec_lo, s8
	v_add_nc_u32_e32 v24, 48, v76
	v_mad_i64_i32 v[20:21], null, v24, s15, 0
	v_mad_i64_i32 v[22:23], null, v24, s14, 0
	v_cmp_gt_i32_e64 s8, s13, v24
	v_lshlrev_b64 v[20:21], 1, v[20:21]
	s_and_b32 s12, s0, s8
	v_lshlrev_b64 v[24:25], 1, v[22:23]
	v_add_co_u32 v22, vcc_lo, s16, v20
	v_add_co_ci_u32_e64 v23, null, s17, v21, vcc_lo
	v_add_co_u32 v20, vcc_lo, s9, v24
	v_add_co_ci_u32_e64 v21, null, s10, v25, vcc_lo
	s_and_saveexec_b32 s11, s12
	s_cbranch_execnz .LBB263_299
; %bb.292:
	s_or_b32 exec_lo, exec_lo, s11
	s_and_b32 s12, s1, s8
	s_and_saveexec_b32 s11, s12
	s_cbranch_execnz .LBB263_303
.LBB263_293:
	s_or_b32 exec_lo, exec_lo, s11
	s_and_b32 s12, s2, s8
	s_and_saveexec_b32 s11, s12
	s_cbranch_execnz .LBB263_307
.LBB263_294:
	s_or_b32 exec_lo, exec_lo, s11
	s_and_b32 s12, s3, s8
	s_and_saveexec_b32 s11, s12
	s_cbranch_execnz .LBB263_311
.LBB263_295:
	s_or_b32 exec_lo, exec_lo, s11
	s_and_b32 s12, s4, s8
	s_and_saveexec_b32 s11, s12
	s_cbranch_execnz .LBB263_315
.LBB263_296:
	s_or_b32 exec_lo, exec_lo, s11
	s_and_b32 s12, s5, s8
	s_and_saveexec_b32 s11, s12
	s_cbranch_execnz .LBB263_319
.LBB263_297:
	s_or_b32 exec_lo, exec_lo, s11
	s_and_b32 s12, s6, s8
	s_and_saveexec_b32 s11, s12
	s_cbranch_execnz .LBB263_323
.LBB263_298:
	s_or_b32 exec_lo, exec_lo, s11
	s_and_b32 s11, s7, s8
	s_and_saveexec_b32 s8, s11
	s_cbranch_execnz .LBB263_327
	s_branch .LBB263_331
.LBB263_299:
	v_cmp_ne_u32_e32 vcc_lo, 1, v75
	s_cbranch_vccnz .LBB263_301
; %bb.300:
	v_lshlrev_b64 v[24:25], 1, v[32:33]
	v_add_co_u32 v24, vcc_lo, v22, v24
	v_add_co_ci_u32_e64 v25, null, v23, v25, vcc_lo
	global_load_ushort v24, v[24:25], off
	s_waitcnt vmcnt(0)
	v_mul_f16_e32 v24, s22, v24
	v_cvt_f32_f16_e32 v24, v24
	s_branch .LBB263_302
.LBB263_301:
	v_mov_b32_e32 v24, 0
.LBB263_302:
	v_pk_add_f16 v25, v16, v4
	v_pk_add_f16 v26, v17, v5
	v_max_f16_e32 v27, v61, v61
	v_lshrrev_b32_e32 v28, 16, v61
	v_max_f32_e32 v24, v24, v24
	v_lshrrev_b32_e32 v29, 16, v25
	v_lshrrev_b32_e32 v30, 16, v26
	v_min_f16_e32 v25, v27, v25
	v_min3_f16 v27, v28, v29, v30
	v_min3_f16 v25, v25, v26, v27
	v_cvt_f32_f16_e32 v25, v25
	v_min_f32_e32 v26, v24, v25
	v_lshlrev_b64 v[24:25], 1, v[32:33]
	v_cvt_f16_f32_e32 v26, v26
	v_add_co_u32 v24, vcc_lo, v20, v24
	v_add_co_ci_u32_e64 v25, null, v21, v25, vcc_lo
	global_store_short v[24:25], v26, off
	s_or_b32 exec_lo, exec_lo, s11
	s_and_b32 s12, s1, s8
	s_and_saveexec_b32 s11, s12
	s_cbranch_execz .LBB263_293
.LBB263_303:
	v_cmp_ne_u32_e32 vcc_lo, 1, v75
	s_cbranch_vccnz .LBB263_305
; %bb.304:
	v_lshlrev_b64 v[24:25], 1, v[34:35]
	v_add_co_u32 v24, vcc_lo, v22, v24
	v_add_co_ci_u32_e64 v25, null, v23, v25, vcc_lo
	global_load_ushort v24, v[24:25], off
	s_waitcnt vmcnt(0)
	v_mul_f16_e32 v24, s22, v24
	v_cvt_f32_f16_e32 v24, v24
	s_branch .LBB263_306
.LBB263_305:
	v_mov_b32_e32 v24, 0
.LBB263_306:
	v_pk_add_f16 v25, v18, v4
	v_pk_add_f16 v26, v19, v5
	v_max_f16_e32 v27, v59, v59
	v_lshrrev_b32_e32 v28, 16, v59
	v_max_f32_e32 v24, v24, v24
	v_lshrrev_b32_e32 v29, 16, v25
	v_lshrrev_b32_e32 v30, 16, v26
	v_min_f16_e32 v25, v27, v25
	v_min3_f16 v27, v28, v29, v30
	v_min3_f16 v25, v25, v26, v27
	v_cvt_f32_f16_e32 v25, v25
	v_min_f32_e32 v26, v24, v25
	v_lshlrev_b64 v[24:25], 1, v[34:35]
	v_cvt_f16_f32_e32 v26, v26
	v_add_co_u32 v24, vcc_lo, v20, v24
	v_add_co_ci_u32_e64 v25, null, v21, v25, vcc_lo
	global_store_short v[24:25], v26, off
	s_or_b32 exec_lo, exec_lo, s11
	s_and_b32 s12, s2, s8
	s_and_saveexec_b32 s11, s12
	s_cbranch_execz .LBB263_294
.LBB263_307:
	v_cmp_ne_u32_e32 vcc_lo, 1, v75
	s_cbranch_vccnz .LBB263_309
; %bb.308:
	v_lshlrev_b64 v[24:25], 1, v[36:37]
	v_add_co_u32 v24, vcc_lo, v22, v24
	v_add_co_ci_u32_e64 v25, null, v23, v25, vcc_lo
	global_load_ushort v24, v[24:25], off
	s_waitcnt vmcnt(0)
	v_mul_f16_e32 v24, s22, v24
	v_cvt_f32_f16_e32 v24, v24
	s_branch .LBB263_310
.LBB263_309:
	v_mov_b32_e32 v24, 0
.LBB263_310:
	v_pk_add_f16 v25, v12, v4
	v_pk_add_f16 v26, v13, v5
	v_max_f16_e32 v27, v57, v57
	v_lshrrev_b32_e32 v28, 16, v57
	v_max_f32_e32 v24, v24, v24
	v_lshrrev_b32_e32 v29, 16, v25
	v_lshrrev_b32_e32 v30, 16, v26
	v_min_f16_e32 v25, v27, v25
	v_min3_f16 v27, v28, v29, v30
	v_min3_f16 v25, v25, v26, v27
	v_cvt_f32_f16_e32 v25, v25
	v_min_f32_e32 v26, v24, v25
	v_lshlrev_b64 v[24:25], 1, v[36:37]
	v_cvt_f16_f32_e32 v26, v26
	v_add_co_u32 v24, vcc_lo, v20, v24
	v_add_co_ci_u32_e64 v25, null, v21, v25, vcc_lo
	global_store_short v[24:25], v26, off
	s_or_b32 exec_lo, exec_lo, s11
	s_and_b32 s12, s3, s8
	s_and_saveexec_b32 s11, s12
	s_cbranch_execz .LBB263_295
.LBB263_311:
	v_cmp_ne_u32_e32 vcc_lo, 1, v75
	s_cbranch_vccnz .LBB263_313
; %bb.312:
	v_lshlrev_b64 v[24:25], 1, v[38:39]
	v_add_co_u32 v24, vcc_lo, v22, v24
	v_add_co_ci_u32_e64 v25, null, v23, v25, vcc_lo
	global_load_ushort v24, v[24:25], off
	s_waitcnt vmcnt(0)
	v_mul_f16_e32 v24, s22, v24
	v_cvt_f32_f16_e32 v24, v24
	s_branch .LBB263_314
.LBB263_313:
	v_mov_b32_e32 v24, 0
.LBB263_314:
	v_pk_add_f16 v25, v14, v4
	v_pk_add_f16 v26, v15, v5
	v_max_f16_e32 v27, v55, v55
	v_lshrrev_b32_e32 v28, 16, v55
	v_max_f32_e32 v24, v24, v24
	v_lshrrev_b32_e32 v29, 16, v25
	v_lshrrev_b32_e32 v30, 16, v26
	v_min_f16_e32 v25, v27, v25
	v_min3_f16 v27, v28, v29, v30
	v_min3_f16 v25, v25, v26, v27
	v_cvt_f32_f16_e32 v25, v25
	v_min_f32_e32 v26, v24, v25
	v_lshlrev_b64 v[24:25], 1, v[38:39]
	v_cvt_f16_f32_e32 v26, v26
	v_add_co_u32 v24, vcc_lo, v20, v24
	v_add_co_ci_u32_e64 v25, null, v21, v25, vcc_lo
	global_store_short v[24:25], v26, off
	s_or_b32 exec_lo, exec_lo, s11
	s_and_b32 s12, s4, s8
	s_and_saveexec_b32 s11, s12
	s_cbranch_execz .LBB263_296
.LBB263_315:
	v_cmp_ne_u32_e32 vcc_lo, 1, v75
	s_cbranch_vccnz .LBB263_317
; %bb.316:
	v_lshlrev_b64 v[24:25], 1, v[40:41]
	v_add_co_u32 v24, vcc_lo, v22, v24
	v_add_co_ci_u32_e64 v25, null, v23, v25, vcc_lo
	global_load_ushort v24, v[24:25], off
	s_waitcnt vmcnt(0)
	v_mul_f16_e32 v24, s22, v24
	v_cvt_f32_f16_e32 v24, v24
	s_branch .LBB263_318
.LBB263_317:
	v_mov_b32_e32 v24, 0
.LBB263_318:
	v_pk_add_f16 v25, v8, v4
	v_pk_add_f16 v26, v9, v5
	v_max_f16_e32 v27, v54, v54
	v_lshrrev_b32_e32 v28, 16, v54
	v_max_f32_e32 v24, v24, v24
	v_lshrrev_b32_e32 v29, 16, v25
	v_lshrrev_b32_e32 v30, 16, v26
	v_min_f16_e32 v25, v27, v25
	v_min3_f16 v27, v28, v29, v30
	v_min3_f16 v25, v25, v26, v27
	v_cvt_f32_f16_e32 v25, v25
	v_min_f32_e32 v26, v24, v25
	v_lshlrev_b64 v[24:25], 1, v[40:41]
	v_cvt_f16_f32_e32 v26, v26
	v_add_co_u32 v24, vcc_lo, v20, v24
	v_add_co_ci_u32_e64 v25, null, v21, v25, vcc_lo
	global_store_short v[24:25], v26, off
	s_or_b32 exec_lo, exec_lo, s11
	s_and_b32 s12, s5, s8
	s_and_saveexec_b32 s11, s12
	s_cbranch_execz .LBB263_297
.LBB263_319:
	v_cmp_ne_u32_e32 vcc_lo, 1, v75
	s_cbranch_vccnz .LBB263_321
; %bb.320:
	v_lshlrev_b64 v[24:25], 1, v[42:43]
	v_add_co_u32 v24, vcc_lo, v22, v24
	v_add_co_ci_u32_e64 v25, null, v23, v25, vcc_lo
	global_load_ushort v24, v[24:25], off
	s_waitcnt vmcnt(0)
	v_mul_f16_e32 v24, s22, v24
	v_cvt_f32_f16_e32 v24, v24
	s_branch .LBB263_322
.LBB263_321:
	v_mov_b32_e32 v24, 0
.LBB263_322:
	v_pk_add_f16 v25, v10, v4
	v_pk_add_f16 v26, v11, v5
	v_max_f16_e32 v27, v52, v52
	v_lshrrev_b32_e32 v28, 16, v52
	v_max_f32_e32 v24, v24, v24
	v_lshrrev_b32_e32 v29, 16, v25
	v_lshrrev_b32_e32 v30, 16, v26
	v_min_f16_e32 v25, v27, v25
	v_min3_f16 v27, v28, v29, v30
	v_min3_f16 v25, v25, v26, v27
	v_cvt_f32_f16_e32 v25, v25
	v_min_f32_e32 v26, v24, v25
	v_lshlrev_b64 v[24:25], 1, v[42:43]
	v_cvt_f16_f32_e32 v26, v26
	v_add_co_u32 v24, vcc_lo, v20, v24
	v_add_co_ci_u32_e64 v25, null, v21, v25, vcc_lo
	global_store_short v[24:25], v26, off
	s_or_b32 exec_lo, exec_lo, s11
	s_and_b32 s12, s6, s8
	s_and_saveexec_b32 s11, s12
	s_cbranch_execz .LBB263_298
.LBB263_323:
	v_cmp_ne_u32_e32 vcc_lo, 1, v75
	s_cbranch_vccnz .LBB263_325
; %bb.324:
	v_lshlrev_b64 v[24:25], 1, v[44:45]
	v_add_co_u32 v24, vcc_lo, v22, v24
	v_add_co_ci_u32_e64 v25, null, v23, v25, vcc_lo
	global_load_ushort v24, v[24:25], off
	s_waitcnt vmcnt(0)
	v_mul_f16_e32 v24, s22, v24
	v_cvt_f32_f16_e32 v24, v24
	s_branch .LBB263_326
.LBB263_325:
	v_mov_b32_e32 v24, 0
.LBB263_326:
	v_pk_add_f16 v25, v0, v4
	v_pk_add_f16 v26, v1, v5
	v_max_f16_e32 v27, v51, v51
	v_lshrrev_b32_e32 v28, 16, v51
	v_max_f32_e32 v24, v24, v24
	v_lshrrev_b32_e32 v29, 16, v25
	v_lshrrev_b32_e32 v30, 16, v26
	v_min_f16_e32 v25, v27, v25
	v_min3_f16 v27, v28, v29, v30
	v_min3_f16 v25, v25, v26, v27
	v_cvt_f32_f16_e32 v25, v25
	v_min_f32_e32 v26, v24, v25
	v_lshlrev_b64 v[24:25], 1, v[44:45]
	v_cvt_f16_f32_e32 v26, v26
	v_add_co_u32 v24, vcc_lo, v20, v24
	v_add_co_ci_u32_e64 v25, null, v21, v25, vcc_lo
	global_store_short v[24:25], v26, off
	s_or_b32 exec_lo, exec_lo, s11
	s_and_b32 s11, s7, s8
	s_and_saveexec_b32 s8, s11
	s_cbranch_execz .LBB263_331
.LBB263_327:
	v_cmp_ne_u32_e32 vcc_lo, 1, v75
	s_cbranch_vccnz .LBB263_329
; %bb.328:
	v_lshlrev_b64 v[24:25], 1, v[46:47]
	v_add_co_u32 v22, vcc_lo, v22, v24
	v_add_co_ci_u32_e64 v23, null, v23, v25, vcc_lo
	global_load_ushort v22, v[22:23], off
	s_waitcnt vmcnt(0)
	v_mul_f16_e32 v22, s22, v22
	v_cvt_f32_f16_e32 v22, v22
	s_branch .LBB263_330
.LBB263_329:
	v_mov_b32_e32 v22, 0
.LBB263_330:
	v_pk_add_f16 v4, v2, v4
	v_pk_add_f16 v5, v3, v5
	v_max_f16_e32 v23, v53, v53
	v_lshrrev_b32_e32 v24, 16, v53
	v_lshrrev_b32_e32 v25, 16, v4
	;; [unrolled: 1-line block ×3, first 2 shown]
	v_min_f16_e32 v4, v23, v4
	v_min3_f16 v23, v24, v25, v26
	v_min3_f16 v4, v4, v5, v23
	v_max_f32_e32 v5, v22, v22
	v_cvt_f32_f16_e32 v4, v4
	v_min_f32_e32 v22, v5, v4
	v_lshlrev_b64 v[4:5], 1, v[46:47]
	v_cvt_f16_f32_e32 v22, v22
	v_add_co_u32 v4, vcc_lo, v20, v4
	v_add_co_ci_u32_e64 v5, null, v21, v5, vcc_lo
	global_store_short v[4:5], v22, off
.LBB263_331:
	s_or_b32 exec_lo, exec_lo, s8
	v_add_nc_u32_e32 v22, 56, v76
	v_mad_i64_i32 v[4:5], null, v22, s15, 0
	v_mad_i64_i32 v[20:21], null, v22, s14, 0
	v_cmp_gt_i32_e64 s8, s13, v22
	v_lshlrev_b64 v[4:5], 1, v[4:5]
	v_lshlrev_b64 v[20:21], 1, v[20:21]
	v_add_co_u32 v22, vcc_lo, s16, v4
	v_add_co_ci_u32_e64 v23, null, s17, v5, vcc_lo
	v_add_co_u32 v20, vcc_lo, s9, v20
	v_add_co_ci_u32_e64 v21, null, s10, v21, vcc_lo
	s_and_b32 s9, s0, s8
	s_and_saveexec_b32 s0, s9
	s_cbranch_execnz .LBB263_340
; %bb.332:
	s_or_b32 exec_lo, exec_lo, s0
	s_and_b32 s1, s1, s8
	s_and_saveexec_b32 s0, s1
	s_cbranch_execnz .LBB263_344
.LBB263_333:
	s_or_b32 exec_lo, exec_lo, s0
	s_and_b32 s1, s2, s8
	s_and_saveexec_b32 s0, s1
	s_cbranch_execnz .LBB263_348
.LBB263_334:
	s_or_b32 exec_lo, exec_lo, s0
	s_and_b32 s1, s3, s8
	s_and_saveexec_b32 s0, s1
	s_cbranch_execnz .LBB263_352
.LBB263_335:
	s_or_b32 exec_lo, exec_lo, s0
	s_and_b32 s1, s4, s8
	s_and_saveexec_b32 s0, s1
	s_cbranch_execnz .LBB263_356
.LBB263_336:
	s_or_b32 exec_lo, exec_lo, s0
	s_and_b32 s1, s5, s8
	s_and_saveexec_b32 s0, s1
	s_cbranch_execnz .LBB263_360
.LBB263_337:
	s_or_b32 exec_lo, exec_lo, s0
	s_and_b32 s1, s6, s8
	s_and_saveexec_b32 s0, s1
	s_cbranch_execnz .LBB263_364
.LBB263_338:
	s_or_b32 exec_lo, exec_lo, s0
	s_and_b32 s0, s7, s8
	s_and_saveexec_b32 s1, s0
	s_cbranch_execnz .LBB263_368
.LBB263_339:
	s_endpgm
.LBB263_340:
	v_cmp_ne_u32_e32 vcc_lo, 1, v75
	v_lshlrev_b64 v[4:5], 1, v[32:33]
	s_cbranch_vccnz .LBB263_342
; %bb.341:
	v_add_co_u32 v24, vcc_lo, v22, v4
	v_add_co_ci_u32_e64 v25, null, v23, v5, vcc_lo
	global_load_ushort v24, v[24:25], off
	s_waitcnt vmcnt(0)
	v_mul_f16_e32 v24, s22, v24
	v_cvt_f32_f16_e32 v24, v24
	s_branch .LBB263_343
.LBB263_342:
	v_mov_b32_e32 v24, 0
.LBB263_343:
	v_pk_add_f16 v16, v16, v6
	v_pk_add_f16 v17, v17, v7
	v_max_f16_e32 v25, v50, v50
	v_lshrrev_b32_e32 v26, 16, v50
	v_add_co_u32 v4, vcc_lo, v20, v4
	v_lshrrev_b32_e32 v27, 16, v16
	v_lshrrev_b32_e32 v28, 16, v17
	v_min_f16_e32 v16, v25, v16
	v_add_co_ci_u32_e64 v5, null, v21, v5, vcc_lo
	v_min3_f16 v25, v26, v27, v28
	v_min3_f16 v16, v16, v17, v25
	v_max_f32_e32 v17, v24, v24
	v_cvt_f32_f16_e32 v16, v16
	v_min_f32_e32 v16, v17, v16
	v_cvt_f16_f32_e32 v16, v16
	global_store_short v[4:5], v16, off
	s_or_b32 exec_lo, exec_lo, s0
	s_and_b32 s1, s1, s8
	s_and_saveexec_b32 s0, s1
	s_cbranch_execz .LBB263_333
.LBB263_344:
	v_cmp_ne_u32_e32 vcc_lo, 1, v75
	v_lshlrev_b64 v[4:5], 1, v[34:35]
	s_cbranch_vccnz .LBB263_346
; %bb.345:
	v_add_co_u32 v16, vcc_lo, v22, v4
	v_add_co_ci_u32_e64 v17, null, v23, v5, vcc_lo
	global_load_ushort v16, v[16:17], off
	s_waitcnt vmcnt(0)
	v_mul_f16_e32 v16, s22, v16
	v_cvt_f32_f16_e32 v16, v16
	s_branch .LBB263_347
.LBB263_346:
	v_mov_b32_e32 v16, 0
.LBB263_347:
	v_pk_add_f16 v17, v18, v6
	v_pk_add_f16 v18, v19, v7
	v_max_f16_e32 v19, v49, v49
	v_lshrrev_b32_e32 v24, 16, v49
	v_max_f32_e32 v16, v16, v16
	v_lshrrev_b32_e32 v25, 16, v17
	v_lshrrev_b32_e32 v26, 16, v18
	v_min_f16_e32 v17, v19, v17
	v_add_co_u32 v4, vcc_lo, v20, v4
	v_add_co_ci_u32_e64 v5, null, v21, v5, vcc_lo
	v_min3_f16 v19, v24, v25, v26
	v_min3_f16 v17, v17, v18, v19
	v_cvt_f32_f16_e32 v17, v17
	v_min_f32_e32 v16, v16, v17
	v_cvt_f16_f32_e32 v16, v16
	global_store_short v[4:5], v16, off
	s_or_b32 exec_lo, exec_lo, s0
	s_and_b32 s1, s2, s8
	s_and_saveexec_b32 s0, s1
	s_cbranch_execz .LBB263_334
.LBB263_348:
	v_cmp_ne_u32_e32 vcc_lo, 1, v75
	v_lshlrev_b64 v[4:5], 1, v[36:37]
	s_cbranch_vccnz .LBB263_350
; %bb.349:
	v_add_co_u32 v16, vcc_lo, v22, v4
	v_add_co_ci_u32_e64 v17, null, v23, v5, vcc_lo
	global_load_ushort v16, v[16:17], off
	s_waitcnt vmcnt(0)
	v_mul_f16_e32 v16, s22, v16
	v_cvt_f32_f16_e32 v16, v16
	s_branch .LBB263_351
.LBB263_350:
	v_mov_b32_e32 v16, 0
.LBB263_351:
	v_pk_add_f16 v12, v12, v6
	v_pk_add_f16 v13, v13, v7
	v_max_f16_e32 v17, v48, v48
	v_lshrrev_b32_e32 v18, 16, v48
	v_add_co_u32 v4, vcc_lo, v20, v4
	v_lshrrev_b32_e32 v19, 16, v12
	v_lshrrev_b32_e32 v24, 16, v13
	v_min_f16_e32 v12, v17, v12
	v_add_co_ci_u32_e64 v5, null, v21, v5, vcc_lo
	v_min3_f16 v17, v18, v19, v24
	v_min3_f16 v12, v12, v13, v17
	v_max_f32_e32 v13, v16, v16
	v_cvt_f32_f16_e32 v12, v12
	v_min_f32_e32 v12, v13, v12
	v_cvt_f16_f32_e32 v12, v12
	global_store_short v[4:5], v12, off
	s_or_b32 exec_lo, exec_lo, s0
	s_and_b32 s1, s3, s8
	s_and_saveexec_b32 s0, s1
	s_cbranch_execz .LBB263_335
.LBB263_352:
	v_cmp_ne_u32_e32 vcc_lo, 1, v75
	v_lshlrev_b64 v[4:5], 1, v[38:39]
	s_cbranch_vccnz .LBB263_354
; %bb.353:
	v_add_co_u32 v12, vcc_lo, v22, v4
	v_add_co_ci_u32_e64 v13, null, v23, v5, vcc_lo
	global_load_ushort v12, v[12:13], off
	s_waitcnt vmcnt(0)
	v_mul_f16_e32 v12, s22, v12
	v_cvt_f32_f16_e32 v12, v12
	s_branch .LBB263_355
.LBB263_354:
	v_mov_b32_e32 v12, 0
.LBB263_355:
	v_pk_add_f16 v13, v14, v6
	v_pk_add_f16 v14, v15, v7
	v_max_f16_e32 v15, v64, v64
	v_lshrrev_b32_e32 v16, 16, v64
	v_max_f32_e32 v12, v12, v12
	v_lshrrev_b32_e32 v17, 16, v13
	v_lshrrev_b32_e32 v18, 16, v14
	v_min_f16_e32 v13, v15, v13
	v_add_co_u32 v4, vcc_lo, v20, v4
	v_add_co_ci_u32_e64 v5, null, v21, v5, vcc_lo
	v_min3_f16 v15, v16, v17, v18
	v_min3_f16 v13, v13, v14, v15
	v_cvt_f32_f16_e32 v13, v13
	v_min_f32_e32 v12, v12, v13
	v_cvt_f16_f32_e32 v12, v12
	global_store_short v[4:5], v12, off
	s_or_b32 exec_lo, exec_lo, s0
	s_and_b32 s1, s4, s8
	s_and_saveexec_b32 s0, s1
	s_cbranch_execz .LBB263_336
.LBB263_356:
	v_cmp_ne_u32_e32 vcc_lo, 1, v75
	v_lshlrev_b64 v[4:5], 1, v[40:41]
	s_cbranch_vccnz .LBB263_358
; %bb.357:
	v_add_co_u32 v12, vcc_lo, v22, v4
	v_add_co_ci_u32_e64 v13, null, v23, v5, vcc_lo
	global_load_ushort v12, v[12:13], off
	s_waitcnt vmcnt(0)
	v_mul_f16_e32 v12, s22, v12
	v_cvt_f32_f16_e32 v12, v12
	s_branch .LBB263_359
.LBB263_358:
	v_mov_b32_e32 v12, 0
.LBB263_359:
	v_pk_add_f16 v8, v8, v6
	v_pk_add_f16 v9, v9, v7
	v_max_f16_e32 v13, v62, v62
	v_lshrrev_b32_e32 v14, 16, v62
	v_add_co_u32 v4, vcc_lo, v20, v4
	v_lshrrev_b32_e32 v15, 16, v8
	v_lshrrev_b32_e32 v16, 16, v9
	v_min_f16_e32 v8, v13, v8
	v_add_co_ci_u32_e64 v5, null, v21, v5, vcc_lo
	v_min3_f16 v13, v14, v15, v16
	v_min3_f16 v8, v8, v9, v13
	v_max_f32_e32 v9, v12, v12
	v_cvt_f32_f16_e32 v8, v8
	v_min_f32_e32 v8, v9, v8
	v_cvt_f16_f32_e32 v8, v8
	global_store_short v[4:5], v8, off
	s_or_b32 exec_lo, exec_lo, s0
	s_and_b32 s1, s5, s8
	s_and_saveexec_b32 s0, s1
	s_cbranch_execz .LBB263_337
.LBB263_360:
	v_cmp_ne_u32_e32 vcc_lo, 1, v75
	v_lshlrev_b64 v[4:5], 1, v[42:43]
	s_cbranch_vccnz .LBB263_362
; %bb.361:
	v_add_co_u32 v8, vcc_lo, v22, v4
	v_add_co_ci_u32_e64 v9, null, v23, v5, vcc_lo
	global_load_ushort v8, v[8:9], off
	s_waitcnt vmcnt(0)
	v_mul_f16_e32 v8, s22, v8
	v_cvt_f32_f16_e32 v8, v8
	s_branch .LBB263_363
.LBB263_362:
	v_mov_b32_e32 v8, 0
.LBB263_363:
	v_pk_add_f16 v9, v10, v6
	v_pk_add_f16 v10, v11, v7
	v_max_f16_e32 v11, v60, v60
	v_lshrrev_b32_e32 v12, 16, v60
	v_max_f32_e32 v8, v8, v8
	v_lshrrev_b32_e32 v13, 16, v9
	v_lshrrev_b32_e32 v14, 16, v10
	v_min_f16_e32 v9, v11, v9
	v_add_co_u32 v4, vcc_lo, v20, v4
	v_add_co_ci_u32_e64 v5, null, v21, v5, vcc_lo
	v_min3_f16 v11, v12, v13, v14
	v_min3_f16 v9, v9, v10, v11
	v_cvt_f32_f16_e32 v9, v9
	v_min_f32_e32 v8, v8, v9
	v_cvt_f16_f32_e32 v8, v8
	global_store_short v[4:5], v8, off
	s_or_b32 exec_lo, exec_lo, s0
	s_and_b32 s1, s6, s8
	s_and_saveexec_b32 s0, s1
	s_cbranch_execz .LBB263_338
.LBB263_364:
	v_cmp_ne_u32_e32 vcc_lo, 1, v75
	v_lshlrev_b64 v[4:5], 1, v[44:45]
	s_cbranch_vccnz .LBB263_366
; %bb.365:
	v_add_co_u32 v8, vcc_lo, v22, v4
	v_add_co_ci_u32_e64 v9, null, v23, v5, vcc_lo
	global_load_ushort v8, v[8:9], off
	s_waitcnt vmcnt(0)
	v_mul_f16_e32 v8, s22, v8
	v_cvt_f32_f16_e32 v8, v8
	s_branch .LBB263_367
.LBB263_366:
	v_mov_b32_e32 v8, 0
.LBB263_367:
	v_pk_add_f16 v0, v0, v6
	v_pk_add_f16 v1, v1, v7
	v_max_f16_e32 v9, v58, v58
	v_lshrrev_b32_e32 v10, 16, v58
	v_lshrrev_b32_e32 v11, 16, v0
	;; [unrolled: 1-line block ×3, first 2 shown]
	v_min_f16_e32 v0, v9, v0
	v_min3_f16 v9, v10, v11, v12
	v_min3_f16 v0, v0, v1, v9
	v_max_f32_e32 v1, v8, v8
	v_cvt_f32_f16_e32 v0, v0
	v_min_f32_e32 v0, v1, v0
	v_cvt_f16_f32_e32 v8, v0
	v_add_co_u32 v0, vcc_lo, v20, v4
	v_add_co_ci_u32_e64 v1, null, v21, v5, vcc_lo
	global_store_short v[0:1], v8, off
	s_or_b32 exec_lo, exec_lo, s0
	s_and_b32 s0, s7, s8
	s_and_saveexec_b32 s1, s0
	s_cbranch_execz .LBB263_339
.LBB263_368:
	v_cmp_ne_u32_e32 vcc_lo, 1, v75
	v_lshlrev_b64 v[0:1], 1, v[46:47]
	s_cbranch_vccnz .LBB263_370
; %bb.369:
	v_add_co_u32 v4, vcc_lo, v22, v0
	v_add_co_ci_u32_e64 v5, null, v23, v1, vcc_lo
	global_load_ushort v4, v[4:5], off
	s_waitcnt vmcnt(0)
	v_mul_f16_e32 v4, s22, v4
	v_cvt_f32_f16_e32 v4, v4
	s_branch .LBB263_371
.LBB263_370:
	v_mov_b32_e32 v4, 0
.LBB263_371:
	v_pk_add_f16 v2, v2, v6
	v_pk_add_f16 v3, v3, v7
	v_max_f16_e32 v5, v56, v56
	v_lshrrev_b32_e32 v6, 16, v56
	v_add_co_u32 v0, vcc_lo, v20, v0
	v_lshrrev_b32_e32 v7, 16, v2
	v_lshrrev_b32_e32 v8, 16, v3
	v_min_f16_e32 v2, v5, v2
	v_add_co_ci_u32_e64 v1, null, v21, v1, vcc_lo
	v_min3_f16 v5, v6, v7, v8
	v_min3_f16 v2, v2, v3, v5
	v_max_f32_e32 v3, v4, v4
	v_cvt_f32_f16_e32 v2, v2
	v_min_f32_e32 v2, v3, v2
	v_cvt_f16_f32_e32 v2, v2
	global_store_short v[0:1], v2, off
	s_endpgm
	.section	.rodata,"a",@progbits
	.p2align	6, 0x0
	.amdhsa_kernel _ZN12_GLOBAL__N_120geam_min_plus_kernelIDF16_Dv2_DF16_S1_Li32ELi8ELi256ELi64ELi4ELi64ELi4ELi4ELi64ELc78ELc78ELb0ELb1ELb1EDF16_KDF16_DF16_EEviiiT16_PT17_ilS5_ilS3_S5_ilPT18_ili26rocblas_geam_ex_operation_
		.amdhsa_group_segment_fixed_size 5120
		.amdhsa_private_segment_fixed_size 0
		.amdhsa_kernarg_size 128
		.amdhsa_user_sgpr_count 6
		.amdhsa_user_sgpr_private_segment_buffer 1
		.amdhsa_user_sgpr_dispatch_ptr 0
		.amdhsa_user_sgpr_queue_ptr 0
		.amdhsa_user_sgpr_kernarg_segment_ptr 1
		.amdhsa_user_sgpr_dispatch_id 0
		.amdhsa_user_sgpr_flat_scratch_init 0
		.amdhsa_user_sgpr_private_segment_size 0
		.amdhsa_wavefront_size32 1
		.amdhsa_uses_dynamic_stack 0
		.amdhsa_system_sgpr_private_segment_wavefront_offset 0
		.amdhsa_system_sgpr_workgroup_id_x 1
		.amdhsa_system_sgpr_workgroup_id_y 0
		.amdhsa_system_sgpr_workgroup_id_z 1
		.amdhsa_system_sgpr_workgroup_info 0
		.amdhsa_system_vgpr_workitem_id 1
		.amdhsa_next_free_vgpr 154
		.amdhsa_next_free_sgpr 30
		.amdhsa_reserve_vcc 1
		.amdhsa_reserve_flat_scratch 0
		.amdhsa_float_round_mode_32 0
		.amdhsa_float_round_mode_16_64 0
		.amdhsa_float_denorm_mode_32 3
		.amdhsa_float_denorm_mode_16_64 3
		.amdhsa_dx10_clamp 1
		.amdhsa_ieee_mode 1
		.amdhsa_fp16_overflow 0
		.amdhsa_workgroup_processor_mode 1
		.amdhsa_memory_ordered 1
		.amdhsa_forward_progress 1
		.amdhsa_shared_vgpr_count 0
		.amdhsa_exception_fp_ieee_invalid_op 0
		.amdhsa_exception_fp_denorm_src 0
		.amdhsa_exception_fp_ieee_div_zero 0
		.amdhsa_exception_fp_ieee_overflow 0
		.amdhsa_exception_fp_ieee_underflow 0
		.amdhsa_exception_fp_ieee_inexact 0
		.amdhsa_exception_int_div_zero 0
	.end_amdhsa_kernel
	.section	.text._ZN12_GLOBAL__N_120geam_min_plus_kernelIDF16_Dv2_DF16_S1_Li32ELi8ELi256ELi64ELi4ELi64ELi4ELi4ELi64ELc78ELc78ELb0ELb1ELb1EDF16_KDF16_DF16_EEviiiT16_PT17_ilS5_ilS3_S5_ilPT18_ili26rocblas_geam_ex_operation_,"axG",@progbits,_ZN12_GLOBAL__N_120geam_min_plus_kernelIDF16_Dv2_DF16_S1_Li32ELi8ELi256ELi64ELi4ELi64ELi4ELi4ELi64ELc78ELc78ELb0ELb1ELb1EDF16_KDF16_DF16_EEviiiT16_PT17_ilS5_ilS3_S5_ilPT18_ili26rocblas_geam_ex_operation_,comdat
.Lfunc_end263:
	.size	_ZN12_GLOBAL__N_120geam_min_plus_kernelIDF16_Dv2_DF16_S1_Li32ELi8ELi256ELi64ELi4ELi64ELi4ELi4ELi64ELc78ELc78ELb0ELb1ELb1EDF16_KDF16_DF16_EEviiiT16_PT17_ilS5_ilS3_S5_ilPT18_ili26rocblas_geam_ex_operation_, .Lfunc_end263-_ZN12_GLOBAL__N_120geam_min_plus_kernelIDF16_Dv2_DF16_S1_Li32ELi8ELi256ELi64ELi4ELi64ELi4ELi4ELi64ELc78ELc78ELb0ELb1ELb1EDF16_KDF16_DF16_EEviiiT16_PT17_ilS5_ilS3_S5_ilPT18_ili26rocblas_geam_ex_operation_
                                        ; -- End function
	.set _ZN12_GLOBAL__N_120geam_min_plus_kernelIDF16_Dv2_DF16_S1_Li32ELi8ELi256ELi64ELi4ELi64ELi4ELi4ELi64ELc78ELc78ELb0ELb1ELb1EDF16_KDF16_DF16_EEviiiT16_PT17_ilS5_ilS3_S5_ilPT18_ili26rocblas_geam_ex_operation_.num_vgpr, 154
	.set _ZN12_GLOBAL__N_120geam_min_plus_kernelIDF16_Dv2_DF16_S1_Li32ELi8ELi256ELi64ELi4ELi64ELi4ELi4ELi64ELc78ELc78ELb0ELb1ELb1EDF16_KDF16_DF16_EEviiiT16_PT17_ilS5_ilS3_S5_ilPT18_ili26rocblas_geam_ex_operation_.num_agpr, 0
	.set _ZN12_GLOBAL__N_120geam_min_plus_kernelIDF16_Dv2_DF16_S1_Li32ELi8ELi256ELi64ELi4ELi64ELi4ELi4ELi64ELc78ELc78ELb0ELb1ELb1EDF16_KDF16_DF16_EEviiiT16_PT17_ilS5_ilS3_S5_ilPT18_ili26rocblas_geam_ex_operation_.numbered_sgpr, 30
	.set _ZN12_GLOBAL__N_120geam_min_plus_kernelIDF16_Dv2_DF16_S1_Li32ELi8ELi256ELi64ELi4ELi64ELi4ELi4ELi64ELc78ELc78ELb0ELb1ELb1EDF16_KDF16_DF16_EEviiiT16_PT17_ilS5_ilS3_S5_ilPT18_ili26rocblas_geam_ex_operation_.num_named_barrier, 0
	.set _ZN12_GLOBAL__N_120geam_min_plus_kernelIDF16_Dv2_DF16_S1_Li32ELi8ELi256ELi64ELi4ELi64ELi4ELi4ELi64ELc78ELc78ELb0ELb1ELb1EDF16_KDF16_DF16_EEviiiT16_PT17_ilS5_ilS3_S5_ilPT18_ili26rocblas_geam_ex_operation_.private_seg_size, 0
	.set _ZN12_GLOBAL__N_120geam_min_plus_kernelIDF16_Dv2_DF16_S1_Li32ELi8ELi256ELi64ELi4ELi64ELi4ELi4ELi64ELc78ELc78ELb0ELb1ELb1EDF16_KDF16_DF16_EEviiiT16_PT17_ilS5_ilS3_S5_ilPT18_ili26rocblas_geam_ex_operation_.uses_vcc, 1
	.set _ZN12_GLOBAL__N_120geam_min_plus_kernelIDF16_Dv2_DF16_S1_Li32ELi8ELi256ELi64ELi4ELi64ELi4ELi4ELi64ELc78ELc78ELb0ELb1ELb1EDF16_KDF16_DF16_EEviiiT16_PT17_ilS5_ilS3_S5_ilPT18_ili26rocblas_geam_ex_operation_.uses_flat_scratch, 0
	.set _ZN12_GLOBAL__N_120geam_min_plus_kernelIDF16_Dv2_DF16_S1_Li32ELi8ELi256ELi64ELi4ELi64ELi4ELi4ELi64ELc78ELc78ELb0ELb1ELb1EDF16_KDF16_DF16_EEviiiT16_PT17_ilS5_ilS3_S5_ilPT18_ili26rocblas_geam_ex_operation_.has_dyn_sized_stack, 0
	.set _ZN12_GLOBAL__N_120geam_min_plus_kernelIDF16_Dv2_DF16_S1_Li32ELi8ELi256ELi64ELi4ELi64ELi4ELi4ELi64ELc78ELc78ELb0ELb1ELb1EDF16_KDF16_DF16_EEviiiT16_PT17_ilS5_ilS3_S5_ilPT18_ili26rocblas_geam_ex_operation_.has_recursion, 0
	.set _ZN12_GLOBAL__N_120geam_min_plus_kernelIDF16_Dv2_DF16_S1_Li32ELi8ELi256ELi64ELi4ELi64ELi4ELi4ELi64ELc78ELc78ELb0ELb1ELb1EDF16_KDF16_DF16_EEviiiT16_PT17_ilS5_ilS3_S5_ilPT18_ili26rocblas_geam_ex_operation_.has_indirect_call, 0
	.section	.AMDGPU.csdata,"",@progbits
; Kernel info:
; codeLenInByte = 23200
; TotalNumSgprs: 32
; NumVgprs: 154
; ScratchSize: 0
; MemoryBound: 0
; FloatMode: 240
; IeeeMode: 1
; LDSByteSize: 5120 bytes/workgroup (compile time only)
; SGPRBlocks: 0
; VGPRBlocks: 19
; NumSGPRsForWavesPerEU: 32
; NumVGPRsForWavesPerEU: 154
; Occupancy: 6
; WaveLimiterHint : 0
; COMPUTE_PGM_RSRC2:SCRATCH_EN: 0
; COMPUTE_PGM_RSRC2:USER_SGPR: 6
; COMPUTE_PGM_RSRC2:TRAP_HANDLER: 0
; COMPUTE_PGM_RSRC2:TGID_X_EN: 1
; COMPUTE_PGM_RSRC2:TGID_Y_EN: 0
; COMPUTE_PGM_RSRC2:TGID_Z_EN: 1
; COMPUTE_PGM_RSRC2:TIDIG_COMP_CNT: 1
	.section	.text._ZN12_GLOBAL__N_120geam_min_plus_kernelIDF16_Dv2_DF16_S1_Li32ELi8ELi128ELi128ELi4ELi4ELi64ELi4ELi64ELc84ELc78ELb0ELb0ELb1EPKDF16_S2_DF16_EEviiiT16_PT17_ilS6_ilS4_S6_ilPT18_ili26rocblas_geam_ex_operation_,"axG",@progbits,_ZN12_GLOBAL__N_120geam_min_plus_kernelIDF16_Dv2_DF16_S1_Li32ELi8ELi128ELi128ELi4ELi4ELi64ELi4ELi64ELc84ELc78ELb0ELb0ELb1EPKDF16_S2_DF16_EEviiiT16_PT17_ilS6_ilS4_S6_ilPT18_ili26rocblas_geam_ex_operation_,comdat
	.globl	_ZN12_GLOBAL__N_120geam_min_plus_kernelIDF16_Dv2_DF16_S1_Li32ELi8ELi128ELi128ELi4ELi4ELi64ELi4ELi64ELc84ELc78ELb0ELb0ELb1EPKDF16_S2_DF16_EEviiiT16_PT17_ilS6_ilS4_S6_ilPT18_ili26rocblas_geam_ex_operation_ ; -- Begin function _ZN12_GLOBAL__N_120geam_min_plus_kernelIDF16_Dv2_DF16_S1_Li32ELi8ELi128ELi128ELi4ELi4ELi64ELi4ELi64ELc84ELc78ELb0ELb0ELb1EPKDF16_S2_DF16_EEviiiT16_PT17_ilS6_ilS4_S6_ilPT18_ili26rocblas_geam_ex_operation_
	.p2align	8
	.type	_ZN12_GLOBAL__N_120geam_min_plus_kernelIDF16_Dv2_DF16_S1_Li32ELi8ELi128ELi128ELi4ELi4ELi64ELi4ELi64ELc84ELc78ELb0ELb0ELb1EPKDF16_S2_DF16_EEviiiT16_PT17_ilS6_ilS4_S6_ilPT18_ili26rocblas_geam_ex_operation_,@function
_ZN12_GLOBAL__N_120geam_min_plus_kernelIDF16_Dv2_DF16_S1_Li32ELi8ELi128ELi128ELi4ELi4ELi64ELi4ELi64ELc84ELc78ELb0ELb0ELb1EPKDF16_S2_DF16_EEviiiT16_PT17_ilS6_ilS4_S6_ilPT18_ili26rocblas_geam_ex_operation_: ; @_ZN12_GLOBAL__N_120geam_min_plus_kernelIDF16_Dv2_DF16_S1_Li32ELi8ELi128ELi128ELi4ELi4ELi64ELi4ELi64ELc84ELc78ELb0ELb0ELb1EPKDF16_S2_DF16_EEviiiT16_PT17_ilS6_ilS4_S6_ilPT18_ili26rocblas_geam_ex_operation_
; %bb.0:
	s_clause 0x1
	s_load_dwordx4 s[0:3], s[4:5], 0x10
	s_load_dwordx4 s[8:11], s[4:5], 0x28
	s_mov_b32 s16, s7
	s_mov_b32 s17, 0
	v_mov_b32_e32 v2, 0
	s_lshl_b64 s[18:19], s[16:17], 1
	s_waitcnt lgkmcnt(0)
	s_add_u32 s0, s0, s18
	s_addc_u32 s1, s1, s19
	global_load_ushort v45, v2, s[0:1]
	s_clause 0x1
	s_load_dwordx4 s[12:15], s[4:5], 0x40
	s_load_dwordx2 s[20:21], s[4:5], 0x50
	s_waitcnt lgkmcnt(0)
	s_add_u32 s22, s14, s18
	s_addc_u32 s23, s15, s19
	s_mov_b64 s[18:19], 0
	s_mov_b64 s[14:15], 0
	s_waitcnt vmcnt(0)
	v_cmp_eq_f16_e32 vcc_lo, 0, v45
	v_cmp_neq_f16_e64 s0, 0, v45
	s_cbranch_vccnz .LBB264_2
; %bb.1:
	s_mul_i32 s1, s9, s16
	s_mul_hi_u32 s7, s8, s16
	s_mul_i32 s8, s8, s16
	s_add_i32 s9, s7, s1
	s_lshl_b64 s[8:9], s[8:9], 1
	s_add_u32 s14, s2, s8
	s_addc_u32 s15, s3, s9
.LBB264_2:
	global_load_ushort v48, v2, s[22:23]
	v_cndmask_b32_e64 v2, 0, 1, s0
	s_andn2_b32 vcc_lo, exec_lo, s0
	v_cmp_ne_u32_e64 s1, 1, v2
	s_cbranch_vccnz .LBB264_4
; %bb.3:
	s_mul_i32 s0, s13, s16
	s_mul_hi_u32 s2, s12, s16
	s_add_i32 s3, s2, s0
	s_mul_i32 s2, s12, s16
	s_lshl_b64 s[2:3], s[2:3], 1
	s_add_u32 s18, s10, s2
	s_addc_u32 s19, s11, s3
.LBB264_4:
	s_load_dwordx4 s[8:11], s[4:5], 0x60
	s_waitcnt vmcnt(0)
	v_cmp_eq_f16_e32 vcc_lo, 0, v48
	s_and_b32 s0, exec_lo, vcc_lo
	s_mov_b32 vcc_lo, s0
	s_cbranch_vccnz .LBB264_6
; %bb.5:
	s_waitcnt lgkmcnt(0)
	s_mul_i32 s2, s9, s16
	s_mul_hi_u32 s3, s8, s16
	s_add_i32 s3, s3, s2
	s_mul_i32 s2, s8, s16
	s_lshl_b64 s[2:3], s[2:3], 1
	s_add_u32 s8, s20, s2
	s_addc_u32 s9, s21, s3
	s_branch .LBB264_7
.LBB264_6:
	s_waitcnt lgkmcnt(0)
	s_mov_b64 s[8:9], 0
.LBB264_7:
	s_clause 0x1
	s_load_dword s3, s[4:5], 0x0
	s_load_dword s2, s[4:5], 0x20
	v_lshl_add_u32 v3, v1, 5, v0
	v_mov_b32_e32 v5, 0
	v_lshrrev_b32_e32 v4, 2, v3
	v_mov_b32_e32 v3, 0
	s_waitcnt lgkmcnt(0)
	s_add_i32 s3, s3, -1
	s_ashr_i32 s7, s3, 31
	s_lshr_b32 s7, s7, 25
	s_add_i32 s3, s3, s7
	s_ashr_i32 s3, s3, 7
	s_add_i32 s12, s3, 1
	s_not_b32 s3, s3
	v_cvt_f32_u32_e32 v2, s12
	v_rcp_iflag_f32_e32 v2, v2
	v_mul_f32_e32 v2, 0x4f7ffffe, v2
	v_cvt_u32_f32_e32 v2, v2
	v_readfirstlane_b32 s7, v2
	v_and_b32_e32 v2, 3, v0
	s_mul_i32 s3, s3, s7
	v_lshlrev_b32_e32 v46, 1, v2
	s_mul_hi_u32 s3, s7, s3
	s_add_i32 s7, s7, s3
	s_mul_hi_u32 s3, s6, s7
	s_mul_i32 s7, s3, s12
	s_add_i32 s13, s3, 1
	s_sub_i32 s7, s6, s7
	s_sub_i32 s17, s7, s12
	s_cmp_ge_u32 s7, s12
	s_cselect_b32 s3, s13, s3
	s_cselect_b32 s7, s17, s7
	s_add_i32 s13, s3, 1
	s_cmp_ge_u32 s7, s12
	s_cselect_b32 s7, s13, s3
	s_and_b32 vcc_lo, exec_lo, s1
	s_mul_i32 s3, s7, s12
	s_sub_i32 s3, s6, s3
	s_lshl_b32 s6, s3, 7
	v_add_co_u32 v6, s3, s14, v46
	v_add_co_ci_u32_e64 v7, null, s15, 0, s3
	v_add_nc_u32_e32 v14, s6, v4
	s_cbranch_vccnz .LBB264_9
; %bb.8:
	v_mad_i64_i32 v[8:9], null, v14, s2, 0
	v_lshlrev_b64 v[8:9], 1, v[8:9]
	v_add_co_u32 v8, vcc_lo, v6, v8
	v_add_co_ci_u32_e64 v9, null, v7, v9, vcc_lo
	global_load_ushort v3, v[8:9], off
	s_waitcnt vmcnt(0)
	v_mul_f16_e32 v3, v45, v3
.LBB264_9:
	s_load_dword s3, s[4:5], 0x38
	s_lshl_b32 s7, s7, 7
	v_add_nc_u32_e32 v15, 64, v14
	v_add_nc_u32_e32 v16, s7, v4
	v_mov_b32_e32 v8, 0
	v_mov_b32_e32 v9, 0
	s_and_b32 vcc_lo, exec_lo, s1
	v_add_nc_u32_e32 v17, 64, v16
	s_cbranch_vccnz .LBB264_11
; %bb.10:
	v_mad_i64_i32 v[8:9], null, v15, s2, 0
	s_waitcnt lgkmcnt(0)
	v_mad_i64_i32 v[10:11], null, v16, s3, 0
	v_mad_i64_i32 v[12:13], null, v17, s3, 0
	v_add_co_u32 v5, s12, s18, v46
	v_lshlrev_b64 v[8:9], 1, v[8:9]
	v_add_co_ci_u32_e64 v18, null, s19, 0, s12
	v_lshlrev_b64 v[10:11], 1, v[10:11]
	v_lshlrev_b64 v[12:13], 1, v[12:13]
	v_add_co_u32 v8, vcc_lo, v6, v8
	v_add_co_ci_u32_e64 v9, null, v7, v9, vcc_lo
	v_add_co_u32 v10, vcc_lo, v5, v10
	v_add_co_ci_u32_e64 v11, null, v18, v11, vcc_lo
	;; [unrolled: 2-line block ×3, first 2 shown]
	global_load_ushort v5, v[8:9], off
	s_clause 0x1
	global_load_ushort v8, v[10:11], off
	global_load_ushort v9, v[12:13], off
	s_waitcnt vmcnt(2)
	v_mul_f16_e32 v5, v45, v5
	s_waitcnt vmcnt(1)
	v_mul_f16_e32 v8, v45, v8
	;; [unrolled: 2-line block ×3, first 2 shown]
.LBB264_11:
	v_mov_b32_e32 v19, 0
	v_mov_b32_e32 v18, 0
	s_and_b32 vcc_lo, exec_lo, s1
	s_cbranch_vccnz .LBB264_13
; %bb.12:
	v_mad_i64_i32 v[10:11], null, v14, s2, 0
	v_lshlrev_b64 v[10:11], 1, v[10:11]
	v_add_co_u32 v10, vcc_lo, v6, v10
	v_add_co_ci_u32_e64 v11, null, v7, v11, vcc_lo
	global_load_ushort v10, v[10:11], off offset:8
	s_waitcnt vmcnt(0)
	v_mul_f16_e32 v18, v45, v10
.LBB264_13:
	v_mov_b32_e32 v20, 0
	v_mov_b32_e32 v21, 0
	s_and_b32 vcc_lo, exec_lo, s1
	s_cbranch_vccnz .LBB264_15
; %bb.14:
	v_mad_i64_i32 v[10:11], null, v15, s2, 0
	s_waitcnt lgkmcnt(0)
	v_mad_i64_i32 v[12:13], null, v16, s3, 0
	v_mad_i64_i32 v[19:20], null, v17, s3, 0
	v_add_co_u32 v21, s12, s18, v46
	v_lshlrev_b64 v[10:11], 1, v[10:11]
	v_add_co_ci_u32_e64 v22, null, s19, 0, s12
	v_lshlrev_b64 v[12:13], 1, v[12:13]
	v_add_co_u32 v6, vcc_lo, v6, v10
	v_add_co_ci_u32_e64 v7, null, v7, v11, vcc_lo
	v_lshlrev_b64 v[10:11], 1, v[19:20]
	v_add_co_u32 v12, vcc_lo, v21, v12
	v_add_co_ci_u32_e64 v13, null, v22, v13, vcc_lo
	v_add_co_u32 v10, vcc_lo, v21, v10
	v_add_co_ci_u32_e64 v11, null, v22, v11, vcc_lo
	global_load_ushort v6, v[6:7], off offset:8
	s_clause 0x1
	global_load_ushort v7, v[12:13], off offset:8
	global_load_ushort v10, v[10:11], off offset:8
	s_waitcnt vmcnt(2)
	v_mul_f16_e32 v19, v45, v6
	s_waitcnt vmcnt(1)
	v_mul_f16_e32 v20, v45, v7
	;; [unrolled: 2-line block ×3, first 2 shown]
.LBB264_15:
	v_lshlrev_b32_e32 v4, 3, v4
	v_lshlrev_b32_e32 v92, 3, v1
	;; [unrolled: 1-line block ×3, first 2 shown]
	s_load_dword s12, s[4:5], 0x8
	v_lshl_or_b32 v47, v2, 1, v4
	v_add_nc_u32_e32 v10, 0x800, v92
	ds_write_b16 v47, v3
	ds_write_b16 v47, v5 offset:512
	ds_write_b16 v47, v8 offset:2048
	;; [unrolled: 1-line block ×3, first 2 shown]
	s_waitcnt lgkmcnt(0)
	s_barrier
	buffer_gl0_inv
	ds_read2_b64 v[6:9], v94 offset1:32
	ds_read2_b64 v[22:25], v10 offset1:8
	ds_read2_b64 v[2:5], v94 offset0:64 offset1:96
	ds_read2_b64 v[26:29], v10 offset0:16 offset1:24
	;; [unrolled: 1-line block ×8, first 2 shown]
	ds_write_b16 v47, v18 offset:1024
	ds_write_b16 v47, v19 offset:1536
	;; [unrolled: 1-line block ×4, first 2 shown]
	s_waitcnt lgkmcnt(0)
	s_barrier
	buffer_gl0_inv
	s_cmp_lt_i32 s12, 9
	v_pk_add_f16 v66, v6, v30
	v_pk_add_f16 v42, v6, v22
	;; [unrolled: 1-line block ×64, first 2 shown]
	v_pk_min_f16 v42, 0x7c00, v42 op_sel_hi:[0,1]
	v_pk_add_f16 v81, v9, v23
	v_pk_add_f16 v82, v3, v23
	;; [unrolled: 1-line block ×3, first 2 shown]
	v_pk_min_f16 v22, 0x7c00, v22 op_sel_hi:[0,1]
	v_pk_add_f16 v2, v4, v12
	v_pk_add_f16 v4, v7, v25
	v_pk_min_f16 v12, 0x7c00, v57 op_sel_hi:[0,1]
	v_pk_min_f16 v43, 0x7c00, v43 op_sel_hi:[0,1]
	;; [unrolled: 1-line block ×3, first 2 shown]
	v_pk_min_f16 v115, v42, v80
	v_pk_min_f16 v112, v22, v23
	v_pk_add_f16 v22, v9, v25
	v_pk_min_f16 v23, 0x7c00, v58 op_sel_hi:[0,1]
	v_pk_add_f16 v42, v3, v25
	v_pk_add_f16 v25, v5, v25
	v_pk_min_f16 v24, 0x7c00, v24 op_sel_hi:[0,1]
	v_pk_min_f16 v111, v12, v4
	v_pk_add_f16 v4, v9, v27
	v_pk_min_f16 v12, 0x7c00, v61 op_sel_hi:[0,1]
	v_pk_min_f16 v114, v43, v81
	v_pk_min_f16 v113, v44, v82
	v_pk_min_f16 v43, 0x7c00, v59 op_sel_hi:[0,1]
	v_pk_add_f16 v44, v7, v27
	v_pk_min_f16 v110, v23, v22
	v_pk_min_f16 v108, v24, v25
	v_pk_add_f16 v22, v3, v27
	v_pk_min_f16 v23, 0x7c00, v62 op_sel_hi:[0,1]
	v_pk_add_f16 v24, v5, v27
	v_pk_min_f16 v25, 0x7c00, v26 op_sel_hi:[0,1]
	;; [unrolled: 2-line block ×3, first 2 shown]
	v_pk_min_f16 v106, v12, v4
	v_pk_add_f16 v4, v3, v29
	v_pk_min_f16 v12, 0x7c00, v65 op_sel_hi:[0,1]
	v_pk_min_f16 v109, v43, v42
	v_pk_add_f16 v42, v9, v29
	v_pk_min_f16 v105, v23, v22
	v_pk_min_f16 v104, v25, v24
	v_pk_min_f16 v101, v27, v26
	v_pk_add_f16 v22, v5, v29
	v_pk_min_f16 v23, 0x7c00, v28 op_sel_hi:[0,1]
	v_pk_add_f16 v24, v7, v31
	v_pk_min_f16 v25, 0x7c00, v66 op_sel_hi:[0,1]
	v_pk_add_f16 v26, v9, v31
	v_pk_min_f16 v27, 0x7c00, v67 op_sel_hi:[0,1]
	v_pk_add_f16 v28, v3, v31
	v_pk_min_f16 v29, 0x7c00, v68 op_sel_hi:[0,1]
	v_pk_min_f16 v102, v12, v4
	v_pk_add_f16 v4, v5, v31
	v_pk_min_f16 v12, 0x7c00, v30 op_sel_hi:[0,1]
	v_pk_min_f16 v100, v23, v22
	v_pk_min_f16 v99, v25, v24
	v_pk_min_f16 v98, v27, v26
	v_pk_min_f16 v97, v29, v28
	v_pk_add_f16 v22, v7, v33
	v_pk_min_f16 v23, 0x7c00, v69 op_sel_hi:[0,1]
	v_pk_add_f16 v24, v9, v33
	v_pk_min_f16 v25, 0x7c00, v70 op_sel_hi:[0,1]
	v_pk_add_f16 v26, v3, v33
	v_pk_min_f16 v27, 0x7c00, v71 op_sel_hi:[0,1]
	v_pk_add_f16 v28, v5, v33
	v_pk_min_f16 v29, 0x7c00, v32 op_sel_hi:[0,1]
	v_pk_min_f16 v96, v12, v4
	v_pk_add_f16 v4, v7, v35
	v_pk_min_f16 v12, 0x7c00, v72 op_sel_hi:[0,1]
	v_pk_min_f16 v95, v23, v22
	;; [unrolled: 15-line block ×6, first 2 shown]
	v_pk_min_f16 v71, v25, v24
	v_pk_min_f16 v70, v27, v26
	;; [unrolled: 1-line block ×3, first 2 shown]
	v_pk_add_f16 v22, v9, v52
	v_pk_min_f16 v23, 0x7c00, v123 op_sel_hi:[0,1]
	v_pk_add_f16 v24, v3, v52
	v_pk_min_f16 v25, 0x7c00, v124 op_sel_hi:[0,1]
	;; [unrolled: 2-line block ×4, first 2 shown]
	v_pk_min_f16 v68, v12, v4
	v_pk_add_f16 v4, v9, v54
	v_pk_min_f16 v12, 0x7c00, v126 op_sel_hi:[0,1]
	v_pk_min_f16 v43, 0x7c00, v64 op_sel_hi:[0,1]
	v_pk_min_f16 v67, v23, v22
	v_pk_min_f16 v66, v25, v24
	;; [unrolled: 1-line block ×4, first 2 shown]
	v_pk_add_f16 v22, v3, v54
	v_pk_min_f16 v23, 0x7c00, v127 op_sel_hi:[0,1]
	v_pk_add_f16 v24, v5, v54
	v_pk_min_f16 v25, 0x7c00, v53 op_sel_hi:[0,1]
	;; [unrolled: 2-line block ×4, first 2 shown]
	v_pk_min_f16 v63, v12, v4
	v_pk_add_f16 v4, v3, v56
	v_pk_min_f16 v12, 0x7c00, v130 op_sel_hi:[0,1]
	v_pk_min_f16 v57, 0x7c00, v60 op_sel_hi:[0,1]
	v_pk_min_f16 v62, v23, v22
	v_pk_min_f16 v61, v25, v24
	;; [unrolled: 1-line block ×4, first 2 shown]
	v_pk_add_f16 v22, v5, v56
	v_pk_min_f16 v23, 0x7c00, v55 op_sel_hi:[0,1]
	v_pk_add_f16 v24, v7, v11
	v_pk_min_f16 v25, 0x7c00, v131 op_sel_hi:[0,1]
	;; [unrolled: 2-line block ×4, first 2 shown]
	v_pk_min_f16 v58, v12, v4
	v_pk_add_f16 v4, v5, v11
	v_pk_min_f16 v10, 0x7c00, v10 op_sel_hi:[0,1]
	v_pk_add_f16 v7, v7, v13
	v_pk_min_f16 v6, 0x7c00, v6 op_sel_hi:[0,1]
	v_pk_add_f16 v9, v9, v13
	v_pk_min_f16 v8, 0x7c00, v8 op_sel_hi:[0,1]
	v_pk_add_f16 v3, v3, v13
	v_pk_min_f16 v11, 0x7c00, v134 op_sel_hi:[0,1]
	v_pk_add_f16 v5, v5, v13
	v_pk_min_f16 v2, 0x7c00, v2 op_sel_hi:[0,1]
	v_pk_min_f16 v107, v57, v44
	v_pk_min_f16 v103, v43, v42
	;; [unrolled: 1-line block ×11, first 2 shown]
	s_cbranch_scc1 .LBB264_27
; %bb.16:
	v_mad_i64_i32 v[2:3], null, s3, v17, 0
	v_mad_i64_i32 v[4:5], null, s3, v16, 0
	;; [unrolled: 1-line block ×4, first 2 shown]
	v_lshlrev_b64 v[2:3], 1, v[2:3]
	v_add_nc_u32_e32 v83, 0x800, v47
	v_lshlrev_b64 v[4:5], 1, v[4:5]
	v_or_b32_e32 v116, 0x800, v92
	v_add_nc_u32_e32 v117, 0x400, v47
	v_add_nc_u32_e32 v118, 0xc00, v47
	v_add_co_u32 v121, vcc_lo, s18, v2
	v_add_co_ci_u32_e64 v122, null, s19, v3, vcc_lo
	v_lshlrev_b64 v[2:3], 1, v[6:7]
	v_add_co_u32 v123, vcc_lo, s18, v4
	v_add_co_ci_u32_e64 v124, null, s19, v5, vcc_lo
	v_lshlrev_b64 v[4:5], 1, v[8:9]
	v_add_co_u32 v125, vcc_lo, s14, v2
	v_add_co_ci_u32_e64 v126, null, s15, v3, vcc_lo
	v_lshl_add_u32 v119, v0, 3, 0x400
	v_add_co_u32 v127, vcc_lo, s14, v4
	v_lshl_add_u32 v120, v1, 3, 0xc00
	v_add_co_ci_u32_e64 v128, null, s15, v5, vcc_lo
	s_add_i32 s2, s12, -8
	s_mov_b32 s3, 0
	s_branch .LBB264_19
.LBB264_17:                             ;   in Loop: Header=BB264_19 Depth=1
	v_add_co_u32 v6, vcc_lo, v125, v46
	v_add_co_ci_u32_e64 v7, null, 0, v126, vcc_lo
	v_add_co_u32 v130, vcc_lo, v123, v46
	v_add_co_ci_u32_e64 v131, null, 0, v124, vcc_lo
	;; [unrolled: 2-line block ×3, first 2 shown]
	global_load_ushort v6, v[6:7], off offset:24
	global_load_ushort v7, v[130:131], off offset:24
	;; [unrolled: 1-line block ×3, first 2 shown]
	s_waitcnt vmcnt(2)
	v_mul_f16_e32 v130, v45, v6
	s_waitcnt vmcnt(1)
	v_mul_f16_e32 v131, v45, v7
	;; [unrolled: 2-line block ×3, first 2 shown]
.LBB264_18:                             ;   in Loop: Header=BB264_19 Depth=1
	v_pk_add_f16 v6, v9, v41
	v_pk_max_f16 v7, v115, v115
	v_pk_add_f16 v8, v11, v41
	v_pk_add_f16 v115, v13, v41
	;; [unrolled: 1-line block ×3, first 2 shown]
	v_pk_max_f16 v112, v112, v112
	v_pk_min_f16 v6, v7, v6
	v_pk_max_f16 v7, v113, v113
	v_pk_add_f16 v113, v9, v43
	v_pk_max_f16 v111, v111, v111
	v_pk_max_f16 v114, v114, v114
	v_pk_add_f16 v133, v11, v43
	v_pk_min_f16 v41, v112, v41
	v_pk_add_f16 v112, v13, v43
	v_pk_min_f16 v111, v111, v113
	v_pk_max_f16 v109, v109, v109
	v_pk_add_f16 v43, v15, v43
	v_pk_max_f16 v108, v108, v108
	v_pk_add_f16 v113, v9, v37
	v_pk_max_f16 v107, v107, v107
	v_pk_min_f16 v8, v114, v8
	v_pk_min_f16 v7, v7, v115
	v_pk_add_f16 v114, v11, v37
	v_pk_add_f16 v115, v13, v37
	v_pk_min_f16 v109, v109, v112
	v_pk_min_f16 v43, v108, v43
	;; [unrolled: 1-line block ×3, first 2 shown]
	v_pk_add_f16 v37, v15, v37
	v_pk_max_f16 v104, v104, v104
	v_pk_add_f16 v108, v9, v39
	v_pk_max_f16 v101, v101, v101
	v_pk_add_f16 v112, v11, v39
	v_pk_add_f16 v113, v13, v39
	;; [unrolled: 1-line block ×3, first 2 shown]
	v_pk_max_f16 v100, v100, v100
	v_pk_max_f16 v103, v103, v103
	v_pk_min_f16 v37, v104, v37
	v_pk_min_f16 v101, v101, v108
	v_pk_max_f16 v99, v99, v99
	v_pk_min_f16 v39, v100, v39
	v_pk_add_f16 v100, v9, v33
	v_pk_add_f16 v104, v11, v33
	;; [unrolled: 1-line block ×4, first 2 shown]
	v_pk_max_f16 v96, v96, v96
	v_pk_min_f16 v103, v103, v112
	v_pk_max_f16 v98, v98, v98
	v_pk_max_f16 v97, v97, v97
	v_pk_add_f16 v112, v9, v35
	v_pk_min_f16 v99, v99, v100
	v_pk_min_f16 v33, v96, v33
	v_pk_add_f16 v96, v11, v35
	v_pk_max_f16 v93, v93, v93
	v_pk_add_f16 v100, v13, v35
	v_pk_add_f16 v35, v15, v35
	v_pk_max_f16 v90, v90, v90
	v_pk_min_f16 v98, v98, v104
	v_pk_min_f16 v97, v97, v108
	v_pk_max_f16 v91, v91, v91
	v_pk_add_f16 v104, v9, v29
	v_pk_max_f16 v89, v89, v89
	v_pk_add_f16 v108, v11, v29
	v_pk_min_f16 v93, v93, v96
	v_pk_min_f16 v35, v90, v35
	v_pk_add_f16 v90, v13, v29
	v_pk_max_f16 v87, v87, v87
	v_pk_add_f16 v29, v15, v29
	v_pk_max_f16 v86, v86, v86
	;; [unrolled: 2-line block ×3, first 2 shown]
	v_pk_min_f16 v91, v91, v100
	v_pk_min_f16 v89, v89, v104
	v_pk_add_f16 v100, v11, v31
	v_pk_add_f16 v104, v13, v31
	v_pk_min_f16 v87, v87, v90
	v_pk_min_f16 v29, v86, v29
	;; [unrolled: 1-line block ×3, first 2 shown]
	v_pk_add_f16 v31, v15, v31
	v_pk_max_f16 v81, v81, v81
	v_pk_add_f16 v86, v9, v25
	v_pk_max_f16 v80, v80, v80
	v_pk_add_f16 v90, v11, v25
	v_pk_add_f16 v96, v13, v25
	;; [unrolled: 1-line block ×3, first 2 shown]
	v_pk_max_f16 v77, v77, v77
	v_pk_max_f16 v79, v79, v79
	v_pk_min_f16 v31, v81, v31
	v_pk_min_f16 v80, v80, v86
	v_pk_max_f16 v76, v76, v76
	v_pk_min_f16 v25, v77, v25
	v_pk_add_f16 v77, v9, v27
	v_pk_add_f16 v81, v11, v27
	;; [unrolled: 1-line block ×4, first 2 shown]
	v_pk_max_f16 v74, v74, v74
	v_pk_min_f16 v79, v79, v90
	v_pk_max_f16 v75, v75, v75
	v_pk_max_f16 v73, v73, v73
	v_pk_add_f16 v90, v9, v21
	v_pk_min_f16 v76, v76, v77
	v_pk_min_f16 v27, v74, v27
	v_pk_add_f16 v74, v11, v21
	v_pk_max_f16 v71, v71, v71
	v_pk_add_f16 v77, v13, v21
	v_pk_add_f16 v21, v15, v21
	v_pk_max_f16 v69, v69, v69
	v_pk_min_f16 v75, v75, v81
	v_pk_min_f16 v73, v73, v86
	v_pk_add_f16 v81, v9, v23
	v_pk_add_f16 v86, v11, v23
	v_pk_min_f16 v71, v71, v74
	v_pk_min_f16 v21, v69, v21
	v_pk_add_f16 v69, v13, v23
	v_pk_max_f16 v66, v66, v66
	v_pk_add_f16 v23, v15, v23
	v_pk_max_f16 v65, v65, v65
	;; [unrolled: 2-line block ×3, first 2 shown]
	v_pk_max_f16 v70, v70, v70
	v_pk_max_f16 v68, v68, v68
	v_pk_min_f16 v66, v66, v69
	v_pk_min_f16 v23, v65, v23
	;; [unrolled: 1-line block ×3, first 2 shown]
	v_pk_add_f16 v65, v9, v4
	v_pk_add_f16 v69, v11, v4
	;; [unrolled: 1-line block ×4, first 2 shown]
	v_pk_max_f16 v57, v57, v57
	v_pk_min_f16 v70, v70, v77
	v_pk_min_f16 v68, v68, v81
	v_pk_add_f16 v77, v11, v2
	v_pk_add_f16 v81, v13, v2
	;; [unrolled: 1-line block ×3, first 2 shown]
	v_pk_max_f16 v61, v61, v61
	v_pk_max_f16 v60, v60, v60
	v_pk_max_f16 v59, v59, v59
	v_pk_min_f16 v57, v57, v4
	v_pk_add_f16 v4, v9, v17
	v_pk_max_f16 v54, v54, v54
	v_pk_add_f16 v9, v9, v19
	v_pk_max_f16 v55, v55, v55
	v_pk_max_f16 v62, v62, v62
	;; [unrolled: 1-line block ×3, first 2 shown]
	v_pk_min_f16 v2, v61, v2
	v_pk_min_f16 v60, v60, v65
	;; [unrolled: 1-line block ×3, first 2 shown]
	v_pk_add_f16 v61, v11, v17
	v_pk_add_f16 v65, v13, v17
	v_pk_add_f16 v17, v15, v17
	v_pk_min_f16 v54, v54, v4
	v_pk_min_f16 v69, v55, v9
	v_pk_add_f16 v4, v11, v19
	v_pk_max_f16 v9, v52, v52
	v_pk_add_f16 v11, v13, v19
	v_pk_add_f16 v15, v15, v19
	;; [unrolled: 1-line block ×3, first 2 shown]
	v_pk_max_f16 v67, v67, v67
	v_pk_min_f16 v62, v62, v81
	v_pk_min_f16 v58, v58, v74
	v_pk_min_f16 v74, v9, v4
	v_pk_add_f16 v4, v12, v42
	v_pk_min_f16 v81, v6, v19
	v_pk_add_f16 v6, v14, v42
	v_pk_max_f16 v72, v72, v72
	v_pk_min_f16 v67, v67, v86
	v_pk_min_f16 v86, v8, v4
	v_pk_add_f16 v4, v16, v42
	v_pk_min_f16 v42, v7, v6
	v_pk_add_f16 v6, v14, v44
	v_pk_max_f16 v82, v82, v82
	v_pk_min_f16 v72, v72, v90
	v_pk_add_f16 v8, v10, v44
	v_pk_add_f16 v9, v12, v44
	v_pk_min_f16 v90, v41, v4
	v_pk_add_f16 v4, v16, v44
	v_pk_min_f16 v44, v109, v6
	v_pk_add_f16 v6, v10, v38
	v_pk_max_f16 v110, v110, v110
	v_pk_min_f16 v82, v82, v104
	v_pk_min_f16 v43, v43, v4
	v_pk_add_f16 v4, v16, v38
	v_pk_min_f16 v104, v107, v6
	v_pk_add_f16 v6, v10, v40
	v_pk_min_f16 v110, v110, v133
	v_pk_max_f16 v106, v106, v106
	v_pk_min_f16 v133, v37, v4
	v_pk_add_f16 v4, v12, v40
	v_pk_min_f16 v101, v101, v6
	v_pk_add_f16 v6, v10, v34
	v_pk_max_f16 v105, v105, v105
	v_pk_max_f16 v78, v78, v78
	v_pk_min_f16 v103, v103, v4
	v_pk_add_f16 v4, v12, v34
	v_pk_min_f16 v99, v99, v6
	v_pk_add_f16 v6, v14, v34
	v_pk_min_f16 v106, v106, v114
	v_pk_min_f16 v105, v105, v115
	v_pk_max_f16 v102, v102, v102
	v_pk_min_f16 v78, v78, v96
	v_pk_min_f16 v96, v111, v8
	v_pk_add_f16 v7, v12, v38
	v_pk_add_f16 v8, v14, v38
	v_pk_min_f16 v98, v98, v4
	v_pk_add_f16 v4, v12, v36
	v_pk_min_f16 v97, v97, v6
	v_pk_add_f16 v6, v14, v36
	v_pk_min_f16 v102, v102, v113
	v_pk_max_f16 v95, v95, v95
	v_pk_min_f16 v106, v106, v7
	v_pk_min_f16 v105, v105, v8
	v_pk_add_f16 v7, v14, v40
	v_pk_add_f16 v8, v16, v40
	v_pk_min_f16 v93, v93, v4
	v_pk_add_f16 v4, v16, v36
	v_pk_min_f16 v91, v91, v6
	v_pk_add_f16 v6, v14, v30
	;; [unrolled: 10-line block ×4, first 2 shown]
	v_pk_min_f16 v84, v84, v100
	v_pk_min_f16 v89, v89, v7
	v_pk_min_f16 v88, v88, v8
	v_pk_add_f16 v7, v12, v32
	v_pk_add_f16 v8, v14, v32
	v_pk_min_f16 v140, v31, v4
	v_pk_add_f16 v4, v12, v26
	v_pk_min_f16 v80, v80, v6
	v_pk_add_f16 v6, v10, v28
	v_pk_min_f16 v84, v84, v7
	v_pk_min_f16 v82, v82, v8
	v_pk_add_f16 v7, v14, v26
	v_pk_add_f16 v8, v16, v26
	v_pk_min_f16 v79, v79, v4
	v_pk_add_f16 v4, v12, v28
	v_pk_min_f16 v39, v76, v6
	v_pk_add_f16 v6, v14, v28
	v_pk_min_f16 v78, v78, v7
	v_pk_min_f16 v41, v25, v8
	;; [unrolled: 8-line block ×3, first 2 shown]
	v_pk_min_f16 v34, v71, v4
	v_pk_add_f16 v4, v16, v22
	v_pk_add_f16 v7, v10, v24
	;; [unrolled: 1-line block ×3, first 2 shown]
	v_pk_min_f16 v36, v70, v6
	v_pk_add_f16 v6, v14, v24
	v_pk_max_f16 v53, v53, v53
	v_pk_max_f16 v50, v50, v50
	;; [unrolled: 1-line block ×3, first 2 shown]
	v_pk_min_f16 v33, v21, v4
	v_pk_min_f16 v32, v68, v7
	;; [unrolled: 1-line block ×3, first 2 shown]
	v_pk_add_f16 v4, v16, v24
	v_pk_min_f16 v30, v66, v6
	v_pk_add_f16 v6, v10, v3
	v_pk_add_f16 v7, v12, v3
	;; [unrolled: 1-line block ×4, first 2 shown]
	v_pk_max_f16 v63, v63, v63
	v_pk_min_f16 v53, v53, v61
	v_pk_min_f16 v61, v50, v65
	;; [unrolled: 1-line block ×3, first 2 shown]
	v_pk_max_f16 v17, v49, v49
	v_pk_min_f16 v29, v23, v4
	v_pk_add_f16 v4, v10, v5
	v_pk_min_f16 v21, v2, v3
	v_pk_add_f16 v2, v12, v5
	v_pk_add_f16 v3, v14, v5
	v_pk_min_f16 v63, v63, v77
	v_pk_max_f16 v13, v51, v51
	v_pk_min_f16 v77, v17, v15
	v_pk_min_f16 v28, v64, v6
	v_pk_add_f16 v6, v16, v5
	v_pk_min_f16 v22, v60, v4
	v_pk_min_f16 v19, v59, v2
	v_pk_min_f16 v15, v58, v3
	ds_read2_b64 v[2:5], v94 offset1:32
	ds_read2_b64 v[49:52], v116 offset1:8
	v_pk_min_f16 v100, v110, v9
	v_pk_min_f16 v27, v63, v7
	;; [unrolled: 1-line block ×4, first 2 shown]
	ds_read2_b64 v[6:9], v94 offset0:64 offset1:96
	v_pk_min_f16 v11, v13, v11
	v_pk_add_f16 v13, v10, v18
	v_pk_add_f16 v17, v12, v18
	;; [unrolled: 1-line block ×4, first 2 shown]
	v_pk_max_f16 v86, v86, v86
	v_pk_min_f16 v24, v54, v13
	v_pk_add_f16 v13, v16, v18
	v_pk_add_f16 v18, v14, v20
	v_pk_min_f16 v23, v53, v17
	v_pk_min_f16 v17, v61, v55
	ds_read2_b64 v[53:56], v116 offset0:16 offset1:24
	v_pk_min_f16 v14, v65, v13
	v_pk_min_f16 v13, v69, v10
	;; [unrolled: 1-line block ×3, first 2 shown]
	s_waitcnt lgkmcnt(2)
	v_pk_add_f16 v18, v4, v49
	v_pk_add_f16 v12, v12, v20
	;; [unrolled: 1-line block ×4, first 2 shown]
	s_waitcnt lgkmcnt(1)
	v_pk_add_f16 v20, v6, v49
	v_pk_max_f16 v42, v42, v42
	v_pk_min_f16 v18, v86, v18
	v_pk_min_f16 v11, v77, v16
	v_pk_add_f16 v16, v2, v49
	v_pk_add_f16 v49, v8, v49
	v_pk_add_f16 v109, v7, v50
	v_pk_min_f16 v20, v42, v20
	v_pk_min_f16 v114, v18, v108
	v_pk_max_f16 v18, v90, v90
	v_pk_add_f16 v69, v2, v51
	v_pk_add_f16 v70, v4, v51
	v_pk_min_f16 v113, v20, v109
	v_pk_max_f16 v20, v96, v96
	v_pk_min_f16 v18, v18, v49
	v_pk_max_f16 v49, v100, v100
	v_pk_add_f16 v71, v6, v51
	v_pk_add_f16 v51, v8, v51
	;; [unrolled: 1-line block ×4, first 2 shown]
	v_pk_min_f16 v20, v20, v69
	v_pk_min_f16 v49, v49, v70
	v_pk_max_f16 v44, v44, v44
	v_pk_max_f16 v43, v43, v43
	s_waitcnt lgkmcnt(0)
	v_pk_add_f16 v72, v2, v53
	v_pk_max_f16 v81, v81, v81
	v_pk_add_f16 v141, v7, v52
	v_pk_add_f16 v52, v9, v52
	v_pk_min_f16 v111, v20, v110
	v_pk_min_f16 v110, v49, v136
	v_pk_max_f16 v49, v104, v104
	v_pk_min_f16 v44, v44, v71
	v_pk_min_f16 v43, v43, v51
	;; [unrolled: 1-line block ×3, first 2 shown]
	ds_read2_b64 v[57:60], v116 offset0:32 offset1:40
	v_pk_add_f16 v73, v4, v53
	v_pk_add_f16 v74, v6, v53
	;; [unrolled: 1-line block ×5, first 2 shown]
	v_pk_min_f16 v16, v81, v16
	v_pk_add_f16 v51, v3, v54
	v_pk_min_f16 v49, v49, v72
	v_pk_min_f16 v109, v44, v141
	;; [unrolled: 1-line block ×3, first 2 shown]
	v_pk_max_f16 v43, v105, v105
	v_pk_max_f16 v44, v133, v133
	v_pk_min_f16 v115, v16, v107
	v_pk_min_f16 v112, v18, v50
	v_pk_max_f16 v50, v106, v106
	v_pk_min_f16 v107, v49, v51
	v_pk_add_f16 v49, v7, v54
	v_pk_min_f16 v43, v43, v74
	v_pk_add_f16 v51, v9, v54
	;; [unrolled: 2-line block ×3, first 2 shown]
	v_pk_add_f16 v77, v6, v55
	v_pk_add_f16 v70, v5, v54
	v_pk_min_f16 v50, v50, v73
	v_pk_min_f16 v105, v43, v49
	v_pk_max_f16 v43, v103, v103
	v_pk_min_f16 v104, v44, v51
	v_pk_max_f16 v44, v102, v102
	ds_read2_b64 v[61:64], v116 offset0:48 offset1:56
	ds_read2_b64 v[65:68], v116 offset0:64 offset1:72
	v_pk_add_f16 v75, v2, v55
	v_pk_add_f16 v55, v8, v55
	v_pk_min_f16 v106, v50, v70
	v_pk_add_f16 v53, v5, v56
	v_pk_min_f16 v43, v43, v76
	v_pk_add_f16 v70, v7, v56
	v_pk_max_f16 v54, v134, v134
	v_pk_min_f16 v44, v44, v77
	s_waitcnt lgkmcnt(2)
	v_pk_add_f16 v142, v4, v57
	v_pk_add_f16 v143, v6, v57
	v_pk_max_f16 v50, v101, v101
	v_pk_add_f16 v71, v9, v56
	v_pk_min_f16 v103, v43, v53
	v_pk_min_f16 v43, v54, v55
	v_pk_max_f16 v77, v98, v98
	v_pk_min_f16 v102, v44, v70
	v_pk_max_f16 v44, v97, v97
	v_pk_add_f16 v135, v2, v57
	v_pk_add_f16 v52, v3, v56
	v_pk_min_f16 v50, v50, v75
	v_pk_add_f16 v73, v5, v58
	v_pk_add_f16 v74, v7, v58
	v_pk_max_f16 v56, v99, v99
	v_pk_min_f16 v100, v43, v71
	v_pk_min_f16 v43, v77, v142
	;; [unrolled: 1-line block ×3, first 2 shown]
	v_pk_add_f16 v57, v8, v57
	v_pk_add_f16 v81, v2, v59
	v_pk_min_f16 v101, v50, v52
	v_pk_add_f16 v72, v3, v58
	ds_read2_b64 v[49:52], v116 offset0:80 offset1:88
	v_pk_min_f16 v96, v56, v135
	v_pk_min_f16 v98, v43, v73
	v_pk_max_f16 v43, v137, v137
	v_pk_min_f16 v97, v44, v74
	v_pk_max_f16 v44, v95, v95
	v_pk_add_f16 v86, v4, v59
	v_pk_add_f16 v58, v9, v58
	;; [unrolled: 1-line block ×3, first 2 shown]
	v_pk_min_f16 v99, v96, v72
	s_waitcnt lgkmcnt(1)
	v_pk_add_f16 v70, v2, v65
	v_pk_add_f16 v71, v4, v65
	;; [unrolled: 1-line block ×3, first 2 shown]
	v_pk_min_f16 v43, v43, v57
	v_pk_add_f16 v57, v8, v65
	v_pk_max_f16 v65, v93, v93
	v_pk_min_f16 v44, v44, v81
	v_pk_add_f16 v16, v6, v59
	v_pk_add_f16 v76, v5, v60
	v_pk_min_f16 v96, v43, v58
	v_pk_min_f16 v58, v65, v86
	;; [unrolled: 1-line block ×3, first 2 shown]
	v_pk_max_f16 v44, v91, v91
	v_pk_add_f16 v42, v8, v59
	v_pk_add_f16 v59, v2, v61
	;; [unrolled: 1-line block ×3, first 2 shown]
	v_pk_min_f16 v93, v58, v76
	v_pk_max_f16 v58, v138, v138
	v_pk_min_f16 v16, v44, v16
	v_pk_max_f16 v75, v89, v89
	v_pk_add_f16 v144, v4, v61
	v_pk_add_f16 v145, v6, v61
	;; [unrolled: 1-line block ×3, first 2 shown]
	s_waitcnt lgkmcnt(0)
	v_pk_add_f16 v74, v2, v49
	v_pk_add_f16 v44, v4, v49
	v_pk_min_f16 v42, v58, v42
	v_pk_add_f16 v58, v6, v49
	v_pk_min_f16 v91, v16, v90
	;; [unrolled: 2-line block ×3, first 2 shown]
	v_pk_max_f16 v75, v139, v139
	v_pk_add_f16 v141, v3, v62
	v_pk_add_f16 v146, v5, v62
	;; [unrolled: 1-line block ×4, first 2 shown]
	v_pk_min_f16 v61, v75, v61
	v_pk_add_f16 v20, v6, v63
	v_pk_add_f16 v18, v2, v63
	;; [unrolled: 1-line block ×4, first 2 shown]
	v_pk_min_f16 v86, v61, v62
	v_pk_max_f16 v62, v82, v82
	v_pk_add_f16 v43, v4, v67
	v_pk_max_f16 v61, v84, v84
	v_pk_max_f16 v40, v40, v40
	v_pk_add_f16 v149, v5, v64
	v_pk_min_f16 v20, v62, v20
	v_pk_max_f16 v62, v140, v140
	v_pk_min_f16 v61, v61, v69
	v_pk_min_f16 v40, v40, v43
	v_pk_add_f16 v43, v5, v68
	v_pk_max_f16 v34, v34, v34
	v_pk_min_f16 v62, v62, v63
	v_pk_max_f16 v63, v79, v79
	v_pk_add_f16 v148, v3, v64
	v_pk_add_f16 v150, v7, v64
	;; [unrolled: 1-line block ×3, first 2 shown]
	ds_read2_b64 v[53:56], v116 offset0:96 offset1:104
	v_pk_min_f16 v84, v61, v149
	v_pk_max_f16 v61, v80, v80
	v_pk_max_f16 v69, v78, v78
	v_pk_min_f16 v63, v63, v71
	v_pk_add_f16 v71, v5, v66
	v_pk_min_f16 v75, v40, v43
	v_pk_add_f16 v40, v5, v50
	v_pk_min_f16 v34, v34, v44
	v_pk_max_f16 v33, v33, v33
	v_pk_add_f16 v60, v9, v60
	v_pk_add_f16 v73, v2, v67
	v_pk_min_f16 v61, v61, v70
	v_pk_add_f16 v70, v3, v66
	v_pk_min_f16 v69, v69, v72
	v_pk_min_f16 v81, v62, v64
	v_pk_add_f16 v62, v7, v66
	v_pk_max_f16 v41, v41, v41
	v_pk_min_f16 v79, v63, v71
	v_pk_max_f16 v39, v39, v39
	v_pk_min_f16 v71, v34, v40
	v_pk_add_f16 v34, v9, v50
	v_pk_min_f16 v16, v33, v16
	v_pk_add_f16 v59, v2, v51
	v_pk_min_f16 v90, v42, v60
	v_pk_max_f16 v42, v88, v88
	v_pk_add_f16 v60, v4, v51
	v_pk_min_f16 v89, v49, v141
	v_pk_max_f16 v49, v87, v87
	v_pk_add_f16 v137, v6, v51
	v_pk_add_f16 v51, v8, v51
	v_pk_min_f16 v80, v61, v70
	v_pk_min_f16 v78, v69, v62
	;; [unrolled: 1-line block ×3, first 2 shown]
	v_pk_add_f16 v57, v9, v66
	v_pk_min_f16 v39, v39, v73
	v_pk_add_f16 v61, v3, v68
	v_pk_max_f16 v35, v35, v35
	v_pk_max_f16 v36, v36, v36
	v_pk_min_f16 v69, v16, v34
	v_pk_max_f16 v16, v29, v29
	ds_read2_b64 v[133:136], v116 offset0:112 offset1:120
	v_pk_add_f16 v65, v6, v67
	v_pk_min_f16 v42, v42, v144
	v_pk_min_f16 v49, v49, v145
	v_pk_max_f16 v38, v38, v38
	v_pk_min_f16 v77, v41, v57
	v_pk_min_f16 v76, v39, v61
	v_pk_add_f16 v39, v3, v50
	v_pk_min_f16 v35, v35, v74
	v_pk_add_f16 v41, v7, v50
	v_pk_min_f16 v36, v36, v58
	v_pk_max_f16 v31, v31, v31
	v_pk_max_f16 v30, v30, v30
	v_pk_add_f16 v29, v9, v52
	v_pk_min_f16 v16, v16, v51
	v_pk_add_f16 v67, v8, v67
	s_waitcnt lgkmcnt(1)
	v_pk_add_f16 v138, v2, v53
	v_pk_min_f16 v88, v42, v146
	v_pk_add_f16 v42, v4, v53
	v_pk_add_f16 v139, v6, v53
	v_pk_min_f16 v87, v49, v147
	v_pk_add_f16 v49, v8, v53
	v_pk_max_f16 v53, v85, v85
	v_pk_min_f16 v38, v38, v65
	v_pk_max_f16 v37, v37, v37
	v_pk_min_f16 v72, v35, v39
	v_pk_min_f16 v70, v36, v41
	v_pk_max_f16 v32, v32, v32
	v_pk_add_f16 v35, v5, v52
	v_pk_min_f16 v31, v31, v60
	v_pk_add_f16 v36, v7, v52
	v_pk_min_f16 v30, v30, v137
	v_pk_max_f16 v28, v28, v28
	v_pk_max_f16 v27, v27, v27
	v_pk_min_f16 v65, v16, v29
	v_pk_max_f16 v16, v21, v21
	v_pk_min_f16 v18, v53, v18
	v_pk_add_f16 v53, v4, v55
	v_pk_add_f16 v142, v6, v55
	;; [unrolled: 1-line block ×3, first 2 shown]
	v_pk_min_f16 v37, v37, v67
	v_pk_add_f16 v33, v3, v52
	v_pk_min_f16 v32, v32, v59
	v_pk_min_f16 v67, v31, v35
	;; [unrolled: 1-line block ×3, first 2 shown]
	v_pk_add_f16 v30, v3, v54
	v_pk_max_f16 v25, v25, v25
	v_pk_min_f16 v28, v28, v138
	v_pk_add_f16 v31, v5, v54
	v_pk_min_f16 v27, v27, v42
	v_pk_add_f16 v21, v9, v54
	v_pk_min_f16 v16, v16, v49
	v_pk_max_f16 v19, v19, v19
	v_pk_max_f16 v15, v15, v15
	v_pk_add_f16 v141, v2, v55
	v_pk_add_f16 v55, v8, v55
	v_pk_min_f16 v73, v38, v62
	v_pk_add_f16 v38, v9, v68
	v_pk_min_f16 v68, v32, v33
	;; [unrolled: 2-line block ×3, first 2 shown]
	v_pk_min_f16 v64, v28, v30
	v_pk_min_f16 v63, v27, v31
	v_pk_max_f16 v22, v22, v22
	v_pk_add_f16 v27, v5, v56
	v_pk_min_f16 v19, v19, v53
	v_pk_add_f16 v28, v7, v56
	v_pk_min_f16 v15, v15, v142
	v_pk_min_f16 v61, v16, v21
	v_pk_max_f16 v16, v26, v26
	v_pk_min_f16 v85, v18, v148
	s_waitcnt lgkmcnt(0)
	v_pk_add_f16 v18, v2, v133
	v_pk_add_f16 v140, v4, v133
	v_pk_min_f16 v82, v20, v150
	v_pk_add_f16 v20, v6, v133
	v_pk_add_f16 v133, v8, v133
	;; [unrolled: 1-line block ×6, first 2 shown]
	v_pk_min_f16 v62, v25, v32
	v_pk_add_f16 v25, v3, v56
	v_pk_min_f16 v22, v22, v141
	v_pk_min_f16 v59, v19, v27
	;; [unrolled: 1-line block ×3, first 2 shown]
	v_pk_add_f16 v15, v9, v56
	v_pk_max_f16 v19, v24, v24
	v_pk_min_f16 v16, v16, v55
	v_pk_max_f16 v21, v23, v23
	v_pk_max_f16 v17, v17, v17
	;; [unrolled: 1-line block ×7, first 2 shown]
	v_add_co_u32 v121, vcc_lo, v121, 16
	v_add_co_ci_u32_e64 v122, null, 0, v122, vcc_lo
	v_add_co_u32 v123, vcc_lo, v123, 16
	v_pk_min_f16 v60, v22, v25
	v_pk_add_f16 v22, v3, v134
	v_pk_min_f16 v18, v19, v18
	v_pk_add_f16 v19, v5, v134
	;; [unrolled: 2-line block ×3, first 2 shown]
	v_pk_min_f16 v17, v17, v20
	v_pk_min_f16 v57, v16, v15
	v_pk_add_f16 v15, v9, v134
	v_pk_min_f16 v14, v14, v133
	v_pk_add_f16 v3, v3, v136
	v_pk_min_f16 v2, v13, v2
	v_pk_add_f16 v5, v5, v136
	v_pk_min_f16 v4, v12, v4
	v_pk_add_f16 v7, v7, v136
	v_pk_min_f16 v6, v10, v6
	v_pk_add_f16 v9, v9, v136
	v_pk_min_f16 v8, v11, v8
	v_add_co_ci_u32_e64 v124, null, 0, v124, vcc_lo
	v_add_co_u32 v125, vcc_lo, v125, 16
	v_add_co_ci_u32_e64 v126, null, 0, v126, vcc_lo
	v_add_co_u32 v127, vcc_lo, v127, 16
	v_pk_min_f16 v74, v37, v38
	v_pk_min_f16 v54, v18, v22
	;; [unrolled: 1-line block ×9, first 2 shown]
	v_add_co_ci_u32_e64 v128, null, 0, v128, vcc_lo
	s_add_i32 s3, s3, 8
	ds_write_b16 v117, v129
	ds_write_b16 v117, v130 offset:512
	ds_write_b16 v118, v131
	ds_write_b16 v118, v132 offset:512
	s_cmp_ge_i32 s3, s2
	s_waitcnt lgkmcnt(0)
	s_barrier
	buffer_gl0_inv
	s_cbranch_scc1 .LBB264_27
.LBB264_19:                             ; =>This Inner Loop Header: Depth=1
	v_mov_b32_e32 v6, 0
	s_and_b32 vcc_lo, exec_lo, s1
	s_cbranch_vccnz .LBB264_21
; %bb.20:                               ;   in Loop: Header=BB264_19 Depth=1
	v_add_co_u32 v2, vcc_lo, v127, v46
	v_add_co_ci_u32_e64 v3, null, 0, v128, vcc_lo
	global_load_ushort v2, v[2:3], off offset:16
	s_waitcnt vmcnt(0)
	v_mul_f16_e32 v6, v45, v2
.LBB264_21:                             ;   in Loop: Header=BB264_19 Depth=1
	v_mov_b32_e32 v129, 0
	v_mov_b32_e32 v7, 0
	;; [unrolled: 1-line block ×4, first 2 shown]
	s_and_b32 vcc_lo, exec_lo, s1
	s_cbranch_vccnz .LBB264_23
; %bb.22:                               ;   in Loop: Header=BB264_19 Depth=1
	v_add_co_u32 v2, vcc_lo, v125, v46
	v_add_co_ci_u32_e64 v3, null, 0, v126, vcc_lo
	v_add_co_u32 v4, vcc_lo, v123, v46
	v_add_co_ci_u32_e64 v5, null, 0, v124, vcc_lo
	;; [unrolled: 2-line block ×3, first 2 shown]
	global_load_ushort v2, v[2:3], off offset:16
	global_load_ushort v3, v[4:5], off offset:16
	;; [unrolled: 1-line block ×3, first 2 shown]
	s_waitcnt vmcnt(2)
	v_mul_f16_e32 v7, v45, v2
	s_waitcnt vmcnt(1)
	v_mul_f16_e32 v8, v45, v3
	;; [unrolled: 2-line block ×3, first 2 shown]
.LBB264_23:                             ;   in Loop: Header=BB264_19 Depth=1
	ds_read2_b64 v[9:12], v119 offset1:32
	ds_read2_b64 v[13:16], v119 offset0:64 offset1:96
	ds_read2_b64 v[41:44], v120 offset1:8
	ds_read2_b64 v[37:40], v120 offset0:16 offset1:24
	ds_read2_b64 v[33:36], v120 offset0:32 offset1:40
	;; [unrolled: 1-line block ×7, first 2 shown]
	s_and_b32 vcc_lo, exec_lo, s1
	ds_write_b16 v47, v6
	ds_write_b16 v47, v7 offset:512
	ds_write_b16 v83, v8
	ds_write_b16 v83, v130 offset:512
	s_waitcnt lgkmcnt(0)
	s_barrier
	buffer_gl0_inv
	s_cbranch_vccnz .LBB264_25
; %bb.24:                               ;   in Loop: Header=BB264_19 Depth=1
	v_add_co_u32 v6, vcc_lo, v127, v46
	v_add_co_ci_u32_e64 v7, null, 0, v128, vcc_lo
	global_load_ushort v6, v[6:7], off offset:24
	s_waitcnt vmcnt(0)
	v_mul_f16_e32 v129, v45, v6
.LBB264_25:                             ;   in Loop: Header=BB264_19 Depth=1
	s_and_b32 vcc_lo, exec_lo, s1
	s_cbranch_vccz .LBB264_17
; %bb.26:                               ;   in Loop: Header=BB264_19 Depth=1
	v_mov_b32_e32 v130, 0
	v_mov_b32_e32 v131, 0
	v_mov_b32_e32 v132, 0
	s_branch .LBB264_18
.LBB264_27:
	s_load_dword s3, s[4:5], 0x58
	v_add_nc_u32_e32 v83, s7, v1
	ds_read_b64 v[38:39], v94 offset:1024
	ds_read_b64 v[46:47], v92 offset:3072
	v_add_nc_u32_e32 v44, s6, v0
	v_cmp_neq_f16_e64 s2, 0, v48
	v_mov_b32_e32 v40, 0
	v_mov_b32_e32 v41, 0
	v_ashrrev_i32_e32 v45, 31, v44
	s_and_b32 vcc_lo, exec_lo, s2
	v_lshlrev_b64 v[36:37], 1, v[44:45]
	s_waitcnt lgkmcnt(0)
	v_mad_i64_i32 v[1:2], null, v83, s3, 0
	v_lshlrev_b64 v[0:1], 1, v[1:2]
	v_add_co_u32 v116, s1, s8, v0
	v_add_co_ci_u32_e64 v117, null, s9, v1, s1
	s_cbranch_vccz .LBB264_29
; %bb.28:
	v_add_co_u32 v0, vcc_lo, v116, v36
	v_add_co_ci_u32_e64 v1, null, v117, v37, vcc_lo
	global_load_ushort v0, v[0:1], off
	s_waitcnt vmcnt(0)
	v_mul_f16_e32 v0, v48, v0
	v_cvt_f32_f16_e32 v41, v0
.LBB264_29:
	s_clause 0x1
	s_load_dwordx2 s[6:7], s[4:5], 0x78
	s_load_dword s4, s[4:5], 0x70
	v_pk_add_f16 v5, v38, v46
	v_pk_add_f16 v34, v39, v47
	v_max_f16_e32 v6, v115, v115
	v_lshrrev_b32_e32 v7, 16, v115
	v_add_nc_u32_e32 v4, 0x800, v92
	v_lshrrev_b32_e32 v35, 16, v5
	v_lshrrev_b32_e32 v42, 16, v34
	v_min_f16_e32 v45, v6, v5
	ds_read2_b64 v[0:3], v94 offset0:160 offset1:192
	ds_read_b64 v[32:33], v94 offset:1792
	ds_read2_b64 v[28:31], v4 offset0:136 offset1:144
	ds_read2_b64 v[24:27], v4 offset0:152 offset1:160
	;; [unrolled: 1-line block ×6, first 2 shown]
	v_min3_f16 v35, v7, v35, v42
	ds_read2_b64 v[4:7], v4 offset0:232 offset1:240
	v_add_nc_u32_e32 v118, 32, v44
	v_min3_f16 v45, v45, v34, v35
	ds_read_b64 v[34:35], v92 offset:4032
	s_waitcnt lgkmcnt(0)
	s_mul_i32 s1, s7, s16
	v_mad_i64_i32 v[42:43], null, v83, s4, 0
	s_mul_hi_u32 s5, s6, s16
	s_mul_i32 s6, s6, s16
	s_add_i32 s7, s5, s1
	v_max_f32_e32 v92, v41, v41
	v_cvt_f32_f16_e32 v45, v45
	s_lshl_b64 s[6:7], s[6:7], 1
	v_lshlrev_b64 v[41:42], 1, v[42:43]
	s_add_u32 s5, s10, s6
	s_addc_u32 s6, s11, s7
	v_min_f32_e32 v43, v92, v45
	v_ashrrev_i32_e32 v119, 31, v118
	v_cndmask_b32_e64 v45, 0, 1, s2
	v_add_co_u32 v92, vcc_lo, s5, v41
	v_add_co_ci_u32_e64 v94, null, s6, v42, vcc_lo
	v_cvt_f16_f32_e32 v41, v43
	v_add_co_u32 v120, vcc_lo, v92, v36
	v_lshlrev_b64 v[42:43], 1, v[118:119]
	v_cmp_ne_u32_e64 s1, 1, v45
	v_add_co_ci_u32_e64 v121, null, v94, v37, vcc_lo
	s_andn2_b32 vcc_lo, exec_lo, s2
	global_store_short v[120:121], v41, off
	s_cbranch_vccnz .LBB264_31
; %bb.30:
	v_add_co_u32 v40, vcc_lo, v116, v42
	v_add_co_ci_u32_e64 v41, null, v117, v43, vcc_lo
	global_load_ushort v40, v[40:41], off
	s_waitcnt vmcnt(0)
	v_mul_f16_e32 v40, v48, v40
	v_cvt_f32_f16_e32 v40, v40
.LBB264_31:
	v_pk_add_f16 v41, v0, v46
	v_pk_add_f16 v45, v1, v47
	v_max_f16_e32 v115, v114, v114
	v_lshrrev_b32_e32 v114, 16, v114
	v_max_f32_e32 v40, v40, v40
	v_lshrrev_b32_e32 v118, 16, v41
	v_lshrrev_b32_e32 v119, 16, v45
	v_min_f16_e32 v41, v115, v41
	v_add_co_u32 v120, vcc_lo, v92, v42
	v_add_co_ci_u32_e64 v121, null, v94, v43, vcc_lo
	v_min3_f16 v114, v114, v118, v119
	v_add_nc_u32_e32 v118, 64, v44
	s_and_b32 vcc_lo, exec_lo, s1
	v_min3_f16 v41, v41, v45, v114
	v_ashrrev_i32_e32 v119, 31, v118
	v_mov_b32_e32 v114, 0
	v_mov_b32_e32 v45, 0
	v_cvt_f32_f16_e32 v41, v41
	v_min_f32_e32 v40, v40, v41
	v_cvt_f16_f32_e32 v115, v40
	v_lshlrev_b64 v[40:41], 1, v[118:119]
	global_store_short v[120:121], v115, off
	s_cbranch_vccnz .LBB264_33
; %bb.32:
	v_add_co_u32 v118, vcc_lo, v116, v40
	v_add_co_ci_u32_e64 v119, null, v117, v41, vcc_lo
	global_load_ushort v45, v[118:119], off
	s_waitcnt vmcnt(0)
	v_mul_f16_e32 v45, v48, v45
	v_cvt_f32_f16_e32 v45, v45
.LBB264_33:
	v_pk_add_f16 v115, v2, v46
	v_pk_add_f16 v118, v3, v47
	v_max_f16_e32 v119, v113, v113
	v_lshrrev_b32_e32 v113, 16, v113
	v_add_nc_u32_e32 v44, 0x60, v44
	v_lshrrev_b32_e32 v120, 16, v115
	v_lshrrev_b32_e32 v121, 16, v118
	v_min_f16_e32 v115, v119, v115
	v_min3_f16 v113, v113, v120, v121
	v_min3_f16 v113, v115, v118, v113
	v_max_f32_e32 v115, v45, v45
	v_ashrrev_i32_e32 v45, 31, v44
	v_add_co_u32 v118, vcc_lo, v92, v40
	v_cvt_f32_f16_e32 v113, v113
	v_add_co_ci_u32_e64 v119, null, v94, v41, vcc_lo
	v_lshlrev_b64 v[44:45], 1, v[44:45]
	s_and_b32 vcc_lo, exec_lo, s1
	v_min_f32_e32 v113, v115, v113
	v_cvt_f16_f32_e32 v113, v113
	global_store_short v[118:119], v113, off
	s_cbranch_vccnz .LBB264_35
; %bb.34:
	v_add_co_u32 v113, vcc_lo, v116, v44
	v_add_co_ci_u32_e64 v114, null, v117, v45, vcc_lo
	global_load_ushort v113, v[113:114], off
	s_waitcnt vmcnt(0)
	v_mul_f16_e32 v113, v48, v113
	v_cvt_f32_f16_e32 v114, v113
.LBB264_35:
	v_pk_add_f16 v46, v32, v46
	v_pk_add_f16 v115, v33, v47
	v_max_f16_e32 v47, v112, v112
	v_lshrrev_b32_e32 v112, 16, v112
	v_add_nc_u32_e32 v113, 8, v83
	v_lshrrev_b32_e32 v116, 16, v46
	v_lshrrev_b32_e32 v117, 16, v115
	v_min_f16_e32 v118, v47, v46
	v_mad_i64_i32 v[46:47], null, v113, s3, 0
	v_min3_f16 v112, v112, v116, v117
	v_max_f32_e32 v116, v114, v114
	v_add_co_u32 v114, vcc_lo, v92, v44
	v_min3_f16 v112, v118, v115, v112
	v_lshlrev_b64 v[46:47], 1, v[46:47]
	v_add_co_ci_u32_e64 v115, null, v94, v45, vcc_lo
	v_cvt_f32_f16_e32 v112, v112
	v_add_co_u32 v46, vcc_lo, s8, v46
	v_add_co_ci_u32_e64 v47, null, s9, v47, vcc_lo
	v_min_f32_e32 v92, v116, v112
	v_mov_b32_e32 v112, 0
	s_and_b32 vcc_lo, exec_lo, s1
	v_cvt_f16_f32_e32 v94, v92
	v_mov_b32_e32 v92, 0
	global_store_short v[114:115], v94, off
	s_cbranch_vccnz .LBB264_37
; %bb.36:
	v_add_co_u32 v114, vcc_lo, v46, v36
	v_add_co_ci_u32_e64 v115, null, v47, v37, vcc_lo
	global_load_ushort v92, v[114:115], off
	s_waitcnt vmcnt(0)
	v_mul_f16_e32 v92, v48, v92
	v_cvt_f32_f16_e32 v92, v92
.LBB264_37:
	v_pk_add_f16 v94, v38, v28
	v_pk_add_f16 v115, v39, v29
	v_max_f16_e32 v114, v111, v111
	v_lshrrev_b32_e32 v111, 16, v111
	v_max_f32_e32 v92, v92, v92
	v_lshrrev_b32_e32 v116, 16, v94
	v_lshrrev_b32_e32 v117, 16, v115
	v_min_f16_e32 v94, v114, v94
	v_mad_i64_i32 v[113:114], null, v113, s4, 0
	v_min3_f16 v111, v111, v116, v117
	v_lshlrev_b64 v[113:114], 1, v[113:114]
	v_min3_f16 v94, v94, v115, v111
	v_cvt_f32_f16_e32 v94, v94
	v_min_f32_e32 v111, v92, v94
	v_add_co_u32 v92, vcc_lo, s5, v113
	v_add_co_ci_u32_e64 v94, null, s6, v114, vcc_lo
	v_cvt_f16_f32_e32 v111, v111
	v_add_co_u32 v113, vcc_lo, v92, v36
	v_add_co_ci_u32_e64 v114, null, v94, v37, vcc_lo
	s_and_b32 vcc_lo, exec_lo, s1
	global_store_short v[113:114], v111, off
	s_cbranch_vccnz .LBB264_39
; %bb.38:
	v_add_co_u32 v111, vcc_lo, v46, v42
	v_add_co_ci_u32_e64 v112, null, v47, v43, vcc_lo
	global_load_ushort v111, v[111:112], off
	s_waitcnt vmcnt(0)
	v_mul_f16_e32 v111, v48, v111
	v_cvt_f32_f16_e32 v112, v111
.LBB264_39:
	v_pk_add_f16 v111, v0, v28
	v_pk_add_f16 v113, v1, v29
	v_max_f16_e32 v114, v110, v110
	v_lshrrev_b32_e32 v110, 16, v110
	v_lshrrev_b32_e32 v115, 16, v111
	;; [unrolled: 1-line block ×3, first 2 shown]
	v_min_f16_e32 v111, v114, v111
	v_min3_f16 v110, v110, v115, v116
	v_min3_f16 v110, v111, v113, v110
	v_max_f32_e32 v111, v112, v112
	v_add_co_u32 v112, vcc_lo, v92, v42
	v_add_co_ci_u32_e64 v113, null, v94, v43, vcc_lo
	v_cvt_f32_f16_e32 v110, v110
	s_and_b32 vcc_lo, exec_lo, s1
	v_min_f32_e32 v110, v111, v110
	v_mov_b32_e32 v111, 0
	v_cvt_f16_f32_e32 v114, v110
	v_mov_b32_e32 v110, 0
	global_store_short v[112:113], v114, off
	s_cbranch_vccnz .LBB264_41
; %bb.40:
	v_add_co_u32 v111, vcc_lo, v46, v40
	v_add_co_ci_u32_e64 v112, null, v47, v41, vcc_lo
	global_load_ushort v111, v[111:112], off
	s_waitcnt vmcnt(0)
	v_mul_f16_e32 v111, v48, v111
	v_cvt_f32_f16_e32 v111, v111
.LBB264_41:
	v_pk_add_f16 v112, v2, v28
	v_pk_add_f16 v113, v3, v29
	v_max_f16_e32 v114, v109, v109
	v_lshrrev_b32_e32 v109, 16, v109
	v_max_f32_e32 v111, v111, v111
	v_lshrrev_b32_e32 v115, 16, v112
	v_lshrrev_b32_e32 v116, 16, v113
	v_min_f16_e32 v112, v114, v112
	v_min3_f16 v109, v109, v115, v116
	v_min3_f16 v109, v112, v113, v109
	v_cvt_f32_f16_e32 v109, v109
	v_min_f32_e32 v109, v111, v109
	v_add_co_u32 v111, vcc_lo, v92, v40
	v_add_co_ci_u32_e64 v112, null, v94, v41, vcc_lo
	v_cvt_f16_f32_e32 v109, v109
	s_and_b32 vcc_lo, exec_lo, s1
	global_store_short v[111:112], v109, off
	s_cbranch_vccnz .LBB264_43
; %bb.42:
	v_add_co_u32 v46, vcc_lo, v46, v44
	v_add_co_ci_u32_e64 v47, null, v47, v45, vcc_lo
	global_load_ushort v46, v[46:47], off
	s_waitcnt vmcnt(0)
	v_mul_f16_e32 v46, v48, v46
	v_cvt_f32_f16_e32 v110, v46
.LBB264_43:
	v_pk_add_f16 v28, v32, v28
	v_pk_add_f16 v47, v33, v29
	v_max_f16_e32 v29, v108, v108
	v_lshrrev_b32_e32 v108, 16, v108
	v_add_nc_u32_e32 v46, 16, v83
	v_lshrrev_b32_e32 v109, 16, v28
	v_lshrrev_b32_e32 v111, 16, v47
	v_min_f16_e32 v112, v29, v28
	v_max_f32_e32 v110, v110, v110
	v_mad_i64_i32 v[28:29], null, v46, s3, 0
	v_min3_f16 v108, v108, v109, v111
	v_min3_f16 v47, v112, v47, v108
	v_lshlrev_b64 v[28:29], 1, v[28:29]
	v_add_co_u32 v108, vcc_lo, v92, v44
	v_add_co_ci_u32_e64 v109, null, v94, v45, vcc_lo
	v_cvt_f32_f16_e32 v47, v47
	v_add_co_u32 v28, vcc_lo, s8, v28
	v_add_co_ci_u32_e64 v29, null, s9, v29, vcc_lo
	v_min_f32_e32 v47, v110, v47
	v_mov_b32_e32 v92, 0
	s_and_b32 vcc_lo, exec_lo, s1
	v_cvt_f16_f32_e32 v94, v47
	v_mov_b32_e32 v47, 0
	global_store_short v[108:109], v94, off
	s_cbranch_vccnz .LBB264_45
; %bb.44:
	v_add_co_u32 v108, vcc_lo, v28, v36
	v_add_co_ci_u32_e64 v109, null, v29, v37, vcc_lo
	global_load_ushort v47, v[108:109], off
	s_waitcnt vmcnt(0)
	v_mul_f16_e32 v47, v48, v47
	v_cvt_f32_f16_e32 v47, v47
.LBB264_45:
	v_pk_add_f16 v94, v38, v30
	v_pk_add_f16 v109, v39, v31
	v_max_f16_e32 v108, v107, v107
	v_lshrrev_b32_e32 v107, 16, v107
	v_lshrrev_b32_e32 v110, 16, v94
	v_lshrrev_b32_e32 v111, 16, v109
	v_min_f16_e32 v94, v108, v94
	v_min3_f16 v110, v107, v110, v111
	v_mad_i64_i32 v[107:108], null, v46, s4, 0
	v_min3_f16 v46, v94, v109, v110
	v_max_f32_e32 v94, v47, v47
	v_cvt_f32_f16_e32 v109, v46
	v_lshlrev_b64 v[46:47], 1, v[107:108]
	v_min_f32_e32 v94, v94, v109
	v_add_co_u32 v46, vcc_lo, s5, v46
	v_add_co_ci_u32_e64 v47, null, s6, v47, vcc_lo
	v_cvt_f16_f32_e32 v94, v94
	v_add_co_u32 v107, vcc_lo, v46, v36
	v_add_co_ci_u32_e64 v108, null, v47, v37, vcc_lo
	s_and_b32 vcc_lo, exec_lo, s1
	global_store_short v[107:108], v94, off
	s_cbranch_vccnz .LBB264_47
; %bb.46:
	v_add_co_u32 v107, vcc_lo, v28, v42
	v_add_co_ci_u32_e64 v108, null, v29, v43, vcc_lo
	global_load_ushort v92, v[107:108], off
	s_waitcnt vmcnt(0)
	v_mul_f16_e32 v92, v48, v92
	v_cvt_f32_f16_e32 v92, v92
.LBB264_47:
	v_pk_add_f16 v94, v0, v30
	v_pk_add_f16 v107, v1, v31
	v_max_f16_e32 v108, v106, v106
	v_lshrrev_b32_e32 v106, 16, v106
	v_max_f32_e32 v92, v92, v92
	v_lshrrev_b32_e32 v109, 16, v94
	v_lshrrev_b32_e32 v110, 16, v107
	v_min_f16_e32 v94, v108, v94
	v_min3_f16 v106, v106, v109, v110
	v_min3_f16 v94, v94, v107, v106
	v_add_co_u32 v106, vcc_lo, v46, v42
	v_add_co_ci_u32_e64 v107, null, v47, v43, vcc_lo
	v_cvt_f32_f16_e32 v94, v94
	s_and_b32 vcc_lo, exec_lo, s1
	v_min_f32_e32 v92, v92, v94
	v_mov_b32_e32 v94, 0
	v_cvt_f16_f32_e32 v108, v92
	v_mov_b32_e32 v92, 0
	global_store_short v[106:107], v108, off
	s_cbranch_vccnz .LBB264_49
; %bb.48:
	v_add_co_u32 v106, vcc_lo, v28, v40
	v_add_co_ci_u32_e64 v107, null, v29, v41, vcc_lo
	global_load_ushort v94, v[106:107], off
	s_waitcnt vmcnt(0)
	v_mul_f16_e32 v94, v48, v94
	v_cvt_f32_f16_e32 v94, v94
.LBB264_49:
	v_pk_add_f16 v106, v2, v30
	v_pk_add_f16 v107, v3, v31
	v_max_f16_e32 v108, v105, v105
	v_lshrrev_b32_e32 v105, 16, v105
	v_max_f32_e32 v94, v94, v94
	v_lshrrev_b32_e32 v109, 16, v106
	v_lshrrev_b32_e32 v110, 16, v107
	v_min_f16_e32 v106, v108, v106
	v_min3_f16 v105, v105, v109, v110
	v_min3_f16 v105, v106, v107, v105
	v_cvt_f32_f16_e32 v105, v105
	v_min_f32_e32 v94, v94, v105
	v_add_co_u32 v105, vcc_lo, v46, v40
	v_add_co_ci_u32_e64 v106, null, v47, v41, vcc_lo
	v_cvt_f16_f32_e32 v94, v94
	s_and_b32 vcc_lo, exec_lo, s1
	global_store_short v[105:106], v94, off
	s_cbranch_vccnz .LBB264_51
; %bb.50:
	v_add_co_u32 v28, vcc_lo, v28, v44
	v_add_co_ci_u32_e64 v29, null, v29, v45, vcc_lo
	global_load_ushort v28, v[28:29], off
	s_waitcnt vmcnt(0)
	v_mul_f16_e32 v28, v48, v28
	v_cvt_f32_f16_e32 v92, v28
.LBB264_51:
	v_pk_add_f16 v28, v32, v30
	v_pk_add_f16 v31, v33, v31
	v_max_f16_e32 v29, v104, v104
	v_lshrrev_b32_e32 v94, 16, v104
	v_add_nc_u32_e32 v30, 24, v83
	v_lshrrev_b32_e32 v104, 16, v28
	v_lshrrev_b32_e32 v105, 16, v31
	v_min_f16_e32 v106, v29, v28
	v_max_f32_e32 v92, v92, v92
	v_mad_i64_i32 v[28:29], null, v30, s3, 0
	v_min3_f16 v94, v94, v104, v105
	v_add_co_u32 v104, vcc_lo, v46, v44
	v_add_co_ci_u32_e64 v105, null, v47, v45, vcc_lo
	v_min3_f16 v31, v106, v31, v94
	v_lshlrev_b64 v[28:29], 1, v[28:29]
	v_mov_b32_e32 v46, 0
	v_cvt_f32_f16_e32 v31, v31
	v_add_co_u32 v28, vcc_lo, s8, v28
	v_add_co_ci_u32_e64 v29, null, s9, v29, vcc_lo
	v_min_f32_e32 v31, v92, v31
	s_and_b32 vcc_lo, exec_lo, s1
	v_cvt_f16_f32_e32 v47, v31
	v_mov_b32_e32 v31, 0
	global_store_short v[104:105], v47, off
	s_cbranch_vccnz .LBB264_53
; %bb.52:
	v_add_co_u32 v104, vcc_lo, v28, v36
	v_add_co_ci_u32_e64 v105, null, v29, v37, vcc_lo
	global_load_ushort v31, v[104:105], off
	s_waitcnt vmcnt(0)
	v_mul_f16_e32 v31, v48, v31
	v_cvt_f32_f16_e32 v31, v31
.LBB264_53:
	v_pk_add_f16 v47, v38, v24
	v_pk_add_f16 v92, v39, v25
	v_max_f16_e32 v94, v101, v101
	v_lshrrev_b32_e32 v101, 16, v101
	v_lshrrev_b32_e32 v104, 16, v47
	;; [unrolled: 1-line block ×3, first 2 shown]
	v_min_f16_e32 v47, v94, v47
	v_min3_f16 v94, v101, v104, v105
	v_mad_i64_i32 v[104:105], null, v30, s4, 0
	v_min3_f16 v30, v47, v92, v94
	v_max_f32_e32 v47, v31, v31
	v_cvt_f32_f16_e32 v92, v30
	v_lshlrev_b64 v[30:31], 1, v[104:105]
	v_min_f32_e32 v47, v47, v92
	v_add_co_u32 v30, vcc_lo, s5, v30
	v_add_co_ci_u32_e64 v31, null, s6, v31, vcc_lo
	v_cvt_f16_f32_e32 v47, v47
	v_add_co_u32 v104, vcc_lo, v30, v36
	v_add_co_ci_u32_e64 v105, null, v31, v37, vcc_lo
	s_and_b32 vcc_lo, exec_lo, s1
	global_store_short v[104:105], v47, off
	s_cbranch_vccnz .LBB264_55
; %bb.54:
	v_add_co_u32 v46, vcc_lo, v28, v42
	v_add_co_ci_u32_e64 v47, null, v29, v43, vcc_lo
	global_load_ushort v46, v[46:47], off
	s_waitcnt vmcnt(0)
	v_mul_f16_e32 v46, v48, v46
	v_cvt_f32_f16_e32 v46, v46
.LBB264_55:
	v_pk_add_f16 v47, v0, v24
	v_pk_add_f16 v92, v1, v25
	v_max_f16_e32 v94, v103, v103
	v_lshrrev_b32_e32 v101, 16, v103
	v_max_f32_e32 v46, v46, v46
	v_lshrrev_b32_e32 v103, 16, v47
	v_lshrrev_b32_e32 v104, 16, v92
	v_min_f16_e32 v47, v94, v47
	v_min3_f16 v94, v101, v103, v104
	v_add_co_u32 v103, vcc_lo, v30, v42
	v_add_co_ci_u32_e64 v104, null, v31, v43, vcc_lo
	v_min3_f16 v47, v47, v92, v94
	s_and_b32 vcc_lo, exec_lo, s1
	v_cvt_f32_f16_e32 v47, v47
	v_min_f32_e32 v46, v46, v47
	v_mov_b32_e32 v47, 0
	v_cvt_f16_f32_e32 v92, v46
	v_mov_b32_e32 v46, 0
	global_store_short v[103:104], v92, off
	s_cbranch_vccnz .LBB264_57
; %bb.56:
	v_add_co_u32 v103, vcc_lo, v28, v40
	v_add_co_ci_u32_e64 v104, null, v29, v41, vcc_lo
	global_load_ushort v47, v[103:104], off
	s_waitcnt vmcnt(0)
	v_mul_f16_e32 v47, v48, v47
	v_cvt_f32_f16_e32 v47, v47
.LBB264_57:
	v_pk_add_f16 v92, v2, v24
	v_pk_add_f16 v94, v3, v25
	v_max_f16_e32 v101, v102, v102
	v_lshrrev_b32_e32 v102, 16, v102
	v_max_f32_e32 v47, v47, v47
	v_lshrrev_b32_e32 v103, 16, v92
	v_lshrrev_b32_e32 v104, 16, v94
	v_min_f16_e32 v92, v101, v92
	v_min3_f16 v101, v102, v103, v104
	v_min3_f16 v92, v92, v94, v101
	v_add_co_u32 v101, vcc_lo, v30, v40
	v_add_co_ci_u32_e64 v102, null, v31, v41, vcc_lo
	v_cvt_f32_f16_e32 v92, v92
	s_and_b32 vcc_lo, exec_lo, s1
	v_min_f32_e32 v47, v47, v92
	v_cvt_f16_f32_e32 v47, v47
	global_store_short v[101:102], v47, off
	s_cbranch_vccnz .LBB264_59
; %bb.58:
	v_add_co_u32 v28, vcc_lo, v28, v44
	v_add_co_ci_u32_e64 v29, null, v29, v45, vcc_lo
	global_load_ushort v28, v[28:29], off
	s_waitcnt vmcnt(0)
	v_mul_f16_e32 v28, v48, v28
	v_cvt_f32_f16_e32 v46, v28
.LBB264_59:
	v_pk_add_f16 v24, v32, v24
	v_pk_add_f16 v29, v33, v25
	v_max_f16_e32 v25, v100, v100
	v_lshrrev_b32_e32 v47, 16, v100
	v_add_nc_u32_e32 v28, 32, v83
	v_lshrrev_b32_e32 v92, 16, v24
	v_lshrrev_b32_e32 v94, 16, v29
	v_min_f16_e32 v100, v25, v24
	v_mad_i64_i32 v[24:25], null, v28, s3, 0
	v_min3_f16 v47, v47, v92, v94
	v_max_f32_e32 v92, v46, v46
	v_add_co_u32 v46, vcc_lo, v30, v44
	v_mov_b32_e32 v30, 0
	v_min3_f16 v29, v100, v29, v47
	v_lshlrev_b64 v[24:25], 1, v[24:25]
	v_add_co_ci_u32_e64 v47, null, v31, v45, vcc_lo
	v_cvt_f32_f16_e32 v29, v29
	v_add_co_u32 v24, vcc_lo, s8, v24
	v_add_co_ci_u32_e64 v25, null, s9, v25, vcc_lo
	v_min_f32_e32 v29, v92, v29
	s_and_b32 vcc_lo, exec_lo, s1
	v_cvt_f16_f32_e32 v31, v29
	v_mov_b32_e32 v29, 0
	global_store_short v[46:47], v31, off
	s_cbranch_vccnz .LBB264_61
; %bb.60:
	v_add_co_u32 v46, vcc_lo, v24, v36
	v_add_co_ci_u32_e64 v47, null, v25, v37, vcc_lo
	global_load_ushort v29, v[46:47], off
	s_waitcnt vmcnt(0)
	v_mul_f16_e32 v29, v48, v29
	v_cvt_f32_f16_e32 v29, v29
.LBB264_61:
	v_pk_add_f16 v31, v38, v26
	v_pk_add_f16 v92, v39, v27
	v_max_f16_e32 v46, v99, v99
	v_lshrrev_b32_e32 v47, 16, v99
	v_lshrrev_b32_e32 v94, 16, v31
	;; [unrolled: 1-line block ×3, first 2 shown]
	v_min_f16_e32 v31, v46, v31
	v_min3_f16 v94, v47, v94, v99
	v_mad_i64_i32 v[46:47], null, v28, s4, 0
	v_min3_f16 v28, v31, v92, v94
	v_max_f32_e32 v31, v29, v29
	v_cvt_f32_f16_e32 v92, v28
	v_lshlrev_b64 v[28:29], 1, v[46:47]
	v_min_f32_e32 v31, v31, v92
	v_add_co_u32 v28, vcc_lo, s5, v28
	v_add_co_ci_u32_e64 v29, null, s6, v29, vcc_lo
	v_cvt_f16_f32_e32 v31, v31
	v_add_co_u32 v46, vcc_lo, v28, v36
	v_add_co_ci_u32_e64 v47, null, v29, v37, vcc_lo
	s_and_b32 vcc_lo, exec_lo, s1
	global_store_short v[46:47], v31, off
	s_cbranch_vccnz .LBB264_63
; %bb.62:
	v_add_co_u32 v30, vcc_lo, v24, v42
	v_add_co_ci_u32_e64 v31, null, v25, v43, vcc_lo
	global_load_ushort v30, v[30:31], off
	s_waitcnt vmcnt(0)
	v_mul_f16_e32 v30, v48, v30
	v_cvt_f32_f16_e32 v30, v30
.LBB264_63:
	v_pk_add_f16 v31, v0, v26
	v_pk_add_f16 v46, v1, v27
	v_max_f16_e32 v47, v98, v98
	v_lshrrev_b32_e32 v92, 16, v98
	v_max_f32_e32 v30, v30, v30
	v_lshrrev_b32_e32 v94, 16, v31
	v_lshrrev_b32_e32 v98, 16, v46
	v_min_f16_e32 v31, v47, v31
	v_min3_f16 v47, v92, v94, v98
	v_min3_f16 v31, v31, v46, v47
	v_add_co_u32 v46, vcc_lo, v28, v42
	v_add_co_ci_u32_e64 v47, null, v29, v43, vcc_lo
	v_cvt_f32_f16_e32 v31, v31
	s_and_b32 vcc_lo, exec_lo, s1
	v_min_f32_e32 v30, v30, v31
	v_mov_b32_e32 v31, 0
	v_cvt_f16_f32_e32 v92, v30
	v_mov_b32_e32 v30, 0
	global_store_short v[46:47], v92, off
	s_cbranch_vccnz .LBB264_65
; %bb.64:
	v_add_co_u32 v46, vcc_lo, v24, v40
	v_add_co_ci_u32_e64 v47, null, v25, v41, vcc_lo
	global_load_ushort v31, v[46:47], off
	s_waitcnt vmcnt(0)
	v_mul_f16_e32 v31, v48, v31
	v_cvt_f32_f16_e32 v31, v31
.LBB264_65:
	v_pk_add_f16 v46, v2, v26
	v_pk_add_f16 v47, v3, v27
	v_max_f16_e32 v92, v97, v97
	v_lshrrev_b32_e32 v94, 16, v97
	v_max_f32_e32 v31, v31, v31
	v_lshrrev_b32_e32 v97, 16, v46
	v_lshrrev_b32_e32 v98, 16, v47
	v_min_f16_e32 v46, v92, v46
	v_min3_f16 v92, v94, v97, v98
	v_min3_f16 v46, v46, v47, v92
	v_cvt_f32_f16_e32 v46, v46
	v_min_f32_e32 v31, v31, v46
	v_add_co_u32 v46, vcc_lo, v28, v40
	v_add_co_ci_u32_e64 v47, null, v29, v41, vcc_lo
	v_cvt_f16_f32_e32 v31, v31
	s_and_b32 vcc_lo, exec_lo, s1
	global_store_short v[46:47], v31, off
	s_cbranch_vccnz .LBB264_67
; %bb.66:
	v_add_co_u32 v24, vcc_lo, v24, v44
	v_add_co_ci_u32_e64 v25, null, v25, v45, vcc_lo
	global_load_ushort v24, v[24:25], off
	s_waitcnt vmcnt(0)
	v_mul_f16_e32 v24, v48, v24
	v_cvt_f32_f16_e32 v30, v24
.LBB264_67:
	v_pk_add_f16 v24, v32, v26
	v_pk_add_f16 v27, v33, v27
	v_max_f16_e32 v25, v96, v96
	v_lshrrev_b32_e32 v31, 16, v96
	v_add_nc_u32_e32 v26, 40, v83
	v_lshrrev_b32_e32 v46, 16, v24
	v_lshrrev_b32_e32 v47, 16, v27
	v_min_f16_e32 v92, v25, v24
	v_mad_i64_i32 v[24:25], null, v26, s3, 0
	v_min3_f16 v31, v31, v46, v47
	v_max_f32_e32 v46, v30, v30
	v_add_co_u32 v30, vcc_lo, v28, v44
	v_mov_b32_e32 v28, 0
	v_min3_f16 v27, v92, v27, v31
	v_lshlrev_b64 v[24:25], 1, v[24:25]
	v_add_co_ci_u32_e64 v31, null, v29, v45, vcc_lo
	v_cvt_f32_f16_e32 v27, v27
	v_add_co_u32 v24, vcc_lo, s8, v24
	v_add_co_ci_u32_e64 v25, null, s9, v25, vcc_lo
	v_min_f32_e32 v27, v46, v27
	s_and_b32 vcc_lo, exec_lo, s1
	v_cvt_f16_f32_e32 v29, v27
	v_mov_b32_e32 v27, 0
	global_store_short v[30:31], v29, off
	s_cbranch_vccnz .LBB264_69
; %bb.68:
	v_add_co_u32 v29, vcc_lo, v24, v36
	v_add_co_ci_u32_e64 v30, null, v25, v37, vcc_lo
	global_load_ushort v27, v[29:30], off
	s_waitcnt vmcnt(0)
	v_mul_f16_e32 v27, v48, v27
	v_cvt_f32_f16_e32 v27, v27
.LBB264_69:
	v_pk_add_f16 v29, v38, v20
	v_pk_add_f16 v31, v39, v21
	v_max_f16_e32 v30, v95, v95
	v_lshrrev_b32_e32 v46, 16, v95
	v_lshrrev_b32_e32 v47, 16, v29
	;; [unrolled: 1-line block ×3, first 2 shown]
	v_min_f16_e32 v94, v30, v29
	v_mad_i64_i32 v[29:30], null, v26, s4, 0
	v_min3_f16 v46, v46, v47, v92
	v_min3_f16 v26, v94, v31, v46
	v_max_f32_e32 v31, v27, v27
	v_cvt_f32_f16_e32 v46, v26
	v_lshlrev_b64 v[26:27], 1, v[29:30]
	v_min_f32_e32 v29, v31, v46
	v_add_co_u32 v26, vcc_lo, s5, v26
	v_add_co_ci_u32_e64 v27, null, s6, v27, vcc_lo
	v_cvt_f16_f32_e32 v31, v29
	v_add_co_u32 v29, vcc_lo, v26, v36
	v_add_co_ci_u32_e64 v30, null, v27, v37, vcc_lo
	s_and_b32 vcc_lo, exec_lo, s1
	global_store_short v[29:30], v31, off
	s_cbranch_vccnz .LBB264_71
; %bb.70:
	v_add_co_u32 v28, vcc_lo, v24, v42
	v_add_co_ci_u32_e64 v29, null, v25, v43, vcc_lo
	global_load_ushort v28, v[28:29], off
	s_waitcnt vmcnt(0)
	v_mul_f16_e32 v28, v48, v28
	v_cvt_f32_f16_e32 v28, v28
.LBB264_71:
	v_pk_add_f16 v29, v0, v20
	v_pk_add_f16 v30, v1, v21
	v_max_f16_e32 v31, v93, v93
	v_lshrrev_b32_e32 v46, 16, v93
	v_max_f32_e32 v28, v28, v28
	v_lshrrev_b32_e32 v47, 16, v29
	v_lshrrev_b32_e32 v92, 16, v30
	v_min_f16_e32 v29, v31, v29
	v_min3_f16 v31, v46, v47, v92
	v_min3_f16 v29, v29, v30, v31
	v_add_co_u32 v30, vcc_lo, v26, v42
	v_add_co_ci_u32_e64 v31, null, v27, v43, vcc_lo
	v_cvt_f32_f16_e32 v29, v29
	s_and_b32 vcc_lo, exec_lo, s1
	v_min_f32_e32 v28, v28, v29
	v_mov_b32_e32 v29, 0
	v_cvt_f16_f32_e32 v46, v28
	v_mov_b32_e32 v28, 0
	global_store_short v[30:31], v46, off
	s_cbranch_vccnz .LBB264_73
; %bb.72:
	v_add_co_u32 v29, vcc_lo, v24, v40
	v_add_co_ci_u32_e64 v30, null, v25, v41, vcc_lo
	global_load_ushort v29, v[29:30], off
	s_waitcnt vmcnt(0)
	v_mul_f16_e32 v29, v48, v29
	v_cvt_f32_f16_e32 v29, v29
.LBB264_73:
	v_pk_add_f16 v30, v2, v20
	v_pk_add_f16 v31, v3, v21
	v_max_f16_e32 v46, v91, v91
	v_lshrrev_b32_e32 v47, 16, v91
	v_max_f32_e32 v29, v29, v29
	v_lshrrev_b32_e32 v91, 16, v30
	v_lshrrev_b32_e32 v92, 16, v31
	v_min_f16_e32 v30, v46, v30
	v_min3_f16 v46, v47, v91, v92
	v_min3_f16 v30, v30, v31, v46
	v_cvt_f32_f16_e32 v30, v30
	v_min_f32_e32 v29, v29, v30
	v_cvt_f16_f32_e32 v31, v29
	v_add_co_u32 v29, vcc_lo, v26, v40
	v_add_co_ci_u32_e64 v30, null, v27, v41, vcc_lo
	s_and_b32 vcc_lo, exec_lo, s1
	global_store_short v[29:30], v31, off
	s_cbranch_vccnz .LBB264_75
; %bb.74:
	v_add_co_u32 v24, vcc_lo, v24, v44
	v_add_co_ci_u32_e64 v25, null, v25, v45, vcc_lo
	global_load_ushort v24, v[24:25], off
	s_waitcnt vmcnt(0)
	v_mul_f16_e32 v24, v48, v24
	v_cvt_f32_f16_e32 v28, v24
.LBB264_75:
	v_pk_add_f16 v20, v32, v20
	v_pk_add_f16 v25, v33, v21
	v_max_f16_e32 v21, v90, v90
	v_lshrrev_b32_e32 v29, 16, v90
	v_add_nc_u32_e32 v24, 48, v83
	v_lshrrev_b32_e32 v30, 16, v20
	v_lshrrev_b32_e32 v31, 16, v25
	v_min_f16_e32 v46, v21, v20
	v_mad_i64_i32 v[20:21], null, v24, s3, 0
	v_min3_f16 v29, v29, v30, v31
	v_max_f32_e32 v30, v28, v28
	v_add_co_u32 v28, vcc_lo, v26, v44
	v_mov_b32_e32 v26, 0
	v_min3_f16 v25, v46, v25, v29
	v_lshlrev_b64 v[20:21], 1, v[20:21]
	v_add_co_ci_u32_e64 v29, null, v27, v45, vcc_lo
	v_cvt_f32_f16_e32 v25, v25
	v_add_co_u32 v20, vcc_lo, s8, v20
	v_add_co_ci_u32_e64 v21, null, s9, v21, vcc_lo
	v_min_f32_e32 v25, v30, v25
	s_and_b32 vcc_lo, exec_lo, s1
	v_cvt_f16_f32_e32 v27, v25
	v_mov_b32_e32 v25, 0
	global_store_short v[28:29], v27, off
	s_cbranch_vccnz .LBB264_77
; %bb.76:
	v_add_co_u32 v27, vcc_lo, v20, v36
	v_add_co_ci_u32_e64 v28, null, v21, v37, vcc_lo
	global_load_ushort v25, v[27:28], off
	s_waitcnt vmcnt(0)
	v_mul_f16_e32 v25, v48, v25
	v_cvt_f32_f16_e32 v25, v25
.LBB264_77:
	v_pk_add_f16 v27, v38, v22
	v_pk_add_f16 v29, v39, v23
	v_max_f16_e32 v28, v89, v89
	v_lshrrev_b32_e32 v30, 16, v89
	v_lshrrev_b32_e32 v31, 16, v27
	;; [unrolled: 1-line block ×3, first 2 shown]
	v_min_f16_e32 v47, v28, v27
	v_mad_i64_i32 v[27:28], null, v24, s4, 0
	v_min3_f16 v30, v30, v31, v46
	v_min3_f16 v24, v47, v29, v30
	v_max_f32_e32 v29, v25, v25
	v_cvt_f32_f16_e32 v30, v24
	v_lshlrev_b64 v[24:25], 1, v[27:28]
	v_min_f32_e32 v27, v29, v30
	v_add_co_u32 v24, vcc_lo, s5, v24
	v_add_co_ci_u32_e64 v25, null, s6, v25, vcc_lo
	v_cvt_f16_f32_e32 v29, v27
	v_add_co_u32 v27, vcc_lo, v24, v36
	v_add_co_ci_u32_e64 v28, null, v25, v37, vcc_lo
	s_and_b32 vcc_lo, exec_lo, s1
	global_store_short v[27:28], v29, off
	s_cbranch_vccnz .LBB264_79
; %bb.78:
	v_add_co_u32 v26, vcc_lo, v20, v42
	v_add_co_ci_u32_e64 v27, null, v21, v43, vcc_lo
	global_load_ushort v26, v[26:27], off
	s_waitcnt vmcnt(0)
	v_mul_f16_e32 v26, v48, v26
	v_cvt_f32_f16_e32 v26, v26
.LBB264_79:
	v_pk_add_f16 v27, v0, v22
	v_pk_add_f16 v28, v1, v23
	v_max_f16_e32 v29, v88, v88
	v_lshrrev_b32_e32 v30, 16, v88
	v_max_f32_e32 v26, v26, v26
	v_lshrrev_b32_e32 v31, 16, v27
	v_lshrrev_b32_e32 v46, 16, v28
	v_min_f16_e32 v27, v29, v27
	v_min3_f16 v29, v30, v31, v46
	v_min3_f16 v27, v27, v28, v29
	v_add_co_u32 v28, vcc_lo, v24, v42
	v_add_co_ci_u32_e64 v29, null, v25, v43, vcc_lo
	v_cvt_f32_f16_e32 v27, v27
	s_and_b32 vcc_lo, exec_lo, s1
	v_min_f32_e32 v26, v26, v27
	v_mov_b32_e32 v27, 0
	v_cvt_f16_f32_e32 v30, v26
	v_mov_b32_e32 v26, 0
	global_store_short v[28:29], v30, off
	s_cbranch_vccnz .LBB264_81
; %bb.80:
	v_add_co_u32 v27, vcc_lo, v20, v40
	v_add_co_ci_u32_e64 v28, null, v21, v41, vcc_lo
	global_load_ushort v27, v[27:28], off
	s_waitcnt vmcnt(0)
	v_mul_f16_e32 v27, v48, v27
	v_cvt_f32_f16_e32 v27, v27
.LBB264_81:
	v_pk_add_f16 v28, v2, v22
	v_pk_add_f16 v29, v3, v23
	v_max_f16_e32 v30, v87, v87
	v_lshrrev_b32_e32 v31, 16, v87
	v_max_f32_e32 v27, v27, v27
	v_lshrrev_b32_e32 v46, 16, v28
	v_lshrrev_b32_e32 v47, 16, v29
	v_min_f16_e32 v28, v30, v28
	v_min3_f16 v30, v31, v46, v47
	v_min3_f16 v28, v28, v29, v30
	v_cvt_f32_f16_e32 v28, v28
	v_min_f32_e32 v27, v27, v28
	v_cvt_f16_f32_e32 v29, v27
	v_add_co_u32 v27, vcc_lo, v24, v40
	v_add_co_ci_u32_e64 v28, null, v25, v41, vcc_lo
	s_and_b32 vcc_lo, exec_lo, s1
	global_store_short v[27:28], v29, off
	s_cbranch_vccnz .LBB264_83
; %bb.82:
	v_add_co_u32 v20, vcc_lo, v20, v44
	v_add_co_ci_u32_e64 v21, null, v21, v45, vcc_lo
	global_load_ushort v20, v[20:21], off
	s_waitcnt vmcnt(0)
	v_mul_f16_e32 v20, v48, v20
	v_cvt_f32_f16_e32 v26, v20
.LBB264_83:
	v_pk_add_f16 v20, v32, v22
	v_pk_add_f16 v23, v33, v23
	v_max_f16_e32 v21, v86, v86
	v_lshrrev_b32_e32 v27, 16, v86
	v_add_nc_u32_e32 v22, 56, v83
	v_lshrrev_b32_e32 v28, 16, v20
	v_lshrrev_b32_e32 v29, 16, v23
	v_min_f16_e32 v30, v21, v20
	v_mad_i64_i32 v[20:21], null, v22, s3, 0
	v_min3_f16 v27, v27, v28, v29
	v_max_f32_e32 v28, v26, v26
	v_add_co_u32 v26, vcc_lo, v24, v44
	v_mov_b32_e32 v24, 0
	v_min3_f16 v23, v30, v23, v27
	v_lshlrev_b64 v[20:21], 1, v[20:21]
	v_add_co_ci_u32_e64 v27, null, v25, v45, vcc_lo
	v_cvt_f32_f16_e32 v23, v23
	v_add_co_u32 v20, vcc_lo, s8, v20
	v_add_co_ci_u32_e64 v21, null, s9, v21, vcc_lo
	v_min_f32_e32 v23, v28, v23
	s_and_b32 vcc_lo, exec_lo, s1
	v_cvt_f16_f32_e32 v25, v23
	v_mov_b32_e32 v23, 0
	global_store_short v[26:27], v25, off
	s_cbranch_vccnz .LBB264_85
; %bb.84:
	v_add_co_u32 v25, vcc_lo, v20, v36
	v_add_co_ci_u32_e64 v26, null, v21, v37, vcc_lo
	global_load_ushort v23, v[25:26], off
	s_waitcnt vmcnt(0)
	v_mul_f16_e32 v23, v48, v23
	v_cvt_f32_f16_e32 v23, v23
.LBB264_85:
	v_pk_add_f16 v25, v38, v16
	v_pk_add_f16 v27, v39, v17
	v_max_f16_e32 v26, v85, v85
	v_lshrrev_b32_e32 v28, 16, v85
	v_lshrrev_b32_e32 v29, 16, v25
	;; [unrolled: 1-line block ×3, first 2 shown]
	v_min_f16_e32 v31, v26, v25
	v_mad_i64_i32 v[25:26], null, v22, s4, 0
	v_min3_f16 v28, v28, v29, v30
	v_min3_f16 v22, v31, v27, v28
	v_max_f32_e32 v27, v23, v23
	v_cvt_f32_f16_e32 v28, v22
	v_lshlrev_b64 v[22:23], 1, v[25:26]
	v_min_f32_e32 v25, v27, v28
	v_add_co_u32 v22, vcc_lo, s5, v22
	v_add_co_ci_u32_e64 v23, null, s6, v23, vcc_lo
	v_cvt_f16_f32_e32 v27, v25
	v_add_co_u32 v25, vcc_lo, v22, v36
	v_add_co_ci_u32_e64 v26, null, v23, v37, vcc_lo
	s_and_b32 vcc_lo, exec_lo, s1
	global_store_short v[25:26], v27, off
	s_cbranch_vccnz .LBB264_87
; %bb.86:
	v_add_co_u32 v24, vcc_lo, v20, v42
	v_add_co_ci_u32_e64 v25, null, v21, v43, vcc_lo
	global_load_ushort v24, v[24:25], off
	s_waitcnt vmcnt(0)
	v_mul_f16_e32 v24, v48, v24
	v_cvt_f32_f16_e32 v24, v24
.LBB264_87:
	v_pk_add_f16 v25, v0, v16
	v_pk_add_f16 v26, v1, v17
	v_max_f16_e32 v27, v84, v84
	v_lshrrev_b32_e32 v28, 16, v84
	v_max_f32_e32 v24, v24, v24
	v_lshrrev_b32_e32 v29, 16, v25
	v_lshrrev_b32_e32 v30, 16, v26
	v_min_f16_e32 v25, v27, v25
	v_min3_f16 v27, v28, v29, v30
	v_min3_f16 v25, v25, v26, v27
	v_add_co_u32 v26, vcc_lo, v22, v42
	v_add_co_ci_u32_e64 v27, null, v23, v43, vcc_lo
	v_cvt_f32_f16_e32 v25, v25
	s_and_b32 vcc_lo, exec_lo, s1
	v_min_f32_e32 v24, v24, v25
	v_mov_b32_e32 v25, 0
	v_cvt_f16_f32_e32 v28, v24
	v_mov_b32_e32 v24, 0
	global_store_short v[26:27], v28, off
	s_cbranch_vccnz .LBB264_89
; %bb.88:
	v_add_co_u32 v25, vcc_lo, v20, v40
	v_add_co_ci_u32_e64 v26, null, v21, v41, vcc_lo
	global_load_ushort v25, v[25:26], off
	s_waitcnt vmcnt(0)
	v_mul_f16_e32 v25, v48, v25
	v_cvt_f32_f16_e32 v25, v25
.LBB264_89:
	v_pk_add_f16 v26, v2, v16
	v_pk_add_f16 v27, v3, v17
	v_max_f16_e32 v28, v82, v82
	v_lshrrev_b32_e32 v29, 16, v82
	v_max_f32_e32 v25, v25, v25
	v_lshrrev_b32_e32 v30, 16, v26
	v_lshrrev_b32_e32 v31, 16, v27
	v_min_f16_e32 v26, v28, v26
	v_min3_f16 v28, v29, v30, v31
	v_min3_f16 v26, v26, v27, v28
	v_cvt_f32_f16_e32 v26, v26
	v_min_f32_e32 v25, v25, v26
	v_cvt_f16_f32_e32 v27, v25
	v_add_co_u32 v25, vcc_lo, v22, v40
	v_add_co_ci_u32_e64 v26, null, v23, v41, vcc_lo
	s_and_b32 vcc_lo, exec_lo, s1
	global_store_short v[25:26], v27, off
	s_cbranch_vccnz .LBB264_91
; %bb.90:
	v_add_co_u32 v20, vcc_lo, v20, v44
	v_add_co_ci_u32_e64 v21, null, v21, v45, vcc_lo
	global_load_ushort v20, v[20:21], off
	s_waitcnt vmcnt(0)
	v_mul_f16_e32 v20, v48, v20
	v_cvt_f32_f16_e32 v24, v20
.LBB264_91:
	v_pk_add_f16 v16, v32, v16
	v_pk_add_f16 v21, v33, v17
	v_max_f16_e32 v17, v81, v81
	v_lshrrev_b32_e32 v25, 16, v81
	v_add_nc_u32_e32 v20, 64, v83
	v_lshrrev_b32_e32 v26, 16, v16
	v_lshrrev_b32_e32 v27, 16, v21
	v_min_f16_e32 v28, v17, v16
	v_mad_i64_i32 v[16:17], null, v20, s3, 0
	v_min3_f16 v25, v25, v26, v27
	v_max_f32_e32 v26, v24, v24
	v_add_co_u32 v24, vcc_lo, v22, v44
	v_mov_b32_e32 v22, 0
	v_min3_f16 v21, v28, v21, v25
	v_lshlrev_b64 v[16:17], 1, v[16:17]
	v_add_co_ci_u32_e64 v25, null, v23, v45, vcc_lo
	v_cvt_f32_f16_e32 v21, v21
	v_add_co_u32 v16, vcc_lo, s8, v16
	v_add_co_ci_u32_e64 v17, null, s9, v17, vcc_lo
	v_min_f32_e32 v21, v26, v21
	s_and_b32 vcc_lo, exec_lo, s1
	v_cvt_f16_f32_e32 v23, v21
	v_mov_b32_e32 v21, 0
	global_store_short v[24:25], v23, off
	s_cbranch_vccnz .LBB264_93
; %bb.92:
	v_add_co_u32 v23, vcc_lo, v16, v36
	v_add_co_ci_u32_e64 v24, null, v17, v37, vcc_lo
	global_load_ushort v21, v[23:24], off
	s_waitcnt vmcnt(0)
	v_mul_f16_e32 v21, v48, v21
	v_cvt_f32_f16_e32 v21, v21
.LBB264_93:
	v_pk_add_f16 v23, v38, v18
	v_pk_add_f16 v25, v39, v19
	v_max_f16_e32 v24, v80, v80
	v_lshrrev_b32_e32 v26, 16, v80
	v_lshrrev_b32_e32 v27, 16, v23
	v_lshrrev_b32_e32 v28, 16, v25
	v_min_f16_e32 v29, v24, v23
	v_mad_i64_i32 v[23:24], null, v20, s4, 0
	v_min3_f16 v26, v26, v27, v28
	v_min3_f16 v20, v29, v25, v26
	v_max_f32_e32 v25, v21, v21
	v_cvt_f32_f16_e32 v26, v20
	v_lshlrev_b64 v[20:21], 1, v[23:24]
	v_min_f32_e32 v23, v25, v26
	v_add_co_u32 v20, vcc_lo, s5, v20
	v_add_co_ci_u32_e64 v21, null, s6, v21, vcc_lo
	v_cvt_f16_f32_e32 v25, v23
	v_add_co_u32 v23, vcc_lo, v20, v36
	v_add_co_ci_u32_e64 v24, null, v21, v37, vcc_lo
	s_and_b32 vcc_lo, exec_lo, s1
	global_store_short v[23:24], v25, off
	s_cbranch_vccnz .LBB264_95
; %bb.94:
	v_add_co_u32 v22, vcc_lo, v16, v42
	v_add_co_ci_u32_e64 v23, null, v17, v43, vcc_lo
	global_load_ushort v22, v[22:23], off
	s_waitcnt vmcnt(0)
	v_mul_f16_e32 v22, v48, v22
	v_cvt_f32_f16_e32 v22, v22
.LBB264_95:
	v_pk_add_f16 v23, v0, v18
	v_pk_add_f16 v24, v1, v19
	v_max_f16_e32 v25, v79, v79
	v_lshrrev_b32_e32 v26, 16, v79
	v_max_f32_e32 v22, v22, v22
	v_lshrrev_b32_e32 v27, 16, v23
	v_lshrrev_b32_e32 v28, 16, v24
	v_min_f16_e32 v23, v25, v23
	v_min3_f16 v25, v26, v27, v28
	v_min3_f16 v23, v23, v24, v25
	v_add_co_u32 v24, vcc_lo, v20, v42
	v_add_co_ci_u32_e64 v25, null, v21, v43, vcc_lo
	v_cvt_f32_f16_e32 v23, v23
	s_and_b32 vcc_lo, exec_lo, s1
	v_min_f32_e32 v22, v22, v23
	v_mov_b32_e32 v23, 0
	v_cvt_f16_f32_e32 v26, v22
	v_mov_b32_e32 v22, 0
	global_store_short v[24:25], v26, off
	s_cbranch_vccnz .LBB264_97
; %bb.96:
	v_add_co_u32 v23, vcc_lo, v16, v40
	v_add_co_ci_u32_e64 v24, null, v17, v41, vcc_lo
	global_load_ushort v23, v[23:24], off
	s_waitcnt vmcnt(0)
	v_mul_f16_e32 v23, v48, v23
	v_cvt_f32_f16_e32 v23, v23
.LBB264_97:
	v_pk_add_f16 v24, v2, v18
	v_pk_add_f16 v25, v3, v19
	v_max_f16_e32 v26, v78, v78
	v_lshrrev_b32_e32 v27, 16, v78
	v_max_f32_e32 v23, v23, v23
	v_lshrrev_b32_e32 v28, 16, v24
	v_lshrrev_b32_e32 v29, 16, v25
	v_min_f16_e32 v24, v26, v24
	v_min3_f16 v26, v27, v28, v29
	v_min3_f16 v24, v24, v25, v26
	v_cvt_f32_f16_e32 v24, v24
	v_min_f32_e32 v23, v23, v24
	v_cvt_f16_f32_e32 v25, v23
	v_add_co_u32 v23, vcc_lo, v20, v40
	v_add_co_ci_u32_e64 v24, null, v21, v41, vcc_lo
	s_and_b32 vcc_lo, exec_lo, s1
	global_store_short v[23:24], v25, off
	s_cbranch_vccnz .LBB264_99
; %bb.98:
	v_add_co_u32 v16, vcc_lo, v16, v44
	v_add_co_ci_u32_e64 v17, null, v17, v45, vcc_lo
	global_load_ushort v16, v[16:17], off
	s_waitcnt vmcnt(0)
	v_mul_f16_e32 v16, v48, v16
	v_cvt_f32_f16_e32 v22, v16
.LBB264_99:
	v_pk_add_f16 v16, v32, v18
	v_pk_add_f16 v19, v33, v19
	v_max_f16_e32 v17, v77, v77
	v_lshrrev_b32_e32 v23, 16, v77
	v_add_nc_u32_e32 v18, 0x48, v83
	v_lshrrev_b32_e32 v24, 16, v16
	v_lshrrev_b32_e32 v25, 16, v19
	v_min_f16_e32 v26, v17, v16
	v_mad_i64_i32 v[16:17], null, v18, s3, 0
	v_min3_f16 v23, v23, v24, v25
	v_max_f32_e32 v24, v22, v22
	v_add_co_u32 v22, vcc_lo, v20, v44
	v_mov_b32_e32 v20, 0
	v_min3_f16 v19, v26, v19, v23
	v_lshlrev_b64 v[16:17], 1, v[16:17]
	v_add_co_ci_u32_e64 v23, null, v21, v45, vcc_lo
	v_cvt_f32_f16_e32 v19, v19
	v_add_co_u32 v16, vcc_lo, s8, v16
	v_add_co_ci_u32_e64 v17, null, s9, v17, vcc_lo
	v_min_f32_e32 v19, v24, v19
	s_and_b32 vcc_lo, exec_lo, s1
	v_cvt_f16_f32_e32 v21, v19
	v_mov_b32_e32 v19, 0
	global_store_short v[22:23], v21, off
	s_cbranch_vccnz .LBB264_101
; %bb.100:
	v_add_co_u32 v21, vcc_lo, v16, v36
	v_add_co_ci_u32_e64 v22, null, v17, v37, vcc_lo
	global_load_ushort v19, v[21:22], off
	s_waitcnt vmcnt(0)
	v_mul_f16_e32 v19, v48, v19
	v_cvt_f32_f16_e32 v19, v19
.LBB264_101:
	v_pk_add_f16 v21, v38, v12
	v_pk_add_f16 v23, v39, v13
	v_max_f16_e32 v22, v76, v76
	v_lshrrev_b32_e32 v24, 16, v76
	v_lshrrev_b32_e32 v25, 16, v21
	;; [unrolled: 1-line block ×3, first 2 shown]
	v_min_f16_e32 v27, v22, v21
	v_mad_i64_i32 v[21:22], null, v18, s4, 0
	v_min3_f16 v24, v24, v25, v26
	v_min3_f16 v18, v27, v23, v24
	v_max_f32_e32 v23, v19, v19
	v_cvt_f32_f16_e32 v24, v18
	v_lshlrev_b64 v[18:19], 1, v[21:22]
	v_min_f32_e32 v21, v23, v24
	v_add_co_u32 v18, vcc_lo, s5, v18
	v_add_co_ci_u32_e64 v19, null, s6, v19, vcc_lo
	v_cvt_f16_f32_e32 v23, v21
	v_add_co_u32 v21, vcc_lo, v18, v36
	v_add_co_ci_u32_e64 v22, null, v19, v37, vcc_lo
	s_and_b32 vcc_lo, exec_lo, s1
	global_store_short v[21:22], v23, off
	s_cbranch_vccnz .LBB264_103
; %bb.102:
	v_add_co_u32 v20, vcc_lo, v16, v42
	v_add_co_ci_u32_e64 v21, null, v17, v43, vcc_lo
	global_load_ushort v20, v[20:21], off
	s_waitcnt vmcnt(0)
	v_mul_f16_e32 v20, v48, v20
	v_cvt_f32_f16_e32 v20, v20
.LBB264_103:
	v_pk_add_f16 v21, v0, v12
	v_pk_add_f16 v22, v1, v13
	v_max_f16_e32 v23, v75, v75
	v_lshrrev_b32_e32 v24, 16, v75
	v_max_f32_e32 v20, v20, v20
	v_lshrrev_b32_e32 v25, 16, v21
	v_lshrrev_b32_e32 v26, 16, v22
	v_min_f16_e32 v21, v23, v21
	v_min3_f16 v23, v24, v25, v26
	v_min3_f16 v21, v21, v22, v23
	v_add_co_u32 v22, vcc_lo, v18, v42
	v_add_co_ci_u32_e64 v23, null, v19, v43, vcc_lo
	v_cvt_f32_f16_e32 v21, v21
	s_and_b32 vcc_lo, exec_lo, s1
	v_min_f32_e32 v20, v20, v21
	v_mov_b32_e32 v21, 0
	v_cvt_f16_f32_e32 v24, v20
	v_mov_b32_e32 v20, 0
	global_store_short v[22:23], v24, off
	s_cbranch_vccnz .LBB264_105
; %bb.104:
	v_add_co_u32 v21, vcc_lo, v16, v40
	v_add_co_ci_u32_e64 v22, null, v17, v41, vcc_lo
	global_load_ushort v21, v[21:22], off
	s_waitcnt vmcnt(0)
	v_mul_f16_e32 v21, v48, v21
	v_cvt_f32_f16_e32 v21, v21
.LBB264_105:
	v_pk_add_f16 v22, v2, v12
	v_pk_add_f16 v23, v3, v13
	v_max_f16_e32 v24, v73, v73
	v_lshrrev_b32_e32 v25, 16, v73
	v_max_f32_e32 v21, v21, v21
	v_lshrrev_b32_e32 v26, 16, v22
	v_lshrrev_b32_e32 v27, 16, v23
	v_min_f16_e32 v22, v24, v22
	v_min3_f16 v24, v25, v26, v27
	v_min3_f16 v22, v22, v23, v24
	v_cvt_f32_f16_e32 v22, v22
	v_min_f32_e32 v21, v21, v22
	v_cvt_f16_f32_e32 v23, v21
	v_add_co_u32 v21, vcc_lo, v18, v40
	v_add_co_ci_u32_e64 v22, null, v19, v41, vcc_lo
	s_and_b32 vcc_lo, exec_lo, s1
	global_store_short v[21:22], v23, off
	s_cbranch_vccnz .LBB264_107
; %bb.106:
	v_add_co_u32 v16, vcc_lo, v16, v44
	v_add_co_ci_u32_e64 v17, null, v17, v45, vcc_lo
	global_load_ushort v16, v[16:17], off
	s_waitcnt vmcnt(0)
	v_mul_f16_e32 v16, v48, v16
	v_cvt_f32_f16_e32 v20, v16
.LBB264_107:
	v_pk_add_f16 v12, v32, v12
	v_pk_add_f16 v17, v33, v13
	v_max_f16_e32 v13, v74, v74
	v_lshrrev_b32_e32 v21, 16, v74
	v_add_nc_u32_e32 v16, 0x50, v83
	v_lshrrev_b32_e32 v22, 16, v12
	v_lshrrev_b32_e32 v23, 16, v17
	v_min_f16_e32 v24, v13, v12
	v_mad_i64_i32 v[12:13], null, v16, s3, 0
	v_min3_f16 v21, v21, v22, v23
	v_max_f32_e32 v22, v20, v20
	v_add_co_u32 v20, vcc_lo, v18, v44
	v_mov_b32_e32 v18, 0
	v_min3_f16 v17, v24, v17, v21
	v_lshlrev_b64 v[12:13], 1, v[12:13]
	v_add_co_ci_u32_e64 v21, null, v19, v45, vcc_lo
	v_cvt_f32_f16_e32 v17, v17
	v_add_co_u32 v12, vcc_lo, s8, v12
	v_add_co_ci_u32_e64 v13, null, s9, v13, vcc_lo
	v_min_f32_e32 v17, v22, v17
	s_and_b32 vcc_lo, exec_lo, s1
	v_cvt_f16_f32_e32 v19, v17
	v_mov_b32_e32 v17, 0
	global_store_short v[20:21], v19, off
	s_cbranch_vccnz .LBB264_109
; %bb.108:
	v_add_co_u32 v19, vcc_lo, v12, v36
	v_add_co_ci_u32_e64 v20, null, v13, v37, vcc_lo
	global_load_ushort v17, v[19:20], off
	s_waitcnt vmcnt(0)
	v_mul_f16_e32 v17, v48, v17
	v_cvt_f32_f16_e32 v17, v17
.LBB264_109:
	v_pk_add_f16 v19, v38, v14
	v_pk_add_f16 v21, v39, v15
	v_max_f16_e32 v20, v72, v72
	v_lshrrev_b32_e32 v22, 16, v72
	v_lshrrev_b32_e32 v23, 16, v19
	;; [unrolled: 1-line block ×3, first 2 shown]
	v_min_f16_e32 v25, v20, v19
	v_mad_i64_i32 v[19:20], null, v16, s4, 0
	v_min3_f16 v22, v22, v23, v24
	v_min3_f16 v16, v25, v21, v22
	v_max_f32_e32 v21, v17, v17
	v_cvt_f32_f16_e32 v22, v16
	v_lshlrev_b64 v[16:17], 1, v[19:20]
	v_min_f32_e32 v19, v21, v22
	v_add_co_u32 v16, vcc_lo, s5, v16
	v_add_co_ci_u32_e64 v17, null, s6, v17, vcc_lo
	v_cvt_f16_f32_e32 v21, v19
	v_add_co_u32 v19, vcc_lo, v16, v36
	v_add_co_ci_u32_e64 v20, null, v17, v37, vcc_lo
	s_and_b32 vcc_lo, exec_lo, s1
	global_store_short v[19:20], v21, off
	s_cbranch_vccnz .LBB264_111
; %bb.110:
	v_add_co_u32 v18, vcc_lo, v12, v42
	v_add_co_ci_u32_e64 v19, null, v13, v43, vcc_lo
	global_load_ushort v18, v[18:19], off
	s_waitcnt vmcnt(0)
	v_mul_f16_e32 v18, v48, v18
	v_cvt_f32_f16_e32 v18, v18
.LBB264_111:
	v_pk_add_f16 v19, v0, v14
	v_pk_add_f16 v20, v1, v15
	v_max_f16_e32 v21, v71, v71
	v_lshrrev_b32_e32 v22, 16, v71
	v_max_f32_e32 v18, v18, v18
	v_lshrrev_b32_e32 v23, 16, v19
	v_lshrrev_b32_e32 v24, 16, v20
	v_min_f16_e32 v19, v21, v19
	v_min3_f16 v21, v22, v23, v24
	v_min3_f16 v19, v19, v20, v21
	v_add_co_u32 v20, vcc_lo, v16, v42
	v_add_co_ci_u32_e64 v21, null, v17, v43, vcc_lo
	v_cvt_f32_f16_e32 v19, v19
	s_and_b32 vcc_lo, exec_lo, s1
	v_min_f32_e32 v18, v18, v19
	v_mov_b32_e32 v19, 0
	v_cvt_f16_f32_e32 v22, v18
	v_mov_b32_e32 v18, 0
	global_store_short v[20:21], v22, off
	s_cbranch_vccnz .LBB264_113
; %bb.112:
	v_add_co_u32 v19, vcc_lo, v12, v40
	v_add_co_ci_u32_e64 v20, null, v13, v41, vcc_lo
	global_load_ushort v19, v[19:20], off
	s_waitcnt vmcnt(0)
	v_mul_f16_e32 v19, v48, v19
	v_cvt_f32_f16_e32 v19, v19
.LBB264_113:
	v_pk_add_f16 v20, v2, v14
	v_pk_add_f16 v21, v3, v15
	v_max_f16_e32 v22, v70, v70
	v_lshrrev_b32_e32 v23, 16, v70
	v_max_f32_e32 v19, v19, v19
	v_lshrrev_b32_e32 v24, 16, v20
	v_lshrrev_b32_e32 v25, 16, v21
	v_min_f16_e32 v20, v22, v20
	v_min3_f16 v22, v23, v24, v25
	v_min3_f16 v20, v20, v21, v22
	v_cvt_f32_f16_e32 v20, v20
	v_min_f32_e32 v19, v19, v20
	v_cvt_f16_f32_e32 v21, v19
	v_add_co_u32 v19, vcc_lo, v16, v40
	v_add_co_ci_u32_e64 v20, null, v17, v41, vcc_lo
	s_and_b32 vcc_lo, exec_lo, s1
	global_store_short v[19:20], v21, off
	s_cbranch_vccnz .LBB264_115
; %bb.114:
	v_add_co_u32 v12, vcc_lo, v12, v44
	v_add_co_ci_u32_e64 v13, null, v13, v45, vcc_lo
	global_load_ushort v12, v[12:13], off
	s_waitcnt vmcnt(0)
	v_mul_f16_e32 v12, v48, v12
	v_cvt_f32_f16_e32 v18, v12
.LBB264_115:
	v_pk_add_f16 v12, v32, v14
	v_pk_add_f16 v15, v33, v15
	v_max_f16_e32 v13, v69, v69
	v_lshrrev_b32_e32 v19, 16, v69
	v_add_nc_u32_e32 v14, 0x58, v83
	v_lshrrev_b32_e32 v20, 16, v12
	v_lshrrev_b32_e32 v21, 16, v15
	v_min_f16_e32 v22, v13, v12
	v_mad_i64_i32 v[12:13], null, v14, s3, 0
	v_min3_f16 v19, v19, v20, v21
	v_max_f32_e32 v20, v18, v18
	v_add_co_u32 v18, vcc_lo, v16, v44
	v_mov_b32_e32 v16, 0
	v_min3_f16 v15, v22, v15, v19
	v_lshlrev_b64 v[12:13], 1, v[12:13]
	v_add_co_ci_u32_e64 v19, null, v17, v45, vcc_lo
	v_cvt_f32_f16_e32 v15, v15
	v_add_co_u32 v12, vcc_lo, s8, v12
	v_add_co_ci_u32_e64 v13, null, s9, v13, vcc_lo
	v_min_f32_e32 v15, v20, v15
	s_and_b32 vcc_lo, exec_lo, s1
	v_cvt_f16_f32_e32 v17, v15
	v_mov_b32_e32 v15, 0
	global_store_short v[18:19], v17, off
	s_cbranch_vccnz .LBB264_117
; %bb.116:
	v_add_co_u32 v17, vcc_lo, v12, v36
	v_add_co_ci_u32_e64 v18, null, v13, v37, vcc_lo
	global_load_ushort v15, v[17:18], off
	s_waitcnt vmcnt(0)
	v_mul_f16_e32 v15, v48, v15
	v_cvt_f32_f16_e32 v15, v15
.LBB264_117:
	v_pk_add_f16 v17, v38, v8
	v_pk_add_f16 v19, v39, v9
	v_max_f16_e32 v18, v68, v68
	v_lshrrev_b32_e32 v20, 16, v68
	v_lshrrev_b32_e32 v21, 16, v17
	;; [unrolled: 1-line block ×3, first 2 shown]
	v_min_f16_e32 v23, v18, v17
	v_mad_i64_i32 v[17:18], null, v14, s4, 0
	v_min3_f16 v20, v20, v21, v22
	v_min3_f16 v14, v23, v19, v20
	v_max_f32_e32 v19, v15, v15
	v_cvt_f32_f16_e32 v20, v14
	v_lshlrev_b64 v[14:15], 1, v[17:18]
	v_min_f32_e32 v17, v19, v20
	v_add_co_u32 v14, vcc_lo, s5, v14
	v_add_co_ci_u32_e64 v15, null, s6, v15, vcc_lo
	v_cvt_f16_f32_e32 v19, v17
	v_add_co_u32 v17, vcc_lo, v14, v36
	v_add_co_ci_u32_e64 v18, null, v15, v37, vcc_lo
	s_and_b32 vcc_lo, exec_lo, s1
	global_store_short v[17:18], v19, off
	s_cbranch_vccnz .LBB264_119
; %bb.118:
	v_add_co_u32 v16, vcc_lo, v12, v42
	v_add_co_ci_u32_e64 v17, null, v13, v43, vcc_lo
	global_load_ushort v16, v[16:17], off
	s_waitcnt vmcnt(0)
	v_mul_f16_e32 v16, v48, v16
	v_cvt_f32_f16_e32 v16, v16
.LBB264_119:
	v_pk_add_f16 v17, v0, v8
	v_pk_add_f16 v18, v1, v9
	v_max_f16_e32 v19, v67, v67
	v_lshrrev_b32_e32 v20, 16, v67
	v_max_f32_e32 v16, v16, v16
	v_lshrrev_b32_e32 v21, 16, v17
	v_lshrrev_b32_e32 v22, 16, v18
	v_min_f16_e32 v17, v19, v17
	v_min3_f16 v19, v20, v21, v22
	v_min3_f16 v17, v17, v18, v19
	v_add_co_u32 v18, vcc_lo, v14, v42
	v_add_co_ci_u32_e64 v19, null, v15, v43, vcc_lo
	v_cvt_f32_f16_e32 v17, v17
	s_and_b32 vcc_lo, exec_lo, s1
	v_min_f32_e32 v16, v16, v17
	v_mov_b32_e32 v17, 0
	v_cvt_f16_f32_e32 v20, v16
	v_mov_b32_e32 v16, 0
	global_store_short v[18:19], v20, off
	s_cbranch_vccnz .LBB264_121
; %bb.120:
	v_add_co_u32 v17, vcc_lo, v12, v40
	v_add_co_ci_u32_e64 v18, null, v13, v41, vcc_lo
	global_load_ushort v17, v[17:18], off
	s_waitcnt vmcnt(0)
	v_mul_f16_e32 v17, v48, v17
	v_cvt_f32_f16_e32 v17, v17
.LBB264_121:
	v_pk_add_f16 v18, v2, v8
	v_pk_add_f16 v19, v3, v9
	v_max_f16_e32 v20, v66, v66
	v_lshrrev_b32_e32 v21, 16, v66
	v_max_f32_e32 v17, v17, v17
	v_lshrrev_b32_e32 v22, 16, v18
	v_lshrrev_b32_e32 v23, 16, v19
	v_min_f16_e32 v18, v20, v18
	v_min3_f16 v20, v21, v22, v23
	v_min3_f16 v18, v18, v19, v20
	v_cvt_f32_f16_e32 v18, v18
	v_min_f32_e32 v17, v17, v18
	v_cvt_f16_f32_e32 v19, v17
	v_add_co_u32 v17, vcc_lo, v14, v40
	v_add_co_ci_u32_e64 v18, null, v15, v41, vcc_lo
	s_and_b32 vcc_lo, exec_lo, s1
	global_store_short v[17:18], v19, off
	s_cbranch_vccnz .LBB264_123
; %bb.122:
	v_add_co_u32 v12, vcc_lo, v12, v44
	v_add_co_ci_u32_e64 v13, null, v13, v45, vcc_lo
	global_load_ushort v12, v[12:13], off
	s_waitcnt vmcnt(0)
	v_mul_f16_e32 v12, v48, v12
	v_cvt_f32_f16_e32 v16, v12
.LBB264_123:
	v_pk_add_f16 v8, v32, v8
	v_pk_add_f16 v13, v33, v9
	v_max_f16_e32 v9, v65, v65
	v_lshrrev_b32_e32 v17, 16, v65
	v_add_nc_u32_e32 v12, 0x60, v83
	v_lshrrev_b32_e32 v18, 16, v8
	v_lshrrev_b32_e32 v19, 16, v13
	v_min_f16_e32 v20, v9, v8
	v_mad_i64_i32 v[8:9], null, v12, s3, 0
	v_min3_f16 v17, v17, v18, v19
	v_max_f32_e32 v18, v16, v16
	v_add_co_u32 v16, vcc_lo, v14, v44
	v_mov_b32_e32 v14, 0
	v_min3_f16 v13, v20, v13, v17
	v_lshlrev_b64 v[8:9], 1, v[8:9]
	v_add_co_ci_u32_e64 v17, null, v15, v45, vcc_lo
	v_cvt_f32_f16_e32 v13, v13
	v_add_co_u32 v8, vcc_lo, s8, v8
	v_add_co_ci_u32_e64 v9, null, s9, v9, vcc_lo
	v_min_f32_e32 v13, v18, v13
	s_and_b32 vcc_lo, exec_lo, s1
	v_cvt_f16_f32_e32 v15, v13
	v_mov_b32_e32 v13, 0
	global_store_short v[16:17], v15, off
	s_cbranch_vccnz .LBB264_125
; %bb.124:
	v_add_co_u32 v15, vcc_lo, v8, v36
	v_add_co_ci_u32_e64 v16, null, v9, v37, vcc_lo
	global_load_ushort v13, v[15:16], off
	s_waitcnt vmcnt(0)
	v_mul_f16_e32 v13, v48, v13
	v_cvt_f32_f16_e32 v13, v13
.LBB264_125:
	v_pk_add_f16 v15, v38, v10
	v_pk_add_f16 v17, v39, v11
	v_max_f16_e32 v16, v64, v64
	v_lshrrev_b32_e32 v18, 16, v64
	v_lshrrev_b32_e32 v19, 16, v15
	v_lshrrev_b32_e32 v20, 16, v17
	v_min_f16_e32 v21, v16, v15
	v_mad_i64_i32 v[15:16], null, v12, s4, 0
	v_min3_f16 v18, v18, v19, v20
	v_min3_f16 v12, v21, v17, v18
	v_max_f32_e32 v17, v13, v13
	v_cvt_f32_f16_e32 v18, v12
	v_lshlrev_b64 v[12:13], 1, v[15:16]
	v_min_f32_e32 v15, v17, v18
	v_add_co_u32 v12, vcc_lo, s5, v12
	v_add_co_ci_u32_e64 v13, null, s6, v13, vcc_lo
	v_cvt_f16_f32_e32 v17, v15
	v_add_co_u32 v15, vcc_lo, v12, v36
	v_add_co_ci_u32_e64 v16, null, v13, v37, vcc_lo
	s_and_b32 vcc_lo, exec_lo, s1
	global_store_short v[15:16], v17, off
	s_cbranch_vccnz .LBB264_127
; %bb.126:
	v_add_co_u32 v14, vcc_lo, v8, v42
	v_add_co_ci_u32_e64 v15, null, v9, v43, vcc_lo
	global_load_ushort v14, v[14:15], off
	s_waitcnt vmcnt(0)
	v_mul_f16_e32 v14, v48, v14
	v_cvt_f32_f16_e32 v14, v14
.LBB264_127:
	v_pk_add_f16 v15, v0, v10
	v_pk_add_f16 v16, v1, v11
	v_max_f16_e32 v17, v63, v63
	v_lshrrev_b32_e32 v18, 16, v63
	v_max_f32_e32 v14, v14, v14
	v_lshrrev_b32_e32 v19, 16, v15
	v_lshrrev_b32_e32 v20, 16, v16
	v_min_f16_e32 v15, v17, v15
	v_min3_f16 v17, v18, v19, v20
	v_min3_f16 v15, v15, v16, v17
	v_add_co_u32 v16, vcc_lo, v12, v42
	v_add_co_ci_u32_e64 v17, null, v13, v43, vcc_lo
	v_cvt_f32_f16_e32 v15, v15
	s_and_b32 vcc_lo, exec_lo, s1
	v_min_f32_e32 v14, v14, v15
	v_mov_b32_e32 v15, 0
	v_cvt_f16_f32_e32 v18, v14
	v_mov_b32_e32 v14, 0
	global_store_short v[16:17], v18, off
	s_cbranch_vccnz .LBB264_129
; %bb.128:
	v_add_co_u32 v15, vcc_lo, v8, v40
	v_add_co_ci_u32_e64 v16, null, v9, v41, vcc_lo
	global_load_ushort v15, v[15:16], off
	s_waitcnt vmcnt(0)
	v_mul_f16_e32 v15, v48, v15
	v_cvt_f32_f16_e32 v15, v15
.LBB264_129:
	v_pk_add_f16 v16, v2, v10
	v_pk_add_f16 v17, v3, v11
	v_max_f16_e32 v18, v62, v62
	v_lshrrev_b32_e32 v19, 16, v62
	v_max_f32_e32 v15, v15, v15
	v_lshrrev_b32_e32 v20, 16, v16
	v_lshrrev_b32_e32 v21, 16, v17
	v_min_f16_e32 v16, v18, v16
	v_min3_f16 v18, v19, v20, v21
	v_min3_f16 v16, v16, v17, v18
	v_cvt_f32_f16_e32 v16, v16
	v_min_f32_e32 v15, v15, v16
	v_cvt_f16_f32_e32 v17, v15
	v_add_co_u32 v15, vcc_lo, v12, v40
	v_add_co_ci_u32_e64 v16, null, v13, v41, vcc_lo
	s_and_b32 vcc_lo, exec_lo, s1
	global_store_short v[15:16], v17, off
	s_cbranch_vccnz .LBB264_131
; %bb.130:
	v_add_co_u32 v8, vcc_lo, v8, v44
	v_add_co_ci_u32_e64 v9, null, v9, v45, vcc_lo
	global_load_ushort v8, v[8:9], off
	s_waitcnt vmcnt(0)
	v_mul_f16_e32 v8, v48, v8
	v_cvt_f32_f16_e32 v14, v8
.LBB264_131:
	v_pk_add_f16 v8, v32, v10
	v_pk_add_f16 v11, v33, v11
	v_max_f16_e32 v9, v61, v61
	v_lshrrev_b32_e32 v15, 16, v61
	v_add_nc_u32_e32 v10, 0x68, v83
	v_lshrrev_b32_e32 v16, 16, v8
	v_lshrrev_b32_e32 v17, 16, v11
	v_min_f16_e32 v18, v9, v8
	v_mad_i64_i32 v[8:9], null, v10, s3, 0
	v_min3_f16 v15, v15, v16, v17
	v_max_f32_e32 v16, v14, v14
	v_add_co_u32 v14, vcc_lo, v12, v44
	v_mov_b32_e32 v12, 0
	v_min3_f16 v11, v18, v11, v15
	v_lshlrev_b64 v[8:9], 1, v[8:9]
	v_add_co_ci_u32_e64 v15, null, v13, v45, vcc_lo
	v_cvt_f32_f16_e32 v11, v11
	v_add_co_u32 v8, vcc_lo, s8, v8
	v_add_co_ci_u32_e64 v9, null, s9, v9, vcc_lo
	v_min_f32_e32 v11, v16, v11
	s_and_b32 vcc_lo, exec_lo, s1
	v_cvt_f16_f32_e32 v13, v11
	v_mov_b32_e32 v11, 0
	global_store_short v[14:15], v13, off
	s_cbranch_vccnz .LBB264_133
; %bb.132:
	v_add_co_u32 v13, vcc_lo, v8, v36
	v_add_co_ci_u32_e64 v14, null, v9, v37, vcc_lo
	global_load_ushort v11, v[13:14], off
	s_waitcnt vmcnt(0)
	v_mul_f16_e32 v11, v48, v11
	v_cvt_f32_f16_e32 v11, v11
.LBB264_133:
	v_pk_add_f16 v13, v38, v4
	v_pk_add_f16 v15, v39, v5
	v_max_f16_e32 v14, v60, v60
	v_lshrrev_b32_e32 v16, 16, v60
	v_lshrrev_b32_e32 v17, 16, v13
	;; [unrolled: 1-line block ×3, first 2 shown]
	v_min_f16_e32 v19, v14, v13
	v_mad_i64_i32 v[13:14], null, v10, s4, 0
	v_min3_f16 v16, v16, v17, v18
	v_min3_f16 v10, v19, v15, v16
	v_max_f32_e32 v15, v11, v11
	v_cvt_f32_f16_e32 v16, v10
	v_lshlrev_b64 v[10:11], 1, v[13:14]
	v_min_f32_e32 v13, v15, v16
	v_add_co_u32 v10, vcc_lo, s5, v10
	v_add_co_ci_u32_e64 v11, null, s6, v11, vcc_lo
	v_cvt_f16_f32_e32 v15, v13
	v_add_co_u32 v13, vcc_lo, v10, v36
	v_add_co_ci_u32_e64 v14, null, v11, v37, vcc_lo
	s_and_b32 vcc_lo, exec_lo, s1
	global_store_short v[13:14], v15, off
	s_cbranch_vccnz .LBB264_135
; %bb.134:
	v_add_co_u32 v12, vcc_lo, v8, v42
	v_add_co_ci_u32_e64 v13, null, v9, v43, vcc_lo
	global_load_ushort v12, v[12:13], off
	s_waitcnt vmcnt(0)
	v_mul_f16_e32 v12, v48, v12
	v_cvt_f32_f16_e32 v12, v12
.LBB264_135:
	v_pk_add_f16 v13, v0, v4
	v_pk_add_f16 v14, v1, v5
	v_max_f16_e32 v15, v59, v59
	v_lshrrev_b32_e32 v16, 16, v59
	v_max_f32_e32 v12, v12, v12
	v_lshrrev_b32_e32 v17, 16, v13
	v_lshrrev_b32_e32 v18, 16, v14
	v_min_f16_e32 v13, v15, v13
	v_min3_f16 v15, v16, v17, v18
	v_min3_f16 v13, v13, v14, v15
	v_add_co_u32 v14, vcc_lo, v10, v42
	v_add_co_ci_u32_e64 v15, null, v11, v43, vcc_lo
	v_cvt_f32_f16_e32 v13, v13
	s_and_b32 vcc_lo, exec_lo, s1
	v_min_f32_e32 v12, v12, v13
	v_mov_b32_e32 v13, 0
	v_cvt_f16_f32_e32 v16, v12
	v_mov_b32_e32 v12, 0
	global_store_short v[14:15], v16, off
	s_cbranch_vccnz .LBB264_137
; %bb.136:
	v_add_co_u32 v13, vcc_lo, v8, v40
	v_add_co_ci_u32_e64 v14, null, v9, v41, vcc_lo
	global_load_ushort v13, v[13:14], off
	s_waitcnt vmcnt(0)
	v_mul_f16_e32 v13, v48, v13
	v_cvt_f32_f16_e32 v13, v13
.LBB264_137:
	v_pk_add_f16 v14, v2, v4
	v_pk_add_f16 v15, v3, v5
	v_max_f16_e32 v16, v58, v58
	v_lshrrev_b32_e32 v17, 16, v58
	v_max_f32_e32 v13, v13, v13
	v_lshrrev_b32_e32 v18, 16, v14
	v_lshrrev_b32_e32 v19, 16, v15
	v_min_f16_e32 v14, v16, v14
	v_min3_f16 v16, v17, v18, v19
	v_min3_f16 v14, v14, v15, v16
	v_cvt_f32_f16_e32 v14, v14
	v_min_f32_e32 v13, v13, v14
	v_cvt_f16_f32_e32 v15, v13
	v_add_co_u32 v13, vcc_lo, v10, v40
	v_add_co_ci_u32_e64 v14, null, v11, v41, vcc_lo
	s_and_b32 vcc_lo, exec_lo, s1
	global_store_short v[13:14], v15, off
	s_cbranch_vccnz .LBB264_139
; %bb.138:
	v_add_co_u32 v8, vcc_lo, v8, v44
	v_add_co_ci_u32_e64 v9, null, v9, v45, vcc_lo
	global_load_ushort v8, v[8:9], off
	s_waitcnt vmcnt(0)
	v_mul_f16_e32 v8, v48, v8
	v_cvt_f32_f16_e32 v12, v8
.LBB264_139:
	v_pk_add_f16 v4, v32, v4
	v_pk_add_f16 v9, v33, v5
	v_max_f16_e32 v5, v57, v57
	v_lshrrev_b32_e32 v13, 16, v57
	v_add_nc_u32_e32 v8, 0x70, v83
	v_lshrrev_b32_e32 v14, 16, v4
	v_lshrrev_b32_e32 v15, 16, v9
	v_min_f16_e32 v16, v5, v4
	v_mad_i64_i32 v[4:5], null, v8, s3, 0
	v_min3_f16 v13, v13, v14, v15
	v_max_f32_e32 v14, v12, v12
	v_add_co_u32 v12, vcc_lo, v10, v44
	v_mov_b32_e32 v10, 0
	v_min3_f16 v9, v16, v9, v13
	v_lshlrev_b64 v[4:5], 1, v[4:5]
	v_add_co_ci_u32_e64 v13, null, v11, v45, vcc_lo
	v_cvt_f32_f16_e32 v9, v9
	v_add_co_u32 v4, vcc_lo, s8, v4
	v_add_co_ci_u32_e64 v5, null, s9, v5, vcc_lo
	v_min_f32_e32 v9, v14, v9
	s_and_b32 vcc_lo, exec_lo, s1
	v_cvt_f16_f32_e32 v11, v9
	v_mov_b32_e32 v9, 0
	global_store_short v[12:13], v11, off
	s_cbranch_vccnz .LBB264_141
; %bb.140:
	v_add_co_u32 v11, vcc_lo, v4, v36
	v_add_co_ci_u32_e64 v12, null, v5, v37, vcc_lo
	global_load_ushort v9, v[11:12], off
	s_waitcnt vmcnt(0)
	v_mul_f16_e32 v9, v48, v9
	v_cvt_f32_f16_e32 v9, v9
.LBB264_141:
	v_pk_add_f16 v11, v38, v6
	v_pk_add_f16 v13, v39, v7
	v_max_f16_e32 v12, v54, v54
	v_lshrrev_b32_e32 v14, 16, v54
	v_lshrrev_b32_e32 v15, 16, v11
	;; [unrolled: 1-line block ×3, first 2 shown]
	v_min_f16_e32 v17, v12, v11
	v_mad_i64_i32 v[11:12], null, v8, s4, 0
	v_min3_f16 v14, v14, v15, v16
	v_min3_f16 v8, v17, v13, v14
	v_max_f32_e32 v13, v9, v9
	v_cvt_f32_f16_e32 v14, v8
	v_lshlrev_b64 v[8:9], 1, v[11:12]
	v_min_f32_e32 v11, v13, v14
	v_add_co_u32 v8, vcc_lo, s5, v8
	v_add_co_ci_u32_e64 v9, null, s6, v9, vcc_lo
	v_cvt_f16_f32_e32 v13, v11
	v_add_co_u32 v11, vcc_lo, v8, v36
	v_add_co_ci_u32_e64 v12, null, v9, v37, vcc_lo
	s_and_b32 vcc_lo, exec_lo, s1
	global_store_short v[11:12], v13, off
	s_cbranch_vccnz .LBB264_143
; %bb.142:
	v_add_co_u32 v10, vcc_lo, v4, v42
	v_add_co_ci_u32_e64 v11, null, v5, v43, vcc_lo
	global_load_ushort v10, v[10:11], off
	s_waitcnt vmcnt(0)
	v_mul_f16_e32 v10, v48, v10
	v_cvt_f32_f16_e32 v10, v10
.LBB264_143:
	v_pk_add_f16 v11, v0, v6
	v_pk_add_f16 v12, v1, v7
	v_max_f16_e32 v13, v53, v53
	v_lshrrev_b32_e32 v14, 16, v53
	v_max_f32_e32 v10, v10, v10
	v_lshrrev_b32_e32 v15, 16, v11
	v_lshrrev_b32_e32 v16, 16, v12
	v_min_f16_e32 v11, v13, v11
	v_min3_f16 v13, v14, v15, v16
	v_min3_f16 v11, v11, v12, v13
	v_add_co_u32 v12, vcc_lo, v8, v42
	v_add_co_ci_u32_e64 v13, null, v9, v43, vcc_lo
	v_cvt_f32_f16_e32 v11, v11
	s_and_b32 vcc_lo, exec_lo, s1
	v_min_f32_e32 v10, v10, v11
	v_mov_b32_e32 v11, 0
	v_cvt_f16_f32_e32 v14, v10
	v_mov_b32_e32 v10, 0
	global_store_short v[12:13], v14, off
	s_cbranch_vccnz .LBB264_145
; %bb.144:
	v_add_co_u32 v11, vcc_lo, v4, v40
	v_add_co_ci_u32_e64 v12, null, v5, v41, vcc_lo
	global_load_ushort v11, v[11:12], off
	s_waitcnt vmcnt(0)
	v_mul_f16_e32 v11, v48, v11
	v_cvt_f32_f16_e32 v11, v11
.LBB264_145:
	v_pk_add_f16 v12, v2, v6
	v_pk_add_f16 v13, v3, v7
	v_max_f16_e32 v14, v50, v50
	v_lshrrev_b32_e32 v15, 16, v50
	v_max_f32_e32 v11, v11, v11
	v_lshrrev_b32_e32 v16, 16, v12
	v_lshrrev_b32_e32 v17, 16, v13
	v_min_f16_e32 v12, v14, v12
	v_min3_f16 v14, v15, v16, v17
	v_min3_f16 v12, v12, v13, v14
	v_cvt_f32_f16_e32 v12, v12
	v_min_f32_e32 v11, v11, v12
	v_cvt_f16_f32_e32 v13, v11
	v_add_co_u32 v11, vcc_lo, v8, v40
	v_add_co_ci_u32_e64 v12, null, v9, v41, vcc_lo
	s_and_b32 vcc_lo, exec_lo, s1
	global_store_short v[11:12], v13, off
	s_cbranch_vccnz .LBB264_147
; %bb.146:
	v_add_co_u32 v4, vcc_lo, v4, v44
	v_add_co_ci_u32_e64 v5, null, v5, v45, vcc_lo
	global_load_ushort v4, v[4:5], off
	s_waitcnt vmcnt(0)
	v_mul_f16_e32 v4, v48, v4
	v_cvt_f32_f16_e32 v10, v4
.LBB264_147:
	v_pk_add_f16 v4, v32, v6
	v_pk_add_f16 v7, v33, v7
	v_max_f16_e32 v5, v56, v56
	v_lshrrev_b32_e32 v11, 16, v56
	v_add_nc_u32_e32 v6, 0x78, v83
	v_lshrrev_b32_e32 v12, 16, v4
	v_lshrrev_b32_e32 v13, 16, v7
	v_min_f16_e32 v14, v5, v4
	v_mad_i64_i32 v[4:5], null, v6, s3, 0
	v_min3_f16 v11, v11, v12, v13
	v_max_f32_e32 v12, v10, v10
	v_add_co_u32 v10, vcc_lo, v8, v44
	v_mov_b32_e32 v8, 0
	v_min3_f16 v7, v14, v7, v11
	v_lshlrev_b64 v[4:5], 1, v[4:5]
	v_add_co_ci_u32_e64 v11, null, v9, v45, vcc_lo
	v_cvt_f32_f16_e32 v7, v7
	v_add_co_u32 v4, vcc_lo, s8, v4
	v_add_co_ci_u32_e64 v5, null, s9, v5, vcc_lo
	v_min_f32_e32 v7, v12, v7
	s_and_b32 vcc_lo, exec_lo, s1
	v_cvt_f16_f32_e32 v9, v7
	v_mov_b32_e32 v7, 0
	global_store_short v[10:11], v9, off
	s_cbranch_vccnz .LBB264_149
; %bb.148:
	v_add_co_u32 v9, vcc_lo, v4, v36
	v_add_co_ci_u32_e64 v10, null, v5, v37, vcc_lo
	global_load_ushort v7, v[9:10], off
	s_waitcnt vmcnt(0)
	v_mul_f16_e32 v7, v48, v7
	v_cvt_f32_f16_e32 v7, v7
.LBB264_149:
	v_pk_add_f16 v9, v38, v34
	v_pk_add_f16 v11, v39, v35
	v_max_f16_e32 v10, v55, v55
	v_lshrrev_b32_e32 v12, 16, v55
	v_lshrrev_b32_e32 v13, 16, v9
	;; [unrolled: 1-line block ×3, first 2 shown]
	v_min_f16_e32 v15, v10, v9
	v_mad_i64_i32 v[9:10], null, v6, s4, 0
	v_min3_f16 v12, v12, v13, v14
	v_min3_f16 v6, v15, v11, v12
	v_max_f32_e32 v11, v7, v7
	v_cvt_f32_f16_e32 v12, v6
	v_lshlrev_b64 v[6:7], 1, v[9:10]
	v_min_f32_e32 v9, v11, v12
	v_add_co_u32 v6, vcc_lo, s5, v6
	v_add_co_ci_u32_e64 v7, null, s6, v7, vcc_lo
	v_cvt_f16_f32_e32 v11, v9
	v_add_co_u32 v9, vcc_lo, v6, v36
	v_add_co_ci_u32_e64 v10, null, v7, v37, vcc_lo
	s_and_b32 vcc_lo, exec_lo, s1
	global_store_short v[9:10], v11, off
	s_cbranch_vccnz .LBB264_151
; %bb.150:
	v_add_co_u32 v8, vcc_lo, v4, v42
	v_add_co_ci_u32_e64 v9, null, v5, v43, vcc_lo
	global_load_ushort v8, v[8:9], off
	s_waitcnt vmcnt(0)
	v_mul_f16_e32 v8, v48, v8
	v_cvt_f32_f16_e32 v8, v8
.LBB264_151:
	v_pk_add_f16 v0, v0, v34
	v_pk_add_f16 v1, v1, v35
	v_max_f16_e32 v9, v52, v52
	v_lshrrev_b32_e32 v10, 16, v52
	v_pk_add_f16 v3, v3, v35
	v_lshrrev_b32_e32 v11, 16, v0
	v_lshrrev_b32_e32 v12, 16, v1
	v_min_f16_e32 v0, v9, v0
	s_mov_b32 s1, -1
	v_min3_f16 v9, v10, v11, v12
	v_lshrrev_b32_e32 v10, 16, v51
	v_lshrrev_b32_e32 v12, 16, v3
	v_min3_f16 v0, v0, v1, v9
	v_pk_add_f16 v9, v2, v34
	v_max_f32_e32 v1, v8, v8
	v_max_f16_e32 v8, v51, v51
	v_cvt_f32_f16_e32 v0, v0
	v_lshrrev_b32_e32 v11, 16, v9
	v_min_f16_e32 v8, v8, v9
	v_min_f32_e32 v0, v1, v0
	v_min3_f16 v9, v10, v11, v12
	v_add_co_u32 v1, vcc_lo, v6, v42
	v_add_co_ci_u32_e64 v2, null, v7, v43, vcc_lo
	v_cvt_f16_f32_e32 v10, v0
	v_min3_f16 v0, v8, v3, v9
	s_mov_b32 vcc_lo, s0
	global_store_short v[1:2], v10, off
	s_cbranch_vccz .LBB264_153
; %bb.152:
	v_cvt_f32_f16_e32 v1, v0
	s_mov_b32 s1, 0
	v_min_f32_e32 v1, 0, v1
	v_cvt_f16_f32_e32 v3, v1
	v_add_co_u32 v1, vcc_lo, v6, v40
	v_add_co_ci_u32_e64 v2, null, v7, v41, vcc_lo
	global_store_short v[1:2], v3, off
.LBB264_153:
	v_mov_b32_e32 v1, 0
	s_andn2_b32 vcc_lo, exec_lo, s1
	s_cbranch_vccnz .LBB264_155
; %bb.154:
	v_add_co_u32 v1, vcc_lo, v4, v40
	v_add_co_ci_u32_e64 v2, null, v5, v41, vcc_lo
	global_load_ushort v1, v[1:2], off
	v_max_f16_e32 v2, v0, v0
	v_add_co_u32 v0, vcc_lo, v6, v40
	s_waitcnt vmcnt(0)
	v_mul_f16_e32 v3, v48, v1
	v_add_co_ci_u32_e64 v1, null, v7, v41, vcc_lo
	v_min_f16_e32 v8, v3, v2
	v_add_co_u32 v2, vcc_lo, v4, v44
	v_add_co_ci_u32_e64 v3, null, v5, v45, vcc_lo
	global_store_short v[0:1], v8, off
	global_load_ushort v0, v[2:3], off
	s_waitcnt vmcnt(0)
	v_mul_f16_e32 v0, v48, v0
	v_cvt_f32_f16_e32 v1, v0
.LBB264_155:
	v_pk_add_f16 v0, v32, v34
	v_pk_add_f16 v2, v33, v35
	v_max_f16_e32 v3, v49, v49
	v_lshrrev_b32_e32 v4, 16, v49
	v_max_f32_e32 v1, v1, v1
	v_lshrrev_b32_e32 v5, 16, v0
	v_lshrrev_b32_e32 v8, 16, v2
	v_min_f16_e32 v0, v3, v0
	v_min3_f16 v3, v4, v5, v8
	v_min3_f16 v0, v0, v2, v3
	v_cvt_f32_f16_e32 v0, v0
	v_min_f32_e32 v0, v1, v0
	v_cvt_f16_f32_e32 v2, v0
	v_add_co_u32 v0, vcc_lo, v6, v44
	v_add_co_ci_u32_e64 v1, null, v7, v45, vcc_lo
	global_store_short v[0:1], v2, off
	s_endpgm
	.section	.rodata,"a",@progbits
	.p2align	6, 0x0
	.amdhsa_kernel _ZN12_GLOBAL__N_120geam_min_plus_kernelIDF16_Dv2_DF16_S1_Li32ELi8ELi128ELi128ELi4ELi4ELi64ELi4ELi64ELc84ELc78ELb0ELb0ELb1EPKDF16_S2_DF16_EEviiiT16_PT17_ilS6_ilS4_S6_ilPT18_ili26rocblas_geam_ex_operation_
		.amdhsa_group_segment_fixed_size 4096
		.amdhsa_private_segment_fixed_size 0
		.amdhsa_kernarg_size 136
		.amdhsa_user_sgpr_count 6
		.amdhsa_user_sgpr_private_segment_buffer 1
		.amdhsa_user_sgpr_dispatch_ptr 0
		.amdhsa_user_sgpr_queue_ptr 0
		.amdhsa_user_sgpr_kernarg_segment_ptr 1
		.amdhsa_user_sgpr_dispatch_id 0
		.amdhsa_user_sgpr_flat_scratch_init 0
		.amdhsa_user_sgpr_private_segment_size 0
		.amdhsa_wavefront_size32 1
		.amdhsa_uses_dynamic_stack 0
		.amdhsa_system_sgpr_private_segment_wavefront_offset 0
		.amdhsa_system_sgpr_workgroup_id_x 1
		.amdhsa_system_sgpr_workgroup_id_y 0
		.amdhsa_system_sgpr_workgroup_id_z 1
		.amdhsa_system_sgpr_workgroup_info 0
		.amdhsa_system_vgpr_workitem_id 1
		.amdhsa_next_free_vgpr 151
		.amdhsa_next_free_sgpr 24
		.amdhsa_reserve_vcc 1
		.amdhsa_reserve_flat_scratch 0
		.amdhsa_float_round_mode_32 0
		.amdhsa_float_round_mode_16_64 0
		.amdhsa_float_denorm_mode_32 3
		.amdhsa_float_denorm_mode_16_64 3
		.amdhsa_dx10_clamp 1
		.amdhsa_ieee_mode 1
		.amdhsa_fp16_overflow 0
		.amdhsa_workgroup_processor_mode 1
		.amdhsa_memory_ordered 1
		.amdhsa_forward_progress 1
		.amdhsa_shared_vgpr_count 0
		.amdhsa_exception_fp_ieee_invalid_op 0
		.amdhsa_exception_fp_denorm_src 0
		.amdhsa_exception_fp_ieee_div_zero 0
		.amdhsa_exception_fp_ieee_overflow 0
		.amdhsa_exception_fp_ieee_underflow 0
		.amdhsa_exception_fp_ieee_inexact 0
		.amdhsa_exception_int_div_zero 0
	.end_amdhsa_kernel
	.section	.text._ZN12_GLOBAL__N_120geam_min_plus_kernelIDF16_Dv2_DF16_S1_Li32ELi8ELi128ELi128ELi4ELi4ELi64ELi4ELi64ELc84ELc78ELb0ELb0ELb1EPKDF16_S2_DF16_EEviiiT16_PT17_ilS6_ilS4_S6_ilPT18_ili26rocblas_geam_ex_operation_,"axG",@progbits,_ZN12_GLOBAL__N_120geam_min_plus_kernelIDF16_Dv2_DF16_S1_Li32ELi8ELi128ELi128ELi4ELi4ELi64ELi4ELi64ELc84ELc78ELb0ELb0ELb1EPKDF16_S2_DF16_EEviiiT16_PT17_ilS6_ilS4_S6_ilPT18_ili26rocblas_geam_ex_operation_,comdat
.Lfunc_end264:
	.size	_ZN12_GLOBAL__N_120geam_min_plus_kernelIDF16_Dv2_DF16_S1_Li32ELi8ELi128ELi128ELi4ELi4ELi64ELi4ELi64ELc84ELc78ELb0ELb0ELb1EPKDF16_S2_DF16_EEviiiT16_PT17_ilS6_ilS4_S6_ilPT18_ili26rocblas_geam_ex_operation_, .Lfunc_end264-_ZN12_GLOBAL__N_120geam_min_plus_kernelIDF16_Dv2_DF16_S1_Li32ELi8ELi128ELi128ELi4ELi4ELi64ELi4ELi64ELc84ELc78ELb0ELb0ELb1EPKDF16_S2_DF16_EEviiiT16_PT17_ilS6_ilS4_S6_ilPT18_ili26rocblas_geam_ex_operation_
                                        ; -- End function
	.set _ZN12_GLOBAL__N_120geam_min_plus_kernelIDF16_Dv2_DF16_S1_Li32ELi8ELi128ELi128ELi4ELi4ELi64ELi4ELi64ELc84ELc78ELb0ELb0ELb1EPKDF16_S2_DF16_EEviiiT16_PT17_ilS6_ilS4_S6_ilPT18_ili26rocblas_geam_ex_operation_.num_vgpr, 151
	.set _ZN12_GLOBAL__N_120geam_min_plus_kernelIDF16_Dv2_DF16_S1_Li32ELi8ELi128ELi128ELi4ELi4ELi64ELi4ELi64ELc84ELc78ELb0ELb0ELb1EPKDF16_S2_DF16_EEviiiT16_PT17_ilS6_ilS4_S6_ilPT18_ili26rocblas_geam_ex_operation_.num_agpr, 0
	.set _ZN12_GLOBAL__N_120geam_min_plus_kernelIDF16_Dv2_DF16_S1_Li32ELi8ELi128ELi128ELi4ELi4ELi64ELi4ELi64ELc84ELc78ELb0ELb0ELb1EPKDF16_S2_DF16_EEviiiT16_PT17_ilS6_ilS4_S6_ilPT18_ili26rocblas_geam_ex_operation_.numbered_sgpr, 24
	.set _ZN12_GLOBAL__N_120geam_min_plus_kernelIDF16_Dv2_DF16_S1_Li32ELi8ELi128ELi128ELi4ELi4ELi64ELi4ELi64ELc84ELc78ELb0ELb0ELb1EPKDF16_S2_DF16_EEviiiT16_PT17_ilS6_ilS4_S6_ilPT18_ili26rocblas_geam_ex_operation_.num_named_barrier, 0
	.set _ZN12_GLOBAL__N_120geam_min_plus_kernelIDF16_Dv2_DF16_S1_Li32ELi8ELi128ELi128ELi4ELi4ELi64ELi4ELi64ELc84ELc78ELb0ELb0ELb1EPKDF16_S2_DF16_EEviiiT16_PT17_ilS6_ilS4_S6_ilPT18_ili26rocblas_geam_ex_operation_.private_seg_size, 0
	.set _ZN12_GLOBAL__N_120geam_min_plus_kernelIDF16_Dv2_DF16_S1_Li32ELi8ELi128ELi128ELi4ELi4ELi64ELi4ELi64ELc84ELc78ELb0ELb0ELb1EPKDF16_S2_DF16_EEviiiT16_PT17_ilS6_ilS4_S6_ilPT18_ili26rocblas_geam_ex_operation_.uses_vcc, 1
	.set _ZN12_GLOBAL__N_120geam_min_plus_kernelIDF16_Dv2_DF16_S1_Li32ELi8ELi128ELi128ELi4ELi4ELi64ELi4ELi64ELc84ELc78ELb0ELb0ELb1EPKDF16_S2_DF16_EEviiiT16_PT17_ilS6_ilS4_S6_ilPT18_ili26rocblas_geam_ex_operation_.uses_flat_scratch, 0
	.set _ZN12_GLOBAL__N_120geam_min_plus_kernelIDF16_Dv2_DF16_S1_Li32ELi8ELi128ELi128ELi4ELi4ELi64ELi4ELi64ELc84ELc78ELb0ELb0ELb1EPKDF16_S2_DF16_EEviiiT16_PT17_ilS6_ilS4_S6_ilPT18_ili26rocblas_geam_ex_operation_.has_dyn_sized_stack, 0
	.set _ZN12_GLOBAL__N_120geam_min_plus_kernelIDF16_Dv2_DF16_S1_Li32ELi8ELi128ELi128ELi4ELi4ELi64ELi4ELi64ELc84ELc78ELb0ELb0ELb1EPKDF16_S2_DF16_EEviiiT16_PT17_ilS6_ilS4_S6_ilPT18_ili26rocblas_geam_ex_operation_.has_recursion, 0
	.set _ZN12_GLOBAL__N_120geam_min_plus_kernelIDF16_Dv2_DF16_S1_Li32ELi8ELi128ELi128ELi4ELi4ELi64ELi4ELi64ELc84ELc78ELb0ELb0ELb1EPKDF16_S2_DF16_EEviiiT16_PT17_ilS6_ilS4_S6_ilPT18_ili26rocblas_geam_ex_operation_.has_indirect_call, 0
	.section	.AMDGPU.csdata,"",@progbits
; Kernel info:
; codeLenInByte = 19876
; TotalNumSgprs: 26
; NumVgprs: 151
; ScratchSize: 0
; MemoryBound: 0
; FloatMode: 240
; IeeeMode: 1
; LDSByteSize: 4096 bytes/workgroup (compile time only)
; SGPRBlocks: 0
; VGPRBlocks: 18
; NumSGPRsForWavesPerEU: 26
; NumVGPRsForWavesPerEU: 151
; Occupancy: 6
; WaveLimiterHint : 0
; COMPUTE_PGM_RSRC2:SCRATCH_EN: 0
; COMPUTE_PGM_RSRC2:USER_SGPR: 6
; COMPUTE_PGM_RSRC2:TRAP_HANDLER: 0
; COMPUTE_PGM_RSRC2:TGID_X_EN: 1
; COMPUTE_PGM_RSRC2:TGID_Y_EN: 0
; COMPUTE_PGM_RSRC2:TGID_Z_EN: 1
; COMPUTE_PGM_RSRC2:TIDIG_COMP_CNT: 1
	.section	.text._ZN12_GLOBAL__N_120geam_min_plus_kernelIDF16_Dv2_DF16_S1_Li32ELi8ELi128ELi128ELi4ELi4ELi64ELi4ELi64ELc84ELc78ELb1ELb0ELb1EDF16_KDF16_DF16_EEviiiT16_PT17_ilS5_ilS3_S5_ilPT18_ili26rocblas_geam_ex_operation_,"axG",@progbits,_ZN12_GLOBAL__N_120geam_min_plus_kernelIDF16_Dv2_DF16_S1_Li32ELi8ELi128ELi128ELi4ELi4ELi64ELi4ELi64ELc84ELc78ELb1ELb0ELb1EDF16_KDF16_DF16_EEviiiT16_PT17_ilS5_ilS3_S5_ilPT18_ili26rocblas_geam_ex_operation_,comdat
	.globl	_ZN12_GLOBAL__N_120geam_min_plus_kernelIDF16_Dv2_DF16_S1_Li32ELi8ELi128ELi128ELi4ELi4ELi64ELi4ELi64ELc84ELc78ELb1ELb0ELb1EDF16_KDF16_DF16_EEviiiT16_PT17_ilS5_ilS3_S5_ilPT18_ili26rocblas_geam_ex_operation_ ; -- Begin function _ZN12_GLOBAL__N_120geam_min_plus_kernelIDF16_Dv2_DF16_S1_Li32ELi8ELi128ELi128ELi4ELi4ELi64ELi4ELi64ELc84ELc78ELb1ELb0ELb1EDF16_KDF16_DF16_EEviiiT16_PT17_ilS5_ilS3_S5_ilPT18_ili26rocblas_geam_ex_operation_
	.p2align	8
	.type	_ZN12_GLOBAL__N_120geam_min_plus_kernelIDF16_Dv2_DF16_S1_Li32ELi8ELi128ELi128ELi4ELi4ELi64ELi4ELi64ELc84ELc78ELb1ELb0ELb1EDF16_KDF16_DF16_EEviiiT16_PT17_ilS5_ilS3_S5_ilPT18_ili26rocblas_geam_ex_operation_,@function
_ZN12_GLOBAL__N_120geam_min_plus_kernelIDF16_Dv2_DF16_S1_Li32ELi8ELi128ELi128ELi4ELi4ELi64ELi4ELi64ELc84ELc78ELb1ELb0ELb1EDF16_KDF16_DF16_EEviiiT16_PT17_ilS5_ilS3_S5_ilPT18_ili26rocblas_geam_ex_operation_: ; @_ZN12_GLOBAL__N_120geam_min_plus_kernelIDF16_Dv2_DF16_S1_Li32ELi8ELi128ELi128ELi4ELi4ELi64ELi4ELi64ELc84ELc78ELb1ELb0ELb1EDF16_KDF16_DF16_EEviiiT16_PT17_ilS5_ilS3_S5_ilPT18_ili26rocblas_geam_ex_operation_
; %bb.0:
	s_mov_b64 s[26:27], s[2:3]
	s_mov_b64 s[24:25], s[0:1]
	s_clause 0x1
	s_load_dwordx2 s[14:15], s[4:5], 0x8
	s_load_dwordx4 s[0:3], s[4:5], 0x20
	s_add_u32 s24, s24, s8
	v_mov_b32_e32 v111, v0
	s_addc_u32 s25, s25, 0
	s_waitcnt lgkmcnt(0)
	v_cmp_eq_f16_e64 s8, s15, 0
	s_and_b32 vcc_lo, exec_lo, s8
	s_cbranch_vccnz .LBB265_140
; %bb.1:
	s_load_dwordx2 s[10:11], s[4:5], 0x10
	s_mul_i32 s1, s1, s7
	s_mul_hi_u32 s9, s0, s7
	s_mul_i32 s0, s0, s7
	s_add_i32 s1, s9, s1
	s_lshl_b64 s[0:1], s[0:1], 1
	s_waitcnt lgkmcnt(0)
	s_add_u32 s16, s10, s0
	s_addc_u32 s17, s11, s1
	s_andn2_b32 vcc_lo, exec_lo, s8
	s_mov_b32 s0, -1
	s_cbranch_vccnz .LBB265_3
.LBB265_2:
	s_mov_b32 s0, 0
.LBB265_3:
	s_mov_b64 s[12:13], 0
	s_andn2_b32 vcc_lo, exec_lo, s0
	s_mov_b64 s[18:19], 0
	s_cbranch_vccnz .LBB265_5
; %bb.4:
	s_load_dwordx2 s[0:1], s[4:5], 0x38
	s_waitcnt lgkmcnt(0)
	s_mul_i32 s1, s1, s7
	s_mul_hi_u32 s8, s0, s7
	s_mul_i32 s0, s0, s7
	s_add_i32 s1, s8, s1
	s_lshl_b64 s[0:1], s[0:1], 1
	s_add_u32 s18, s2, s0
	s_addc_u32 s19, s3, s1
.LBB265_5:
	s_clause 0x1
	s_load_dword s2, s[4:5], 0x40
	s_load_dwordx4 s[8:11], s[4:5], 0x58
	s_waitcnt lgkmcnt(0)
	v_cmp_eq_f16_e64 s0, s2, 0
	s_and_b32 s0, exec_lo, s0
	s_mov_b32 vcc_lo, s0
	s_cbranch_vccnz .LBB265_7
; %bb.6:
	s_load_dwordx2 s[12:13], s[4:5], 0x48
	s_mul_i32 s1, s9, s7
	s_mul_hi_u32 s3, s8, s7
	s_mul_i32 s8, s8, s7
	s_add_i32 s9, s3, s1
	s_lshl_b64 s[8:9], s[8:9], 1
	s_waitcnt lgkmcnt(0)
	s_add_u32 s12, s12, s8
	s_addc_u32 s13, s13, s9
.LBB265_7:
	s_clause 0x2
	s_load_dword s1, s[4:5], 0x0
	s_load_dword s8, s[4:5], 0x18
	;; [unrolled: 1-line block ×3, first 2 shown]
	v_lshlrev_b32_e32 v114, 3, v1
	v_lshlrev_b32_e32 v134, 3, v111
	s_waitcnt lgkmcnt(0)
	s_add_i32 s1, s1, -1
	s_ashr_i32 s3, s1, 31
	s_lshr_b32 s3, s3, 25
	s_add_i32 s1, s1, s3
	s_ashr_i32 s1, s1, 7
	s_add_i32 s3, s1, 1
	s_not_b32 s1, s1
	v_cvt_f32_u32_e32 v0, s3
	v_rcp_iflag_f32_e32 v0, v0
	v_mul_f32_e32 v0, 0x4f7ffffe, v0
	v_cvt_u32_f32_e32 v0, v0
	v_readfirstlane_b32 s15, v0
	v_lshl_add_u32 v0, v1, 5, v111
	s_mul_i32 s1, s1, s15
	v_lshrrev_b32_e32 v8, 2, v0
	s_mul_hi_u32 s1, s15, s1
	v_and_b32_e32 v0, 3, v111
	s_add_i32 s15, s15, s1
	s_mul_hi_u32 s1, s6, s15
	v_lshlrev_b32_e32 v128, 1, v0
	s_mul_i32 s15, s1, s3
	s_add_i32 s20, s1, 1
	s_sub_i32 s15, s6, s15
	s_sub_i32 s21, s15, s3
	s_cmp_ge_u32 s15, s3
	v_lshl_or_b32 v130, v8, 3, v128
	s_cselect_b32 s1, s20, s1
	s_cselect_b32 s15, s21, s15
	s_add_i32 s20, s1, 1
	s_cmp_ge_u32 s15, s3
	s_cselect_b32 s1, s20, s1
	s_mul_i32 s3, s1, s3
	s_lshl_b32 s1, s1, 7
	s_sub_i32 s3, s6, s3
	v_add_nc_u32_e32 v2, s1, v8
	s_lshl_b32 s3, s3, 7
	v_add_co_u32 v9, s6, s16, v128
	v_add_nc_u32_e32 v4, s3, v8
	v_mad_i64_i32 v[11:12], null, v2, s9, 0
	v_add_nc_u32_e32 v5, 64, v2
	v_add_co_ci_u32_e64 v10, null, s17, 0, s6
	v_add_nc_u32_e32 v6, 64, v4
	v_mad_i64_i32 v[2:3], null, v4, s8, 0
	v_mad_i64_i32 v[4:5], null, v5, s9, 0
	v_lshlrev_b64 v[44:45], 1, v[11:12]
	v_mad_i64_i32 v[11:12], null, v6, s8, 0
	v_add_co_u32 v6, s6, s18, v128
	v_lshlrev_b64 v[42:43], 1, v[2:3]
	v_add_co_ci_u32_e64 v7, null, s19, 0, s6
	v_lshlrev_b64 v[48:49], 1, v[4:5]
	v_add_co_u32 v2, vcc_lo, v6, v44
	v_lshlrev_b64 v[46:47], 1, v[11:12]
	v_add_co_ci_u32_e64 v3, null, v7, v45, vcc_lo
	v_add_co_u32 v4, vcc_lo, v9, v42
	v_add_co_ci_u32_e64 v5, null, v10, v43, vcc_lo
	v_add_co_u32 v6, vcc_lo, v6, v48
	;; [unrolled: 2-line block ×3, first 2 shown]
	v_add_co_ci_u32_e64 v14, null, v10, v47, vcc_lo
	global_load_ushort v9, v[2:3], off
	global_load_ushort v10, v[4:5], off
	;; [unrolled: 1-line block ×3, first 2 shown]
	s_clause 0x2
	global_load_ushort v12, v[13:14], off
	global_load_ushort v0, v[13:14], off offset:8
	global_load_ushort v51, v[4:5], off offset:8
	s_clause 0x1
	global_load_ushort v116, v[6:7], off offset:8
	global_load_ushort v50, v[2:3], off offset:8
	v_add_nc_u32_e32 v13, 0x800, v114
	s_cmp_lt_i32 s14, 9
	s_waitcnt vmcnt(7)
	ds_write_b16 v130, v9 offset:2048
	s_waitcnt vmcnt(6)
	ds_write_b16 v130, v10
	s_waitcnt vmcnt(5)
	ds_write_b16 v130, v11 offset:2560
	s_waitcnt vmcnt(4)
	ds_write_b16 v130, v12 offset:512
	s_waitcnt vmcnt(0) lgkmcnt(0)
	s_barrier
	buffer_gl0_inv
	ds_read2_b64 v[2:5], v134 offset1:32
	ds_read2_b64 v[38:41], v13 offset1:8
	ds_read2_b64 v[6:9], v134 offset0:64 offset1:96
	ds_read2_b64 v[34:37], v13 offset0:16 offset1:24
	;; [unrolled: 1-line block ×8, first 2 shown]
	ds_write_b16 v130, v51 offset:1024
	ds_write_b16 v130, v0 offset:1536
	;; [unrolled: 1-line block ×3, first 2 shown]
	buffer_store_dword v130, off, s[24:27], 0 offset:148 ; 4-byte Folded Spill
	ds_write_b16 v130, v116 offset:3584
	s_waitcnt lgkmcnt(0)
	s_waitcnt_vscnt null, 0x0
	s_barrier
	buffer_gl0_inv
	v_pk_add_f16 v0, v2, v38
	v_pk_add_f16 v112, v4, v38
	;; [unrolled: 1-line block ×128, first 2 shown]
	v_pk_min_f16 v0, 0x7c00, v0 op_sel_hi:[0,1]
	v_pk_min_f16 v112, 0x7c00, v112 op_sel_hi:[0,1]
	;; [unrolled: 1-line block ×64, first 2 shown]
	v_pk_min_f16 v12, v0, v12
	v_pk_min_f16 v40, v112, v93
	;; [unrolled: 1-line block ×64, first 2 shown]
	s_cbranch_scc1 .LBB265_11
; %bb.8:
	buffer_load_dword v0, off, s[24:27], 0 offset:148 ; 4-byte Folded Reload
	v_add_co_u32 v44, vcc_lo, s18, v44
	v_add_co_ci_u32_e64 v45, null, s19, v45, vcc_lo
	v_add_co_u32 v48, vcc_lo, s18, v48
	v_add_co_ci_u32_e64 v49, null, s19, v49, vcc_lo
	v_add_co_u32 v42, vcc_lo, s16, v42
	v_add_co_ci_u32_e64 v43, null, s17, v43, vcc_lo
	v_add_co_u32 v46, vcc_lo, s16, v46
	v_add_co_ci_u32_e64 v47, null, s17, v47, vcc_lo
	v_mov_b32_e32 v146, v40
	s_add_i32 s6, s14, -8
	s_mov_b32 s8, 0
	s_waitcnt vmcnt(0)
	v_add_nc_u32_e32 v2, 0x800, v0
	buffer_store_dword v2, off, s[24:27], 0 offset:152 ; 4-byte Folded Spill
	buffer_store_dword v114, off, s[24:27], 0 offset:184 ; 4-byte Folded Spill
	v_or_b32_e32 v2, 0x800, v114
	buffer_store_dword v2, off, s[24:27], 0 offset:156 ; 4-byte Folded Spill
	v_add_nc_u32_e32 v2, 0x400, v0
	v_add_nc_u32_e32 v0, 0xc00, v0
	buffer_store_dword v2, off, s[24:27], 0 offset:160 ; 4-byte Folded Spill
	buffer_store_dword v0, off, s[24:27], 0 offset:164 ; 4-byte Folded Spill
	;; [unrolled: 1-line block ×3, first 2 shown]
	v_lshl_add_u32 v0, v111, 3, 0x400
	buffer_store_dword v0, off, s[24:27], 0 offset:168 ; 4-byte Folded Spill
	buffer_store_dword v1, off, s[24:27], 0 offset:180 ; 4-byte Folded Spill
	v_lshl_add_u32 v0, v1, 3, 0xc00
	buffer_store_dword v0, off, s[24:27], 0 offset:172 ; 4-byte Folded Spill
.LBB265_9:                              ; =>This Inner Loop Header: Depth=1
	buffer_store_dword v69, off, s[24:27], 0 offset:84 ; 4-byte Folded Spill
	buffer_store_dword v68, off, s[24:27], 0 offset:68 ; 4-byte Folded Spill
	;; [unrolled: 1-line block ×10, first 2 shown]
	buffer_load_dword v1, off, s[24:27], 0 offset:168 ; 4-byte Folded Reload
	v_add_co_u32 v14, vcc_lo, v42, v128
	v_add_co_ci_u32_e64 v15, null, 0, v43, vcc_lo
	v_add_co_u32 v16, vcc_lo, v46, v128
	v_add_co_ci_u32_e64 v17, null, 0, v47, vcc_lo
	v_add_co_u32 v18, vcc_lo, v44, v128
	v_add_co_ci_u32_e64 v19, null, 0, v45, vcc_lo
	v_add_co_u32 v20, vcc_lo, v48, v128
	v_add_co_ci_u32_e64 v21, null, 0, v49, vcc_lo
	global_load_ushort v24, v[14:15], off offset:16
	global_load_ushort v23, v[16:17], off offset:16
	global_load_ushort v22, v[18:19], off offset:16
	global_load_ushort v0, v[20:21], off offset:16
	v_mov_b32_e32 v119, v12
	v_mov_b32_e32 v41, v128
	v_mov_b32_e32 v128, v124
	v_mov_b32_e32 v127, v118
	v_mov_b32_e32 v126, v97
	v_add_co_u32 v44, vcc_lo, v44, 16
	v_add_co_ci_u32_e64 v45, null, 0, v45, vcc_lo
	v_add_co_u32 v48, vcc_lo, v48, 16
	v_add_co_ci_u32_e64 v49, null, 0, v49, vcc_lo
	;; [unrolled: 2-line block ×4, first 2 shown]
	s_add_i32 s8, s8, 8
	s_waitcnt vmcnt(4)
	ds_read2_b64 v[10:13], v1 offset1:32
	ds_read2_b64 v[2:5], v1 offset0:64 offset1:96
	buffer_load_dword v1, off, s[24:27], 0 offset:172 ; 4-byte Folded Reload
	s_cmp_ge_i32 s8, s6
	s_waitcnt vmcnt(0)
	ds_read2_b64 v[25:28], v1 offset1:8
	ds_read2_b64 v[29:32], v1 offset0:16 offset1:24
	ds_read2_b64 v[33:36], v1 offset0:32 offset1:40
	;; [unrolled: 1-line block ×7, first 2 shown]
	s_waitcnt lgkmcnt(7)
	v_pk_add_f16 v117, v10, v25
	v_pk_add_f16 v1, v12, v25
	;; [unrolled: 1-line block ×5, first 2 shown]
	s_waitcnt lgkmcnt(2)
	v_pk_add_f16 v25, v4, v62
	v_pk_add_f16 v138, v2, v29
	v_pk_add_f16 v135, v2, v31
	v_pk_add_f16 v113, v2, v33
	v_pk_add_f16 v91, v2, v35
	buffer_store_dword v25, off, s[24:27], 0 offset:144 ; 4-byte Folded Spill
	v_pk_add_f16 v25, v10, v64
	v_pk_add_f16 v129, v2, v54
	v_pk_add_f16 v109, v2, v56
	v_pk_add_f16 v166, v2, v58
	v_pk_add_f16 v158, v2, v60
	buffer_store_dword v25, off, s[24:27], 0 offset:136 ; 4-byte Folded Spill
	;; [unrolled: 6-line block ×5, first 2 shown]
	s_waitcnt lgkmcnt(1)
	v_pk_add_f16 v25, v10, v66
	v_pk_add_f16 v92, v4, v33
	v_pk_add_f16 v132, v10, v35
	v_pk_add_f16 v112, v12, v35
	v_pk_add_f16 v131, v4, v35
	buffer_store_dword v25, off, s[24:27], 0 offset:120 ; 4-byte Folded Spill
	v_pk_add_f16 v25, v12, v66
	v_pk_add_f16 v130, v10, v54
	v_pk_add_f16 v111, v12, v54
	v_pk_add_f16 v90, v4, v54
	v_pk_add_f16 v110, v10, v56
	buffer_store_dword v25, off, s[24:27], 0 offset:116 ; 4-byte Folded Spill
	;; [unrolled: 6-line block ×8, first 2 shown]
	s_waitcnt lgkmcnt(0)
	v_pk_add_f16 v25, v10, v6
	v_pk_add_f16 v254, v3, v32
	v_pk_add_f16 v251, v5, v32
	v_pk_add_f16 v248, v11, v34
	v_pk_add_f16 v245, v13, v34
	buffer_store_dword v25, off, s[24:27], 0 offset:88 ; 4-byte Folded Spill
	v_pk_add_f16 v25, v12, v6
	v_pk_add_f16 v243, v3, v34
	v_pk_add_f16 v240, v5, v34
	v_pk_add_f16 v238, v11, v36
	v_pk_add_f16 v235, v13, v36
	buffer_store_dword v25, off, s[24:27], 0 offset:80 ; 4-byte Folded Spill
	;; [unrolled: 6-line block ×3, first 2 shown]
	buffer_store_dword v2, off, s[24:27], 0 offset:36 ; 4-byte Folded Spill
	v_pk_add_f16 v2, v4, v8
	buffer_store_dword v6, off, s[24:27], 0 offset:72 ; 4-byte Folded Spill
	v_pk_add_f16 v6, v10, v8
	v_pk_add_f16 v226, v11, v55
	v_pk_add_f16 v223, v13, v55
	buffer_store_dword v2, off, s[24:27], 0 offset:16 ; 4-byte Folded Spill
	v_pk_add_f16 v2, v3, v9
	buffer_store_dword v6, off, s[24:27], 0 offset:60 ; 4-byte Folded Spill
	v_pk_add_f16 v6, v12, v8
	v_pk_add_f16 v220, v3, v55
	v_pk_add_f16 v218, v5, v55
	;; [unrolled: 6-line block ×3, first 2 shown]
	buffer_store_dword v2, off, s[24:27], 0 offset:20 ; 4-byte Folded Spill
	buffer_load_dword v2, off, s[24:27], 0 offset:148 ; 4-byte Folded Reload
	v_pk_add_f16 v208, v5, v57
	v_pk_add_f16 v205, v11, v59
	;; [unrolled: 1-line block ×31, first 2 shown]
	s_waitcnt vmcnt(0)
	ds_write_b16 v2, v24
	ds_write_b16 v2, v23 offset:512
	buffer_load_dword v2, off, s[24:27], 0 offset:152 ; 4-byte Folded Reload
	s_waitcnt vmcnt(0)
	ds_write_b16 v2, v22
	ds_write_b16 v2, v0 offset:512
	s_waitcnt lgkmcnt(0)
	s_waitcnt_vscnt null, 0x0
	s_barrier
	buffer_gl0_inv
	global_load_ushort v0, v[14:15], off offset:24
	s_waitcnt vmcnt(0)
	buffer_store_dword v0, off, s[24:27], 0 ; 4-byte Folded Spill
	global_load_ushort v0, v[16:17], off offset:24
	s_waitcnt vmcnt(0)
	buffer_store_dword v0, off, s[24:27], 0 offset:4 ; 4-byte Folded Spill
	global_load_ushort v0, v[18:19], off offset:24
	s_waitcnt vmcnt(0)
	buffer_store_dword v0, off, s[24:27], 0 offset:8 ; 4-byte Folded Spill
	;; [unrolled: 3-line block ×3, first 2 shown]
	ds_read2_b64 v[10:13], v134 offset1:32
	ds_read2_b64 v[2:5], v134 offset0:64 offset1:96
	buffer_load_dword v0, off, s[24:27], 0 offset:156 ; 4-byte Folded Reload
	s_waitcnt vmcnt(0)
	ds_read2_b64 v[73:76], v0 offset1:8
	ds_read2_b64 v[34:37], v0 offset0:16 offset1:24
	ds_read2_b64 v[30:33], v0 offset0:32 offset1:40
	;; [unrolled: 1-line block ×7, first 2 shown]
	s_waitcnt lgkmcnt(7)
	v_pk_add_f16 v77, v10, v73
	v_pk_add_f16 v79, v2, v73
	v_pk_add_f16 v80, v10, v75
	v_pk_add_f16 v120, v2, v75
	s_waitcnt lgkmcnt(6)
	v_pk_add_f16 v121, v10, v34
	v_pk_add_f16 v122, v12, v34
	v_pk_add_f16 v123, v2, v34
	v_pk_add_f16 v82, v4, v34
	v_pk_add_f16 v124, v10, v36
	v_pk_add_f16 v72, v12, v36
	v_pk_add_f16 v71, v2, v36
	v_pk_add_f16 v70, v4, v36
	s_waitcnt lgkmcnt(5)
	v_pk_add_f16 v69, v10, v30
	v_pk_add_f16 v67, v12, v30
	v_pk_add_f16 v65, v2, v30
	v_pk_add_f16 v63, v4, v30
	;; [unrolled: 9-line block ×7, first 2 shown]
	v_pk_add_f16 v14, v10, v8
	v_pk_add_f16 v10, v12, v8
	v_pk_add_f16 v6, v2, v8
	v_pk_add_f16 v2, v4, v8
	v_pk_max_f16 v8, v119, v119
	v_pk_add_f16 v78, v12, v73
	v_pk_add_f16 v73, v4, v73
	v_pk_add_f16 v81, v12, v75
	v_pk_add_f16 v75, v4, v75
	v_pk_min_f16 v8, v8, v117
	v_pk_add_f16 v4, v11, v74
	v_pk_min_f16 v8, v8, v68
	v_pk_min_f16 v8, v8, v77
	v_pk_min_f16 v12, v8, v4
	v_pk_max_f16 v8, v146, v146
	v_pk_add_f16 v4, v13, v74
	v_pk_min_f16 v1, v8, v1
	v_pk_min_f16 v1, v1, v66
	v_pk_min_f16 v1, v1, v78
	v_pk_min_f16 v146, v1, v4
	v_pk_max_f16 v4, v255, v255
	v_pk_add_f16 v1, v3, v74
	v_pk_min_f16 v4, v4, v145
	;; [unrolled: 6-line block ×27, first 2 shown]
	v_pk_min_f16 v4, v4, v218
	v_pk_min_f16 v0, v4, v0
	buffer_load_dword v4, off, s[24:27], 0 offset:144 ; 4-byte Folded Reload
	v_pk_min_f16 v181, v0, v1
	v_pk_max_f16 v1, v179, v179
	v_pk_add_f16 v0, v11, v29
	v_pk_min_f16 v1, v1, v110
	v_pk_min_f16 v1, v1, v215
	v_pk_min_f16 v1, v1, v97
	v_pk_min_f16 v179, v1, v0
	v_pk_max_f16 v1, v177, v177
	v_pk_add_f16 v0, v13, v29
	v_pk_min_f16 v1, v1, v89
	v_pk_min_f16 v1, v1, v213
	v_pk_min_f16 v1, v1, v253
	;; [unrolled: 6-line block ×3, first 2 shown]
	v_pk_min_f16 v175, v1, v0
	v_pk_max_f16 v1, v128, v128
	v_pk_add_f16 v0, v5, v29
	v_mov_b32_e32 v128, v41
	v_pk_min_f16 v1, v1, v173
	v_pk_min_f16 v1, v1, v208
	v_pk_min_f16 v1, v1, v247
	v_pk_min_f16 v124, v1, v0
	v_pk_max_f16 v1, v108, v108
	v_pk_add_f16 v0, v11, v23
	v_pk_min_f16 v1, v1, v170
	v_pk_min_f16 v1, v1, v205
	v_pk_min_f16 v1, v1, v242
	v_pk_min_f16 v108, v1, v0
	v_pk_max_f16 v1, v88, v88
	v_pk_add_f16 v0, v13, v23
	;; [unrolled: 6-line block ×12, first 2 shown]
	s_waitcnt vmcnt(0)
	v_pk_min_f16 v1, v1, v4
	buffer_load_dword v4, off, s[24:27], 0 offset:136 ; 4-byte Folded Reload
	v_pk_min_f16 v1, v1, v180
	v_pk_min_f16 v1, v1, v209
	v_pk_min_f16 v102, v1, v0
	v_pk_max_f16 v1, v101, v101
	v_pk_add_f16 v0, v11, v21
	s_waitcnt vmcnt(0)
	v_pk_min_f16 v1, v1, v4
	buffer_load_dword v4, off, s[24:27], 0 offset:132 ; 4-byte Folded Reload
	v_pk_min_f16 v1, v1, v178
	v_pk_min_f16 v1, v1, v206
	v_pk_min_f16 v101, v1, v0
	v_pk_max_f16 v1, v83, v83
	v_pk_add_f16 v0, v13, v21
	;; [unrolled: 8-line block ×9, first 2 shown]
	s_waitcnt vmcnt(0)
	v_pk_min_f16 v1, v1, v4
	buffer_load_dword v4, off, s[24:27], 0 offset:100 ; 4-byte Folded Reload
	v_pk_min_f16 v1, v1, v163
	v_pk_min_f16 v1, v1, v30
	v_pk_min_f16 v93, v1, v0
	buffer_load_dword v1, off, s[24:27], 0 offset:84 ; 4-byte Folded Reload
	v_pk_add_f16 v0, v13, v17
	s_waitcnt vmcnt(0)
	v_pk_max_f16 v1, v1, v1
	v_pk_min_f16 v1, v1, v4
	buffer_load_dword v4, off, s[24:27], 0 offset:96 ; 4-byte Folded Reload
	v_pk_min_f16 v1, v1, v161
	v_pk_min_f16 v1, v1, v28
	v_pk_min_f16 v69, v1, v0
	buffer_load_dword v1, off, s[24:27], 0 offset:68 ; 4-byte Folded Reload
	v_pk_add_f16 v0, v3, v17
	s_waitcnt vmcnt(0)
	v_pk_max_f16 v1, v1, v1
	;; [unrolled: 9-line block ×9, first 2 shown]
	v_pk_min_f16 v1, v1, v4
	v_pk_min_f16 v1, v1, v147
	v_pk_min_f16 v1, v1, v10
	v_pk_min_f16 v61, v1, v0
	buffer_load_dword v1, off, s[24:27], 0 offset:24 ; 4-byte Folded Reload
	v_pk_add_f16 v0, v3, v9
	buffer_load_dword v3, off, s[24:27], 0 offset:36 ; 4-byte Folded Reload
	s_waitcnt vmcnt(1)
	v_pk_max_f16 v1, v1, v1
	s_waitcnt vmcnt(0)
	v_pk_min_f16 v1, v1, v3
	buffer_load_dword v3, off, s[24:27], 0 offset:140 ; 4-byte Folded Reload
	s_waitcnt vmcnt(0)
	v_pk_min_f16 v1, v1, v3
	v_pk_add_f16 v3, v5, v9
	v_pk_min_f16 v1, v1, v6
	v_pk_min_f16 v60, v1, v0
	buffer_load_dword v1, off, s[24:27], 0 offset:16 ; 4-byte Folded Reload
	v_pk_max_f16 v0, v84, v84
	s_waitcnt vmcnt(0)
	v_pk_min_f16 v0, v0, v1
	buffer_load_dword v1, off, s[24:27], 0 offset:20 ; 4-byte Folded Reload
	s_waitcnt vmcnt(0)
	v_pk_min_f16 v0, v0, v1
	v_pk_min_f16 v0, v0, v2
	;; [unrolled: 1-line block ×3, first 2 shown]
	s_clause 0x1
	buffer_load_dword v0, off, s[24:27], 0 offset:160
	buffer_load_dword v1, off, s[24:27], 0
	s_waitcnt vmcnt(0)
	ds_write_b16 v0, v1
	buffer_load_dword v1, off, s[24:27], 0 offset:4 ; 4-byte Folded Reload
	s_waitcnt vmcnt(0)
	ds_write_b16 v0, v1 offset:512
	s_clause 0x1
	buffer_load_dword v0, off, s[24:27], 0 offset:164
	buffer_load_dword v1, off, s[24:27], 0 offset:8
	s_waitcnt vmcnt(0)
	ds_write_b16 v0, v1
	buffer_load_dword v1, off, s[24:27], 0 offset:12 ; 4-byte Folded Reload
	s_waitcnt vmcnt(0)
	ds_write_b16 v0, v1 offset:512
	s_waitcnt lgkmcnt(0)
	s_waitcnt_vscnt null, 0x0
	s_barrier
	buffer_gl0_inv
	s_cbranch_scc0 .LBB265_9
; %bb.10:
	s_clause 0x2
	buffer_load_dword v111, off, s[24:27], 0 offset:176
	buffer_load_dword v1, off, s[24:27], 0 offset:180
	;; [unrolled: 1-line block ×3, first 2 shown]
	v_mov_b32_e32 v40, v146
.LBB265_11:
	s_load_dword s6, s[4:5], 0x50
	s_waitcnt vmcnt(1)
	v_add_nc_u32_e32 v48, s1, v1
	ds_read_b64 v[38:39], v134 offset:1024
	s_waitcnt vmcnt(0)
	ds_read_b64 v[46:47], v114 offset:3072
	v_add_nc_u32_e32 v44, s3, v111
	v_cmp_neq_f16_e64 s8, s2, 0
	v_mov_b32_e32 v53, 0
	v_mov_b32_e32 v42, 0
	v_ashrrev_i32_e32 v45, 31, v44
	s_and_b32 vcc_lo, exec_lo, s8
	v_lshlrev_b64 v[36:37], 1, v[44:45]
	s_waitcnt lgkmcnt(0)
	v_mad_i64_i32 v[0:1], null, v48, s6, 0
	v_lshlrev_b64 v[0:1], 1, v[0:1]
	v_add_co_u32 v49, s1, s12, v0
	v_add_co_ci_u32_e64 v50, null, s13, v1, s1
	s_cbranch_vccz .LBB265_13
; %bb.12:
	v_add_co_u32 v0, vcc_lo, v49, v36
	v_add_co_ci_u32_e64 v1, null, v50, v37, vcc_lo
	global_load_ushort v0, v[0:1], off
	s_waitcnt vmcnt(0)
	v_mul_f16_e32 v0, s2, v0
	v_cvt_f32_f16_e32 v42, v0
.LBB265_13:
	s_clause 0x1
	s_load_dwordx2 s[14:15], s[4:5], 0x70
	s_load_dword s3, s[4:5], 0x68
	v_pk_add_f16 v5, v38, v46
	v_pk_add_f16 v34, v39, v47
	v_max_f16_e32 v6, v12, v12
	v_lshrrev_b32_e32 v7, 16, v12
	v_add_nc_u32_e32 v4, 0x800, v114
	v_lshrrev_b32_e32 v35, 16, v5
	v_lshrrev_b32_e32 v41, 16, v34
	v_min_f16_e32 v43, v6, v5
	ds_read2_b64 v[0:3], v134 offset0:160 offset1:192
	ds_read_b64 v[32:33], v134 offset:1792
	ds_read2_b64 v[28:31], v4 offset0:136 offset1:144
	ds_read2_b64 v[24:27], v4 offset0:152 offset1:160
	;; [unrolled: 1-line block ×6, first 2 shown]
	v_min3_f16 v35, v7, v35, v41
	ds_read2_b64 v[4:7], v4 offset0:232 offset1:240
	v_add_nc_u32_e32 v41, 32, v44
	v_max_f32_e32 v45, v42, v42
	v_min3_f16 v43, v43, v34, v35
	ds_read_b64 v[34:35], v114 offset:4032
	s_waitcnt lgkmcnt(0)
	s_mul_i32 s1, s15, s7
	v_mad_i64_i32 v[51:52], null, v48, s3, 0
	s_mul_hi_u32 s4, s14, s7
	v_cvt_f32_f16_e32 v43, v43
	s_add_i32 s5, s4, s1
	s_mul_i32 s4, s14, s7
	v_ashrrev_i32_e32 v42, 31, v41
	s_lshl_b64 s[4:5], s[4:5], 1
	v_lshlrev_b64 v[51:52], 1, v[51:52]
	s_add_u32 s4, s10, s4
	s_addc_u32 s5, s11, s5
	v_min_f32_e32 v43, v45, v43
	v_cndmask_b32_e64 v45, 0, 1, s8
	v_add_co_u32 v51, vcc_lo, s4, v51
	v_add_co_ci_u32_e64 v52, null, s5, v52, vcc_lo
	v_cvt_f16_f32_e32 v56, v43
	v_add_co_u32 v54, vcc_lo, v51, v36
	v_lshlrev_b64 v[42:43], 1, v[41:42]
	v_cmp_ne_u32_e64 s1, 1, v45
	v_add_co_ci_u32_e64 v55, null, v52, v37, vcc_lo
	s_andn2_b32 vcc_lo, exec_lo, s8
	global_store_short v[54:55], v56, off
	s_cbranch_vccnz .LBB265_15
; %bb.14:
	v_add_co_u32 v53, vcc_lo, v49, v42
	v_add_co_ci_u32_e64 v54, null, v50, v43, vcc_lo
	global_load_ushort v41, v[53:54], off
	s_waitcnt vmcnt(0)
	v_mul_f16_e32 v41, s2, v41
	v_cvt_f32_f16_e32 v53, v41
.LBB265_15:
	v_pk_add_f16 v41, v0, v46
	v_pk_add_f16 v45, v1, v47
	v_max_f16_e32 v54, v40, v40
	v_lshrrev_b32_e32 v40, 16, v40
	v_lshrrev_b32_e32 v55, 16, v41
	v_lshrrev_b32_e32 v56, 16, v45
	v_min_f16_e32 v41, v54, v41
	v_add_co_u32 v54, vcc_lo, v51, v42
	v_min3_f16 v40, v40, v55, v56
	v_add_co_ci_u32_e64 v55, null, v52, v43, vcc_lo
	s_and_b32 vcc_lo, exec_lo, s1
	v_min3_f16 v41, v41, v45, v40
	v_add_nc_u32_e32 v40, 64, v44
	v_max_f32_e32 v45, v53, v53
	v_cvt_f32_f16_e32 v53, v41
	v_ashrrev_i32_e32 v41, 31, v40
	v_min_f32_e32 v45, v45, v53
	v_lshlrev_b64 v[40:41], 1, v[40:41]
	v_mov_b32_e32 v53, 0
	v_cvt_f16_f32_e32 v56, v45
	v_mov_b32_e32 v45, 0
	global_store_short v[54:55], v56, off
	s_cbranch_vccnz .LBB265_17
; %bb.16:
	v_add_co_u32 v54, vcc_lo, v49, v40
	v_add_co_ci_u32_e64 v55, null, v50, v41, vcc_lo
	global_load_ushort v45, v[54:55], off
	s_waitcnt vmcnt(0)
	v_mul_f16_e32 v45, s2, v45
	v_cvt_f32_f16_e32 v45, v45
.LBB265_17:
	v_pk_add_f16 v54, v2, v46
	v_pk_add_f16 v55, v3, v47
	v_max_f16_e32 v56, v255, v255
	v_lshrrev_b32_e32 v57, 16, v255
	v_add_nc_u32_e32 v44, 0x60, v44
	v_lshrrev_b32_e32 v58, 16, v54
	v_lshrrev_b32_e32 v59, 16, v55
	v_min_f16_e32 v54, v56, v54
	v_min3_f16 v56, v57, v58, v59
	v_min3_f16 v54, v54, v55, v56
	v_max_f32_e32 v55, v45, v45
	v_ashrrev_i32_e32 v45, 31, v44
	v_cvt_f32_f16_e32 v54, v54
	v_lshlrev_b64 v[44:45], 1, v[44:45]
	v_min_f32_e32 v56, v55, v54
	v_add_co_u32 v54, vcc_lo, v51, v40
	v_add_co_ci_u32_e64 v55, null, v52, v41, vcc_lo
	v_cvt_f16_f32_e32 v56, v56
	s_and_b32 vcc_lo, exec_lo, s1
	global_store_short v[54:55], v56, off
	s_cbranch_vccnz .LBB265_19
; %bb.18:
	v_add_co_u32 v49, vcc_lo, v49, v44
	v_add_co_ci_u32_e64 v50, null, v50, v45, vcc_lo
	global_load_ushort v49, v[49:50], off
	s_waitcnt vmcnt(0)
	v_mul_f16_e32 v49, s2, v49
	v_cvt_f32_f16_e32 v53, v49
.LBB265_19:
	v_pk_add_f16 v46, v32, v46
	v_pk_add_f16 v50, v33, v47
	v_max_f16_e32 v47, v252, v252
	v_lshrrev_b32_e32 v54, 16, v252
	v_add_nc_u32_e32 v49, 8, v48
	v_lshrrev_b32_e32 v55, 16, v46
	v_lshrrev_b32_e32 v56, 16, v50
	v_min_f16_e32 v57, v47, v46
	v_mad_i64_i32 v[46:47], null, v49, s6, 0
	v_min3_f16 v54, v54, v55, v56
	v_max_f32_e32 v55, v53, v53
	v_add_co_u32 v53, vcc_lo, v51, v44
	v_mov_b32_e32 v51, 0
	v_min3_f16 v50, v57, v50, v54
	v_lshlrev_b64 v[46:47], 1, v[46:47]
	v_add_co_ci_u32_e64 v54, null, v52, v45, vcc_lo
	v_cvt_f32_f16_e32 v50, v50
	v_add_co_u32 v46, vcc_lo, s12, v46
	v_add_co_ci_u32_e64 v47, null, s13, v47, vcc_lo
	v_min_f32_e32 v50, v55, v50
	s_and_b32 vcc_lo, exec_lo, s1
	v_cvt_f16_f32_e32 v52, v50
	v_mov_b32_e32 v50, 0
	global_store_short v[53:54], v52, off
	s_cbranch_vccnz .LBB265_21
; %bb.20:
	v_add_co_u32 v52, vcc_lo, v46, v36
	v_add_co_ci_u32_e64 v53, null, v47, v37, vcc_lo
	global_load_ushort v50, v[52:53], off
	s_waitcnt vmcnt(0)
	v_mul_f16_e32 v50, s2, v50
	v_cvt_f32_f16_e32 v50, v50
.LBB265_21:
	v_pk_add_f16 v52, v38, v28
	v_pk_add_f16 v54, v39, v29
	v_max_f16_e32 v53, v249, v249
	v_lshrrev_b32_e32 v55, 16, v249
	v_lshrrev_b32_e32 v56, 16, v52
	v_lshrrev_b32_e32 v57, 16, v54
	v_min_f16_e32 v58, v53, v52
	v_mad_i64_i32 v[52:53], null, v49, s3, 0
	v_min3_f16 v55, v55, v56, v57
	v_min3_f16 v49, v58, v54, v55
	v_max_f32_e32 v54, v50, v50
	v_cvt_f32_f16_e32 v55, v49
	v_lshlrev_b64 v[49:50], 1, v[52:53]
	v_min_f32_e32 v52, v54, v55
	v_add_co_u32 v49, vcc_lo, s4, v49
	v_add_co_ci_u32_e64 v50, null, s5, v50, vcc_lo
	v_cvt_f16_f32_e32 v54, v52
	v_add_co_u32 v52, vcc_lo, v49, v36
	v_add_co_ci_u32_e64 v53, null, v50, v37, vcc_lo
	s_and_b32 vcc_lo, exec_lo, s1
	global_store_short v[52:53], v54, off
	s_cbranch_vccnz .LBB265_23
; %bb.22:
	v_add_co_u32 v51, vcc_lo, v46, v42
	v_add_co_ci_u32_e64 v52, null, v47, v43, vcc_lo
	global_load_ushort v51, v[51:52], off
	s_waitcnt vmcnt(0)
	v_mul_f16_e32 v51, s2, v51
	v_cvt_f32_f16_e32 v51, v51
.LBB265_23:
	v_pk_add_f16 v52, v0, v28
	v_pk_add_f16 v53, v1, v29
	v_max_f16_e32 v54, v246, v246
	v_lshrrev_b32_e32 v55, 16, v246
	v_max_f32_e32 v51, v51, v51
	v_lshrrev_b32_e32 v56, 16, v52
	v_lshrrev_b32_e32 v57, 16, v53
	v_min_f16_e32 v52, v54, v52
	v_min3_f16 v54, v55, v56, v57
	v_min3_f16 v52, v52, v53, v54
	v_add_co_u32 v53, vcc_lo, v49, v42
	v_add_co_ci_u32_e64 v54, null, v50, v43, vcc_lo
	v_cvt_f32_f16_e32 v52, v52
	s_and_b32 vcc_lo, exec_lo, s1
	v_min_f32_e32 v51, v51, v52
	v_mov_b32_e32 v52, 0
	v_cvt_f16_f32_e32 v55, v51
	v_mov_b32_e32 v51, 0
	global_store_short v[53:54], v55, off
	s_cbranch_vccnz .LBB265_25
; %bb.24:
	v_add_co_u32 v52, vcc_lo, v46, v40
	v_add_co_ci_u32_e64 v53, null, v47, v41, vcc_lo
	global_load_ushort v52, v[52:53], off
	s_waitcnt vmcnt(0)
	v_mul_f16_e32 v52, s2, v52
	v_cvt_f32_f16_e32 v52, v52
.LBB265_25:
	v_pk_add_f16 v53, v2, v28
	v_pk_add_f16 v54, v3, v29
	v_max_f16_e32 v55, v244, v244
	v_lshrrev_b32_e32 v56, 16, v244
	v_max_f32_e32 v52, v52, v52
	v_lshrrev_b32_e32 v57, 16, v53
	v_lshrrev_b32_e32 v58, 16, v54
	v_min_f16_e32 v53, v55, v53
	v_min3_f16 v55, v56, v57, v58
	v_min3_f16 v53, v53, v54, v55
	v_cvt_f32_f16_e32 v53, v53
	v_min_f32_e32 v52, v52, v53
	v_cvt_f16_f32_e32 v54, v52
	v_add_co_u32 v52, vcc_lo, v49, v40
	v_add_co_ci_u32_e64 v53, null, v50, v41, vcc_lo
	s_and_b32 vcc_lo, exec_lo, s1
	global_store_short v[52:53], v54, off
	s_cbranch_vccnz .LBB265_27
; %bb.26:
	v_add_co_u32 v46, vcc_lo, v46, v44
	v_add_co_ci_u32_e64 v47, null, v47, v45, vcc_lo
	global_load_ushort v46, v[46:47], off
	s_waitcnt vmcnt(0)
	v_mul_f16_e32 v46, s2, v46
	v_cvt_f32_f16_e32 v51, v46
.LBB265_27:
	v_pk_add_f16 v28, v32, v28
	v_pk_add_f16 v47, v33, v29
	v_max_f16_e32 v29, v241, v241
	v_lshrrev_b32_e32 v52, 16, v241
	v_add_nc_u32_e32 v46, 16, v48
	v_lshrrev_b32_e32 v53, 16, v28
	v_lshrrev_b32_e32 v54, 16, v47
	v_min_f16_e32 v55, v29, v28
	v_mad_i64_i32 v[28:29], null, v46, s6, 0
	v_min3_f16 v52, v52, v53, v54
	v_max_f32_e32 v53, v51, v51
	v_add_co_u32 v51, vcc_lo, v49, v44
	v_mov_b32_e32 v49, 0
	v_min3_f16 v47, v55, v47, v52
	v_lshlrev_b64 v[28:29], 1, v[28:29]
	v_add_co_ci_u32_e64 v52, null, v50, v45, vcc_lo
	v_cvt_f32_f16_e32 v47, v47
	v_add_co_u32 v28, vcc_lo, s12, v28
	v_add_co_ci_u32_e64 v29, null, s13, v29, vcc_lo
	v_min_f32_e32 v47, v53, v47
	s_and_b32 vcc_lo, exec_lo, s1
	v_cvt_f16_f32_e32 v50, v47
	v_mov_b32_e32 v47, 0
	global_store_short v[51:52], v50, off
	s_cbranch_vccnz .LBB265_29
; %bb.28:
	v_add_co_u32 v50, vcc_lo, v28, v36
	v_add_co_ci_u32_e64 v51, null, v29, v37, vcc_lo
	global_load_ushort v47, v[50:51], off
	s_waitcnt vmcnt(0)
	v_mul_f16_e32 v47, s2, v47
	v_cvt_f32_f16_e32 v47, v47
.LBB265_29:
	v_pk_add_f16 v50, v38, v30
	v_pk_add_f16 v52, v39, v31
	v_max_f16_e32 v51, v236, v236
	v_lshrrev_b32_e32 v53, 16, v236
	v_lshrrev_b32_e32 v54, 16, v50
	;; [unrolled: 1-line block ×3, first 2 shown]
	v_min_f16_e32 v56, v51, v50
	v_mad_i64_i32 v[50:51], null, v46, s3, 0
	v_min3_f16 v53, v53, v54, v55
	v_min3_f16 v46, v56, v52, v53
	v_max_f32_e32 v52, v47, v47
	v_cvt_f32_f16_e32 v53, v46
	v_lshlrev_b64 v[46:47], 1, v[50:51]
	v_min_f32_e32 v50, v52, v53
	v_add_co_u32 v46, vcc_lo, s4, v46
	v_add_co_ci_u32_e64 v47, null, s5, v47, vcc_lo
	v_cvt_f16_f32_e32 v52, v50
	v_add_co_u32 v50, vcc_lo, v46, v36
	v_add_co_ci_u32_e64 v51, null, v47, v37, vcc_lo
	s_and_b32 vcc_lo, exec_lo, s1
	global_store_short v[50:51], v52, off
	s_cbranch_vccnz .LBB265_31
; %bb.30:
	v_add_co_u32 v49, vcc_lo, v28, v42
	v_add_co_ci_u32_e64 v50, null, v29, v43, vcc_lo
	global_load_ushort v49, v[49:50], off
	s_waitcnt vmcnt(0)
	v_mul_f16_e32 v49, s2, v49
	v_cvt_f32_f16_e32 v49, v49
.LBB265_31:
	v_pk_add_f16 v50, v0, v30
	v_pk_add_f16 v51, v1, v31
	v_max_f16_e32 v52, v233, v233
	v_lshrrev_b32_e32 v53, 16, v233
	v_max_f32_e32 v49, v49, v49
	v_lshrrev_b32_e32 v54, 16, v50
	v_lshrrev_b32_e32 v55, 16, v51
	v_min_f16_e32 v50, v52, v50
	v_min3_f16 v52, v53, v54, v55
	v_min3_f16 v50, v50, v51, v52
	v_add_co_u32 v51, vcc_lo, v46, v42
	v_add_co_ci_u32_e64 v52, null, v47, v43, vcc_lo
	v_cvt_f32_f16_e32 v50, v50
	s_and_b32 vcc_lo, exec_lo, s1
	v_min_f32_e32 v49, v49, v50
	v_mov_b32_e32 v50, 0
	v_cvt_f16_f32_e32 v53, v49
	v_mov_b32_e32 v49, 0
	global_store_short v[51:52], v53, off
	s_cbranch_vccnz .LBB265_33
; %bb.32:
	v_add_co_u32 v50, vcc_lo, v28, v40
	v_add_co_ci_u32_e64 v51, null, v29, v41, vcc_lo
	global_load_ushort v50, v[50:51], off
	s_waitcnt vmcnt(0)
	v_mul_f16_e32 v50, s2, v50
	v_cvt_f32_f16_e32 v50, v50
.LBB265_33:
	v_pk_add_f16 v51, v2, v30
	v_pk_add_f16 v52, v3, v31
	v_max_f16_e32 v53, v230, v230
	v_lshrrev_b32_e32 v54, 16, v230
	v_max_f32_e32 v50, v50, v50
	v_lshrrev_b32_e32 v55, 16, v51
	v_lshrrev_b32_e32 v56, 16, v52
	v_min_f16_e32 v51, v53, v51
	v_min3_f16 v53, v54, v55, v56
	v_min3_f16 v51, v51, v52, v53
	v_cvt_f32_f16_e32 v51, v51
	v_min_f32_e32 v50, v50, v51
	v_cvt_f16_f32_e32 v52, v50
	v_add_co_u32 v50, vcc_lo, v46, v40
	v_add_co_ci_u32_e64 v51, null, v47, v41, vcc_lo
	s_and_b32 vcc_lo, exec_lo, s1
	global_store_short v[50:51], v52, off
	s_cbranch_vccnz .LBB265_35
; %bb.34:
	v_add_co_u32 v28, vcc_lo, v28, v44
	v_add_co_ci_u32_e64 v29, null, v29, v45, vcc_lo
	global_load_ushort v28, v[28:29], off
	s_waitcnt vmcnt(0)
	v_mul_f16_e32 v28, s2, v28
	v_cvt_f32_f16_e32 v49, v28
.LBB265_35:
	v_pk_add_f16 v28, v32, v30
	v_pk_add_f16 v31, v33, v31
	v_max_f16_e32 v29, v227, v227
	v_lshrrev_b32_e32 v50, 16, v227
	v_add_nc_u32_e32 v30, 24, v48
	v_lshrrev_b32_e32 v51, 16, v28
	v_lshrrev_b32_e32 v52, 16, v31
	v_min_f16_e32 v53, v29, v28
	v_mad_i64_i32 v[28:29], null, v30, s6, 0
	v_min3_f16 v50, v50, v51, v52
	v_max_f32_e32 v51, v49, v49
	v_add_co_u32 v49, vcc_lo, v46, v44
	v_mov_b32_e32 v46, 0
	v_min3_f16 v31, v53, v31, v50
	v_lshlrev_b64 v[28:29], 1, v[28:29]
	v_add_co_ci_u32_e64 v50, null, v47, v45, vcc_lo
	v_cvt_f32_f16_e32 v31, v31
	v_add_co_u32 v28, vcc_lo, s12, v28
	v_add_co_ci_u32_e64 v29, null, s13, v29, vcc_lo
	v_min_f32_e32 v31, v51, v31
	s_and_b32 vcc_lo, exec_lo, s1
	v_cvt_f16_f32_e32 v47, v31
	v_mov_b32_e32 v31, 0
	global_store_short v[49:50], v47, off
	s_cbranch_vccnz .LBB265_37
; %bb.36:
	v_add_co_u32 v49, vcc_lo, v28, v36
	v_add_co_ci_u32_e64 v50, null, v29, v37, vcc_lo
	global_load_ushort v31, v[49:50], off
	s_waitcnt vmcnt(0)
	v_mul_f16_e32 v31, s2, v31
	v_cvt_f32_f16_e32 v31, v31
.LBB265_37:
	v_pk_add_f16 v47, v38, v24
	v_pk_add_f16 v51, v39, v25
	v_max_f16_e32 v49, v224, v224
	v_lshrrev_b32_e32 v50, 16, v224
	v_lshrrev_b32_e32 v52, 16, v47
	;; [unrolled: 1-line block ×3, first 2 shown]
	v_min_f16_e32 v47, v49, v47
	v_min3_f16 v52, v50, v52, v53
	v_mad_i64_i32 v[49:50], null, v30, s3, 0
	v_min3_f16 v30, v47, v51, v52
	v_max_f32_e32 v47, v31, v31
	v_cvt_f32_f16_e32 v51, v30
	v_lshlrev_b64 v[30:31], 1, v[49:50]
	v_min_f32_e32 v47, v47, v51
	v_add_co_u32 v30, vcc_lo, s4, v30
	v_add_co_ci_u32_e64 v31, null, s5, v31, vcc_lo
	v_cvt_f16_f32_e32 v47, v47
	v_add_co_u32 v49, vcc_lo, v30, v36
	v_add_co_ci_u32_e64 v50, null, v31, v37, vcc_lo
	s_and_b32 vcc_lo, exec_lo, s1
	global_store_short v[49:50], v47, off
	s_cbranch_vccnz .LBB265_39
; %bb.38:
	v_add_co_u32 v46, vcc_lo, v28, v42
	v_add_co_ci_u32_e64 v47, null, v29, v43, vcc_lo
	global_load_ushort v46, v[46:47], off
	s_waitcnt vmcnt(0)
	v_mul_f16_e32 v46, s2, v46
	v_cvt_f32_f16_e32 v46, v46
.LBB265_39:
	v_pk_add_f16 v47, v0, v24
	v_pk_add_f16 v49, v1, v25
	v_max_f16_e32 v50, v221, v221
	v_lshrrev_b32_e32 v51, 16, v221
	v_max_f32_e32 v46, v46, v46
	v_lshrrev_b32_e32 v52, 16, v47
	v_lshrrev_b32_e32 v53, 16, v49
	v_min_f16_e32 v47, v50, v47
	v_min3_f16 v50, v51, v52, v53
	v_min3_f16 v47, v47, v49, v50
	v_add_co_u32 v49, vcc_lo, v30, v42
	v_add_co_ci_u32_e64 v50, null, v31, v43, vcc_lo
	v_cvt_f32_f16_e32 v47, v47
	s_and_b32 vcc_lo, exec_lo, s1
	v_min_f32_e32 v46, v46, v47
	v_mov_b32_e32 v47, 0
	v_cvt_f16_f32_e32 v51, v46
	v_mov_b32_e32 v46, 0
	global_store_short v[49:50], v51, off
	s_cbranch_vccnz .LBB265_41
; %bb.40:
	v_add_co_u32 v49, vcc_lo, v28, v40
	v_add_co_ci_u32_e64 v50, null, v29, v41, vcc_lo
	global_load_ushort v47, v[49:50], off
	s_waitcnt vmcnt(0)
	v_mul_f16_e32 v47, s2, v47
	v_cvt_f32_f16_e32 v47, v47
.LBB265_41:
	v_pk_add_f16 v49, v2, v24
	v_pk_add_f16 v50, v3, v25
	v_max_f16_e32 v51, v219, v219
	v_lshrrev_b32_e32 v52, 16, v219
	v_max_f32_e32 v47, v47, v47
	v_lshrrev_b32_e32 v53, 16, v49
	v_lshrrev_b32_e32 v54, 16, v50
	v_min_f16_e32 v49, v51, v49
	v_min3_f16 v51, v52, v53, v54
	v_min3_f16 v49, v49, v50, v51
	v_cvt_f32_f16_e32 v49, v49
	v_min_f32_e32 v47, v47, v49
	v_add_co_u32 v49, vcc_lo, v30, v40
	v_add_co_ci_u32_e64 v50, null, v31, v41, vcc_lo
	v_cvt_f16_f32_e32 v47, v47
	s_and_b32 vcc_lo, exec_lo, s1
	global_store_short v[49:50], v47, off
	s_cbranch_vccnz .LBB265_43
; %bb.42:
	v_add_co_u32 v28, vcc_lo, v28, v44
	v_add_co_ci_u32_e64 v29, null, v29, v45, vcc_lo
	global_load_ushort v28, v[28:29], off
	s_waitcnt vmcnt(0)
	v_mul_f16_e32 v28, s2, v28
	v_cvt_f32_f16_e32 v46, v28
.LBB265_43:
	v_pk_add_f16 v24, v32, v24
	v_pk_add_f16 v29, v33, v25
	v_max_f16_e32 v25, v216, v216
	v_lshrrev_b32_e32 v47, 16, v216
	v_add_nc_u32_e32 v28, 32, v48
	v_lshrrev_b32_e32 v49, 16, v24
	v_lshrrev_b32_e32 v50, 16, v29
	v_min_f16_e32 v51, v25, v24
	v_mad_i64_i32 v[24:25], null, v28, s6, 0
	v_min3_f16 v47, v47, v49, v50
	v_max_f32_e32 v49, v46, v46
	v_add_co_u32 v46, vcc_lo, v30, v44
	v_mov_b32_e32 v30, 0
	v_min3_f16 v29, v51, v29, v47
	v_lshlrev_b64 v[24:25], 1, v[24:25]
	v_add_co_ci_u32_e64 v47, null, v31, v45, vcc_lo
	v_cvt_f32_f16_e32 v29, v29
	v_add_co_u32 v24, vcc_lo, s12, v24
	v_add_co_ci_u32_e64 v25, null, s13, v25, vcc_lo
	v_min_f32_e32 v29, v49, v29
	s_and_b32 vcc_lo, exec_lo, s1
	v_cvt_f16_f32_e32 v31, v29
	v_mov_b32_e32 v29, 0
	global_store_short v[46:47], v31, off
	s_cbranch_vccnz .LBB265_45
; %bb.44:
	v_add_co_u32 v46, vcc_lo, v24, v36
	v_add_co_ci_u32_e64 v47, null, v25, v37, vcc_lo
	global_load_ushort v29, v[46:47], off
	s_waitcnt vmcnt(0)
	v_mul_f16_e32 v29, s2, v29
	v_cvt_f32_f16_e32 v29, v29
.LBB265_45:
	v_pk_add_f16 v31, v38, v26
	v_pk_add_f16 v49, v39, v27
	v_max_f16_e32 v46, v210, v210
	v_lshrrev_b32_e32 v47, 16, v210
	v_lshrrev_b32_e32 v50, 16, v31
	;; [unrolled: 1-line block ×3, first 2 shown]
	v_min_f16_e32 v31, v46, v31
	v_min3_f16 v50, v47, v50, v51
	v_mad_i64_i32 v[46:47], null, v28, s3, 0
	v_min3_f16 v28, v31, v49, v50
	v_max_f32_e32 v31, v29, v29
	v_cvt_f32_f16_e32 v49, v28
	v_lshlrev_b64 v[28:29], 1, v[46:47]
	v_min_f32_e32 v31, v31, v49
	v_add_co_u32 v28, vcc_lo, s4, v28
	v_add_co_ci_u32_e64 v29, null, s5, v29, vcc_lo
	v_cvt_f16_f32_e32 v31, v31
	v_add_co_u32 v46, vcc_lo, v28, v36
	v_add_co_ci_u32_e64 v47, null, v29, v37, vcc_lo
	s_and_b32 vcc_lo, exec_lo, s1
	global_store_short v[46:47], v31, off
	s_cbranch_vccnz .LBB265_47
; %bb.46:
	v_add_co_u32 v30, vcc_lo, v24, v42
	v_add_co_ci_u32_e64 v31, null, v25, v43, vcc_lo
	global_load_ushort v30, v[30:31], off
	s_waitcnt vmcnt(0)
	v_mul_f16_e32 v30, s2, v30
	v_cvt_f32_f16_e32 v30, v30
.LBB265_47:
	v_pk_add_f16 v31, v0, v26
	v_pk_add_f16 v46, v1, v27
	v_max_f16_e32 v47, v207, v207
	v_lshrrev_b32_e32 v49, 16, v207
	v_max_f32_e32 v30, v30, v30
	v_lshrrev_b32_e32 v50, 16, v31
	v_lshrrev_b32_e32 v51, 16, v46
	v_min_f16_e32 v31, v47, v31
	v_min3_f16 v47, v49, v50, v51
	v_min3_f16 v31, v31, v46, v47
	v_add_co_u32 v46, vcc_lo, v28, v42
	v_add_co_ci_u32_e64 v47, null, v29, v43, vcc_lo
	v_cvt_f32_f16_e32 v31, v31
	s_and_b32 vcc_lo, exec_lo, s1
	v_min_f32_e32 v30, v30, v31
	v_mov_b32_e32 v31, 0
	v_cvt_f16_f32_e32 v49, v30
	v_mov_b32_e32 v30, 0
	global_store_short v[46:47], v49, off
	s_cbranch_vccnz .LBB265_49
; %bb.48:
	v_add_co_u32 v46, vcc_lo, v24, v40
	v_add_co_ci_u32_e64 v47, null, v25, v41, vcc_lo
	global_load_ushort v31, v[46:47], off
	s_waitcnt vmcnt(0)
	v_mul_f16_e32 v31, s2, v31
	v_cvt_f32_f16_e32 v31, v31
.LBB265_49:
	v_pk_add_f16 v46, v2, v26
	v_pk_add_f16 v47, v3, v27
	v_max_f16_e32 v49, v204, v204
	v_lshrrev_b32_e32 v50, 16, v204
	v_max_f32_e32 v31, v31, v31
	v_lshrrev_b32_e32 v51, 16, v46
	v_lshrrev_b32_e32 v52, 16, v47
	v_min_f16_e32 v46, v49, v46
	v_min3_f16 v49, v50, v51, v52
	v_min3_f16 v46, v46, v47, v49
	v_cvt_f32_f16_e32 v46, v46
	v_min_f32_e32 v31, v31, v46
	v_add_co_u32 v46, vcc_lo, v28, v40
	v_add_co_ci_u32_e64 v47, null, v29, v41, vcc_lo
	v_cvt_f16_f32_e32 v31, v31
	s_and_b32 vcc_lo, exec_lo, s1
	global_store_short v[46:47], v31, off
	s_cbranch_vccnz .LBB265_51
; %bb.50:
	v_add_co_u32 v24, vcc_lo, v24, v44
	v_add_co_ci_u32_e64 v25, null, v25, v45, vcc_lo
	global_load_ushort v24, v[24:25], off
	s_waitcnt vmcnt(0)
	v_mul_f16_e32 v24, s2, v24
	v_cvt_f32_f16_e32 v30, v24
.LBB265_51:
	v_pk_add_f16 v24, v32, v26
	v_pk_add_f16 v27, v33, v27
	v_max_f16_e32 v25, v201, v201
	v_lshrrev_b32_e32 v31, 16, v201
	v_add_nc_u32_e32 v26, 40, v48
	v_lshrrev_b32_e32 v46, 16, v24
	v_lshrrev_b32_e32 v47, 16, v27
	v_min_f16_e32 v49, v25, v24
	v_mad_i64_i32 v[24:25], null, v26, s6, 0
	v_min3_f16 v31, v31, v46, v47
	v_max_f32_e32 v46, v30, v30
	v_add_co_u32 v30, vcc_lo, v28, v44
	v_mov_b32_e32 v28, 0
	v_min3_f16 v27, v49, v27, v31
	v_lshlrev_b64 v[24:25], 1, v[24:25]
	v_add_co_ci_u32_e64 v31, null, v29, v45, vcc_lo
	v_cvt_f32_f16_e32 v27, v27
	v_add_co_u32 v24, vcc_lo, s12, v24
	v_add_co_ci_u32_e64 v25, null, s13, v25, vcc_lo
	v_min_f32_e32 v27, v46, v27
	s_and_b32 vcc_lo, exec_lo, s1
	v_cvt_f16_f32_e32 v29, v27
	v_mov_b32_e32 v27, 0
	global_store_short v[30:31], v29, off
	s_cbranch_vccnz .LBB265_53
; %bb.52:
	v_add_co_u32 v29, vcc_lo, v24, v36
	v_add_co_ci_u32_e64 v30, null, v25, v37, vcc_lo
	global_load_ushort v27, v[29:30], off
	s_waitcnt vmcnt(0)
	v_mul_f16_e32 v27, s2, v27
	v_cvt_f32_f16_e32 v27, v27
.LBB265_53:
	v_pk_add_f16 v29, v38, v20
	v_pk_add_f16 v31, v39, v21
	v_max_f16_e32 v30, v198, v198
	v_lshrrev_b32_e32 v46, 16, v198
	v_lshrrev_b32_e32 v47, 16, v29
	;; [unrolled: 1-line block ×3, first 2 shown]
	v_min_f16_e32 v50, v30, v29
	v_mad_i64_i32 v[29:30], null, v26, s3, 0
	v_min3_f16 v46, v46, v47, v49
	v_min3_f16 v26, v50, v31, v46
	v_max_f32_e32 v31, v27, v27
	v_cvt_f32_f16_e32 v46, v26
	v_lshlrev_b64 v[26:27], 1, v[29:30]
	v_min_f32_e32 v29, v31, v46
	v_add_co_u32 v26, vcc_lo, s4, v26
	v_add_co_ci_u32_e64 v27, null, s5, v27, vcc_lo
	v_cvt_f16_f32_e32 v31, v29
	v_add_co_u32 v29, vcc_lo, v26, v36
	v_add_co_ci_u32_e64 v30, null, v27, v37, vcc_lo
	s_and_b32 vcc_lo, exec_lo, s1
	global_store_short v[29:30], v31, off
	s_cbranch_vccnz .LBB265_55
; %bb.54:
	v_add_co_u32 v28, vcc_lo, v24, v42
	v_add_co_ci_u32_e64 v29, null, v25, v43, vcc_lo
	global_load_ushort v28, v[28:29], off
	s_waitcnt vmcnt(0)
	v_mul_f16_e32 v28, s2, v28
	v_cvt_f32_f16_e32 v28, v28
.LBB265_55:
	v_pk_add_f16 v29, v0, v20
	v_pk_add_f16 v30, v1, v21
	v_max_f16_e32 v31, v195, v195
	v_lshrrev_b32_e32 v46, 16, v195
	v_max_f32_e32 v28, v28, v28
	v_lshrrev_b32_e32 v47, 16, v29
	v_lshrrev_b32_e32 v49, 16, v30
	v_min_f16_e32 v29, v31, v29
	v_min3_f16 v31, v46, v47, v49
	v_min3_f16 v29, v29, v30, v31
	v_add_co_u32 v30, vcc_lo, v26, v42
	v_add_co_ci_u32_e64 v31, null, v27, v43, vcc_lo
	v_cvt_f32_f16_e32 v29, v29
	s_and_b32 vcc_lo, exec_lo, s1
	v_min_f32_e32 v28, v28, v29
	v_mov_b32_e32 v29, 0
	v_cvt_f16_f32_e32 v46, v28
	v_mov_b32_e32 v28, 0
	global_store_short v[30:31], v46, off
	s_cbranch_vccnz .LBB265_57
; %bb.56:
	v_add_co_u32 v29, vcc_lo, v24, v40
	v_add_co_ci_u32_e64 v30, null, v25, v41, vcc_lo
	global_load_ushort v29, v[29:30], off
	s_waitcnt vmcnt(0)
	v_mul_f16_e32 v29, s2, v29
	v_cvt_f32_f16_e32 v29, v29
.LBB265_57:
	v_pk_add_f16 v30, v2, v20
	v_pk_add_f16 v31, v3, v21
	v_max_f16_e32 v46, v193, v193
	v_lshrrev_b32_e32 v47, 16, v193
	v_max_f32_e32 v29, v29, v29
	v_lshrrev_b32_e32 v49, 16, v30
	v_lshrrev_b32_e32 v50, 16, v31
	v_min_f16_e32 v30, v46, v30
	v_min3_f16 v46, v47, v49, v50
	v_min3_f16 v30, v30, v31, v46
	v_cvt_f32_f16_e32 v30, v30
	v_min_f32_e32 v29, v29, v30
	v_cvt_f16_f32_e32 v31, v29
	v_add_co_u32 v29, vcc_lo, v26, v40
	v_add_co_ci_u32_e64 v30, null, v27, v41, vcc_lo
	s_and_b32 vcc_lo, exec_lo, s1
	global_store_short v[29:30], v31, off
	s_cbranch_vccnz .LBB265_59
; %bb.58:
	v_add_co_u32 v24, vcc_lo, v24, v44
	v_add_co_ci_u32_e64 v25, null, v25, v45, vcc_lo
	global_load_ushort v24, v[24:25], off
	s_waitcnt vmcnt(0)
	v_mul_f16_e32 v24, s2, v24
	v_cvt_f32_f16_e32 v28, v24
.LBB265_59:
	v_pk_add_f16 v20, v32, v20
	v_pk_add_f16 v25, v33, v21
	v_max_f16_e32 v21, v190, v190
	v_lshrrev_b32_e32 v29, 16, v190
	v_add_nc_u32_e32 v24, 48, v48
	v_lshrrev_b32_e32 v30, 16, v20
	v_lshrrev_b32_e32 v31, 16, v25
	v_min_f16_e32 v46, v21, v20
	v_mad_i64_i32 v[20:21], null, v24, s6, 0
	v_min3_f16 v29, v29, v30, v31
	v_max_f32_e32 v30, v28, v28
	v_add_co_u32 v28, vcc_lo, v26, v44
	v_mov_b32_e32 v26, 0
	v_min3_f16 v25, v46, v25, v29
	v_lshlrev_b64 v[20:21], 1, v[20:21]
	v_add_co_ci_u32_e64 v29, null, v27, v45, vcc_lo
	v_cvt_f32_f16_e32 v25, v25
	v_add_co_u32 v20, vcc_lo, s12, v20
	v_add_co_ci_u32_e64 v21, null, s13, v21, vcc_lo
	v_min_f32_e32 v25, v30, v25
	s_and_b32 vcc_lo, exec_lo, s1
	v_cvt_f16_f32_e32 v27, v25
	v_mov_b32_e32 v25, 0
	global_store_short v[28:29], v27, off
	s_cbranch_vccnz .LBB265_61
; %bb.60:
	v_add_co_u32 v27, vcc_lo, v20, v36
	v_add_co_ci_u32_e64 v28, null, v21, v37, vcc_lo
	global_load_ushort v25, v[27:28], off
	s_waitcnt vmcnt(0)
	v_mul_f16_e32 v25, s2, v25
	v_cvt_f32_f16_e32 v25, v25
.LBB265_61:
	v_pk_add_f16 v27, v38, v22
	v_pk_add_f16 v29, v39, v23
	v_max_f16_e32 v28, v187, v187
	v_lshrrev_b32_e32 v30, 16, v187
	v_lshrrev_b32_e32 v31, 16, v27
	;; [unrolled: 1-line block ×3, first 2 shown]
	v_min_f16_e32 v47, v28, v27
	v_mad_i64_i32 v[27:28], null, v24, s3, 0
	v_min3_f16 v30, v30, v31, v46
	v_min3_f16 v24, v47, v29, v30
	v_max_f32_e32 v29, v25, v25
	v_cvt_f32_f16_e32 v30, v24
	v_lshlrev_b64 v[24:25], 1, v[27:28]
	v_min_f32_e32 v27, v29, v30
	v_add_co_u32 v24, vcc_lo, s4, v24
	v_add_co_ci_u32_e64 v25, null, s5, v25, vcc_lo
	v_cvt_f16_f32_e32 v29, v27
	v_add_co_u32 v27, vcc_lo, v24, v36
	v_add_co_ci_u32_e64 v28, null, v25, v37, vcc_lo
	s_and_b32 vcc_lo, exec_lo, s1
	global_store_short v[27:28], v29, off
	s_cbranch_vccnz .LBB265_63
; %bb.62:
	v_add_co_u32 v26, vcc_lo, v20, v42
	v_add_co_ci_u32_e64 v27, null, v21, v43, vcc_lo
	global_load_ushort v26, v[26:27], off
	s_waitcnt vmcnt(0)
	v_mul_f16_e32 v26, s2, v26
	v_cvt_f32_f16_e32 v26, v26
.LBB265_63:
	v_pk_add_f16 v27, v0, v22
	v_pk_add_f16 v28, v1, v23
	v_max_f16_e32 v29, v185, v185
	v_lshrrev_b32_e32 v30, 16, v185
	v_max_f32_e32 v26, v26, v26
	v_lshrrev_b32_e32 v31, 16, v27
	v_lshrrev_b32_e32 v46, 16, v28
	v_min_f16_e32 v27, v29, v27
	v_min3_f16 v29, v30, v31, v46
	v_min3_f16 v27, v27, v28, v29
	v_add_co_u32 v28, vcc_lo, v24, v42
	v_add_co_ci_u32_e64 v29, null, v25, v43, vcc_lo
	v_cvt_f32_f16_e32 v27, v27
	s_and_b32 vcc_lo, exec_lo, s1
	v_min_f32_e32 v26, v26, v27
	v_mov_b32_e32 v27, 0
	v_cvt_f16_f32_e32 v30, v26
	v_mov_b32_e32 v26, 0
	global_store_short v[28:29], v30, off
	s_cbranch_vccnz .LBB265_65
; %bb.64:
	v_add_co_u32 v27, vcc_lo, v20, v40
	v_add_co_ci_u32_e64 v28, null, v21, v41, vcc_lo
	global_load_ushort v27, v[27:28], off
	s_waitcnt vmcnt(0)
	v_mul_f16_e32 v27, s2, v27
	v_cvt_f32_f16_e32 v27, v27
.LBB265_65:
	v_pk_add_f16 v28, v2, v22
	v_pk_add_f16 v29, v3, v23
	v_max_f16_e32 v30, v183, v183
	v_lshrrev_b32_e32 v31, 16, v183
	v_max_f32_e32 v27, v27, v27
	v_lshrrev_b32_e32 v46, 16, v28
	v_lshrrev_b32_e32 v47, 16, v29
	v_min_f16_e32 v28, v30, v28
	v_min3_f16 v30, v31, v46, v47
	v_min3_f16 v28, v28, v29, v30
	v_cvt_f32_f16_e32 v28, v28
	v_min_f32_e32 v27, v27, v28
	v_cvt_f16_f32_e32 v29, v27
	v_add_co_u32 v27, vcc_lo, v24, v40
	v_add_co_ci_u32_e64 v28, null, v25, v41, vcc_lo
	s_and_b32 vcc_lo, exec_lo, s1
	global_store_short v[27:28], v29, off
	s_cbranch_vccnz .LBB265_67
; %bb.66:
	v_add_co_u32 v20, vcc_lo, v20, v44
	v_add_co_ci_u32_e64 v21, null, v21, v45, vcc_lo
	global_load_ushort v20, v[20:21], off
	s_waitcnt vmcnt(0)
	v_mul_f16_e32 v20, s2, v20
	v_cvt_f32_f16_e32 v26, v20
.LBB265_67:
	v_pk_add_f16 v20, v32, v22
	v_pk_add_f16 v23, v33, v23
	v_max_f16_e32 v21, v181, v181
	v_lshrrev_b32_e32 v27, 16, v181
	v_add_nc_u32_e32 v22, 56, v48
	v_lshrrev_b32_e32 v28, 16, v20
	v_lshrrev_b32_e32 v29, 16, v23
	v_min_f16_e32 v30, v21, v20
	v_mad_i64_i32 v[20:21], null, v22, s6, 0
	v_min3_f16 v27, v27, v28, v29
	v_max_f32_e32 v28, v26, v26
	v_add_co_u32 v26, vcc_lo, v24, v44
	v_mov_b32_e32 v24, 0
	v_min3_f16 v23, v30, v23, v27
	v_lshlrev_b64 v[20:21], 1, v[20:21]
	v_add_co_ci_u32_e64 v27, null, v25, v45, vcc_lo
	v_cvt_f32_f16_e32 v23, v23
	v_add_co_u32 v20, vcc_lo, s12, v20
	v_add_co_ci_u32_e64 v21, null, s13, v21, vcc_lo
	v_min_f32_e32 v23, v28, v23
	s_and_b32 vcc_lo, exec_lo, s1
	v_cvt_f16_f32_e32 v25, v23
	v_mov_b32_e32 v23, 0
	global_store_short v[26:27], v25, off
	s_cbranch_vccnz .LBB265_69
; %bb.68:
	v_add_co_u32 v25, vcc_lo, v20, v36
	v_add_co_ci_u32_e64 v26, null, v21, v37, vcc_lo
	global_load_ushort v23, v[25:26], off
	s_waitcnt vmcnt(0)
	v_mul_f16_e32 v23, s2, v23
	v_cvt_f32_f16_e32 v23, v23
.LBB265_69:
	v_pk_add_f16 v25, v38, v16
	v_pk_add_f16 v27, v39, v17
	v_max_f16_e32 v26, v179, v179
	v_lshrrev_b32_e32 v28, 16, v179
	v_lshrrev_b32_e32 v29, 16, v25
	;; [unrolled: 1-line block ×3, first 2 shown]
	v_min_f16_e32 v31, v26, v25
	v_mad_i64_i32 v[25:26], null, v22, s3, 0
	v_min3_f16 v28, v28, v29, v30
	v_min3_f16 v22, v31, v27, v28
	v_max_f32_e32 v27, v23, v23
	v_cvt_f32_f16_e32 v28, v22
	v_lshlrev_b64 v[22:23], 1, v[25:26]
	v_min_f32_e32 v25, v27, v28
	v_add_co_u32 v22, vcc_lo, s4, v22
	v_add_co_ci_u32_e64 v23, null, s5, v23, vcc_lo
	v_cvt_f16_f32_e32 v27, v25
	v_add_co_u32 v25, vcc_lo, v22, v36
	v_add_co_ci_u32_e64 v26, null, v23, v37, vcc_lo
	s_and_b32 vcc_lo, exec_lo, s1
	global_store_short v[25:26], v27, off
	s_cbranch_vccnz .LBB265_71
; %bb.70:
	v_add_co_u32 v24, vcc_lo, v20, v42
	v_add_co_ci_u32_e64 v25, null, v21, v43, vcc_lo
	global_load_ushort v24, v[24:25], off
	s_waitcnt vmcnt(0)
	v_mul_f16_e32 v24, s2, v24
	v_cvt_f32_f16_e32 v24, v24
.LBB265_71:
	v_pk_add_f16 v25, v0, v16
	v_pk_add_f16 v26, v1, v17
	v_max_f16_e32 v27, v177, v177
	v_lshrrev_b32_e32 v28, 16, v177
	v_max_f32_e32 v24, v24, v24
	v_lshrrev_b32_e32 v29, 16, v25
	v_lshrrev_b32_e32 v30, 16, v26
	v_min_f16_e32 v25, v27, v25
	v_min3_f16 v27, v28, v29, v30
	v_min3_f16 v25, v25, v26, v27
	v_add_co_u32 v26, vcc_lo, v22, v42
	v_add_co_ci_u32_e64 v27, null, v23, v43, vcc_lo
	v_cvt_f32_f16_e32 v25, v25
	s_and_b32 vcc_lo, exec_lo, s1
	v_min_f32_e32 v24, v24, v25
	v_mov_b32_e32 v25, 0
	v_cvt_f16_f32_e32 v28, v24
	v_mov_b32_e32 v24, 0
	global_store_short v[26:27], v28, off
	s_cbranch_vccnz .LBB265_73
; %bb.72:
	v_add_co_u32 v25, vcc_lo, v20, v40
	v_add_co_ci_u32_e64 v26, null, v21, v41, vcc_lo
	global_load_ushort v25, v[25:26], off
	s_waitcnt vmcnt(0)
	v_mul_f16_e32 v25, s2, v25
	v_cvt_f32_f16_e32 v25, v25
.LBB265_73:
	v_pk_add_f16 v26, v2, v16
	v_pk_add_f16 v27, v3, v17
	v_max_f16_e32 v28, v175, v175
	v_lshrrev_b32_e32 v29, 16, v175
	v_max_f32_e32 v25, v25, v25
	v_lshrrev_b32_e32 v30, 16, v26
	v_lshrrev_b32_e32 v31, 16, v27
	v_min_f16_e32 v26, v28, v26
	v_min3_f16 v28, v29, v30, v31
	v_min3_f16 v26, v26, v27, v28
	v_cvt_f32_f16_e32 v26, v26
	v_min_f32_e32 v25, v25, v26
	v_cvt_f16_f32_e32 v27, v25
	v_add_co_u32 v25, vcc_lo, v22, v40
	v_add_co_ci_u32_e64 v26, null, v23, v41, vcc_lo
	s_and_b32 vcc_lo, exec_lo, s1
	global_store_short v[25:26], v27, off
	s_cbranch_vccnz .LBB265_75
; %bb.74:
	v_add_co_u32 v20, vcc_lo, v20, v44
	v_add_co_ci_u32_e64 v21, null, v21, v45, vcc_lo
	global_load_ushort v20, v[20:21], off
	s_waitcnt vmcnt(0)
	v_mul_f16_e32 v20, s2, v20
	v_cvt_f32_f16_e32 v24, v20
.LBB265_75:
	v_pk_add_f16 v16, v32, v16
	v_pk_add_f16 v21, v33, v17
	v_max_f16_e32 v17, v124, v124
	v_lshrrev_b32_e32 v25, 16, v124
	v_add_nc_u32_e32 v20, 64, v48
	v_lshrrev_b32_e32 v26, 16, v16
	v_lshrrev_b32_e32 v27, 16, v21
	v_min_f16_e32 v28, v17, v16
	v_mad_i64_i32 v[16:17], null, v20, s6, 0
	v_min3_f16 v25, v25, v26, v27
	v_max_f32_e32 v26, v24, v24
	v_add_co_u32 v24, vcc_lo, v22, v44
	v_mov_b32_e32 v22, 0
	v_min3_f16 v21, v28, v21, v25
	v_lshlrev_b64 v[16:17], 1, v[16:17]
	v_add_co_ci_u32_e64 v25, null, v23, v45, vcc_lo
	v_cvt_f32_f16_e32 v21, v21
	v_add_co_u32 v16, vcc_lo, s12, v16
	v_add_co_ci_u32_e64 v17, null, s13, v17, vcc_lo
	v_min_f32_e32 v21, v26, v21
	s_and_b32 vcc_lo, exec_lo, s1
	v_cvt_f16_f32_e32 v23, v21
	v_mov_b32_e32 v21, 0
	global_store_short v[24:25], v23, off
	s_cbranch_vccnz .LBB265_77
; %bb.76:
	v_add_co_u32 v23, vcc_lo, v16, v36
	v_add_co_ci_u32_e64 v24, null, v17, v37, vcc_lo
	global_load_ushort v21, v[23:24], off
	s_waitcnt vmcnt(0)
	v_mul_f16_e32 v21, s2, v21
	v_cvt_f32_f16_e32 v21, v21
.LBB265_77:
	v_pk_add_f16 v23, v38, v18
	v_pk_add_f16 v25, v39, v19
	v_max_f16_e32 v24, v108, v108
	v_lshrrev_b32_e32 v26, 16, v108
	v_lshrrev_b32_e32 v27, 16, v23
	;; [unrolled: 1-line block ×3, first 2 shown]
	v_min_f16_e32 v29, v24, v23
	v_mad_i64_i32 v[23:24], null, v20, s3, 0
	v_min3_f16 v26, v26, v27, v28
	v_min3_f16 v20, v29, v25, v26
	v_max_f32_e32 v25, v21, v21
	v_cvt_f32_f16_e32 v26, v20
	v_lshlrev_b64 v[20:21], 1, v[23:24]
	v_min_f32_e32 v23, v25, v26
	v_add_co_u32 v20, vcc_lo, s4, v20
	v_add_co_ci_u32_e64 v21, null, s5, v21, vcc_lo
	v_cvt_f16_f32_e32 v25, v23
	v_add_co_u32 v23, vcc_lo, v20, v36
	v_add_co_ci_u32_e64 v24, null, v21, v37, vcc_lo
	s_and_b32 vcc_lo, exec_lo, s1
	global_store_short v[23:24], v25, off
	s_cbranch_vccnz .LBB265_79
; %bb.78:
	v_add_co_u32 v22, vcc_lo, v16, v42
	v_add_co_ci_u32_e64 v23, null, v17, v43, vcc_lo
	global_load_ushort v22, v[22:23], off
	s_waitcnt vmcnt(0)
	v_mul_f16_e32 v22, s2, v22
	v_cvt_f32_f16_e32 v22, v22
.LBB265_79:
	v_pk_add_f16 v23, v0, v18
	v_pk_add_f16 v24, v1, v19
	v_max_f16_e32 v25, v88, v88
	v_lshrrev_b32_e32 v26, 16, v88
	v_max_f32_e32 v22, v22, v22
	v_lshrrev_b32_e32 v27, 16, v23
	v_lshrrev_b32_e32 v28, 16, v24
	v_min_f16_e32 v23, v25, v23
	v_min3_f16 v25, v26, v27, v28
	v_min3_f16 v23, v23, v24, v25
	v_add_co_u32 v24, vcc_lo, v20, v42
	v_add_co_ci_u32_e64 v25, null, v21, v43, vcc_lo
	v_cvt_f32_f16_e32 v23, v23
	s_and_b32 vcc_lo, exec_lo, s1
	v_min_f32_e32 v22, v22, v23
	v_mov_b32_e32 v23, 0
	v_cvt_f16_f32_e32 v26, v22
	v_mov_b32_e32 v22, 0
	global_store_short v[24:25], v26, off
	s_cbranch_vccnz .LBB265_81
; %bb.80:
	v_add_co_u32 v23, vcc_lo, v16, v40
	v_add_co_ci_u32_e64 v24, null, v17, v41, vcc_lo
	global_load_ushort v23, v[23:24], off
	s_waitcnt vmcnt(0)
	v_mul_f16_e32 v23, s2, v23
	v_cvt_f32_f16_e32 v23, v23
.LBB265_81:
	v_pk_add_f16 v24, v2, v18
	v_pk_add_f16 v25, v3, v19
	v_max_f16_e32 v26, v106, v106
	v_lshrrev_b32_e32 v27, 16, v106
	v_max_f32_e32 v23, v23, v23
	v_lshrrev_b32_e32 v28, 16, v24
	v_lshrrev_b32_e32 v29, 16, v25
	v_min_f16_e32 v24, v26, v24
	v_min3_f16 v26, v27, v28, v29
	v_min3_f16 v24, v24, v25, v26
	v_cvt_f32_f16_e32 v24, v24
	v_min_f32_e32 v23, v23, v24
	v_cvt_f16_f32_e32 v25, v23
	v_add_co_u32 v23, vcc_lo, v20, v40
	v_add_co_ci_u32_e64 v24, null, v21, v41, vcc_lo
	s_and_b32 vcc_lo, exec_lo, s1
	global_store_short v[23:24], v25, off
	s_cbranch_vccnz .LBB265_83
; %bb.82:
	v_add_co_u32 v16, vcc_lo, v16, v44
	v_add_co_ci_u32_e64 v17, null, v17, v45, vcc_lo
	global_load_ushort v16, v[16:17], off
	s_waitcnt vmcnt(0)
	v_mul_f16_e32 v16, s2, v16
	v_cvt_f32_f16_e32 v22, v16
.LBB265_83:
	v_pk_add_f16 v16, v32, v18
	v_pk_add_f16 v19, v33, v19
	v_max_f16_e32 v17, v87, v87
	v_lshrrev_b32_e32 v23, 16, v87
	v_add_nc_u32_e32 v18, 0x48, v48
	v_lshrrev_b32_e32 v24, 16, v16
	v_lshrrev_b32_e32 v25, 16, v19
	v_min_f16_e32 v26, v17, v16
	v_mad_i64_i32 v[16:17], null, v18, s6, 0
	v_min3_f16 v23, v23, v24, v25
	v_max_f32_e32 v24, v22, v22
	v_add_co_u32 v22, vcc_lo, v20, v44
	v_mov_b32_e32 v20, 0
	v_min3_f16 v19, v26, v19, v23
	v_lshlrev_b64 v[16:17], 1, v[16:17]
	v_add_co_ci_u32_e64 v23, null, v21, v45, vcc_lo
	v_cvt_f32_f16_e32 v19, v19
	v_add_co_u32 v16, vcc_lo, s12, v16
	v_add_co_ci_u32_e64 v17, null, s13, v17, vcc_lo
	v_min_f32_e32 v19, v24, v19
	s_and_b32 vcc_lo, exec_lo, s1
	v_cvt_f16_f32_e32 v21, v19
	v_mov_b32_e32 v19, 0
	global_store_short v[22:23], v21, off
	s_cbranch_vccnz .LBB265_85
; %bb.84:
	v_add_co_u32 v21, vcc_lo, v16, v36
	v_add_co_ci_u32_e64 v22, null, v17, v37, vcc_lo
	global_load_ushort v19, v[21:22], off
	s_waitcnt vmcnt(0)
	v_mul_f16_e32 v19, s2, v19
	v_cvt_f32_f16_e32 v19, v19
.LBB265_85:
	v_pk_add_f16 v21, v38, v12
	v_pk_add_f16 v23, v39, v13
	v_max_f16_e32 v22, v118, v118
	v_lshrrev_b32_e32 v24, 16, v118
	v_lshrrev_b32_e32 v25, 16, v21
	;; [unrolled: 1-line block ×3, first 2 shown]
	v_min_f16_e32 v27, v22, v21
	v_mad_i64_i32 v[21:22], null, v18, s3, 0
	v_min3_f16 v24, v24, v25, v26
	v_min3_f16 v18, v27, v23, v24
	v_max_f32_e32 v23, v19, v19
	v_cvt_f32_f16_e32 v24, v18
	v_lshlrev_b64 v[18:19], 1, v[21:22]
	v_min_f32_e32 v21, v23, v24
	v_add_co_u32 v18, vcc_lo, s4, v18
	v_add_co_ci_u32_e64 v19, null, s5, v19, vcc_lo
	v_cvt_f16_f32_e32 v23, v21
	v_add_co_u32 v21, vcc_lo, v18, v36
	v_add_co_ci_u32_e64 v22, null, v19, v37, vcc_lo
	s_and_b32 vcc_lo, exec_lo, s1
	global_store_short v[21:22], v23, off
	s_cbranch_vccnz .LBB265_87
; %bb.86:
	v_add_co_u32 v20, vcc_lo, v16, v42
	v_add_co_ci_u32_e64 v21, null, v17, v43, vcc_lo
	global_load_ushort v20, v[20:21], off
	s_waitcnt vmcnt(0)
	v_mul_f16_e32 v20, s2, v20
	v_cvt_f32_f16_e32 v20, v20
.LBB265_87:
	v_pk_add_f16 v21, v0, v12
	v_pk_add_f16 v22, v1, v13
	v_max_f16_e32 v23, v86, v86
	v_lshrrev_b32_e32 v24, 16, v86
	v_max_f32_e32 v20, v20, v20
	v_lshrrev_b32_e32 v25, 16, v21
	v_lshrrev_b32_e32 v26, 16, v22
	v_min_f16_e32 v21, v23, v21
	v_min3_f16 v23, v24, v25, v26
	v_min3_f16 v21, v21, v22, v23
	v_add_co_u32 v22, vcc_lo, v18, v42
	v_add_co_ci_u32_e64 v23, null, v19, v43, vcc_lo
	v_cvt_f32_f16_e32 v21, v21
	s_and_b32 vcc_lo, exec_lo, s1
	v_min_f32_e32 v20, v20, v21
	v_mov_b32_e32 v21, 0
	v_cvt_f16_f32_e32 v24, v20
	v_mov_b32_e32 v20, 0
	global_store_short v[22:23], v24, off
	s_cbranch_vccnz .LBB265_89
; %bb.88:
	v_add_co_u32 v21, vcc_lo, v16, v40
	v_add_co_ci_u32_e64 v22, null, v17, v41, vcc_lo
	global_load_ushort v21, v[21:22], off
	s_waitcnt vmcnt(0)
	v_mul_f16_e32 v21, s2, v21
	v_cvt_f32_f16_e32 v21, v21
.LBB265_89:
	v_pk_add_f16 v22, v2, v12
	v_pk_add_f16 v23, v3, v13
	v_max_f16_e32 v24, v104, v104
	v_lshrrev_b32_e32 v25, 16, v104
	v_max_f32_e32 v21, v21, v21
	v_lshrrev_b32_e32 v26, 16, v22
	v_lshrrev_b32_e32 v27, 16, v23
	v_min_f16_e32 v22, v24, v22
	v_min3_f16 v24, v25, v26, v27
	v_min3_f16 v22, v22, v23, v24
	v_cvt_f32_f16_e32 v22, v22
	v_min_f32_e32 v21, v21, v22
	v_cvt_f16_f32_e32 v23, v21
	v_add_co_u32 v21, vcc_lo, v18, v40
	v_add_co_ci_u32_e64 v22, null, v19, v41, vcc_lo
	s_and_b32 vcc_lo, exec_lo, s1
	global_store_short v[21:22], v23, off
	s_cbranch_vccnz .LBB265_91
; %bb.90:
	v_add_co_u32 v16, vcc_lo, v16, v44
	v_add_co_ci_u32_e64 v17, null, v17, v45, vcc_lo
	global_load_ushort v16, v[16:17], off
	s_waitcnt vmcnt(0)
	v_mul_f16_e32 v16, s2, v16
	v_cvt_f32_f16_e32 v20, v16
.LBB265_91:
	v_pk_add_f16 v12, v32, v12
	v_pk_add_f16 v17, v33, v13
	v_max_f16_e32 v13, v105, v105
	v_lshrrev_b32_e32 v21, 16, v105
	v_add_nc_u32_e32 v16, 0x50, v48
	v_lshrrev_b32_e32 v22, 16, v12
	v_lshrrev_b32_e32 v23, 16, v17
	v_min_f16_e32 v24, v13, v12
	v_mad_i64_i32 v[12:13], null, v16, s6, 0
	v_min3_f16 v21, v21, v22, v23
	v_max_f32_e32 v22, v20, v20
	v_add_co_u32 v20, vcc_lo, v18, v44
	v_mov_b32_e32 v18, 0
	v_min3_f16 v17, v24, v17, v21
	v_lshlrev_b64 v[12:13], 1, v[12:13]
	v_add_co_ci_u32_e64 v21, null, v19, v45, vcc_lo
	v_cvt_f32_f16_e32 v17, v17
	v_add_co_u32 v12, vcc_lo, s12, v12
	v_add_co_ci_u32_e64 v13, null, s13, v13, vcc_lo
	v_min_f32_e32 v17, v22, v17
	s_and_b32 vcc_lo, exec_lo, s1
	v_cvt_f16_f32_e32 v19, v17
	v_mov_b32_e32 v17, 0
	global_store_short v[20:21], v19, off
	s_cbranch_vccnz .LBB265_93
; %bb.92:
	v_add_co_u32 v19, vcc_lo, v12, v36
	v_add_co_ci_u32_e64 v20, null, v13, v37, vcc_lo
	global_load_ushort v17, v[19:20], off
	s_waitcnt vmcnt(0)
	v_mul_f16_e32 v17, s2, v17
	v_cvt_f32_f16_e32 v17, v17
.LBB265_93:
	v_pk_add_f16 v19, v38, v14
	v_pk_add_f16 v21, v39, v15
	v_max_f16_e32 v20, v97, v97
	v_lshrrev_b32_e32 v22, 16, v97
	v_lshrrev_b32_e32 v23, 16, v19
	;; [unrolled: 1-line block ×3, first 2 shown]
	v_min_f16_e32 v25, v20, v19
	v_mad_i64_i32 v[19:20], null, v16, s3, 0
	v_min3_f16 v22, v22, v23, v24
	v_min3_f16 v16, v25, v21, v22
	v_max_f32_e32 v21, v17, v17
	v_cvt_f32_f16_e32 v22, v16
	v_lshlrev_b64 v[16:17], 1, v[19:20]
	v_min_f32_e32 v19, v21, v22
	v_add_co_u32 v16, vcc_lo, s4, v16
	v_add_co_ci_u32_e64 v17, null, s5, v17, vcc_lo
	v_cvt_f16_f32_e32 v21, v19
	v_add_co_u32 v19, vcc_lo, v16, v36
	v_add_co_ci_u32_e64 v20, null, v17, v37, vcc_lo
	s_and_b32 vcc_lo, exec_lo, s1
	global_store_short v[19:20], v21, off
	s_cbranch_vccnz .LBB265_95
; %bb.94:
	v_add_co_u32 v18, vcc_lo, v12, v42
	v_add_co_ci_u32_e64 v19, null, v13, v43, vcc_lo
	global_load_ushort v18, v[18:19], off
	s_waitcnt vmcnt(0)
	v_mul_f16_e32 v18, s2, v18
	v_cvt_f32_f16_e32 v18, v18
.LBB265_95:
	v_pk_add_f16 v19, v0, v14
	v_pk_add_f16 v20, v1, v15
	v_max_f16_e32 v21, v103, v103
	v_lshrrev_b32_e32 v22, 16, v103
	v_max_f32_e32 v18, v18, v18
	v_lshrrev_b32_e32 v23, 16, v19
	v_lshrrev_b32_e32 v24, 16, v20
	v_min_f16_e32 v19, v21, v19
	v_min3_f16 v21, v22, v23, v24
	v_min3_f16 v19, v19, v20, v21
	v_add_co_u32 v20, vcc_lo, v16, v42
	v_add_co_ci_u32_e64 v21, null, v17, v43, vcc_lo
	v_cvt_f32_f16_e32 v19, v19
	s_and_b32 vcc_lo, exec_lo, s1
	v_min_f32_e32 v18, v18, v19
	v_mov_b32_e32 v19, 0
	v_cvt_f16_f32_e32 v22, v18
	v_mov_b32_e32 v18, 0
	global_store_short v[20:21], v22, off
	s_cbranch_vccnz .LBB265_97
; %bb.96:
	v_add_co_u32 v19, vcc_lo, v12, v40
	v_add_co_ci_u32_e64 v20, null, v13, v41, vcc_lo
	global_load_ushort v19, v[19:20], off
	s_waitcnt vmcnt(0)
	v_mul_f16_e32 v19, s2, v19
	v_cvt_f32_f16_e32 v19, v19
.LBB265_97:
	v_pk_add_f16 v20, v2, v14
	v_pk_add_f16 v21, v3, v15
	v_max_f16_e32 v22, v85, v85
	v_lshrrev_b32_e32 v23, 16, v85
	v_max_f32_e32 v19, v19, v19
	v_lshrrev_b32_e32 v24, 16, v20
	v_lshrrev_b32_e32 v25, 16, v21
	v_min_f16_e32 v20, v22, v20
	v_min3_f16 v22, v23, v24, v25
	v_min3_f16 v20, v20, v21, v22
	v_cvt_f32_f16_e32 v20, v20
	v_min_f32_e32 v19, v19, v20
	v_cvt_f16_f32_e32 v21, v19
	v_add_co_u32 v19, vcc_lo, v16, v40
	v_add_co_ci_u32_e64 v20, null, v17, v41, vcc_lo
	s_and_b32 vcc_lo, exec_lo, s1
	global_store_short v[19:20], v21, off
	s_cbranch_vccnz .LBB265_99
; %bb.98:
	v_add_co_u32 v12, vcc_lo, v12, v44
	v_add_co_ci_u32_e64 v13, null, v13, v45, vcc_lo
	global_load_ushort v12, v[12:13], off
	s_waitcnt vmcnt(0)
	v_mul_f16_e32 v12, s2, v12
	v_cvt_f32_f16_e32 v18, v12
.LBB265_99:
	v_pk_add_f16 v12, v32, v14
	v_pk_add_f16 v15, v33, v15
	v_max_f16_e32 v13, v102, v102
	v_lshrrev_b32_e32 v19, 16, v102
	v_add_nc_u32_e32 v14, 0x58, v48
	v_lshrrev_b32_e32 v20, 16, v12
	v_lshrrev_b32_e32 v21, 16, v15
	v_min_f16_e32 v22, v13, v12
	v_mad_i64_i32 v[12:13], null, v14, s6, 0
	v_min3_f16 v19, v19, v20, v21
	v_max_f32_e32 v20, v18, v18
	v_add_co_u32 v18, vcc_lo, v16, v44
	v_mov_b32_e32 v16, 0
	v_min3_f16 v15, v22, v15, v19
	v_lshlrev_b64 v[12:13], 1, v[12:13]
	v_add_co_ci_u32_e64 v19, null, v17, v45, vcc_lo
	v_cvt_f32_f16_e32 v15, v15
	v_add_co_u32 v12, vcc_lo, s12, v12
	v_add_co_ci_u32_e64 v13, null, s13, v13, vcc_lo
	v_min_f32_e32 v15, v20, v15
	s_and_b32 vcc_lo, exec_lo, s1
	v_cvt_f16_f32_e32 v17, v15
	v_mov_b32_e32 v15, 0
	global_store_short v[18:19], v17, off
	s_cbranch_vccnz .LBB265_101
; %bb.100:
	v_add_co_u32 v17, vcc_lo, v12, v36
	v_add_co_ci_u32_e64 v18, null, v13, v37, vcc_lo
	global_load_ushort v15, v[17:18], off
	s_waitcnt vmcnt(0)
	v_mul_f16_e32 v15, s2, v15
	v_cvt_f32_f16_e32 v15, v15
.LBB265_101:
	v_pk_add_f16 v17, v38, v8
	v_pk_add_f16 v19, v39, v9
	v_max_f16_e32 v18, v101, v101
	v_lshrrev_b32_e32 v20, 16, v101
	v_lshrrev_b32_e32 v21, 16, v17
	;; [unrolled: 1-line block ×3, first 2 shown]
	v_min_f16_e32 v23, v18, v17
	v_mad_i64_i32 v[17:18], null, v14, s3, 0
	v_min3_f16 v20, v20, v21, v22
	v_min3_f16 v14, v23, v19, v20
	v_max_f32_e32 v19, v15, v15
	v_cvt_f32_f16_e32 v20, v14
	v_lshlrev_b64 v[14:15], 1, v[17:18]
	v_min_f32_e32 v17, v19, v20
	v_add_co_u32 v14, vcc_lo, s4, v14
	v_add_co_ci_u32_e64 v15, null, s5, v15, vcc_lo
	v_cvt_f16_f32_e32 v19, v17
	v_add_co_u32 v17, vcc_lo, v14, v36
	v_add_co_ci_u32_e64 v18, null, v15, v37, vcc_lo
	s_and_b32 vcc_lo, exec_lo, s1
	global_store_short v[17:18], v19, off
	s_cbranch_vccnz .LBB265_103
; %bb.102:
	v_add_co_u32 v16, vcc_lo, v12, v42
	v_add_co_ci_u32_e64 v17, null, v13, v43, vcc_lo
	global_load_ushort v16, v[16:17], off
	s_waitcnt vmcnt(0)
	v_mul_f16_e32 v16, s2, v16
	v_cvt_f32_f16_e32 v16, v16
.LBB265_103:
	v_pk_add_f16 v17, v0, v8
	v_pk_add_f16 v18, v1, v9
	v_max_f16_e32 v19, v83, v83
	v_lshrrev_b32_e32 v20, 16, v83
	v_max_f32_e32 v16, v16, v16
	v_lshrrev_b32_e32 v21, 16, v17
	v_lshrrev_b32_e32 v22, 16, v18
	v_min_f16_e32 v17, v19, v17
	v_min3_f16 v19, v20, v21, v22
	v_min3_f16 v17, v17, v18, v19
	v_add_co_u32 v18, vcc_lo, v14, v42
	v_add_co_ci_u32_e64 v19, null, v15, v43, vcc_lo
	v_cvt_f32_f16_e32 v17, v17
	s_and_b32 vcc_lo, exec_lo, s1
	v_min_f32_e32 v16, v16, v17
	v_mov_b32_e32 v17, 0
	v_cvt_f16_f32_e32 v20, v16
	v_mov_b32_e32 v16, 0
	global_store_short v[18:19], v20, off
	s_cbranch_vccnz .LBB265_105
; %bb.104:
	v_add_co_u32 v17, vcc_lo, v12, v40
	v_add_co_ci_u32_e64 v18, null, v13, v41, vcc_lo
	global_load_ushort v17, v[17:18], off
	s_waitcnt vmcnt(0)
	v_mul_f16_e32 v17, s2, v17
	v_cvt_f32_f16_e32 v17, v17
.LBB265_105:
	v_pk_add_f16 v18, v2, v8
	v_pk_add_f16 v19, v3, v9
	v_max_f16_e32 v20, v100, v100
	v_lshrrev_b32_e32 v21, 16, v100
	v_max_f32_e32 v17, v17, v17
	v_lshrrev_b32_e32 v22, 16, v18
	v_lshrrev_b32_e32 v23, 16, v19
	v_min_f16_e32 v18, v20, v18
	v_min3_f16 v20, v21, v22, v23
	v_min3_f16 v18, v18, v19, v20
	v_cvt_f32_f16_e32 v18, v18
	v_min_f32_e32 v17, v17, v18
	v_cvt_f16_f32_e32 v19, v17
	v_add_co_u32 v17, vcc_lo, v14, v40
	v_add_co_ci_u32_e64 v18, null, v15, v41, vcc_lo
	s_and_b32 vcc_lo, exec_lo, s1
	global_store_short v[17:18], v19, off
	s_cbranch_vccnz .LBB265_107
; %bb.106:
	v_add_co_u32 v12, vcc_lo, v12, v44
	v_add_co_ci_u32_e64 v13, null, v13, v45, vcc_lo
	global_load_ushort v12, v[12:13], off
	s_waitcnt vmcnt(0)
	v_mul_f16_e32 v12, s2, v12
	v_cvt_f32_f16_e32 v16, v12
.LBB265_107:
	v_pk_add_f16 v8, v32, v8
	v_pk_add_f16 v13, v33, v9
	v_max_f16_e32 v9, v98, v98
	v_lshrrev_b32_e32 v17, 16, v98
	v_add_nc_u32_e32 v12, 0x60, v48
	v_lshrrev_b32_e32 v18, 16, v8
	v_lshrrev_b32_e32 v19, 16, v13
	v_min_f16_e32 v20, v9, v8
	v_mad_i64_i32 v[8:9], null, v12, s6, 0
	v_min3_f16 v17, v17, v18, v19
	v_max_f32_e32 v18, v16, v16
	v_add_co_u32 v16, vcc_lo, v14, v44
	v_mov_b32_e32 v14, 0
	v_min3_f16 v13, v20, v13, v17
	v_lshlrev_b64 v[8:9], 1, v[8:9]
	v_add_co_ci_u32_e64 v17, null, v15, v45, vcc_lo
	v_cvt_f32_f16_e32 v13, v13
	v_add_co_u32 v8, vcc_lo, s12, v8
	v_add_co_ci_u32_e64 v9, null, s13, v9, vcc_lo
	v_min_f32_e32 v13, v18, v13
	s_and_b32 vcc_lo, exec_lo, s1
	v_cvt_f16_f32_e32 v15, v13
	v_mov_b32_e32 v13, 0
	global_store_short v[16:17], v15, off
	s_cbranch_vccnz .LBB265_109
; %bb.108:
	v_add_co_u32 v15, vcc_lo, v8, v36
	v_add_co_ci_u32_e64 v16, null, v9, v37, vcc_lo
	global_load_ushort v13, v[15:16], off
	s_waitcnt vmcnt(0)
	v_mul_f16_e32 v13, s2, v13
	v_cvt_f32_f16_e32 v13, v13
.LBB265_109:
	v_pk_add_f16 v15, v38, v10
	v_pk_add_f16 v17, v39, v11
	v_max_f16_e32 v16, v96, v96
	v_lshrrev_b32_e32 v18, 16, v96
	v_lshrrev_b32_e32 v19, 16, v15
	;; [unrolled: 1-line block ×3, first 2 shown]
	v_min_f16_e32 v21, v16, v15
	v_mad_i64_i32 v[15:16], null, v12, s3, 0
	v_min3_f16 v18, v18, v19, v20
	v_min3_f16 v12, v21, v17, v18
	v_max_f32_e32 v17, v13, v13
	v_cvt_f32_f16_e32 v18, v12
	v_lshlrev_b64 v[12:13], 1, v[15:16]
	v_min_f32_e32 v15, v17, v18
	v_add_co_u32 v12, vcc_lo, s4, v12
	v_add_co_ci_u32_e64 v13, null, s5, v13, vcc_lo
	v_cvt_f16_f32_e32 v17, v15
	v_add_co_u32 v15, vcc_lo, v12, v36
	v_add_co_ci_u32_e64 v16, null, v13, v37, vcc_lo
	s_and_b32 vcc_lo, exec_lo, s1
	global_store_short v[15:16], v17, off
	s_cbranch_vccnz .LBB265_111
; %bb.110:
	v_add_co_u32 v14, vcc_lo, v8, v42
	v_add_co_ci_u32_e64 v15, null, v9, v43, vcc_lo
	global_load_ushort v14, v[14:15], off
	s_waitcnt vmcnt(0)
	v_mul_f16_e32 v14, s2, v14
	v_cvt_f32_f16_e32 v14, v14
.LBB265_111:
	v_pk_add_f16 v15, v0, v10
	v_pk_add_f16 v16, v1, v11
	v_max_f16_e32 v17, v125, v125
	v_lshrrev_b32_e32 v18, 16, v125
	v_max_f32_e32 v14, v14, v14
	v_lshrrev_b32_e32 v19, 16, v15
	v_lshrrev_b32_e32 v20, 16, v16
	v_min_f16_e32 v15, v17, v15
	v_min3_f16 v17, v18, v19, v20
	v_min3_f16 v15, v15, v16, v17
	v_add_co_u32 v16, vcc_lo, v12, v42
	v_add_co_ci_u32_e64 v17, null, v13, v43, vcc_lo
	v_cvt_f32_f16_e32 v15, v15
	s_and_b32 vcc_lo, exec_lo, s1
	v_min_f32_e32 v14, v14, v15
	v_mov_b32_e32 v15, 0
	v_cvt_f16_f32_e32 v18, v14
	v_mov_b32_e32 v14, 0
	global_store_short v[16:17], v18, off
	s_cbranch_vccnz .LBB265_113
; %bb.112:
	v_add_co_u32 v15, vcc_lo, v8, v40
	v_add_co_ci_u32_e64 v16, null, v9, v41, vcc_lo
	global_load_ushort v15, v[15:16], off
	s_waitcnt vmcnt(0)
	v_mul_f16_e32 v15, s2, v15
	v_cvt_f32_f16_e32 v15, v15
.LBB265_113:
	v_pk_add_f16 v16, v2, v10
	v_pk_add_f16 v17, v3, v11
	v_max_f16_e32 v18, v95, v95
	v_lshrrev_b32_e32 v19, 16, v95
	v_max_f32_e32 v15, v15, v15
	v_lshrrev_b32_e32 v20, 16, v16
	v_lshrrev_b32_e32 v21, 16, v17
	v_min_f16_e32 v16, v18, v16
	v_min3_f16 v18, v19, v20, v21
	v_min3_f16 v16, v16, v17, v18
	v_cvt_f32_f16_e32 v16, v16
	v_min_f32_e32 v15, v15, v16
	v_cvt_f16_f32_e32 v17, v15
	v_add_co_u32 v15, vcc_lo, v12, v40
	v_add_co_ci_u32_e64 v16, null, v13, v41, vcc_lo
	s_and_b32 vcc_lo, exec_lo, s1
	global_store_short v[15:16], v17, off
	s_cbranch_vccnz .LBB265_115
; %bb.114:
	v_add_co_u32 v8, vcc_lo, v8, v44
	v_add_co_ci_u32_e64 v9, null, v9, v45, vcc_lo
	global_load_ushort v8, v[8:9], off
	s_waitcnt vmcnt(0)
	v_mul_f16_e32 v8, s2, v8
	v_cvt_f32_f16_e32 v14, v8
.LBB265_115:
	v_pk_add_f16 v8, v32, v10
	v_pk_add_f16 v11, v33, v11
	v_max_f16_e32 v9, v94, v94
	v_lshrrev_b32_e32 v15, 16, v94
	v_add_nc_u32_e32 v10, 0x68, v48
	v_lshrrev_b32_e32 v16, 16, v8
	v_lshrrev_b32_e32 v17, 16, v11
	v_min_f16_e32 v18, v9, v8
	v_mad_i64_i32 v[8:9], null, v10, s6, 0
	v_min3_f16 v15, v15, v16, v17
	v_max_f32_e32 v16, v14, v14
	v_add_co_u32 v14, vcc_lo, v12, v44
	v_mov_b32_e32 v12, 0
	v_min3_f16 v11, v18, v11, v15
	v_lshlrev_b64 v[8:9], 1, v[8:9]
	v_add_co_ci_u32_e64 v15, null, v13, v45, vcc_lo
	v_cvt_f32_f16_e32 v11, v11
	v_add_co_u32 v8, vcc_lo, s12, v8
	v_add_co_ci_u32_e64 v9, null, s13, v9, vcc_lo
	v_min_f32_e32 v11, v16, v11
	s_and_b32 vcc_lo, exec_lo, s1
	v_cvt_f16_f32_e32 v13, v11
	v_mov_b32_e32 v11, 0
	global_store_short v[14:15], v13, off
	s_cbranch_vccnz .LBB265_117
; %bb.116:
	v_add_co_u32 v13, vcc_lo, v8, v36
	v_add_co_ci_u32_e64 v14, null, v9, v37, vcc_lo
	global_load_ushort v11, v[13:14], off
	s_waitcnt vmcnt(0)
	v_mul_f16_e32 v11, s2, v11
	v_cvt_f32_f16_e32 v11, v11
.LBB265_117:
	v_pk_add_f16 v13, v38, v4
	v_pk_add_f16 v15, v39, v5
	v_max_f16_e32 v14, v93, v93
	v_lshrrev_b32_e32 v16, 16, v93
	v_lshrrev_b32_e32 v17, 16, v13
	;; [unrolled: 1-line block ×3, first 2 shown]
	v_min_f16_e32 v19, v14, v13
	v_mad_i64_i32 v[13:14], null, v10, s3, 0
	v_min3_f16 v16, v16, v17, v18
	v_min3_f16 v10, v19, v15, v16
	v_max_f32_e32 v15, v11, v11
	v_cvt_f32_f16_e32 v16, v10
	v_lshlrev_b64 v[10:11], 1, v[13:14]
	v_min_f32_e32 v13, v15, v16
	v_add_co_u32 v10, vcc_lo, s4, v10
	v_add_co_ci_u32_e64 v11, null, s5, v11, vcc_lo
	v_cvt_f16_f32_e32 v15, v13
	v_add_co_u32 v13, vcc_lo, v10, v36
	v_add_co_ci_u32_e64 v14, null, v11, v37, vcc_lo
	s_and_b32 vcc_lo, exec_lo, s1
	global_store_short v[13:14], v15, off
	s_cbranch_vccnz .LBB265_119
; %bb.118:
	v_add_co_u32 v12, vcc_lo, v8, v42
	v_add_co_ci_u32_e64 v13, null, v9, v43, vcc_lo
	global_load_ushort v12, v[12:13], off
	s_waitcnt vmcnt(0)
	v_mul_f16_e32 v12, s2, v12
	v_cvt_f32_f16_e32 v12, v12
.LBB265_119:
	v_pk_add_f16 v13, v0, v4
	v_pk_add_f16 v14, v1, v5
	v_max_f16_e32 v15, v69, v69
	v_lshrrev_b32_e32 v16, 16, v69
	v_max_f32_e32 v12, v12, v12
	v_lshrrev_b32_e32 v17, 16, v13
	v_lshrrev_b32_e32 v18, 16, v14
	v_min_f16_e32 v13, v15, v13
	v_min3_f16 v15, v16, v17, v18
	v_min3_f16 v13, v13, v14, v15
	v_add_co_u32 v14, vcc_lo, v10, v42
	v_add_co_ci_u32_e64 v15, null, v11, v43, vcc_lo
	v_cvt_f32_f16_e32 v13, v13
	s_and_b32 vcc_lo, exec_lo, s1
	v_min_f32_e32 v12, v12, v13
	v_mov_b32_e32 v13, 0
	v_cvt_f16_f32_e32 v16, v12
	v_mov_b32_e32 v12, 0
	global_store_short v[14:15], v16, off
	s_cbranch_vccnz .LBB265_121
; %bb.120:
	v_add_co_u32 v13, vcc_lo, v8, v40
	v_add_co_ci_u32_e64 v14, null, v9, v41, vcc_lo
	global_load_ushort v13, v[13:14], off
	s_waitcnt vmcnt(0)
	v_mul_f16_e32 v13, s2, v13
	v_cvt_f32_f16_e32 v13, v13
.LBB265_121:
	v_pk_add_f16 v14, v2, v4
	v_pk_add_f16 v15, v3, v5
	v_max_f16_e32 v16, v68, v68
	v_lshrrev_b32_e32 v17, 16, v68
	v_max_f32_e32 v13, v13, v13
	v_lshrrev_b32_e32 v18, 16, v14
	v_lshrrev_b32_e32 v19, 16, v15
	v_min_f16_e32 v14, v16, v14
	v_min3_f16 v16, v17, v18, v19
	v_min3_f16 v14, v14, v15, v16
	v_cvt_f32_f16_e32 v14, v14
	v_min_f32_e32 v13, v13, v14
	v_cvt_f16_f32_e32 v15, v13
	v_add_co_u32 v13, vcc_lo, v10, v40
	v_add_co_ci_u32_e64 v14, null, v11, v41, vcc_lo
	s_and_b32 vcc_lo, exec_lo, s1
	global_store_short v[13:14], v15, off
	s_cbranch_vccnz .LBB265_123
; %bb.122:
	v_add_co_u32 v8, vcc_lo, v8, v44
	v_add_co_ci_u32_e64 v9, null, v9, v45, vcc_lo
	global_load_ushort v8, v[8:9], off
	s_waitcnt vmcnt(0)
	v_mul_f16_e32 v8, s2, v8
	v_cvt_f32_f16_e32 v12, v8
.LBB265_123:
	v_pk_add_f16 v4, v32, v4
	v_pk_add_f16 v9, v33, v5
	v_max_f16_e32 v5, v67, v67
	v_lshrrev_b32_e32 v13, 16, v67
	v_add_nc_u32_e32 v8, 0x70, v48
	v_lshrrev_b32_e32 v14, 16, v4
	v_lshrrev_b32_e32 v15, 16, v9
	v_min_f16_e32 v16, v5, v4
	v_mad_i64_i32 v[4:5], null, v8, s6, 0
	v_min3_f16 v13, v13, v14, v15
	v_max_f32_e32 v14, v12, v12
	v_add_co_u32 v12, vcc_lo, v10, v44
	v_mov_b32_e32 v10, 0
	v_min3_f16 v9, v16, v9, v13
	v_lshlrev_b64 v[4:5], 1, v[4:5]
	v_add_co_ci_u32_e64 v13, null, v11, v45, vcc_lo
	v_cvt_f32_f16_e32 v9, v9
	v_add_co_u32 v4, vcc_lo, s12, v4
	v_add_co_ci_u32_e64 v5, null, s13, v5, vcc_lo
	v_min_f32_e32 v9, v14, v9
	s_and_b32 vcc_lo, exec_lo, s1
	v_cvt_f16_f32_e32 v11, v9
	v_mov_b32_e32 v9, 0
	global_store_short v[12:13], v11, off
	s_cbranch_vccnz .LBB265_125
; %bb.124:
	v_add_co_u32 v11, vcc_lo, v4, v36
	v_add_co_ci_u32_e64 v12, null, v5, v37, vcc_lo
	global_load_ushort v9, v[11:12], off
	s_waitcnt vmcnt(0)
	v_mul_f16_e32 v9, s2, v9
	v_cvt_f32_f16_e32 v9, v9
.LBB265_125:
	v_pk_add_f16 v11, v38, v6
	v_pk_add_f16 v13, v39, v7
	v_max_f16_e32 v12, v66, v66
	v_lshrrev_b32_e32 v14, 16, v66
	v_lshrrev_b32_e32 v15, 16, v11
	;; [unrolled: 1-line block ×3, first 2 shown]
	v_min_f16_e32 v17, v12, v11
	v_mad_i64_i32 v[11:12], null, v8, s3, 0
	v_min3_f16 v14, v14, v15, v16
	v_min3_f16 v8, v17, v13, v14
	v_max_f32_e32 v13, v9, v9
	v_cvt_f32_f16_e32 v14, v8
	v_lshlrev_b64 v[8:9], 1, v[11:12]
	v_min_f32_e32 v11, v13, v14
	v_add_co_u32 v8, vcc_lo, s4, v8
	v_add_co_ci_u32_e64 v9, null, s5, v9, vcc_lo
	v_cvt_f16_f32_e32 v13, v11
	v_add_co_u32 v11, vcc_lo, v8, v36
	v_add_co_ci_u32_e64 v12, null, v9, v37, vcc_lo
	s_and_b32 vcc_lo, exec_lo, s1
	global_store_short v[11:12], v13, off
	s_cbranch_vccnz .LBB265_127
; %bb.126:
	v_add_co_u32 v10, vcc_lo, v4, v42
	v_add_co_ci_u32_e64 v11, null, v5, v43, vcc_lo
	global_load_ushort v10, v[10:11], off
	s_waitcnt vmcnt(0)
	v_mul_f16_e32 v10, s2, v10
	v_cvt_f32_f16_e32 v10, v10
.LBB265_127:
	v_pk_add_f16 v11, v0, v6
	v_pk_add_f16 v12, v1, v7
	v_max_f16_e32 v13, v65, v65
	v_lshrrev_b32_e32 v14, 16, v65
	v_max_f32_e32 v10, v10, v10
	v_lshrrev_b32_e32 v15, 16, v11
	v_lshrrev_b32_e32 v16, 16, v12
	v_min_f16_e32 v11, v13, v11
	v_min3_f16 v13, v14, v15, v16
	v_min3_f16 v11, v11, v12, v13
	v_add_co_u32 v12, vcc_lo, v8, v42
	v_add_co_ci_u32_e64 v13, null, v9, v43, vcc_lo
	v_cvt_f32_f16_e32 v11, v11
	s_and_b32 vcc_lo, exec_lo, s1
	v_min_f32_e32 v10, v10, v11
	v_mov_b32_e32 v11, 0
	v_cvt_f16_f32_e32 v14, v10
	v_mov_b32_e32 v10, 0
	global_store_short v[12:13], v14, off
	s_cbranch_vccnz .LBB265_129
; %bb.128:
	v_add_co_u32 v11, vcc_lo, v4, v40
	v_add_co_ci_u32_e64 v12, null, v5, v41, vcc_lo
	global_load_ushort v11, v[11:12], off
	s_waitcnt vmcnt(0)
	v_mul_f16_e32 v11, s2, v11
	v_cvt_f32_f16_e32 v11, v11
.LBB265_129:
	v_pk_add_f16 v12, v2, v6
	v_pk_add_f16 v13, v3, v7
	v_max_f16_e32 v14, v64, v64
	v_lshrrev_b32_e32 v15, 16, v64
	v_max_f32_e32 v11, v11, v11
	v_lshrrev_b32_e32 v16, 16, v12
	v_lshrrev_b32_e32 v17, 16, v13
	v_min_f16_e32 v12, v14, v12
	v_min3_f16 v14, v15, v16, v17
	v_min3_f16 v12, v12, v13, v14
	v_cvt_f32_f16_e32 v12, v12
	v_min_f32_e32 v11, v11, v12
	v_cvt_f16_f32_e32 v13, v11
	v_add_co_u32 v11, vcc_lo, v8, v40
	v_add_co_ci_u32_e64 v12, null, v9, v41, vcc_lo
	s_and_b32 vcc_lo, exec_lo, s1
	global_store_short v[11:12], v13, off
	s_cbranch_vccnz .LBB265_131
; %bb.130:
	v_add_co_u32 v4, vcc_lo, v4, v44
	v_add_co_ci_u32_e64 v5, null, v5, v45, vcc_lo
	global_load_ushort v4, v[4:5], off
	s_waitcnt vmcnt(0)
	v_mul_f16_e32 v4, s2, v4
	v_cvt_f32_f16_e32 v10, v4
.LBB265_131:
	v_pk_add_f16 v4, v32, v6
	v_pk_add_f16 v7, v33, v7
	v_max_f16_e32 v5, v63, v63
	v_lshrrev_b32_e32 v11, 16, v63
	v_add_nc_u32_e32 v6, 0x78, v48
	v_lshrrev_b32_e32 v12, 16, v4
	v_lshrrev_b32_e32 v13, 16, v7
	v_min_f16_e32 v14, v5, v4
	v_mad_i64_i32 v[4:5], null, v6, s6, 0
	v_min3_f16 v11, v11, v12, v13
	v_max_f32_e32 v12, v10, v10
	v_add_co_u32 v10, vcc_lo, v8, v44
	v_mov_b32_e32 v8, 0
	v_min3_f16 v7, v14, v7, v11
	v_lshlrev_b64 v[4:5], 1, v[4:5]
	v_add_co_ci_u32_e64 v11, null, v9, v45, vcc_lo
	v_cvt_f32_f16_e32 v7, v7
	v_add_co_u32 v4, vcc_lo, s12, v4
	v_add_co_ci_u32_e64 v5, null, s13, v5, vcc_lo
	v_min_f32_e32 v7, v12, v7
	s_and_b32 vcc_lo, exec_lo, s1
	v_cvt_f16_f32_e32 v9, v7
	v_mov_b32_e32 v7, 0
	global_store_short v[10:11], v9, off
	s_cbranch_vccnz .LBB265_133
; %bb.132:
	v_add_co_u32 v9, vcc_lo, v4, v36
	v_add_co_ci_u32_e64 v10, null, v5, v37, vcc_lo
	global_load_ushort v7, v[9:10], off
	s_waitcnt vmcnt(0)
	v_mul_f16_e32 v7, s2, v7
	v_cvt_f32_f16_e32 v7, v7
.LBB265_133:
	v_pk_add_f16 v9, v38, v34
	v_pk_add_f16 v11, v39, v35
	v_max_f16_e32 v10, v62, v62
	v_lshrrev_b32_e32 v12, 16, v62
	v_lshrrev_b32_e32 v13, 16, v9
	;; [unrolled: 1-line block ×3, first 2 shown]
	v_min_f16_e32 v15, v10, v9
	v_mad_i64_i32 v[9:10], null, v6, s3, 0
	v_min3_f16 v12, v12, v13, v14
	v_min3_f16 v6, v15, v11, v12
	v_max_f32_e32 v11, v7, v7
	v_cvt_f32_f16_e32 v12, v6
	v_lshlrev_b64 v[6:7], 1, v[9:10]
	v_min_f32_e32 v9, v11, v12
	v_add_co_u32 v6, vcc_lo, s4, v6
	v_add_co_ci_u32_e64 v7, null, s5, v7, vcc_lo
	v_cvt_f16_f32_e32 v11, v9
	v_add_co_u32 v9, vcc_lo, v6, v36
	v_add_co_ci_u32_e64 v10, null, v7, v37, vcc_lo
	s_and_b32 vcc_lo, exec_lo, s1
	global_store_short v[9:10], v11, off
	s_cbranch_vccnz .LBB265_135
; %bb.134:
	v_add_co_u32 v8, vcc_lo, v4, v42
	v_add_co_ci_u32_e64 v9, null, v5, v43, vcc_lo
	global_load_ushort v8, v[8:9], off
	s_waitcnt vmcnt(0)
	v_mul_f16_e32 v8, s2, v8
	v_cvt_f32_f16_e32 v8, v8
.LBB265_135:
	v_pk_add_f16 v0, v0, v34
	v_pk_add_f16 v1, v1, v35
	v_max_f16_e32 v9, v61, v61
	v_lshrrev_b32_e32 v10, 16, v61
	v_pk_add_f16 v3, v3, v35
	v_lshrrev_b32_e32 v11, 16, v0
	v_lshrrev_b32_e32 v12, 16, v1
	v_min_f16_e32 v0, v9, v0
	s_mov_b32 s1, -1
	v_min3_f16 v9, v10, v11, v12
	v_lshrrev_b32_e32 v10, 16, v60
	v_lshrrev_b32_e32 v12, 16, v3
	v_min3_f16 v0, v0, v1, v9
	v_pk_add_f16 v9, v2, v34
	v_max_f32_e32 v1, v8, v8
	v_max_f16_e32 v8, v60, v60
	v_cvt_f32_f16_e32 v0, v0
	v_lshrrev_b32_e32 v11, 16, v9
	v_min_f16_e32 v8, v8, v9
	v_min_f32_e32 v0, v1, v0
	v_min3_f16 v9, v10, v11, v12
	v_add_co_u32 v1, vcc_lo, v6, v42
	v_add_co_ci_u32_e64 v2, null, v7, v43, vcc_lo
	v_cvt_f16_f32_e32 v10, v0
	v_min3_f16 v0, v8, v3, v9
	s_mov_b32 vcc_lo, s0
	global_store_short v[1:2], v10, off
	s_cbranch_vccz .LBB265_137
; %bb.136:
	v_cvt_f32_f16_e32 v1, v0
	s_mov_b32 s1, 0
	v_min_f32_e32 v1, 0, v1
	v_cvt_f16_f32_e32 v3, v1
	v_add_co_u32 v1, vcc_lo, v6, v40
	v_add_co_ci_u32_e64 v2, null, v7, v41, vcc_lo
	global_store_short v[1:2], v3, off
.LBB265_137:
	v_mov_b32_e32 v1, 0
	s_andn2_b32 vcc_lo, exec_lo, s1
	s_cbranch_vccnz .LBB265_139
; %bb.138:
	v_add_co_u32 v1, vcc_lo, v4, v40
	v_add_co_ci_u32_e64 v2, null, v5, v41, vcc_lo
	global_load_ushort v1, v[1:2], off
	v_max_f16_e32 v2, v0, v0
	v_add_co_u32 v0, vcc_lo, v6, v40
	s_waitcnt vmcnt(0)
	v_mul_f16_e32 v3, s2, v1
	v_add_co_ci_u32_e64 v1, null, v7, v41, vcc_lo
	v_min_f16_e32 v8, v3, v2
	v_add_co_u32 v2, vcc_lo, v4, v44
	v_add_co_ci_u32_e64 v3, null, v5, v45, vcc_lo
	global_store_short v[0:1], v8, off
	global_load_ushort v0, v[2:3], off
	s_waitcnt vmcnt(0)
	v_mul_f16_e32 v0, s2, v0
	v_cvt_f32_f16_e32 v1, v0
.LBB265_139:
	v_pk_add_f16 v0, v32, v34
	v_pk_add_f16 v2, v33, v35
	v_max_f16_e32 v3, v84, v84
	v_lshrrev_b32_e32 v4, 16, v84
	v_max_f32_e32 v1, v1, v1
	v_lshrrev_b32_e32 v5, 16, v0
	v_lshrrev_b32_e32 v8, 16, v2
	v_min_f16_e32 v0, v3, v0
	v_min3_f16 v3, v4, v5, v8
	v_min3_f16 v0, v0, v2, v3
	v_cvt_f32_f16_e32 v0, v0
	v_min_f32_e32 v0, v1, v0
	v_cvt_f16_f32_e32 v2, v0
	v_add_co_u32 v0, vcc_lo, v6, v44
	v_add_co_ci_u32_e64 v1, null, v7, v45, vcc_lo
	global_store_short v[0:1], v2, off
	s_endpgm
.LBB265_140:
	s_mov_b64 s[16:17], 0
	s_andn2_b32 vcc_lo, exec_lo, s8
	s_mov_b32 s0, -1
	s_cbranch_vccz .LBB265_2
	s_branch .LBB265_3
	.section	.rodata,"a",@progbits
	.p2align	6, 0x0
	.amdhsa_kernel _ZN12_GLOBAL__N_120geam_min_plus_kernelIDF16_Dv2_DF16_S1_Li32ELi8ELi128ELi128ELi4ELi4ELi64ELi4ELi64ELc84ELc78ELb1ELb0ELb1EDF16_KDF16_DF16_EEviiiT16_PT17_ilS5_ilS3_S5_ilPT18_ili26rocblas_geam_ex_operation_
		.amdhsa_group_segment_fixed_size 4096
		.amdhsa_private_segment_fixed_size 192
		.amdhsa_kernarg_size 128
		.amdhsa_user_sgpr_count 6
		.amdhsa_user_sgpr_private_segment_buffer 1
		.amdhsa_user_sgpr_dispatch_ptr 0
		.amdhsa_user_sgpr_queue_ptr 0
		.amdhsa_user_sgpr_kernarg_segment_ptr 1
		.amdhsa_user_sgpr_dispatch_id 0
		.amdhsa_user_sgpr_flat_scratch_init 0
		.amdhsa_user_sgpr_private_segment_size 0
		.amdhsa_wavefront_size32 1
		.amdhsa_uses_dynamic_stack 0
		.amdhsa_system_sgpr_private_segment_wavefront_offset 1
		.amdhsa_system_sgpr_workgroup_id_x 1
		.amdhsa_system_sgpr_workgroup_id_y 0
		.amdhsa_system_sgpr_workgroup_id_z 1
		.amdhsa_system_sgpr_workgroup_info 0
		.amdhsa_system_vgpr_workitem_id 1
		.amdhsa_next_free_vgpr 256
		.amdhsa_next_free_sgpr 28
		.amdhsa_reserve_vcc 1
		.amdhsa_reserve_flat_scratch 0
		.amdhsa_float_round_mode_32 0
		.amdhsa_float_round_mode_16_64 0
		.amdhsa_float_denorm_mode_32 3
		.amdhsa_float_denorm_mode_16_64 3
		.amdhsa_dx10_clamp 1
		.amdhsa_ieee_mode 1
		.amdhsa_fp16_overflow 0
		.amdhsa_workgroup_processor_mode 1
		.amdhsa_memory_ordered 1
		.amdhsa_forward_progress 1
		.amdhsa_shared_vgpr_count 0
		.amdhsa_exception_fp_ieee_invalid_op 0
		.amdhsa_exception_fp_denorm_src 0
		.amdhsa_exception_fp_ieee_div_zero 0
		.amdhsa_exception_fp_ieee_overflow 0
		.amdhsa_exception_fp_ieee_underflow 0
		.amdhsa_exception_fp_ieee_inexact 0
		.amdhsa_exception_int_div_zero 0
	.end_amdhsa_kernel
	.section	.text._ZN12_GLOBAL__N_120geam_min_plus_kernelIDF16_Dv2_DF16_S1_Li32ELi8ELi128ELi128ELi4ELi4ELi64ELi4ELi64ELc84ELc78ELb1ELb0ELb1EDF16_KDF16_DF16_EEviiiT16_PT17_ilS5_ilS3_S5_ilPT18_ili26rocblas_geam_ex_operation_,"axG",@progbits,_ZN12_GLOBAL__N_120geam_min_plus_kernelIDF16_Dv2_DF16_S1_Li32ELi8ELi128ELi128ELi4ELi4ELi64ELi4ELi64ELc84ELc78ELb1ELb0ELb1EDF16_KDF16_DF16_EEviiiT16_PT17_ilS5_ilS3_S5_ilPT18_ili26rocblas_geam_ex_operation_,comdat
.Lfunc_end265:
	.size	_ZN12_GLOBAL__N_120geam_min_plus_kernelIDF16_Dv2_DF16_S1_Li32ELi8ELi128ELi128ELi4ELi4ELi64ELi4ELi64ELc84ELc78ELb1ELb0ELb1EDF16_KDF16_DF16_EEviiiT16_PT17_ilS5_ilS3_S5_ilPT18_ili26rocblas_geam_ex_operation_, .Lfunc_end265-_ZN12_GLOBAL__N_120geam_min_plus_kernelIDF16_Dv2_DF16_S1_Li32ELi8ELi128ELi128ELi4ELi4ELi64ELi4ELi64ELc84ELc78ELb1ELb0ELb1EDF16_KDF16_DF16_EEviiiT16_PT17_ilS5_ilS3_S5_ilPT18_ili26rocblas_geam_ex_operation_
                                        ; -- End function
	.set _ZN12_GLOBAL__N_120geam_min_plus_kernelIDF16_Dv2_DF16_S1_Li32ELi8ELi128ELi128ELi4ELi4ELi64ELi4ELi64ELc84ELc78ELb1ELb0ELb1EDF16_KDF16_DF16_EEviiiT16_PT17_ilS5_ilS3_S5_ilPT18_ili26rocblas_geam_ex_operation_.num_vgpr, 256
	.set _ZN12_GLOBAL__N_120geam_min_plus_kernelIDF16_Dv2_DF16_S1_Li32ELi8ELi128ELi128ELi4ELi4ELi64ELi4ELi64ELc84ELc78ELb1ELb0ELb1EDF16_KDF16_DF16_EEviiiT16_PT17_ilS5_ilS3_S5_ilPT18_ili26rocblas_geam_ex_operation_.num_agpr, 0
	.set _ZN12_GLOBAL__N_120geam_min_plus_kernelIDF16_Dv2_DF16_S1_Li32ELi8ELi128ELi128ELi4ELi4ELi64ELi4ELi64ELc84ELc78ELb1ELb0ELb1EDF16_KDF16_DF16_EEviiiT16_PT17_ilS5_ilS3_S5_ilPT18_ili26rocblas_geam_ex_operation_.numbered_sgpr, 28
	.set _ZN12_GLOBAL__N_120geam_min_plus_kernelIDF16_Dv2_DF16_S1_Li32ELi8ELi128ELi128ELi4ELi4ELi64ELi4ELi64ELc84ELc78ELb1ELb0ELb1EDF16_KDF16_DF16_EEviiiT16_PT17_ilS5_ilS3_S5_ilPT18_ili26rocblas_geam_ex_operation_.num_named_barrier, 0
	.set _ZN12_GLOBAL__N_120geam_min_plus_kernelIDF16_Dv2_DF16_S1_Li32ELi8ELi128ELi128ELi4ELi4ELi64ELi4ELi64ELc84ELc78ELb1ELb0ELb1EDF16_KDF16_DF16_EEviiiT16_PT17_ilS5_ilS3_S5_ilPT18_ili26rocblas_geam_ex_operation_.private_seg_size, 192
	.set _ZN12_GLOBAL__N_120geam_min_plus_kernelIDF16_Dv2_DF16_S1_Li32ELi8ELi128ELi128ELi4ELi4ELi64ELi4ELi64ELc84ELc78ELb1ELb0ELb1EDF16_KDF16_DF16_EEviiiT16_PT17_ilS5_ilS3_S5_ilPT18_ili26rocblas_geam_ex_operation_.uses_vcc, 1
	.set _ZN12_GLOBAL__N_120geam_min_plus_kernelIDF16_Dv2_DF16_S1_Li32ELi8ELi128ELi128ELi4ELi4ELi64ELi4ELi64ELc84ELc78ELb1ELb0ELb1EDF16_KDF16_DF16_EEviiiT16_PT17_ilS5_ilS3_S5_ilPT18_ili26rocblas_geam_ex_operation_.uses_flat_scratch, 0
	.set _ZN12_GLOBAL__N_120geam_min_plus_kernelIDF16_Dv2_DF16_S1_Li32ELi8ELi128ELi128ELi4ELi4ELi64ELi4ELi64ELc84ELc78ELb1ELb0ELb1EDF16_KDF16_DF16_EEviiiT16_PT17_ilS5_ilS3_S5_ilPT18_ili26rocblas_geam_ex_operation_.has_dyn_sized_stack, 0
	.set _ZN12_GLOBAL__N_120geam_min_plus_kernelIDF16_Dv2_DF16_S1_Li32ELi8ELi128ELi128ELi4ELi4ELi64ELi4ELi64ELc84ELc78ELb1ELb0ELb1EDF16_KDF16_DF16_EEviiiT16_PT17_ilS5_ilS3_S5_ilPT18_ili26rocblas_geam_ex_operation_.has_recursion, 0
	.set _ZN12_GLOBAL__N_120geam_min_plus_kernelIDF16_Dv2_DF16_S1_Li32ELi8ELi128ELi128ELi4ELi4ELi64ELi4ELi64ELc84ELc78ELb1ELb0ELb1EDF16_KDF16_DF16_EEviiiT16_PT17_ilS5_ilS3_S5_ilPT18_ili26rocblas_geam_ex_operation_.has_indirect_call, 0
	.section	.AMDGPU.csdata,"",@progbits
; Kernel info:
; codeLenInByte = 19816
; TotalNumSgprs: 30
; NumVgprs: 256
; ScratchSize: 192
; MemoryBound: 0
; FloatMode: 240
; IeeeMode: 1
; LDSByteSize: 4096 bytes/workgroup (compile time only)
; SGPRBlocks: 0
; VGPRBlocks: 31
; NumSGPRsForWavesPerEU: 30
; NumVGPRsForWavesPerEU: 256
; Occupancy: 4
; WaveLimiterHint : 0
; COMPUTE_PGM_RSRC2:SCRATCH_EN: 1
; COMPUTE_PGM_RSRC2:USER_SGPR: 6
; COMPUTE_PGM_RSRC2:TRAP_HANDLER: 0
; COMPUTE_PGM_RSRC2:TGID_X_EN: 1
; COMPUTE_PGM_RSRC2:TGID_Y_EN: 0
; COMPUTE_PGM_RSRC2:TGID_Z_EN: 1
; COMPUTE_PGM_RSRC2:TIDIG_COMP_CNT: 1
	.section	.text._ZN12_GLOBAL__N_120geam_min_plus_kernelIDF16_Dv2_DF16_S1_Li32ELi8ELi128ELi128ELi4ELi4ELi64ELi4ELi64ELc84ELc78ELb0ELb0ELb1EDF16_KDF16_DF16_EEviiiT16_PT17_ilS5_ilS3_S5_ilPT18_ili26rocblas_geam_ex_operation_,"axG",@progbits,_ZN12_GLOBAL__N_120geam_min_plus_kernelIDF16_Dv2_DF16_S1_Li32ELi8ELi128ELi128ELi4ELi4ELi64ELi4ELi64ELc84ELc78ELb0ELb0ELb1EDF16_KDF16_DF16_EEviiiT16_PT17_ilS5_ilS3_S5_ilPT18_ili26rocblas_geam_ex_operation_,comdat
	.globl	_ZN12_GLOBAL__N_120geam_min_plus_kernelIDF16_Dv2_DF16_S1_Li32ELi8ELi128ELi128ELi4ELi4ELi64ELi4ELi64ELc84ELc78ELb0ELb0ELb1EDF16_KDF16_DF16_EEviiiT16_PT17_ilS5_ilS3_S5_ilPT18_ili26rocblas_geam_ex_operation_ ; -- Begin function _ZN12_GLOBAL__N_120geam_min_plus_kernelIDF16_Dv2_DF16_S1_Li32ELi8ELi128ELi128ELi4ELi4ELi64ELi4ELi64ELc84ELc78ELb0ELb0ELb1EDF16_KDF16_DF16_EEviiiT16_PT17_ilS5_ilS3_S5_ilPT18_ili26rocblas_geam_ex_operation_
	.p2align	8
	.type	_ZN12_GLOBAL__N_120geam_min_plus_kernelIDF16_Dv2_DF16_S1_Li32ELi8ELi128ELi128ELi4ELi4ELi64ELi4ELi64ELc84ELc78ELb0ELb0ELb1EDF16_KDF16_DF16_EEviiiT16_PT17_ilS5_ilS3_S5_ilPT18_ili26rocblas_geam_ex_operation_,@function
_ZN12_GLOBAL__N_120geam_min_plus_kernelIDF16_Dv2_DF16_S1_Li32ELi8ELi128ELi128ELi4ELi4ELi64ELi4ELi64ELc84ELc78ELb0ELb0ELb1EDF16_KDF16_DF16_EEviiiT16_PT17_ilS5_ilS3_S5_ilPT18_ili26rocblas_geam_ex_operation_: ; @_ZN12_GLOBAL__N_120geam_min_plus_kernelIDF16_Dv2_DF16_S1_Li32ELi8ELi128ELi128ELi4ELi4ELi64ELi4ELi64ELc84ELc78ELb0ELb0ELb1EDF16_KDF16_DF16_EEviiiT16_PT17_ilS5_ilS3_S5_ilPT18_ili26rocblas_geam_ex_operation_
; %bb.0:
	s_clause 0x1
	s_load_dwordx2 s[14:15], s[4:5], 0x8
	s_load_dwordx4 s[0:3], s[4:5], 0x20
	s_waitcnt lgkmcnt(0)
	v_cmp_eq_f16_e64 s8, s15, 0
	s_and_b32 vcc_lo, exec_lo, s8
	s_cbranch_vccnz .LBB266_156
; %bb.1:
	s_load_dwordx2 s[10:11], s[4:5], 0x10
	s_mul_i32 s1, s1, s7
	s_mul_hi_u32 s9, s0, s7
	s_mul_i32 s0, s0, s7
	s_add_i32 s1, s9, s1
	s_lshl_b64 s[0:1], s[0:1], 1
	s_waitcnt lgkmcnt(0)
	s_add_u32 s16, s10, s0
	s_addc_u32 s17, s11, s1
	s_andn2_b32 vcc_lo, exec_lo, s8
	s_mov_b32 s0, -1
	s_cbranch_vccnz .LBB266_3
.LBB266_2:
	s_mov_b32 s0, 0
.LBB266_3:
	s_mov_b64 s[12:13], 0
	s_andn2_b32 vcc_lo, exec_lo, s0
	s_mov_b64 s[18:19], 0
	s_cbranch_vccnz .LBB266_5
; %bb.4:
	s_load_dwordx2 s[0:1], s[4:5], 0x38
	s_waitcnt lgkmcnt(0)
	s_mul_i32 s1, s1, s7
	s_mul_hi_u32 s8, s0, s7
	s_mul_i32 s0, s0, s7
	s_add_i32 s1, s8, s1
	s_lshl_b64 s[0:1], s[0:1], 1
	s_add_u32 s18, s2, s0
	s_addc_u32 s19, s3, s1
.LBB266_5:
	s_clause 0x1
	s_load_dword s2, s[4:5], 0x40
	s_load_dwordx4 s[8:11], s[4:5], 0x58
	v_cmp_neq_f16_e64 s20, s15, 0
	s_waitcnt lgkmcnt(0)
	v_cmp_eq_f16_e64 s0, s2, 0
	s_and_b32 s0, exec_lo, s0
	s_mov_b32 vcc_lo, s0
	s_cbranch_vccnz .LBB266_7
; %bb.6:
	s_load_dwordx2 s[12:13], s[4:5], 0x48
	s_mul_i32 s1, s9, s7
	s_mul_hi_u32 s3, s8, s7
	s_mul_i32 s8, s8, s7
	s_add_i32 s9, s3, s1
	s_lshl_b64 s[8:9], s[8:9], 1
	s_waitcnt lgkmcnt(0)
	s_add_u32 s12, s12, s8
	s_addc_u32 s13, s13, s9
.LBB266_7:
	s_clause 0x1
	s_load_dword s1, s[4:5], 0x0
	s_load_dword s3, s[4:5], 0x18
	v_lshl_add_u32 v3, v1, 5, v0
	v_cndmask_b32_e64 v6, 0, 1, s20
	v_mov_b32_e32 v4, 0
	v_lshrrev_b32_e32 v5, 2, v3
	v_mov_b32_e32 v3, 0
	s_waitcnt lgkmcnt(0)
	s_add_i32 s1, s1, -1
	s_ashr_i32 s8, s1, 31
	s_lshr_b32 s8, s8, 25
	s_add_i32 s1, s1, s8
	s_ashr_i32 s1, s1, 7
	s_add_i32 s9, s1, 1
	s_not_b32 s1, s1
	v_cvt_f32_u32_e32 v2, s9
	v_rcp_iflag_f32_e32 v2, v2
	v_mul_f32_e32 v2, 0x4f7ffffe, v2
	v_cvt_u32_f32_e32 v2, v2
	v_readfirstlane_b32 s8, v2
	v_and_b32_e32 v2, 3, v0
	s_mul_i32 s1, s1, s8
	v_lshlrev_b32_e32 v45, 1, v2
	s_mul_hi_u32 s1, s8, s1
	s_add_i32 s8, s8, s1
	s_mul_hi_u32 s1, s6, s8
	s_mul_i32 s8, s1, s9
	s_add_i32 s21, s1, 1
	s_sub_i32 s8, s6, s8
	s_sub_i32 s22, s8, s9
	s_cmp_ge_u32 s8, s9
	s_cselect_b32 s1, s21, s1
	s_cselect_b32 s8, s22, s8
	s_add_i32 s21, s1, 1
	s_cmp_ge_u32 s8, s9
	s_cselect_b32 s8, s21, s1
	s_andn2_b32 vcc_lo, exec_lo, s20
	s_mul_i32 s1, s8, s9
	s_sub_i32 s6, s6, s1
	v_cmp_ne_u32_e64 s1, 1, v6
	s_lshl_b32 s6, s6, 7
	v_add_co_u32 v6, s9, s16, v45
	v_add_co_ci_u32_e64 v7, null, s17, 0, s9
	v_add_nc_u32_e32 v14, s6, v5
	s_cbranch_vccnz .LBB266_9
; %bb.8:
	v_mad_i64_i32 v[8:9], null, v14, s3, 0
	v_lshlrev_b64 v[8:9], 1, v[8:9]
	v_add_co_u32 v8, vcc_lo, v6, v8
	v_add_co_ci_u32_e64 v9, null, v7, v9, vcc_lo
	global_load_ushort v3, v[8:9], off
	s_waitcnt vmcnt(0)
	v_mul_f16_e32 v3, s15, v3
.LBB266_9:
	s_load_dword s9, s[4:5], 0x30
	s_lshl_b32 s8, s8, 7
	v_add_nc_u32_e32 v15, 64, v14
	v_add_nc_u32_e32 v16, s8, v5
	v_mov_b32_e32 v8, 0
	v_mov_b32_e32 v9, 0
	s_and_b32 vcc_lo, exec_lo, s1
	v_add_nc_u32_e32 v17, 64, v16
	s_cbranch_vccnz .LBB266_11
; %bb.10:
	v_mad_i64_i32 v[8:9], null, v15, s3, 0
	s_waitcnt lgkmcnt(0)
	v_mad_i64_i32 v[10:11], null, v16, s9, 0
	v_mad_i64_i32 v[12:13], null, v17, s9, 0
	v_add_co_u32 v4, s20, s18, v45
	v_lshlrev_b64 v[8:9], 1, v[8:9]
	v_add_co_ci_u32_e64 v18, null, s19, 0, s20
	v_lshlrev_b64 v[10:11], 1, v[10:11]
	v_lshlrev_b64 v[12:13], 1, v[12:13]
	v_add_co_u32 v8, vcc_lo, v6, v8
	v_add_co_ci_u32_e64 v9, null, v7, v9, vcc_lo
	v_add_co_u32 v10, vcc_lo, v4, v10
	v_add_co_ci_u32_e64 v11, null, v18, v11, vcc_lo
	;; [unrolled: 2-line block ×3, first 2 shown]
	global_load_ushort v4, v[8:9], off
	s_clause 0x1
	global_load_ushort v8, v[10:11], off
	global_load_ushort v9, v[12:13], off
	s_waitcnt vmcnt(2)
	v_mul_f16_e32 v4, s15, v4
	s_waitcnt vmcnt(1)
	v_mul_f16_e32 v8, s15, v8
	;; [unrolled: 2-line block ×3, first 2 shown]
.LBB266_11:
	v_mov_b32_e32 v19, 0
	v_mov_b32_e32 v18, 0
	s_and_b32 vcc_lo, exec_lo, s1
	s_cbranch_vccnz .LBB266_13
; %bb.12:
	v_mad_i64_i32 v[10:11], null, v14, s3, 0
	v_lshlrev_b64 v[10:11], 1, v[10:11]
	v_add_co_u32 v10, vcc_lo, v6, v10
	v_add_co_ci_u32_e64 v11, null, v7, v11, vcc_lo
	global_load_ushort v10, v[10:11], off offset:8
	s_waitcnt vmcnt(0)
	v_mul_f16_e32 v18, s15, v10
.LBB266_13:
	v_mov_b32_e32 v20, 0
	v_mov_b32_e32 v21, 0
	s_and_b32 vcc_lo, exec_lo, s1
	s_cbranch_vccnz .LBB266_15
; %bb.14:
	v_mad_i64_i32 v[10:11], null, v15, s3, 0
	s_waitcnt lgkmcnt(0)
	v_mad_i64_i32 v[12:13], null, v16, s9, 0
	v_mad_i64_i32 v[19:20], null, v17, s9, 0
	v_add_co_u32 v21, s20, s18, v45
	v_lshlrev_b64 v[10:11], 1, v[10:11]
	v_add_co_ci_u32_e64 v22, null, s19, 0, s20
	v_lshlrev_b64 v[12:13], 1, v[12:13]
	v_add_co_u32 v6, vcc_lo, v6, v10
	v_add_co_ci_u32_e64 v7, null, v7, v11, vcc_lo
	v_lshlrev_b64 v[10:11], 1, v[19:20]
	v_add_co_u32 v12, vcc_lo, v21, v12
	v_add_co_ci_u32_e64 v13, null, v22, v13, vcc_lo
	v_add_co_u32 v10, vcc_lo, v21, v10
	v_add_co_ci_u32_e64 v11, null, v22, v11, vcc_lo
	global_load_ushort v6, v[6:7], off offset:8
	s_clause 0x1
	global_load_ushort v7, v[12:13], off offset:8
	global_load_ushort v10, v[10:11], off offset:8
	s_waitcnt vmcnt(2)
	v_mul_f16_e32 v19, s15, v6
	s_waitcnt vmcnt(1)
	v_mul_f16_e32 v20, s15, v7
	s_waitcnt vmcnt(0)
	v_mul_f16_e32 v21, s15, v10
.LBB266_15:
	v_lshlrev_b32_e32 v5, 3, v5
	v_lshlrev_b32_e32 v91, 3, v1
	;; [unrolled: 1-line block ×3, first 2 shown]
	s_cmp_lt_i32 s14, 9
	v_lshl_or_b32 v46, v2, 1, v5
	v_add_nc_u32_e32 v10, 0x800, v91
	ds_write_b16 v46, v3
	ds_write_b16 v46, v4 offset:512
	ds_write_b16 v46, v8 offset:2048
	;; [unrolled: 1-line block ×3, first 2 shown]
	s_waitcnt lgkmcnt(0)
	s_barrier
	buffer_gl0_inv
	ds_read2_b64 v[6:9], v93 offset1:32
	ds_read2_b64 v[22:25], v10 offset1:8
	ds_read2_b64 v[2:5], v93 offset0:64 offset1:96
	ds_read2_b64 v[26:29], v10 offset0:16 offset1:24
	;; [unrolled: 1-line block ×8, first 2 shown]
	ds_write_b16 v46, v18 offset:1024
	ds_write_b16 v46, v19 offset:1536
	;; [unrolled: 1-line block ×4, first 2 shown]
	s_waitcnt lgkmcnt(0)
	s_barrier
	buffer_gl0_inv
	v_pk_add_f16 v42, v6, v22
	v_pk_add_f16 v43, v8, v22
	v_pk_add_f16 v44, v2, v22
	v_pk_add_f16 v22, v4, v22
	v_pk_add_f16 v55, v6, v24
	v_pk_add_f16 v56, v8, v24
	v_pk_add_f16 v57, v2, v24
	v_pk_add_f16 v24, v4, v24
	v_pk_add_f16 v58, v6, v26
	v_pk_add_f16 v59, v8, v26
	v_pk_add_f16 v60, v2, v26
	v_pk_add_f16 v26, v4, v26
	v_pk_add_f16 v61, v6, v28
	v_pk_add_f16 v62, v8, v28
	v_pk_add_f16 v63, v2, v28
	v_pk_add_f16 v28, v4, v28
	v_pk_add_f16 v64, v6, v30
	v_pk_add_f16 v65, v8, v30
	v_pk_add_f16 v66, v2, v30
	v_pk_add_f16 v30, v4, v30
	v_pk_add_f16 v67, v6, v32
	v_pk_add_f16 v68, v8, v32
	v_pk_add_f16 v69, v2, v32
	v_pk_add_f16 v32, v4, v32
	v_pk_add_f16 v70, v6, v34
	v_pk_add_f16 v71, v8, v34
	v_pk_add_f16 v72, v2, v34
	v_pk_add_f16 v34, v4, v34
	v_pk_add_f16 v73, v6, v36
	v_pk_add_f16 v74, v8, v36
	v_pk_add_f16 v75, v2, v36
	v_pk_add_f16 v36, v4, v36
	v_pk_add_f16 v76, v6, v38
	v_pk_add_f16 v77, v8, v38
	v_pk_add_f16 v81, v2, v38
	v_pk_add_f16 v38, v4, v38
	v_pk_add_f16 v115, v6, v40
	v_pk_add_f16 v116, v8, v40
	v_pk_add_f16 v117, v2, v40
	v_pk_add_f16 v40, v4, v40
	v_pk_add_f16 v118, v6, v47
	v_pk_add_f16 v119, v8, v47
	v_pk_add_f16 v120, v2, v47
	v_pk_add_f16 v47, v4, v47
	v_pk_add_f16 v121, v6, v49
	v_pk_add_f16 v122, v8, v49
	v_pk_add_f16 v123, v2, v49
	v_pk_add_f16 v49, v4, v49
	v_pk_add_f16 v124, v6, v51
	v_pk_add_f16 v125, v8, v51
	v_pk_add_f16 v126, v2, v51
	v_pk_add_f16 v51, v4, v51
	v_pk_add_f16 v127, v6, v53
	v_pk_add_f16 v128, v8, v53
	v_pk_add_f16 v129, v2, v53
	v_pk_add_f16 v53, v4, v53
	v_pk_add_f16 v130, v6, v10
	v_pk_add_f16 v131, v8, v10
	v_pk_add_f16 v132, v2, v10
	v_pk_add_f16 v10, v4, v10
	v_pk_add_f16 v6, v6, v12
	v_pk_add_f16 v8, v8, v12
	v_pk_add_f16 v133, v2, v12
	v_pk_add_f16 v78, v7, v23
	v_pk_min_f16 v42, 0x7c00, v42 op_sel_hi:[0,1]
	v_pk_add_f16 v79, v9, v23
	v_pk_add_f16 v80, v3, v23
	;; [unrolled: 1-line block ×3, first 2 shown]
	v_pk_min_f16 v22, 0x7c00, v22 op_sel_hi:[0,1]
	v_pk_add_f16 v2, v4, v12
	v_pk_add_f16 v4, v7, v25
	v_pk_min_f16 v12, 0x7c00, v55 op_sel_hi:[0,1]
	v_pk_min_f16 v43, 0x7c00, v43 op_sel_hi:[0,1]
	;; [unrolled: 1-line block ×3, first 2 shown]
	v_pk_min_f16 v114, v42, v78
	v_pk_min_f16 v111, v22, v23
	v_pk_add_f16 v22, v9, v25
	v_pk_min_f16 v23, 0x7c00, v56 op_sel_hi:[0,1]
	v_pk_add_f16 v42, v3, v25
	v_pk_add_f16 v25, v5, v25
	v_pk_min_f16 v24, 0x7c00, v24 op_sel_hi:[0,1]
	v_pk_min_f16 v110, v12, v4
	v_pk_add_f16 v4, v9, v27
	v_pk_min_f16 v12, 0x7c00, v59 op_sel_hi:[0,1]
	v_pk_min_f16 v113, v43, v79
	v_pk_min_f16 v112, v44, v80
	v_pk_min_f16 v43, 0x7c00, v57 op_sel_hi:[0,1]
	v_pk_add_f16 v44, v7, v27
	v_pk_min_f16 v109, v23, v22
	v_pk_min_f16 v107, v24, v25
	v_pk_add_f16 v22, v3, v27
	v_pk_min_f16 v23, 0x7c00, v60 op_sel_hi:[0,1]
	v_pk_add_f16 v24, v5, v27
	v_pk_min_f16 v25, 0x7c00, v26 op_sel_hi:[0,1]
	;; [unrolled: 2-line block ×3, first 2 shown]
	v_pk_min_f16 v105, v12, v4
	v_pk_add_f16 v4, v3, v29
	v_pk_min_f16 v12, 0x7c00, v63 op_sel_hi:[0,1]
	v_pk_min_f16 v108, v43, v42
	v_pk_add_f16 v42, v9, v29
	v_pk_min_f16 v104, v23, v22
	v_pk_min_f16 v103, v25, v24
	v_pk_min_f16 v100, v27, v26
	v_pk_add_f16 v22, v5, v29
	v_pk_min_f16 v23, 0x7c00, v28 op_sel_hi:[0,1]
	v_pk_add_f16 v24, v7, v31
	v_pk_min_f16 v25, 0x7c00, v64 op_sel_hi:[0,1]
	v_pk_add_f16 v26, v9, v31
	v_pk_min_f16 v27, 0x7c00, v65 op_sel_hi:[0,1]
	v_pk_add_f16 v28, v3, v31
	v_pk_min_f16 v29, 0x7c00, v66 op_sel_hi:[0,1]
	v_pk_min_f16 v101, v12, v4
	v_pk_add_f16 v4, v5, v31
	v_pk_min_f16 v12, 0x7c00, v30 op_sel_hi:[0,1]
	v_pk_min_f16 v99, v23, v22
	v_pk_min_f16 v98, v25, v24
	v_pk_min_f16 v97, v27, v26
	v_pk_min_f16 v96, v29, v28
	v_pk_add_f16 v22, v7, v33
	v_pk_min_f16 v23, 0x7c00, v67 op_sel_hi:[0,1]
	v_pk_add_f16 v24, v9, v33
	v_pk_min_f16 v25, 0x7c00, v68 op_sel_hi:[0,1]
	v_pk_add_f16 v26, v3, v33
	v_pk_min_f16 v27, 0x7c00, v69 op_sel_hi:[0,1]
	v_pk_add_f16 v28, v5, v33
	v_pk_min_f16 v29, 0x7c00, v32 op_sel_hi:[0,1]
	v_pk_min_f16 v95, v12, v4
	v_pk_add_f16 v4, v7, v35
	v_pk_min_f16 v12, 0x7c00, v70 op_sel_hi:[0,1]
	v_pk_min_f16 v94, v23, v22
	;; [unrolled: 15-line block ×6, first 2 shown]
	v_pk_min_f16 v70, v25, v24
	v_pk_min_f16 v69, v27, v26
	v_pk_min_f16 v68, v29, v28
	v_pk_add_f16 v22, v9, v50
	v_pk_min_f16 v23, 0x7c00, v122 op_sel_hi:[0,1]
	v_pk_add_f16 v24, v3, v50
	v_pk_min_f16 v25, 0x7c00, v123 op_sel_hi:[0,1]
	;; [unrolled: 2-line block ×4, first 2 shown]
	v_pk_min_f16 v67, v12, v4
	v_pk_add_f16 v4, v9, v52
	v_pk_min_f16 v12, 0x7c00, v125 op_sel_hi:[0,1]
	v_pk_min_f16 v43, 0x7c00, v62 op_sel_hi:[0,1]
	v_pk_min_f16 v66, v23, v22
	v_pk_min_f16 v65, v25, v24
	;; [unrolled: 1-line block ×4, first 2 shown]
	v_pk_add_f16 v22, v3, v52
	v_pk_min_f16 v23, 0x7c00, v126 op_sel_hi:[0,1]
	v_pk_add_f16 v24, v5, v52
	v_pk_min_f16 v25, 0x7c00, v51 op_sel_hi:[0,1]
	;; [unrolled: 2-line block ×4, first 2 shown]
	v_pk_min_f16 v62, v12, v4
	v_pk_add_f16 v4, v3, v54
	v_pk_min_f16 v12, 0x7c00, v129 op_sel_hi:[0,1]
	v_pk_min_f16 v55, 0x7c00, v58 op_sel_hi:[0,1]
	v_pk_min_f16 v61, v23, v22
	v_pk_min_f16 v60, v25, v24
	;; [unrolled: 1-line block ×4, first 2 shown]
	v_pk_add_f16 v22, v5, v54
	v_pk_min_f16 v23, 0x7c00, v53 op_sel_hi:[0,1]
	v_pk_add_f16 v24, v7, v11
	v_pk_min_f16 v25, 0x7c00, v130 op_sel_hi:[0,1]
	;; [unrolled: 2-line block ×4, first 2 shown]
	v_pk_min_f16 v57, v12, v4
	v_pk_add_f16 v4, v5, v11
	v_pk_min_f16 v10, 0x7c00, v10 op_sel_hi:[0,1]
	v_pk_add_f16 v7, v7, v13
	v_pk_min_f16 v6, 0x7c00, v6 op_sel_hi:[0,1]
	;; [unrolled: 2-line block ×5, first 2 shown]
	v_pk_min_f16 v106, v55, v44
	v_pk_min_f16 v102, v43, v42
	;; [unrolled: 1-line block ×11, first 2 shown]
	s_cbranch_scc1 .LBB266_27
; %bb.16:
	v_mad_i64_i32 v[2:3], null, s9, v17, 0
	v_mad_i64_i32 v[4:5], null, s9, v16, 0
	;; [unrolled: 1-line block ×4, first 2 shown]
	v_lshlrev_b64 v[2:3], 1, v[2:3]
	v_add_nc_u32_e32 v47, 0x800, v46
	v_lshlrev_b64 v[4:5], 1, v[4:5]
	v_or_b32_e32 v81, 0x800, v91
	v_add_nc_u32_e32 v115, 0x400, v46
	v_add_nc_u32_e32 v116, 0xc00, v46
	v_add_co_u32 v119, vcc_lo, s18, v2
	v_add_co_ci_u32_e64 v120, null, s19, v3, vcc_lo
	v_lshlrev_b64 v[2:3], 1, v[6:7]
	v_add_co_u32 v121, vcc_lo, s18, v4
	v_add_co_ci_u32_e64 v122, null, s19, v5, vcc_lo
	v_lshlrev_b64 v[4:5], 1, v[8:9]
	v_add_co_u32 v123, vcc_lo, s16, v2
	v_add_co_ci_u32_e64 v124, null, s17, v3, vcc_lo
	v_lshl_add_u32 v117, v0, 3, 0x400
	v_add_co_u32 v125, vcc_lo, s16, v4
	v_lshl_add_u32 v118, v1, 3, 0xc00
	v_add_co_ci_u32_e64 v126, null, s17, v5, vcc_lo
	s_add_i32 s3, s14, -8
	s_mov_b32 s9, 0
	s_branch .LBB266_19
.LBB266_17:                             ;   in Loop: Header=BB266_19 Depth=1
	v_add_co_u32 v6, vcc_lo, v123, v45
	v_add_co_ci_u32_e64 v7, null, 0, v124, vcc_lo
	v_add_co_u32 v128, vcc_lo, v121, v45
	v_add_co_ci_u32_e64 v129, null, 0, v122, vcc_lo
	;; [unrolled: 2-line block ×3, first 2 shown]
	global_load_ushort v6, v[6:7], off offset:24
	global_load_ushort v7, v[128:129], off offset:24
	;; [unrolled: 1-line block ×3, first 2 shown]
	s_waitcnt vmcnt(2)
	v_mul_f16_e32 v128, s15, v6
	s_waitcnt vmcnt(1)
	v_mul_f16_e32 v129, s15, v7
	;; [unrolled: 2-line block ×3, first 2 shown]
.LBB266_18:                             ;   in Loop: Header=BB266_19 Depth=1
	v_pk_add_f16 v6, v9, v41
	v_pk_max_f16 v7, v114, v114
	v_pk_add_f16 v8, v11, v41
	v_pk_add_f16 v114, v13, v41
	;; [unrolled: 1-line block ×3, first 2 shown]
	v_pk_max_f16 v111, v111, v111
	v_pk_min_f16 v6, v7, v6
	v_pk_max_f16 v7, v112, v112
	v_pk_add_f16 v112, v9, v43
	v_pk_max_f16 v110, v110, v110
	v_pk_max_f16 v113, v113, v113
	v_pk_add_f16 v131, v11, v43
	v_pk_min_f16 v41, v111, v41
	v_pk_add_f16 v111, v13, v43
	v_pk_min_f16 v110, v110, v112
	v_pk_max_f16 v108, v108, v108
	v_pk_add_f16 v43, v15, v43
	v_pk_max_f16 v107, v107, v107
	v_pk_add_f16 v112, v9, v37
	v_pk_max_f16 v106, v106, v106
	v_pk_min_f16 v8, v113, v8
	v_pk_min_f16 v7, v7, v114
	v_pk_add_f16 v113, v11, v37
	v_pk_add_f16 v114, v13, v37
	v_pk_min_f16 v108, v108, v111
	v_pk_min_f16 v43, v107, v43
	v_pk_min_f16 v106, v106, v112
	v_pk_add_f16 v37, v15, v37
	v_pk_max_f16 v103, v103, v103
	v_pk_add_f16 v107, v9, v39
	v_pk_max_f16 v100, v100, v100
	v_pk_add_f16 v111, v11, v39
	v_pk_add_f16 v112, v13, v39
	;; [unrolled: 1-line block ×3, first 2 shown]
	v_pk_max_f16 v99, v99, v99
	v_pk_max_f16 v102, v102, v102
	v_pk_min_f16 v37, v103, v37
	v_pk_min_f16 v100, v100, v107
	v_pk_max_f16 v98, v98, v98
	v_pk_min_f16 v39, v99, v39
	v_pk_add_f16 v99, v9, v33
	v_pk_add_f16 v103, v11, v33
	;; [unrolled: 1-line block ×4, first 2 shown]
	v_pk_max_f16 v95, v95, v95
	v_pk_min_f16 v102, v102, v111
	v_pk_max_f16 v97, v97, v97
	v_pk_max_f16 v96, v96, v96
	v_pk_add_f16 v111, v9, v35
	v_pk_min_f16 v98, v98, v99
	v_pk_min_f16 v33, v95, v33
	v_pk_add_f16 v95, v11, v35
	v_pk_max_f16 v92, v92, v92
	v_pk_add_f16 v99, v13, v35
	v_pk_add_f16 v35, v15, v35
	v_pk_max_f16 v89, v89, v89
	v_pk_min_f16 v97, v97, v103
	v_pk_min_f16 v96, v96, v107
	v_pk_max_f16 v90, v90, v90
	v_pk_add_f16 v103, v9, v29
	v_pk_max_f16 v88, v88, v88
	v_pk_add_f16 v107, v11, v29
	v_pk_min_f16 v92, v92, v95
	v_pk_min_f16 v35, v89, v35
	v_pk_add_f16 v89, v13, v29
	v_pk_max_f16 v86, v86, v86
	v_pk_add_f16 v29, v15, v29
	v_pk_max_f16 v85, v85, v85
	;; [unrolled: 2-line block ×3, first 2 shown]
	v_pk_min_f16 v90, v90, v99
	v_pk_min_f16 v88, v88, v103
	v_pk_add_f16 v99, v11, v31
	v_pk_add_f16 v103, v13, v31
	v_pk_min_f16 v86, v86, v89
	v_pk_min_f16 v29, v85, v29
	;; [unrolled: 1-line block ×3, first 2 shown]
	v_pk_add_f16 v31, v15, v31
	v_pk_max_f16 v80, v80, v80
	v_pk_add_f16 v85, v9, v25
	v_pk_max_f16 v79, v79, v79
	v_pk_add_f16 v89, v11, v25
	v_pk_add_f16 v95, v13, v25
	;; [unrolled: 1-line block ×3, first 2 shown]
	v_pk_max_f16 v76, v76, v76
	v_pk_max_f16 v78, v78, v78
	v_pk_min_f16 v31, v80, v31
	v_pk_min_f16 v79, v79, v85
	v_pk_max_f16 v75, v75, v75
	v_pk_min_f16 v25, v76, v25
	v_pk_add_f16 v76, v9, v27
	v_pk_add_f16 v80, v11, v27
	;; [unrolled: 1-line block ×4, first 2 shown]
	v_pk_max_f16 v73, v73, v73
	v_pk_min_f16 v78, v78, v89
	v_pk_max_f16 v74, v74, v74
	v_pk_max_f16 v72, v72, v72
	v_pk_add_f16 v89, v9, v21
	v_pk_min_f16 v75, v75, v76
	v_pk_min_f16 v27, v73, v27
	v_pk_add_f16 v73, v11, v21
	v_pk_max_f16 v70, v70, v70
	v_pk_add_f16 v76, v13, v21
	v_pk_add_f16 v21, v15, v21
	v_pk_max_f16 v68, v68, v68
	v_pk_min_f16 v74, v74, v80
	v_pk_min_f16 v72, v72, v85
	v_pk_add_f16 v80, v9, v23
	v_pk_add_f16 v85, v11, v23
	v_pk_min_f16 v70, v70, v73
	v_pk_min_f16 v21, v68, v21
	v_pk_add_f16 v68, v13, v23
	v_pk_max_f16 v65, v65, v65
	v_pk_add_f16 v23, v15, v23
	v_pk_max_f16 v64, v64, v64
	;; [unrolled: 2-line block ×3, first 2 shown]
	v_pk_max_f16 v69, v69, v69
	v_pk_max_f16 v67, v67, v67
	v_pk_min_f16 v65, v65, v68
	v_pk_min_f16 v23, v64, v23
	;; [unrolled: 1-line block ×3, first 2 shown]
	v_pk_add_f16 v64, v9, v4
	v_pk_add_f16 v68, v11, v4
	;; [unrolled: 1-line block ×4, first 2 shown]
	v_pk_max_f16 v56, v56, v56
	v_pk_min_f16 v69, v69, v76
	v_pk_min_f16 v67, v67, v80
	v_pk_add_f16 v76, v11, v2
	v_pk_add_f16 v80, v13, v2
	;; [unrolled: 1-line block ×3, first 2 shown]
	v_pk_max_f16 v60, v60, v60
	v_pk_max_f16 v59, v59, v59
	;; [unrolled: 1-line block ×3, first 2 shown]
	v_pk_min_f16 v56, v56, v4
	v_pk_add_f16 v4, v9, v17
	v_pk_max_f16 v53, v53, v53
	v_pk_add_f16 v9, v9, v19
	v_pk_max_f16 v54, v54, v54
	v_pk_max_f16 v61, v61, v61
	;; [unrolled: 1-line block ×3, first 2 shown]
	v_pk_min_f16 v2, v60, v2
	v_pk_min_f16 v59, v59, v64
	v_pk_min_f16 v58, v58, v68
	v_pk_add_f16 v60, v11, v17
	v_pk_add_f16 v64, v13, v17
	;; [unrolled: 1-line block ×3, first 2 shown]
	v_pk_min_f16 v53, v53, v4
	v_pk_min_f16 v68, v54, v9
	v_pk_add_f16 v4, v11, v19
	v_pk_max_f16 v9, v51, v51
	v_pk_add_f16 v11, v13, v19
	v_pk_add_f16 v15, v15, v19
	;; [unrolled: 1-line block ×3, first 2 shown]
	v_pk_max_f16 v66, v66, v66
	v_pk_min_f16 v61, v61, v80
	v_pk_min_f16 v57, v57, v73
	;; [unrolled: 1-line block ×3, first 2 shown]
	v_pk_add_f16 v4, v12, v42
	v_pk_min_f16 v80, v6, v19
	v_pk_add_f16 v6, v14, v42
	v_pk_max_f16 v71, v71, v71
	v_pk_min_f16 v66, v66, v85
	v_pk_min_f16 v85, v8, v4
	v_pk_add_f16 v4, v16, v42
	v_pk_min_f16 v42, v7, v6
	v_pk_add_f16 v6, v14, v44
	v_pk_max_f16 v82, v82, v82
	v_pk_min_f16 v71, v71, v89
	v_pk_add_f16 v8, v10, v44
	v_pk_add_f16 v9, v12, v44
	v_pk_min_f16 v89, v41, v4
	v_pk_add_f16 v4, v16, v44
	v_pk_min_f16 v44, v108, v6
	v_pk_add_f16 v6, v10, v38
	v_pk_max_f16 v109, v109, v109
	v_pk_min_f16 v82, v82, v103
	v_pk_min_f16 v43, v43, v4
	v_pk_add_f16 v4, v16, v38
	v_pk_min_f16 v103, v106, v6
	v_pk_add_f16 v6, v10, v40
	v_pk_min_f16 v109, v109, v131
	v_pk_max_f16 v105, v105, v105
	v_pk_min_f16 v131, v37, v4
	v_pk_add_f16 v4, v12, v40
	v_pk_min_f16 v100, v100, v6
	v_pk_add_f16 v6, v10, v34
	v_pk_max_f16 v104, v104, v104
	v_pk_max_f16 v77, v77, v77
	v_pk_min_f16 v102, v102, v4
	v_pk_add_f16 v4, v12, v34
	v_pk_min_f16 v98, v98, v6
	v_pk_add_f16 v6, v14, v34
	v_pk_min_f16 v105, v105, v113
	v_pk_min_f16 v104, v104, v114
	v_pk_max_f16 v101, v101, v101
	v_pk_min_f16 v77, v77, v95
	v_pk_min_f16 v95, v110, v8
	v_pk_add_f16 v7, v12, v38
	v_pk_add_f16 v8, v14, v38
	v_pk_min_f16 v97, v97, v4
	v_pk_add_f16 v4, v12, v36
	v_pk_min_f16 v96, v96, v6
	v_pk_add_f16 v6, v14, v36
	v_pk_min_f16 v101, v101, v112
	v_pk_max_f16 v94, v94, v94
	v_pk_min_f16 v105, v105, v7
	v_pk_min_f16 v104, v104, v8
	v_pk_add_f16 v7, v14, v40
	v_pk_add_f16 v8, v16, v40
	v_pk_min_f16 v92, v92, v4
	v_pk_add_f16 v4, v16, v36
	v_pk_min_f16 v90, v90, v6
	v_pk_add_f16 v6, v14, v30
	;; [unrolled: 10-line block ×4, first 2 shown]
	v_pk_min_f16 v83, v83, v99
	v_pk_min_f16 v88, v88, v7
	;; [unrolled: 1-line block ×3, first 2 shown]
	v_pk_add_f16 v7, v12, v32
	v_pk_add_f16 v8, v14, v32
	v_pk_min_f16 v138, v31, v4
	v_pk_add_f16 v4, v12, v26
	v_pk_min_f16 v79, v79, v6
	v_pk_add_f16 v6, v10, v28
	v_pk_min_f16 v83, v83, v7
	v_pk_min_f16 v82, v82, v8
	v_pk_add_f16 v7, v14, v26
	v_pk_add_f16 v8, v16, v26
	v_pk_min_f16 v78, v78, v4
	v_pk_add_f16 v4, v12, v28
	v_pk_min_f16 v39, v75, v6
	v_pk_add_f16 v6, v14, v28
	v_pk_min_f16 v77, v77, v7
	v_pk_min_f16 v41, v25, v8
	;; [unrolled: 8-line block ×3, first 2 shown]
	v_pk_min_f16 v34, v70, v4
	v_pk_add_f16 v4, v16, v22
	v_pk_add_f16 v7, v10, v24
	;; [unrolled: 1-line block ×3, first 2 shown]
	v_pk_min_f16 v36, v69, v6
	v_pk_add_f16 v6, v14, v24
	v_pk_max_f16 v52, v52, v52
	v_pk_max_f16 v49, v49, v49
	;; [unrolled: 1-line block ×3, first 2 shown]
	v_pk_min_f16 v33, v21, v4
	v_pk_min_f16 v32, v67, v7
	;; [unrolled: 1-line block ×3, first 2 shown]
	v_pk_add_f16 v4, v16, v24
	v_pk_min_f16 v30, v65, v6
	v_pk_add_f16 v6, v10, v3
	v_pk_add_f16 v7, v12, v3
	;; [unrolled: 1-line block ×4, first 2 shown]
	v_pk_max_f16 v62, v62, v62
	v_pk_min_f16 v52, v52, v60
	v_pk_min_f16 v60, v49, v64
	;; [unrolled: 1-line block ×3, first 2 shown]
	v_pk_max_f16 v17, v48, v48
	v_pk_min_f16 v29, v23, v4
	v_pk_add_f16 v4, v10, v5
	v_pk_min_f16 v21, v2, v3
	v_pk_add_f16 v2, v12, v5
	v_pk_add_f16 v3, v14, v5
	v_pk_min_f16 v62, v62, v76
	v_pk_max_f16 v13, v50, v50
	v_pk_min_f16 v76, v17, v15
	v_pk_min_f16 v28, v63, v6
	v_pk_add_f16 v6, v16, v5
	v_pk_min_f16 v22, v59, v4
	v_pk_min_f16 v19, v58, v2
	;; [unrolled: 1-line block ×3, first 2 shown]
	ds_read2_b64 v[2:5], v93 offset1:32
	ds_read2_b64 v[48:51], v81 offset1:8
	v_pk_min_f16 v99, v109, v9
	v_pk_min_f16 v27, v62, v7
	;; [unrolled: 1-line block ×4, first 2 shown]
	ds_read2_b64 v[6:9], v93 offset0:64 offset1:96
	v_pk_min_f16 v11, v13, v11
	v_pk_add_f16 v13, v10, v18
	v_pk_add_f16 v17, v12, v18
	;; [unrolled: 1-line block ×4, first 2 shown]
	v_pk_max_f16 v85, v85, v85
	v_pk_min_f16 v24, v53, v13
	v_pk_add_f16 v13, v16, v18
	v_pk_add_f16 v18, v14, v20
	v_pk_min_f16 v23, v52, v17
	v_pk_min_f16 v17, v60, v54
	ds_read2_b64 v[52:55], v81 offset0:16 offset1:24
	v_pk_min_f16 v14, v64, v13
	v_pk_min_f16 v13, v68, v10
	;; [unrolled: 1-line block ×3, first 2 shown]
	s_waitcnt lgkmcnt(2)
	v_pk_add_f16 v18, v4, v48
	v_pk_add_f16 v12, v12, v20
	;; [unrolled: 1-line block ×4, first 2 shown]
	s_waitcnt lgkmcnt(1)
	v_pk_add_f16 v20, v6, v48
	v_pk_max_f16 v42, v42, v42
	v_pk_min_f16 v18, v85, v18
	v_pk_min_f16 v11, v76, v16
	v_pk_add_f16 v16, v2, v48
	v_pk_add_f16 v48, v8, v48
	;; [unrolled: 1-line block ×3, first 2 shown]
	v_pk_min_f16 v20, v42, v20
	v_pk_min_f16 v113, v18, v107
	v_pk_max_f16 v18, v89, v89
	v_pk_add_f16 v68, v2, v50
	v_pk_add_f16 v69, v4, v50
	v_pk_min_f16 v112, v20, v108
	v_pk_max_f16 v20, v95, v95
	v_pk_min_f16 v18, v18, v48
	v_pk_max_f16 v48, v99, v99
	v_pk_add_f16 v70, v6, v50
	v_pk_add_f16 v50, v8, v50
	v_pk_add_f16 v109, v3, v51
	v_pk_add_f16 v134, v5, v51
	v_pk_min_f16 v20, v20, v68
	v_pk_min_f16 v48, v48, v69
	v_pk_max_f16 v44, v44, v44
	v_pk_max_f16 v43, v43, v43
	s_waitcnt lgkmcnt(0)
	v_pk_add_f16 v71, v2, v52
	v_pk_max_f16 v80, v80, v80
	v_pk_add_f16 v139, v7, v51
	v_pk_add_f16 v51, v9, v51
	v_pk_min_f16 v110, v20, v109
	v_pk_min_f16 v109, v48, v134
	v_pk_max_f16 v48, v103, v103
	v_pk_min_f16 v44, v44, v70
	v_pk_min_f16 v43, v43, v50
	;; [unrolled: 1-line block ×3, first 2 shown]
	ds_read2_b64 v[56:59], v81 offset0:32 offset1:40
	v_pk_add_f16 v72, v4, v52
	v_pk_add_f16 v73, v6, v52
	;; [unrolled: 1-line block ×5, first 2 shown]
	v_pk_min_f16 v16, v80, v16
	v_pk_add_f16 v50, v3, v53
	v_pk_min_f16 v48, v48, v71
	v_pk_min_f16 v108, v44, v139
	;; [unrolled: 1-line block ×3, first 2 shown]
	v_pk_max_f16 v43, v104, v104
	v_pk_max_f16 v44, v131, v131
	v_pk_min_f16 v114, v16, v106
	v_pk_min_f16 v111, v18, v49
	v_pk_max_f16 v49, v105, v105
	v_pk_min_f16 v106, v48, v50
	v_pk_add_f16 v48, v7, v53
	v_pk_min_f16 v43, v43, v73
	v_pk_add_f16 v50, v9, v53
	;; [unrolled: 2-line block ×3, first 2 shown]
	v_pk_add_f16 v76, v6, v54
	v_pk_add_f16 v69, v5, v53
	v_pk_min_f16 v49, v49, v72
	v_pk_min_f16 v104, v43, v48
	v_pk_max_f16 v43, v102, v102
	v_pk_min_f16 v103, v44, v50
	v_pk_max_f16 v44, v101, v101
	ds_read2_b64 v[60:63], v81 offset0:48 offset1:56
	ds_read2_b64 v[64:67], v81 offset0:64 offset1:72
	v_pk_add_f16 v74, v2, v54
	v_pk_add_f16 v54, v8, v54
	v_pk_min_f16 v105, v49, v69
	v_pk_add_f16 v52, v5, v55
	v_pk_min_f16 v43, v43, v75
	v_pk_add_f16 v69, v7, v55
	v_pk_max_f16 v53, v132, v132
	v_pk_min_f16 v44, v44, v76
	s_waitcnt lgkmcnt(2)
	v_pk_add_f16 v140, v4, v56
	v_pk_add_f16 v141, v6, v56
	v_pk_max_f16 v49, v100, v100
	v_pk_add_f16 v70, v9, v55
	v_pk_min_f16 v102, v43, v52
	v_pk_min_f16 v43, v53, v54
	v_pk_max_f16 v76, v97, v97
	v_pk_min_f16 v101, v44, v69
	v_pk_max_f16 v44, v96, v96
	v_pk_add_f16 v133, v2, v56
	v_pk_add_f16 v51, v3, v55
	v_pk_min_f16 v49, v49, v74
	v_pk_add_f16 v72, v5, v57
	v_pk_add_f16 v73, v7, v57
	v_pk_max_f16 v55, v98, v98
	v_pk_min_f16 v99, v43, v70
	v_pk_min_f16 v43, v76, v140
	;; [unrolled: 1-line block ×3, first 2 shown]
	v_pk_add_f16 v56, v8, v56
	v_pk_add_f16 v80, v2, v58
	v_pk_min_f16 v100, v49, v51
	v_pk_add_f16 v71, v3, v57
	ds_read2_b64 v[48:51], v81 offset0:80 offset1:88
	v_pk_min_f16 v95, v55, v133
	v_pk_min_f16 v97, v43, v72
	v_pk_max_f16 v43, v135, v135
	v_pk_min_f16 v96, v44, v73
	v_pk_max_f16 v44, v94, v94
	v_pk_add_f16 v85, v4, v58
	v_pk_add_f16 v57, v9, v57
	;; [unrolled: 1-line block ×3, first 2 shown]
	v_pk_min_f16 v98, v95, v71
	s_waitcnt lgkmcnt(1)
	v_pk_add_f16 v69, v2, v64
	v_pk_add_f16 v70, v4, v64
	;; [unrolled: 1-line block ×3, first 2 shown]
	v_pk_min_f16 v43, v43, v56
	v_pk_add_f16 v56, v8, v64
	v_pk_max_f16 v64, v92, v92
	v_pk_min_f16 v44, v44, v80
	v_pk_add_f16 v16, v6, v58
	v_pk_add_f16 v75, v5, v59
	v_pk_min_f16 v95, v43, v57
	v_pk_min_f16 v57, v64, v85
	;; [unrolled: 1-line block ×3, first 2 shown]
	v_pk_max_f16 v44, v90, v90
	v_pk_add_f16 v42, v8, v58
	v_pk_add_f16 v58, v2, v60
	;; [unrolled: 1-line block ×3, first 2 shown]
	v_pk_min_f16 v92, v57, v75
	v_pk_max_f16 v57, v136, v136
	v_pk_min_f16 v16, v44, v16
	v_pk_max_f16 v74, v88, v88
	v_pk_add_f16 v142, v4, v60
	v_pk_add_f16 v143, v6, v60
	;; [unrolled: 1-line block ×3, first 2 shown]
	s_waitcnt lgkmcnt(0)
	v_pk_add_f16 v73, v2, v48
	v_pk_add_f16 v44, v4, v48
	v_pk_min_f16 v42, v57, v42
	v_pk_add_f16 v57, v6, v48
	v_pk_min_f16 v90, v16, v89
	;; [unrolled: 2-line block ×3, first 2 shown]
	v_pk_max_f16 v74, v137, v137
	v_pk_add_f16 v139, v3, v61
	v_pk_add_f16 v144, v5, v61
	;; [unrolled: 1-line block ×4, first 2 shown]
	v_pk_min_f16 v60, v74, v60
	v_pk_add_f16 v20, v6, v62
	v_pk_add_f16 v18, v2, v62
	v_pk_add_f16 v68, v4, v62
	v_pk_add_f16 v62, v8, v62
	v_pk_min_f16 v85, v60, v61
	v_pk_max_f16 v61, v82, v82
	v_pk_add_f16 v43, v4, v66
	v_pk_max_f16 v60, v83, v83
	v_pk_max_f16 v40, v40, v40
	v_pk_add_f16 v147, v5, v63
	v_pk_min_f16 v20, v61, v20
	v_pk_max_f16 v61, v138, v138
	v_pk_min_f16 v60, v60, v68
	v_pk_min_f16 v40, v40, v43
	v_pk_add_f16 v43, v5, v67
	v_pk_max_f16 v34, v34, v34
	v_pk_min_f16 v61, v61, v62
	v_pk_max_f16 v62, v78, v78
	v_pk_add_f16 v146, v3, v63
	v_pk_add_f16 v148, v7, v63
	v_pk_add_f16 v63, v9, v63
	ds_read2_b64 v[52:55], v81 offset0:96 offset1:104
	v_pk_min_f16 v83, v60, v147
	v_pk_max_f16 v60, v79, v79
	v_pk_max_f16 v68, v77, v77
	v_pk_min_f16 v62, v62, v70
	v_pk_add_f16 v70, v5, v65
	v_pk_min_f16 v74, v40, v43
	v_pk_add_f16 v40, v5, v49
	v_pk_min_f16 v34, v34, v44
	v_pk_max_f16 v33, v33, v33
	v_pk_add_f16 v59, v9, v59
	v_pk_add_f16 v72, v2, v66
	v_pk_min_f16 v60, v60, v69
	v_pk_add_f16 v69, v3, v65
	v_pk_min_f16 v68, v68, v71
	v_pk_min_f16 v80, v61, v63
	v_pk_add_f16 v61, v7, v65
	v_pk_max_f16 v41, v41, v41
	v_pk_min_f16 v78, v62, v70
	v_pk_max_f16 v39, v39, v39
	v_pk_min_f16 v70, v34, v40
	v_pk_add_f16 v34, v9, v49
	v_pk_min_f16 v16, v33, v16
	v_pk_add_f16 v58, v2, v50
	v_pk_min_f16 v89, v42, v59
	v_pk_max_f16 v42, v87, v87
	v_pk_add_f16 v59, v4, v50
	v_pk_min_f16 v88, v48, v139
	v_pk_max_f16 v48, v86, v86
	v_pk_add_f16 v135, v6, v50
	v_pk_add_f16 v50, v8, v50
	v_pk_min_f16 v79, v60, v69
	v_pk_min_f16 v77, v68, v61
	;; [unrolled: 1-line block ×3, first 2 shown]
	v_pk_add_f16 v56, v9, v65
	v_pk_min_f16 v39, v39, v72
	v_pk_add_f16 v60, v3, v67
	v_pk_max_f16 v35, v35, v35
	v_pk_max_f16 v36, v36, v36
	v_pk_min_f16 v68, v16, v34
	v_pk_max_f16 v16, v29, v29
	ds_read2_b64 v[131:134], v81 offset0:112 offset1:120
	v_pk_add_f16 v64, v6, v66
	v_pk_min_f16 v42, v42, v142
	v_pk_min_f16 v48, v48, v143
	v_pk_max_f16 v38, v38, v38
	v_pk_min_f16 v76, v41, v56
	v_pk_min_f16 v75, v39, v60
	v_pk_add_f16 v39, v3, v49
	v_pk_min_f16 v35, v35, v73
	v_pk_add_f16 v41, v7, v49
	v_pk_min_f16 v36, v36, v57
	v_pk_max_f16 v31, v31, v31
	v_pk_max_f16 v30, v30, v30
	v_pk_add_f16 v29, v9, v51
	v_pk_min_f16 v16, v16, v50
	v_pk_add_f16 v66, v8, v66
	s_waitcnt lgkmcnt(1)
	v_pk_add_f16 v136, v2, v52
	v_pk_min_f16 v87, v42, v144
	v_pk_add_f16 v42, v4, v52
	v_pk_add_f16 v137, v6, v52
	v_pk_min_f16 v86, v48, v145
	v_pk_add_f16 v48, v8, v52
	v_pk_max_f16 v52, v84, v84
	v_pk_min_f16 v38, v38, v64
	v_pk_max_f16 v37, v37, v37
	v_pk_min_f16 v71, v35, v39
	v_pk_min_f16 v69, v36, v41
	v_pk_max_f16 v32, v32, v32
	v_pk_add_f16 v35, v5, v51
	v_pk_min_f16 v31, v31, v59
	v_pk_add_f16 v36, v7, v51
	v_pk_min_f16 v30, v30, v135
	v_pk_max_f16 v28, v28, v28
	v_pk_max_f16 v27, v27, v27
	v_pk_min_f16 v64, v16, v29
	v_pk_max_f16 v16, v21, v21
	v_pk_min_f16 v18, v52, v18
	v_pk_add_f16 v52, v4, v54
	v_pk_add_f16 v140, v6, v54
	;; [unrolled: 1-line block ×3, first 2 shown]
	v_pk_min_f16 v37, v37, v66
	v_pk_add_f16 v33, v3, v51
	v_pk_min_f16 v32, v32, v58
	v_pk_min_f16 v66, v31, v35
	;; [unrolled: 1-line block ×3, first 2 shown]
	v_pk_add_f16 v30, v3, v53
	v_pk_max_f16 v25, v25, v25
	v_pk_min_f16 v28, v28, v136
	v_pk_add_f16 v31, v5, v53
	v_pk_min_f16 v27, v27, v42
	v_pk_add_f16 v21, v9, v53
	v_pk_min_f16 v16, v16, v48
	v_pk_max_f16 v19, v19, v19
	v_pk_max_f16 v15, v15, v15
	v_pk_add_f16 v139, v2, v54
	v_pk_add_f16 v54, v8, v54
	v_pk_min_f16 v72, v38, v61
	v_pk_add_f16 v38, v9, v67
	v_pk_min_f16 v67, v32, v33
	;; [unrolled: 2-line block ×3, first 2 shown]
	v_pk_min_f16 v63, v28, v30
	v_pk_min_f16 v62, v27, v31
	v_pk_max_f16 v22, v22, v22
	v_pk_add_f16 v27, v5, v55
	v_pk_min_f16 v19, v19, v52
	v_pk_add_f16 v28, v7, v55
	v_pk_min_f16 v15, v15, v140
	v_pk_min_f16 v60, v16, v21
	v_pk_max_f16 v16, v26, v26
	v_pk_min_f16 v84, v18, v146
	s_waitcnt lgkmcnt(0)
	v_pk_add_f16 v18, v2, v131
	v_pk_add_f16 v138, v4, v131
	v_pk_min_f16 v82, v20, v148
	v_pk_add_f16 v20, v6, v131
	v_pk_add_f16 v131, v8, v131
	;; [unrolled: 1-line block ×6, first 2 shown]
	v_pk_min_f16 v61, v25, v32
	v_pk_add_f16 v25, v3, v55
	v_pk_min_f16 v22, v22, v139
	v_pk_min_f16 v58, v19, v27
	;; [unrolled: 1-line block ×3, first 2 shown]
	v_pk_add_f16 v15, v9, v55
	v_pk_max_f16 v19, v24, v24
	v_pk_min_f16 v16, v16, v54
	v_pk_max_f16 v21, v23, v23
	v_pk_max_f16 v17, v17, v17
	;; [unrolled: 1-line block ×7, first 2 shown]
	v_add_co_u32 v119, vcc_lo, v119, 16
	v_add_co_ci_u32_e64 v120, null, 0, v120, vcc_lo
	v_add_co_u32 v121, vcc_lo, v121, 16
	v_pk_min_f16 v59, v22, v25
	v_pk_add_f16 v22, v3, v132
	v_pk_min_f16 v18, v19, v18
	v_pk_add_f16 v19, v5, v132
	v_pk_min_f16 v21, v21, v138
	v_pk_add_f16 v23, v7, v132
	v_pk_min_f16 v17, v17, v20
	v_pk_min_f16 v56, v16, v15
	v_pk_add_f16 v15, v9, v132
	v_pk_min_f16 v14, v14, v131
	v_pk_add_f16 v3, v3, v134
	;; [unrolled: 2-line block ×5, first 2 shown]
	v_pk_min_f16 v8, v11, v8
	v_add_co_ci_u32_e64 v122, null, 0, v122, vcc_lo
	v_add_co_u32 v123, vcc_lo, v123, 16
	v_add_co_ci_u32_e64 v124, null, 0, v124, vcc_lo
	v_add_co_u32 v125, vcc_lo, v125, 16
	v_pk_min_f16 v73, v37, v38
	v_pk_min_f16 v53, v18, v22
	;; [unrolled: 1-line block ×9, first 2 shown]
	v_add_co_ci_u32_e64 v126, null, 0, v126, vcc_lo
	s_add_i32 s9, s9, 8
	ds_write_b16 v115, v127
	ds_write_b16 v115, v128 offset:512
	ds_write_b16 v116, v129
	ds_write_b16 v116, v130 offset:512
	s_cmp_ge_i32 s9, s3
	s_waitcnt lgkmcnt(0)
	s_barrier
	buffer_gl0_inv
	s_cbranch_scc1 .LBB266_27
.LBB266_19:                             ; =>This Inner Loop Header: Depth=1
	v_mov_b32_e32 v6, 0
	s_and_b32 vcc_lo, exec_lo, s1
	s_cbranch_vccnz .LBB266_21
; %bb.20:                               ;   in Loop: Header=BB266_19 Depth=1
	v_add_co_u32 v2, vcc_lo, v125, v45
	v_add_co_ci_u32_e64 v3, null, 0, v126, vcc_lo
	global_load_ushort v2, v[2:3], off offset:16
	s_waitcnt vmcnt(0)
	v_mul_f16_e32 v6, s15, v2
.LBB266_21:                             ;   in Loop: Header=BB266_19 Depth=1
	v_mov_b32_e32 v127, 0
	v_mov_b32_e32 v7, 0
	;; [unrolled: 1-line block ×4, first 2 shown]
	s_and_b32 vcc_lo, exec_lo, s1
	s_cbranch_vccnz .LBB266_23
; %bb.22:                               ;   in Loop: Header=BB266_19 Depth=1
	v_add_co_u32 v2, vcc_lo, v123, v45
	v_add_co_ci_u32_e64 v3, null, 0, v124, vcc_lo
	v_add_co_u32 v4, vcc_lo, v121, v45
	v_add_co_ci_u32_e64 v5, null, 0, v122, vcc_lo
	;; [unrolled: 2-line block ×3, first 2 shown]
	global_load_ushort v2, v[2:3], off offset:16
	global_load_ushort v3, v[4:5], off offset:16
	global_load_ushort v4, v[7:8], off offset:16
	s_waitcnt vmcnt(2)
	v_mul_f16_e32 v7, s15, v2
	s_waitcnt vmcnt(1)
	v_mul_f16_e32 v8, s15, v3
	;; [unrolled: 2-line block ×3, first 2 shown]
.LBB266_23:                             ;   in Loop: Header=BB266_19 Depth=1
	ds_read2_b64 v[9:12], v117 offset1:32
	ds_read2_b64 v[13:16], v117 offset0:64 offset1:96
	ds_read2_b64 v[41:44], v118 offset1:8
	ds_read2_b64 v[37:40], v118 offset0:16 offset1:24
	ds_read2_b64 v[33:36], v118 offset0:32 offset1:40
	;; [unrolled: 1-line block ×7, first 2 shown]
	s_and_b32 vcc_lo, exec_lo, s1
	ds_write_b16 v46, v6
	ds_write_b16 v46, v7 offset:512
	ds_write_b16 v47, v8
	ds_write_b16 v47, v128 offset:512
	s_waitcnt lgkmcnt(0)
	s_barrier
	buffer_gl0_inv
	s_cbranch_vccnz .LBB266_25
; %bb.24:                               ;   in Loop: Header=BB266_19 Depth=1
	v_add_co_u32 v6, vcc_lo, v125, v45
	v_add_co_ci_u32_e64 v7, null, 0, v126, vcc_lo
	global_load_ushort v6, v[6:7], off offset:24
	s_waitcnt vmcnt(0)
	v_mul_f16_e32 v127, s15, v6
.LBB266_25:                             ;   in Loop: Header=BB266_19 Depth=1
	s_and_b32 vcc_lo, exec_lo, s1
	s_cbranch_vccz .LBB266_17
; %bb.26:                               ;   in Loop: Header=BB266_19 Depth=1
	v_mov_b32_e32 v128, 0
	v_mov_b32_e32 v129, 0
	;; [unrolled: 1-line block ×3, first 2 shown]
	s_branch .LBB266_18
.LBB266_27:
	s_load_dword s3, s[4:5], 0x50
	v_add_nc_u32_e32 v81, s8, v1
	ds_read_b64 v[38:39], v93 offset:1024
	ds_read_b64 v[46:47], v91 offset:3072
	v_add_nc_u32_e32 v44, s6, v0
	v_cmp_neq_f16_e64 s9, s2, 0
	v_mov_b32_e32 v40, 0
	v_mov_b32_e32 v41, 0
	v_ashrrev_i32_e32 v45, 31, v44
	s_and_b32 vcc_lo, exec_lo, s9
	v_lshlrev_b64 v[36:37], 1, v[44:45]
	s_waitcnt lgkmcnt(0)
	v_mad_i64_i32 v[1:2], null, v81, s3, 0
	v_lshlrev_b64 v[0:1], 1, v[1:2]
	v_add_co_u32 v115, s1, s12, v0
	v_add_co_ci_u32_e64 v116, null, s13, v1, s1
	s_cbranch_vccz .LBB266_29
; %bb.28:
	v_add_co_u32 v0, vcc_lo, v115, v36
	v_add_co_ci_u32_e64 v1, null, v116, v37, vcc_lo
	global_load_ushort v0, v[0:1], off
	s_waitcnt vmcnt(0)
	v_mul_f16_e32 v0, s2, v0
	v_cvt_f32_f16_e32 v41, v0
.LBB266_29:
	s_clause 0x1
	s_load_dwordx2 s[14:15], s[4:5], 0x70
	s_load_dword s4, s[4:5], 0x68
	v_pk_add_f16 v5, v38, v46
	v_pk_add_f16 v34, v39, v47
	v_max_f16_e32 v6, v114, v114
	v_lshrrev_b32_e32 v7, 16, v114
	v_add_nc_u32_e32 v4, 0x800, v91
	v_lshrrev_b32_e32 v35, 16, v5
	v_lshrrev_b32_e32 v42, 16, v34
	v_min_f16_e32 v45, v6, v5
	ds_read2_b64 v[0:3], v93 offset0:160 offset1:192
	ds_read_b64 v[32:33], v93 offset:1792
	ds_read2_b64 v[28:31], v4 offset0:136 offset1:144
	ds_read2_b64 v[24:27], v4 offset0:152 offset1:160
	;; [unrolled: 1-line block ×6, first 2 shown]
	v_min3_f16 v35, v7, v35, v42
	ds_read2_b64 v[4:7], v4 offset0:232 offset1:240
	v_add_nc_u32_e32 v117, 32, v44
	v_min3_f16 v45, v45, v34, v35
	ds_read_b64 v[34:35], v91 offset:4032
	s_waitcnt lgkmcnt(0)
	s_mul_i32 s1, s15, s7
	v_mad_i64_i32 v[42:43], null, v81, s4, 0
	s_mul_hi_u32 s5, s14, s7
	s_mul_i32 s14, s14, s7
	s_add_i32 s15, s5, s1
	v_max_f32_e32 v91, v41, v41
	v_cvt_f32_f16_e32 v45, v45
	s_lshl_b64 s[6:7], s[14:15], 1
	v_lshlrev_b64 v[41:42], 1, v[42:43]
	s_add_u32 s5, s10, s6
	s_addc_u32 s6, s11, s7
	v_min_f32_e32 v43, v91, v45
	v_ashrrev_i32_e32 v118, 31, v117
	v_cndmask_b32_e64 v45, 0, 1, s9
	v_add_co_u32 v91, vcc_lo, s5, v41
	v_add_co_ci_u32_e64 v93, null, s6, v42, vcc_lo
	v_cvt_f16_f32_e32 v41, v43
	v_add_co_u32 v119, vcc_lo, v91, v36
	v_lshlrev_b64 v[42:43], 1, v[117:118]
	v_cmp_ne_u32_e64 s1, 1, v45
	v_add_co_ci_u32_e64 v120, null, v93, v37, vcc_lo
	s_andn2_b32 vcc_lo, exec_lo, s9
	global_store_short v[119:120], v41, off
	s_cbranch_vccnz .LBB266_31
; %bb.30:
	v_add_co_u32 v40, vcc_lo, v115, v42
	v_add_co_ci_u32_e64 v41, null, v116, v43, vcc_lo
	global_load_ushort v40, v[40:41], off
	s_waitcnt vmcnt(0)
	v_mul_f16_e32 v40, s2, v40
	v_cvt_f32_f16_e32 v40, v40
.LBB266_31:
	v_pk_add_f16 v41, v0, v46
	v_pk_add_f16 v45, v1, v47
	v_max_f16_e32 v114, v113, v113
	v_lshrrev_b32_e32 v113, 16, v113
	v_max_f32_e32 v40, v40, v40
	v_lshrrev_b32_e32 v117, 16, v41
	v_lshrrev_b32_e32 v118, 16, v45
	v_min_f16_e32 v41, v114, v41
	v_add_co_u32 v119, vcc_lo, v91, v42
	v_add_co_ci_u32_e64 v120, null, v93, v43, vcc_lo
	v_min3_f16 v113, v113, v117, v118
	v_add_nc_u32_e32 v117, 64, v44
	s_and_b32 vcc_lo, exec_lo, s1
	v_min3_f16 v41, v41, v45, v113
	v_ashrrev_i32_e32 v118, 31, v117
	v_mov_b32_e32 v113, 0
	v_mov_b32_e32 v45, 0
	v_cvt_f32_f16_e32 v41, v41
	v_min_f32_e32 v40, v40, v41
	v_cvt_f16_f32_e32 v114, v40
	v_lshlrev_b64 v[40:41], 1, v[117:118]
	global_store_short v[119:120], v114, off
	s_cbranch_vccnz .LBB266_33
; %bb.32:
	v_add_co_u32 v117, vcc_lo, v115, v40
	v_add_co_ci_u32_e64 v118, null, v116, v41, vcc_lo
	global_load_ushort v45, v[117:118], off
	s_waitcnt vmcnt(0)
	v_mul_f16_e32 v45, s2, v45
	v_cvt_f32_f16_e32 v45, v45
.LBB266_33:
	v_pk_add_f16 v114, v2, v46
	v_pk_add_f16 v117, v3, v47
	v_max_f16_e32 v118, v112, v112
	v_lshrrev_b32_e32 v112, 16, v112
	v_add_nc_u32_e32 v44, 0x60, v44
	v_lshrrev_b32_e32 v119, 16, v114
	v_lshrrev_b32_e32 v120, 16, v117
	v_min_f16_e32 v114, v118, v114
	v_min3_f16 v112, v112, v119, v120
	v_min3_f16 v112, v114, v117, v112
	v_max_f32_e32 v114, v45, v45
	v_ashrrev_i32_e32 v45, 31, v44
	v_add_co_u32 v117, vcc_lo, v91, v40
	v_cvt_f32_f16_e32 v112, v112
	v_add_co_ci_u32_e64 v118, null, v93, v41, vcc_lo
	v_lshlrev_b64 v[44:45], 1, v[44:45]
	s_and_b32 vcc_lo, exec_lo, s1
	v_min_f32_e32 v112, v114, v112
	v_cvt_f16_f32_e32 v112, v112
	global_store_short v[117:118], v112, off
	s_cbranch_vccnz .LBB266_35
; %bb.34:
	v_add_co_u32 v112, vcc_lo, v115, v44
	v_add_co_ci_u32_e64 v113, null, v116, v45, vcc_lo
	global_load_ushort v112, v[112:113], off
	s_waitcnt vmcnt(0)
	v_mul_f16_e32 v112, s2, v112
	v_cvt_f32_f16_e32 v113, v112
.LBB266_35:
	v_pk_add_f16 v46, v32, v46
	v_pk_add_f16 v114, v33, v47
	v_max_f16_e32 v47, v111, v111
	v_lshrrev_b32_e32 v111, 16, v111
	v_add_nc_u32_e32 v112, 8, v81
	v_lshrrev_b32_e32 v115, 16, v46
	v_lshrrev_b32_e32 v116, 16, v114
	v_min_f16_e32 v117, v47, v46
	v_mad_i64_i32 v[46:47], null, v112, s3, 0
	v_min3_f16 v111, v111, v115, v116
	v_max_f32_e32 v115, v113, v113
	v_add_co_u32 v113, vcc_lo, v91, v44
	v_min3_f16 v111, v117, v114, v111
	v_lshlrev_b64 v[46:47], 1, v[46:47]
	v_add_co_ci_u32_e64 v114, null, v93, v45, vcc_lo
	v_cvt_f32_f16_e32 v111, v111
	v_add_co_u32 v46, vcc_lo, s12, v46
	v_add_co_ci_u32_e64 v47, null, s13, v47, vcc_lo
	v_min_f32_e32 v91, v115, v111
	v_mov_b32_e32 v111, 0
	s_and_b32 vcc_lo, exec_lo, s1
	v_cvt_f16_f32_e32 v93, v91
	v_mov_b32_e32 v91, 0
	global_store_short v[113:114], v93, off
	s_cbranch_vccnz .LBB266_37
; %bb.36:
	v_add_co_u32 v113, vcc_lo, v46, v36
	v_add_co_ci_u32_e64 v114, null, v47, v37, vcc_lo
	global_load_ushort v91, v[113:114], off
	s_waitcnt vmcnt(0)
	v_mul_f16_e32 v91, s2, v91
	v_cvt_f32_f16_e32 v91, v91
.LBB266_37:
	v_pk_add_f16 v93, v38, v28
	v_pk_add_f16 v114, v39, v29
	v_max_f16_e32 v113, v110, v110
	v_lshrrev_b32_e32 v110, 16, v110
	v_max_f32_e32 v91, v91, v91
	v_lshrrev_b32_e32 v115, 16, v93
	v_lshrrev_b32_e32 v116, 16, v114
	v_min_f16_e32 v93, v113, v93
	v_mad_i64_i32 v[112:113], null, v112, s4, 0
	v_min3_f16 v110, v110, v115, v116
	v_lshlrev_b64 v[112:113], 1, v[112:113]
	v_min3_f16 v93, v93, v114, v110
	v_cvt_f32_f16_e32 v93, v93
	v_min_f32_e32 v110, v91, v93
	v_add_co_u32 v91, vcc_lo, s5, v112
	v_add_co_ci_u32_e64 v93, null, s6, v113, vcc_lo
	v_cvt_f16_f32_e32 v110, v110
	v_add_co_u32 v112, vcc_lo, v91, v36
	v_add_co_ci_u32_e64 v113, null, v93, v37, vcc_lo
	s_and_b32 vcc_lo, exec_lo, s1
	global_store_short v[112:113], v110, off
	s_cbranch_vccnz .LBB266_39
; %bb.38:
	v_add_co_u32 v110, vcc_lo, v46, v42
	v_add_co_ci_u32_e64 v111, null, v47, v43, vcc_lo
	global_load_ushort v110, v[110:111], off
	s_waitcnt vmcnt(0)
	v_mul_f16_e32 v110, s2, v110
	v_cvt_f32_f16_e32 v111, v110
.LBB266_39:
	v_pk_add_f16 v110, v0, v28
	v_pk_add_f16 v112, v1, v29
	v_max_f16_e32 v113, v109, v109
	v_lshrrev_b32_e32 v109, 16, v109
	v_lshrrev_b32_e32 v114, 16, v110
	;; [unrolled: 1-line block ×3, first 2 shown]
	v_min_f16_e32 v110, v113, v110
	v_min3_f16 v109, v109, v114, v115
	v_min3_f16 v109, v110, v112, v109
	v_max_f32_e32 v110, v111, v111
	v_add_co_u32 v111, vcc_lo, v91, v42
	v_add_co_ci_u32_e64 v112, null, v93, v43, vcc_lo
	v_cvt_f32_f16_e32 v109, v109
	s_and_b32 vcc_lo, exec_lo, s1
	v_min_f32_e32 v109, v110, v109
	v_mov_b32_e32 v110, 0
	v_cvt_f16_f32_e32 v113, v109
	v_mov_b32_e32 v109, 0
	global_store_short v[111:112], v113, off
	s_cbranch_vccnz .LBB266_41
; %bb.40:
	v_add_co_u32 v110, vcc_lo, v46, v40
	v_add_co_ci_u32_e64 v111, null, v47, v41, vcc_lo
	global_load_ushort v110, v[110:111], off
	s_waitcnt vmcnt(0)
	v_mul_f16_e32 v110, s2, v110
	v_cvt_f32_f16_e32 v110, v110
.LBB266_41:
	v_pk_add_f16 v111, v2, v28
	v_pk_add_f16 v112, v3, v29
	v_max_f16_e32 v113, v108, v108
	v_lshrrev_b32_e32 v108, 16, v108
	v_max_f32_e32 v110, v110, v110
	v_lshrrev_b32_e32 v114, 16, v111
	v_lshrrev_b32_e32 v115, 16, v112
	v_min_f16_e32 v111, v113, v111
	v_min3_f16 v108, v108, v114, v115
	v_min3_f16 v108, v111, v112, v108
	v_cvt_f32_f16_e32 v108, v108
	v_min_f32_e32 v108, v110, v108
	v_add_co_u32 v110, vcc_lo, v91, v40
	v_add_co_ci_u32_e64 v111, null, v93, v41, vcc_lo
	v_cvt_f16_f32_e32 v108, v108
	s_and_b32 vcc_lo, exec_lo, s1
	global_store_short v[110:111], v108, off
	s_cbranch_vccnz .LBB266_43
; %bb.42:
	v_add_co_u32 v46, vcc_lo, v46, v44
	v_add_co_ci_u32_e64 v47, null, v47, v45, vcc_lo
	global_load_ushort v46, v[46:47], off
	s_waitcnt vmcnt(0)
	v_mul_f16_e32 v46, s2, v46
	v_cvt_f32_f16_e32 v109, v46
.LBB266_43:
	v_pk_add_f16 v28, v32, v28
	v_pk_add_f16 v47, v33, v29
	v_max_f16_e32 v29, v107, v107
	v_lshrrev_b32_e32 v107, 16, v107
	v_add_nc_u32_e32 v46, 16, v81
	v_lshrrev_b32_e32 v108, 16, v28
	v_lshrrev_b32_e32 v110, 16, v47
	v_min_f16_e32 v111, v29, v28
	v_max_f32_e32 v109, v109, v109
	v_mad_i64_i32 v[28:29], null, v46, s3, 0
	v_min3_f16 v107, v107, v108, v110
	v_min3_f16 v47, v111, v47, v107
	v_lshlrev_b64 v[28:29], 1, v[28:29]
	v_add_co_u32 v107, vcc_lo, v91, v44
	v_add_co_ci_u32_e64 v108, null, v93, v45, vcc_lo
	v_cvt_f32_f16_e32 v47, v47
	v_add_co_u32 v28, vcc_lo, s12, v28
	v_add_co_ci_u32_e64 v29, null, s13, v29, vcc_lo
	v_min_f32_e32 v47, v109, v47
	v_mov_b32_e32 v91, 0
	s_and_b32 vcc_lo, exec_lo, s1
	v_cvt_f16_f32_e32 v93, v47
	v_mov_b32_e32 v47, 0
	global_store_short v[107:108], v93, off
	s_cbranch_vccnz .LBB266_45
; %bb.44:
	v_add_co_u32 v107, vcc_lo, v28, v36
	v_add_co_ci_u32_e64 v108, null, v29, v37, vcc_lo
	global_load_ushort v47, v[107:108], off
	s_waitcnt vmcnt(0)
	v_mul_f16_e32 v47, s2, v47
	v_cvt_f32_f16_e32 v47, v47
.LBB266_45:
	v_pk_add_f16 v93, v38, v30
	v_pk_add_f16 v108, v39, v31
	v_max_f16_e32 v107, v106, v106
	v_lshrrev_b32_e32 v106, 16, v106
	v_lshrrev_b32_e32 v109, 16, v93
	;; [unrolled: 1-line block ×3, first 2 shown]
	v_min_f16_e32 v93, v107, v93
	v_min3_f16 v109, v106, v109, v110
	v_mad_i64_i32 v[106:107], null, v46, s4, 0
	v_min3_f16 v46, v93, v108, v109
	v_max_f32_e32 v93, v47, v47
	v_cvt_f32_f16_e32 v108, v46
	v_lshlrev_b64 v[46:47], 1, v[106:107]
	v_min_f32_e32 v93, v93, v108
	v_add_co_u32 v46, vcc_lo, s5, v46
	v_add_co_ci_u32_e64 v47, null, s6, v47, vcc_lo
	v_cvt_f16_f32_e32 v93, v93
	v_add_co_u32 v106, vcc_lo, v46, v36
	v_add_co_ci_u32_e64 v107, null, v47, v37, vcc_lo
	s_and_b32 vcc_lo, exec_lo, s1
	global_store_short v[106:107], v93, off
	s_cbranch_vccnz .LBB266_47
; %bb.46:
	v_add_co_u32 v106, vcc_lo, v28, v42
	v_add_co_ci_u32_e64 v107, null, v29, v43, vcc_lo
	global_load_ushort v91, v[106:107], off
	s_waitcnt vmcnt(0)
	v_mul_f16_e32 v91, s2, v91
	v_cvt_f32_f16_e32 v91, v91
.LBB266_47:
	v_pk_add_f16 v93, v0, v30
	v_pk_add_f16 v106, v1, v31
	v_max_f16_e32 v107, v105, v105
	v_lshrrev_b32_e32 v105, 16, v105
	v_max_f32_e32 v91, v91, v91
	v_lshrrev_b32_e32 v108, 16, v93
	v_lshrrev_b32_e32 v109, 16, v106
	v_min_f16_e32 v93, v107, v93
	v_min3_f16 v105, v105, v108, v109
	v_min3_f16 v93, v93, v106, v105
	v_add_co_u32 v105, vcc_lo, v46, v42
	v_add_co_ci_u32_e64 v106, null, v47, v43, vcc_lo
	v_cvt_f32_f16_e32 v93, v93
	s_and_b32 vcc_lo, exec_lo, s1
	v_min_f32_e32 v91, v91, v93
	v_mov_b32_e32 v93, 0
	v_cvt_f16_f32_e32 v107, v91
	v_mov_b32_e32 v91, 0
	global_store_short v[105:106], v107, off
	s_cbranch_vccnz .LBB266_49
; %bb.48:
	v_add_co_u32 v105, vcc_lo, v28, v40
	v_add_co_ci_u32_e64 v106, null, v29, v41, vcc_lo
	global_load_ushort v93, v[105:106], off
	s_waitcnt vmcnt(0)
	v_mul_f16_e32 v93, s2, v93
	v_cvt_f32_f16_e32 v93, v93
.LBB266_49:
	v_pk_add_f16 v105, v2, v30
	v_pk_add_f16 v106, v3, v31
	v_max_f16_e32 v107, v104, v104
	v_lshrrev_b32_e32 v104, 16, v104
	v_max_f32_e32 v93, v93, v93
	v_lshrrev_b32_e32 v108, 16, v105
	v_lshrrev_b32_e32 v109, 16, v106
	v_min_f16_e32 v105, v107, v105
	v_min3_f16 v104, v104, v108, v109
	v_min3_f16 v104, v105, v106, v104
	v_cvt_f32_f16_e32 v104, v104
	v_min_f32_e32 v93, v93, v104
	v_add_co_u32 v104, vcc_lo, v46, v40
	v_add_co_ci_u32_e64 v105, null, v47, v41, vcc_lo
	v_cvt_f16_f32_e32 v93, v93
	s_and_b32 vcc_lo, exec_lo, s1
	global_store_short v[104:105], v93, off
	s_cbranch_vccnz .LBB266_51
; %bb.50:
	v_add_co_u32 v28, vcc_lo, v28, v44
	v_add_co_ci_u32_e64 v29, null, v29, v45, vcc_lo
	global_load_ushort v28, v[28:29], off
	s_waitcnt vmcnt(0)
	v_mul_f16_e32 v28, s2, v28
	v_cvt_f32_f16_e32 v91, v28
.LBB266_51:
	v_pk_add_f16 v28, v32, v30
	v_pk_add_f16 v31, v33, v31
	v_max_f16_e32 v29, v103, v103
	v_lshrrev_b32_e32 v93, 16, v103
	v_add_nc_u32_e32 v30, 24, v81
	v_lshrrev_b32_e32 v103, 16, v28
	v_lshrrev_b32_e32 v104, 16, v31
	v_min_f16_e32 v105, v29, v28
	v_max_f32_e32 v91, v91, v91
	v_mad_i64_i32 v[28:29], null, v30, s3, 0
	v_min3_f16 v93, v93, v103, v104
	v_add_co_u32 v103, vcc_lo, v46, v44
	v_add_co_ci_u32_e64 v104, null, v47, v45, vcc_lo
	v_min3_f16 v31, v105, v31, v93
	v_lshlrev_b64 v[28:29], 1, v[28:29]
	v_mov_b32_e32 v46, 0
	v_cvt_f32_f16_e32 v31, v31
	v_add_co_u32 v28, vcc_lo, s12, v28
	v_add_co_ci_u32_e64 v29, null, s13, v29, vcc_lo
	v_min_f32_e32 v31, v91, v31
	s_and_b32 vcc_lo, exec_lo, s1
	v_cvt_f16_f32_e32 v47, v31
	v_mov_b32_e32 v31, 0
	global_store_short v[103:104], v47, off
	s_cbranch_vccnz .LBB266_53
; %bb.52:
	v_add_co_u32 v103, vcc_lo, v28, v36
	v_add_co_ci_u32_e64 v104, null, v29, v37, vcc_lo
	global_load_ushort v31, v[103:104], off
	s_waitcnt vmcnt(0)
	v_mul_f16_e32 v31, s2, v31
	v_cvt_f32_f16_e32 v31, v31
.LBB266_53:
	v_pk_add_f16 v47, v38, v24
	v_pk_add_f16 v91, v39, v25
	v_max_f16_e32 v93, v100, v100
	v_lshrrev_b32_e32 v100, 16, v100
	v_lshrrev_b32_e32 v103, 16, v47
	;; [unrolled: 1-line block ×3, first 2 shown]
	v_min_f16_e32 v47, v93, v47
	v_min3_f16 v93, v100, v103, v104
	v_mad_i64_i32 v[103:104], null, v30, s4, 0
	v_min3_f16 v30, v47, v91, v93
	v_max_f32_e32 v47, v31, v31
	v_cvt_f32_f16_e32 v91, v30
	v_lshlrev_b64 v[30:31], 1, v[103:104]
	v_min_f32_e32 v47, v47, v91
	v_add_co_u32 v30, vcc_lo, s5, v30
	v_add_co_ci_u32_e64 v31, null, s6, v31, vcc_lo
	v_cvt_f16_f32_e32 v47, v47
	v_add_co_u32 v103, vcc_lo, v30, v36
	v_add_co_ci_u32_e64 v104, null, v31, v37, vcc_lo
	s_and_b32 vcc_lo, exec_lo, s1
	global_store_short v[103:104], v47, off
	s_cbranch_vccnz .LBB266_55
; %bb.54:
	v_add_co_u32 v46, vcc_lo, v28, v42
	v_add_co_ci_u32_e64 v47, null, v29, v43, vcc_lo
	global_load_ushort v46, v[46:47], off
	s_waitcnt vmcnt(0)
	v_mul_f16_e32 v46, s2, v46
	v_cvt_f32_f16_e32 v46, v46
.LBB266_55:
	v_pk_add_f16 v47, v0, v24
	v_pk_add_f16 v91, v1, v25
	v_max_f16_e32 v93, v102, v102
	v_lshrrev_b32_e32 v100, 16, v102
	v_max_f32_e32 v46, v46, v46
	v_lshrrev_b32_e32 v102, 16, v47
	v_lshrrev_b32_e32 v103, 16, v91
	v_min_f16_e32 v47, v93, v47
	v_min3_f16 v93, v100, v102, v103
	v_add_co_u32 v102, vcc_lo, v30, v42
	v_add_co_ci_u32_e64 v103, null, v31, v43, vcc_lo
	v_min3_f16 v47, v47, v91, v93
	s_and_b32 vcc_lo, exec_lo, s1
	v_cvt_f32_f16_e32 v47, v47
	v_min_f32_e32 v46, v46, v47
	v_mov_b32_e32 v47, 0
	v_cvt_f16_f32_e32 v91, v46
	v_mov_b32_e32 v46, 0
	global_store_short v[102:103], v91, off
	s_cbranch_vccnz .LBB266_57
; %bb.56:
	v_add_co_u32 v102, vcc_lo, v28, v40
	v_add_co_ci_u32_e64 v103, null, v29, v41, vcc_lo
	global_load_ushort v47, v[102:103], off
	s_waitcnt vmcnt(0)
	v_mul_f16_e32 v47, s2, v47
	v_cvt_f32_f16_e32 v47, v47
.LBB266_57:
	v_pk_add_f16 v91, v2, v24
	v_pk_add_f16 v93, v3, v25
	v_max_f16_e32 v100, v101, v101
	v_lshrrev_b32_e32 v101, 16, v101
	v_max_f32_e32 v47, v47, v47
	v_lshrrev_b32_e32 v102, 16, v91
	v_lshrrev_b32_e32 v103, 16, v93
	v_min_f16_e32 v91, v100, v91
	v_min3_f16 v100, v101, v102, v103
	v_min3_f16 v91, v91, v93, v100
	v_add_co_u32 v100, vcc_lo, v30, v40
	v_add_co_ci_u32_e64 v101, null, v31, v41, vcc_lo
	v_cvt_f32_f16_e32 v91, v91
	s_and_b32 vcc_lo, exec_lo, s1
	v_min_f32_e32 v47, v47, v91
	v_cvt_f16_f32_e32 v47, v47
	global_store_short v[100:101], v47, off
	s_cbranch_vccnz .LBB266_59
; %bb.58:
	v_add_co_u32 v28, vcc_lo, v28, v44
	v_add_co_ci_u32_e64 v29, null, v29, v45, vcc_lo
	global_load_ushort v28, v[28:29], off
	s_waitcnt vmcnt(0)
	v_mul_f16_e32 v28, s2, v28
	v_cvt_f32_f16_e32 v46, v28
.LBB266_59:
	v_pk_add_f16 v24, v32, v24
	v_pk_add_f16 v29, v33, v25
	v_max_f16_e32 v25, v99, v99
	v_lshrrev_b32_e32 v47, 16, v99
	v_add_nc_u32_e32 v28, 32, v81
	v_lshrrev_b32_e32 v91, 16, v24
	v_lshrrev_b32_e32 v93, 16, v29
	v_min_f16_e32 v99, v25, v24
	v_mad_i64_i32 v[24:25], null, v28, s3, 0
	v_min3_f16 v47, v47, v91, v93
	v_max_f32_e32 v91, v46, v46
	v_add_co_u32 v46, vcc_lo, v30, v44
	v_mov_b32_e32 v30, 0
	v_min3_f16 v29, v99, v29, v47
	v_lshlrev_b64 v[24:25], 1, v[24:25]
	v_add_co_ci_u32_e64 v47, null, v31, v45, vcc_lo
	v_cvt_f32_f16_e32 v29, v29
	v_add_co_u32 v24, vcc_lo, s12, v24
	v_add_co_ci_u32_e64 v25, null, s13, v25, vcc_lo
	v_min_f32_e32 v29, v91, v29
	s_and_b32 vcc_lo, exec_lo, s1
	v_cvt_f16_f32_e32 v31, v29
	v_mov_b32_e32 v29, 0
	global_store_short v[46:47], v31, off
	s_cbranch_vccnz .LBB266_61
; %bb.60:
	v_add_co_u32 v46, vcc_lo, v24, v36
	v_add_co_ci_u32_e64 v47, null, v25, v37, vcc_lo
	global_load_ushort v29, v[46:47], off
	s_waitcnt vmcnt(0)
	v_mul_f16_e32 v29, s2, v29
	v_cvt_f32_f16_e32 v29, v29
.LBB266_61:
	v_pk_add_f16 v31, v38, v26
	v_pk_add_f16 v91, v39, v27
	v_max_f16_e32 v46, v98, v98
	v_lshrrev_b32_e32 v47, 16, v98
	v_lshrrev_b32_e32 v93, 16, v31
	;; [unrolled: 1-line block ×3, first 2 shown]
	v_min_f16_e32 v31, v46, v31
	v_min3_f16 v93, v47, v93, v98
	v_mad_i64_i32 v[46:47], null, v28, s4, 0
	v_min3_f16 v28, v31, v91, v93
	v_max_f32_e32 v31, v29, v29
	v_cvt_f32_f16_e32 v91, v28
	v_lshlrev_b64 v[28:29], 1, v[46:47]
	v_min_f32_e32 v31, v31, v91
	v_add_co_u32 v28, vcc_lo, s5, v28
	v_add_co_ci_u32_e64 v29, null, s6, v29, vcc_lo
	v_cvt_f16_f32_e32 v31, v31
	v_add_co_u32 v46, vcc_lo, v28, v36
	v_add_co_ci_u32_e64 v47, null, v29, v37, vcc_lo
	s_and_b32 vcc_lo, exec_lo, s1
	global_store_short v[46:47], v31, off
	s_cbranch_vccnz .LBB266_63
; %bb.62:
	v_add_co_u32 v30, vcc_lo, v24, v42
	v_add_co_ci_u32_e64 v31, null, v25, v43, vcc_lo
	global_load_ushort v30, v[30:31], off
	s_waitcnt vmcnt(0)
	v_mul_f16_e32 v30, s2, v30
	v_cvt_f32_f16_e32 v30, v30
.LBB266_63:
	v_pk_add_f16 v31, v0, v26
	v_pk_add_f16 v46, v1, v27
	v_max_f16_e32 v47, v97, v97
	v_lshrrev_b32_e32 v91, 16, v97
	v_max_f32_e32 v30, v30, v30
	v_lshrrev_b32_e32 v93, 16, v31
	v_lshrrev_b32_e32 v97, 16, v46
	v_min_f16_e32 v31, v47, v31
	v_min3_f16 v47, v91, v93, v97
	v_min3_f16 v31, v31, v46, v47
	v_add_co_u32 v46, vcc_lo, v28, v42
	v_add_co_ci_u32_e64 v47, null, v29, v43, vcc_lo
	v_cvt_f32_f16_e32 v31, v31
	s_and_b32 vcc_lo, exec_lo, s1
	v_min_f32_e32 v30, v30, v31
	v_mov_b32_e32 v31, 0
	v_cvt_f16_f32_e32 v91, v30
	v_mov_b32_e32 v30, 0
	global_store_short v[46:47], v91, off
	s_cbranch_vccnz .LBB266_65
; %bb.64:
	v_add_co_u32 v46, vcc_lo, v24, v40
	v_add_co_ci_u32_e64 v47, null, v25, v41, vcc_lo
	global_load_ushort v31, v[46:47], off
	s_waitcnt vmcnt(0)
	v_mul_f16_e32 v31, s2, v31
	v_cvt_f32_f16_e32 v31, v31
.LBB266_65:
	v_pk_add_f16 v46, v2, v26
	v_pk_add_f16 v47, v3, v27
	v_max_f16_e32 v91, v96, v96
	v_lshrrev_b32_e32 v93, 16, v96
	v_max_f32_e32 v31, v31, v31
	v_lshrrev_b32_e32 v96, 16, v46
	v_lshrrev_b32_e32 v97, 16, v47
	v_min_f16_e32 v46, v91, v46
	v_min3_f16 v91, v93, v96, v97
	v_min3_f16 v46, v46, v47, v91
	v_cvt_f32_f16_e32 v46, v46
	v_min_f32_e32 v31, v31, v46
	v_add_co_u32 v46, vcc_lo, v28, v40
	v_add_co_ci_u32_e64 v47, null, v29, v41, vcc_lo
	v_cvt_f16_f32_e32 v31, v31
	s_and_b32 vcc_lo, exec_lo, s1
	global_store_short v[46:47], v31, off
	s_cbranch_vccnz .LBB266_67
; %bb.66:
	v_add_co_u32 v24, vcc_lo, v24, v44
	v_add_co_ci_u32_e64 v25, null, v25, v45, vcc_lo
	global_load_ushort v24, v[24:25], off
	s_waitcnt vmcnt(0)
	v_mul_f16_e32 v24, s2, v24
	v_cvt_f32_f16_e32 v30, v24
.LBB266_67:
	v_pk_add_f16 v24, v32, v26
	v_pk_add_f16 v27, v33, v27
	v_max_f16_e32 v25, v95, v95
	v_lshrrev_b32_e32 v31, 16, v95
	v_add_nc_u32_e32 v26, 40, v81
	v_lshrrev_b32_e32 v46, 16, v24
	v_lshrrev_b32_e32 v47, 16, v27
	v_min_f16_e32 v91, v25, v24
	v_mad_i64_i32 v[24:25], null, v26, s3, 0
	v_min3_f16 v31, v31, v46, v47
	v_max_f32_e32 v46, v30, v30
	v_add_co_u32 v30, vcc_lo, v28, v44
	v_mov_b32_e32 v28, 0
	v_min3_f16 v27, v91, v27, v31
	v_lshlrev_b64 v[24:25], 1, v[24:25]
	v_add_co_ci_u32_e64 v31, null, v29, v45, vcc_lo
	v_cvt_f32_f16_e32 v27, v27
	v_add_co_u32 v24, vcc_lo, s12, v24
	v_add_co_ci_u32_e64 v25, null, s13, v25, vcc_lo
	v_min_f32_e32 v27, v46, v27
	s_and_b32 vcc_lo, exec_lo, s1
	v_cvt_f16_f32_e32 v29, v27
	v_mov_b32_e32 v27, 0
	global_store_short v[30:31], v29, off
	s_cbranch_vccnz .LBB266_69
; %bb.68:
	v_add_co_u32 v29, vcc_lo, v24, v36
	v_add_co_ci_u32_e64 v30, null, v25, v37, vcc_lo
	global_load_ushort v27, v[29:30], off
	s_waitcnt vmcnt(0)
	v_mul_f16_e32 v27, s2, v27
	v_cvt_f32_f16_e32 v27, v27
.LBB266_69:
	v_pk_add_f16 v29, v38, v20
	v_pk_add_f16 v31, v39, v21
	v_max_f16_e32 v30, v94, v94
	v_lshrrev_b32_e32 v46, 16, v94
	v_lshrrev_b32_e32 v47, 16, v29
	;; [unrolled: 1-line block ×3, first 2 shown]
	v_min_f16_e32 v93, v30, v29
	v_mad_i64_i32 v[29:30], null, v26, s4, 0
	v_min3_f16 v46, v46, v47, v91
	v_min3_f16 v26, v93, v31, v46
	v_max_f32_e32 v31, v27, v27
	v_cvt_f32_f16_e32 v46, v26
	v_lshlrev_b64 v[26:27], 1, v[29:30]
	v_min_f32_e32 v29, v31, v46
	v_add_co_u32 v26, vcc_lo, s5, v26
	v_add_co_ci_u32_e64 v27, null, s6, v27, vcc_lo
	v_cvt_f16_f32_e32 v31, v29
	v_add_co_u32 v29, vcc_lo, v26, v36
	v_add_co_ci_u32_e64 v30, null, v27, v37, vcc_lo
	s_and_b32 vcc_lo, exec_lo, s1
	global_store_short v[29:30], v31, off
	s_cbranch_vccnz .LBB266_71
; %bb.70:
	v_add_co_u32 v28, vcc_lo, v24, v42
	v_add_co_ci_u32_e64 v29, null, v25, v43, vcc_lo
	global_load_ushort v28, v[28:29], off
	s_waitcnt vmcnt(0)
	v_mul_f16_e32 v28, s2, v28
	v_cvt_f32_f16_e32 v28, v28
.LBB266_71:
	v_pk_add_f16 v29, v0, v20
	v_pk_add_f16 v30, v1, v21
	v_max_f16_e32 v31, v92, v92
	v_lshrrev_b32_e32 v46, 16, v92
	v_max_f32_e32 v28, v28, v28
	v_lshrrev_b32_e32 v47, 16, v29
	v_lshrrev_b32_e32 v91, 16, v30
	v_min_f16_e32 v29, v31, v29
	v_min3_f16 v31, v46, v47, v91
	v_min3_f16 v29, v29, v30, v31
	v_add_co_u32 v30, vcc_lo, v26, v42
	v_add_co_ci_u32_e64 v31, null, v27, v43, vcc_lo
	v_cvt_f32_f16_e32 v29, v29
	s_and_b32 vcc_lo, exec_lo, s1
	v_min_f32_e32 v28, v28, v29
	v_mov_b32_e32 v29, 0
	v_cvt_f16_f32_e32 v46, v28
	v_mov_b32_e32 v28, 0
	global_store_short v[30:31], v46, off
	s_cbranch_vccnz .LBB266_73
; %bb.72:
	v_add_co_u32 v29, vcc_lo, v24, v40
	v_add_co_ci_u32_e64 v30, null, v25, v41, vcc_lo
	global_load_ushort v29, v[29:30], off
	s_waitcnt vmcnt(0)
	v_mul_f16_e32 v29, s2, v29
	v_cvt_f32_f16_e32 v29, v29
.LBB266_73:
	v_pk_add_f16 v30, v2, v20
	v_pk_add_f16 v31, v3, v21
	v_max_f16_e32 v46, v90, v90
	v_lshrrev_b32_e32 v47, 16, v90
	v_max_f32_e32 v29, v29, v29
	v_lshrrev_b32_e32 v90, 16, v30
	v_lshrrev_b32_e32 v91, 16, v31
	v_min_f16_e32 v30, v46, v30
	v_min3_f16 v46, v47, v90, v91
	v_min3_f16 v30, v30, v31, v46
	v_cvt_f32_f16_e32 v30, v30
	v_min_f32_e32 v29, v29, v30
	v_cvt_f16_f32_e32 v31, v29
	v_add_co_u32 v29, vcc_lo, v26, v40
	v_add_co_ci_u32_e64 v30, null, v27, v41, vcc_lo
	s_and_b32 vcc_lo, exec_lo, s1
	global_store_short v[29:30], v31, off
	s_cbranch_vccnz .LBB266_75
; %bb.74:
	v_add_co_u32 v24, vcc_lo, v24, v44
	v_add_co_ci_u32_e64 v25, null, v25, v45, vcc_lo
	global_load_ushort v24, v[24:25], off
	s_waitcnt vmcnt(0)
	v_mul_f16_e32 v24, s2, v24
	v_cvt_f32_f16_e32 v28, v24
.LBB266_75:
	v_pk_add_f16 v20, v32, v20
	v_pk_add_f16 v25, v33, v21
	v_max_f16_e32 v21, v89, v89
	v_lshrrev_b32_e32 v29, 16, v89
	v_add_nc_u32_e32 v24, 48, v81
	v_lshrrev_b32_e32 v30, 16, v20
	v_lshrrev_b32_e32 v31, 16, v25
	v_min_f16_e32 v46, v21, v20
	v_mad_i64_i32 v[20:21], null, v24, s3, 0
	v_min3_f16 v29, v29, v30, v31
	v_max_f32_e32 v30, v28, v28
	v_add_co_u32 v28, vcc_lo, v26, v44
	v_mov_b32_e32 v26, 0
	v_min3_f16 v25, v46, v25, v29
	v_lshlrev_b64 v[20:21], 1, v[20:21]
	v_add_co_ci_u32_e64 v29, null, v27, v45, vcc_lo
	v_cvt_f32_f16_e32 v25, v25
	v_add_co_u32 v20, vcc_lo, s12, v20
	v_add_co_ci_u32_e64 v21, null, s13, v21, vcc_lo
	v_min_f32_e32 v25, v30, v25
	s_and_b32 vcc_lo, exec_lo, s1
	v_cvt_f16_f32_e32 v27, v25
	v_mov_b32_e32 v25, 0
	global_store_short v[28:29], v27, off
	s_cbranch_vccnz .LBB266_77
; %bb.76:
	v_add_co_u32 v27, vcc_lo, v20, v36
	v_add_co_ci_u32_e64 v28, null, v21, v37, vcc_lo
	global_load_ushort v25, v[27:28], off
	s_waitcnt vmcnt(0)
	v_mul_f16_e32 v25, s2, v25
	v_cvt_f32_f16_e32 v25, v25
.LBB266_77:
	v_pk_add_f16 v27, v38, v22
	v_pk_add_f16 v29, v39, v23
	v_max_f16_e32 v28, v88, v88
	v_lshrrev_b32_e32 v30, 16, v88
	v_lshrrev_b32_e32 v31, 16, v27
	;; [unrolled: 1-line block ×3, first 2 shown]
	v_min_f16_e32 v47, v28, v27
	v_mad_i64_i32 v[27:28], null, v24, s4, 0
	v_min3_f16 v30, v30, v31, v46
	v_min3_f16 v24, v47, v29, v30
	v_max_f32_e32 v29, v25, v25
	v_cvt_f32_f16_e32 v30, v24
	v_lshlrev_b64 v[24:25], 1, v[27:28]
	v_min_f32_e32 v27, v29, v30
	v_add_co_u32 v24, vcc_lo, s5, v24
	v_add_co_ci_u32_e64 v25, null, s6, v25, vcc_lo
	v_cvt_f16_f32_e32 v29, v27
	v_add_co_u32 v27, vcc_lo, v24, v36
	v_add_co_ci_u32_e64 v28, null, v25, v37, vcc_lo
	s_and_b32 vcc_lo, exec_lo, s1
	global_store_short v[27:28], v29, off
	s_cbranch_vccnz .LBB266_79
; %bb.78:
	v_add_co_u32 v26, vcc_lo, v20, v42
	v_add_co_ci_u32_e64 v27, null, v21, v43, vcc_lo
	global_load_ushort v26, v[26:27], off
	s_waitcnt vmcnt(0)
	v_mul_f16_e32 v26, s2, v26
	v_cvt_f32_f16_e32 v26, v26
.LBB266_79:
	v_pk_add_f16 v27, v0, v22
	v_pk_add_f16 v28, v1, v23
	v_max_f16_e32 v29, v87, v87
	v_lshrrev_b32_e32 v30, 16, v87
	v_max_f32_e32 v26, v26, v26
	v_lshrrev_b32_e32 v31, 16, v27
	v_lshrrev_b32_e32 v46, 16, v28
	v_min_f16_e32 v27, v29, v27
	v_min3_f16 v29, v30, v31, v46
	v_min3_f16 v27, v27, v28, v29
	v_add_co_u32 v28, vcc_lo, v24, v42
	v_add_co_ci_u32_e64 v29, null, v25, v43, vcc_lo
	v_cvt_f32_f16_e32 v27, v27
	s_and_b32 vcc_lo, exec_lo, s1
	v_min_f32_e32 v26, v26, v27
	v_mov_b32_e32 v27, 0
	v_cvt_f16_f32_e32 v30, v26
	v_mov_b32_e32 v26, 0
	global_store_short v[28:29], v30, off
	s_cbranch_vccnz .LBB266_81
; %bb.80:
	v_add_co_u32 v27, vcc_lo, v20, v40
	v_add_co_ci_u32_e64 v28, null, v21, v41, vcc_lo
	global_load_ushort v27, v[27:28], off
	s_waitcnt vmcnt(0)
	v_mul_f16_e32 v27, s2, v27
	v_cvt_f32_f16_e32 v27, v27
.LBB266_81:
	v_pk_add_f16 v28, v2, v22
	v_pk_add_f16 v29, v3, v23
	v_max_f16_e32 v30, v86, v86
	v_lshrrev_b32_e32 v31, 16, v86
	v_max_f32_e32 v27, v27, v27
	v_lshrrev_b32_e32 v46, 16, v28
	v_lshrrev_b32_e32 v47, 16, v29
	v_min_f16_e32 v28, v30, v28
	v_min3_f16 v30, v31, v46, v47
	v_min3_f16 v28, v28, v29, v30
	v_cvt_f32_f16_e32 v28, v28
	v_min_f32_e32 v27, v27, v28
	v_cvt_f16_f32_e32 v29, v27
	v_add_co_u32 v27, vcc_lo, v24, v40
	v_add_co_ci_u32_e64 v28, null, v25, v41, vcc_lo
	s_and_b32 vcc_lo, exec_lo, s1
	global_store_short v[27:28], v29, off
	s_cbranch_vccnz .LBB266_83
; %bb.82:
	v_add_co_u32 v20, vcc_lo, v20, v44
	v_add_co_ci_u32_e64 v21, null, v21, v45, vcc_lo
	global_load_ushort v20, v[20:21], off
	s_waitcnt vmcnt(0)
	v_mul_f16_e32 v20, s2, v20
	v_cvt_f32_f16_e32 v26, v20
.LBB266_83:
	v_pk_add_f16 v20, v32, v22
	v_pk_add_f16 v23, v33, v23
	v_max_f16_e32 v21, v85, v85
	v_lshrrev_b32_e32 v27, 16, v85
	v_add_nc_u32_e32 v22, 56, v81
	v_lshrrev_b32_e32 v28, 16, v20
	v_lshrrev_b32_e32 v29, 16, v23
	v_min_f16_e32 v30, v21, v20
	v_mad_i64_i32 v[20:21], null, v22, s3, 0
	v_min3_f16 v27, v27, v28, v29
	v_max_f32_e32 v28, v26, v26
	v_add_co_u32 v26, vcc_lo, v24, v44
	v_mov_b32_e32 v24, 0
	v_min3_f16 v23, v30, v23, v27
	v_lshlrev_b64 v[20:21], 1, v[20:21]
	v_add_co_ci_u32_e64 v27, null, v25, v45, vcc_lo
	v_cvt_f32_f16_e32 v23, v23
	v_add_co_u32 v20, vcc_lo, s12, v20
	v_add_co_ci_u32_e64 v21, null, s13, v21, vcc_lo
	v_min_f32_e32 v23, v28, v23
	s_and_b32 vcc_lo, exec_lo, s1
	v_cvt_f16_f32_e32 v25, v23
	v_mov_b32_e32 v23, 0
	global_store_short v[26:27], v25, off
	s_cbranch_vccnz .LBB266_85
; %bb.84:
	v_add_co_u32 v25, vcc_lo, v20, v36
	v_add_co_ci_u32_e64 v26, null, v21, v37, vcc_lo
	global_load_ushort v23, v[25:26], off
	s_waitcnt vmcnt(0)
	v_mul_f16_e32 v23, s2, v23
	v_cvt_f32_f16_e32 v23, v23
.LBB266_85:
	v_pk_add_f16 v25, v38, v16
	v_pk_add_f16 v27, v39, v17
	v_max_f16_e32 v26, v84, v84
	v_lshrrev_b32_e32 v28, 16, v84
	v_lshrrev_b32_e32 v29, 16, v25
	v_lshrrev_b32_e32 v30, 16, v27
	v_min_f16_e32 v31, v26, v25
	v_mad_i64_i32 v[25:26], null, v22, s4, 0
	v_min3_f16 v28, v28, v29, v30
	v_min3_f16 v22, v31, v27, v28
	v_max_f32_e32 v27, v23, v23
	v_cvt_f32_f16_e32 v28, v22
	v_lshlrev_b64 v[22:23], 1, v[25:26]
	v_min_f32_e32 v25, v27, v28
	v_add_co_u32 v22, vcc_lo, s5, v22
	v_add_co_ci_u32_e64 v23, null, s6, v23, vcc_lo
	v_cvt_f16_f32_e32 v27, v25
	v_add_co_u32 v25, vcc_lo, v22, v36
	v_add_co_ci_u32_e64 v26, null, v23, v37, vcc_lo
	s_and_b32 vcc_lo, exec_lo, s1
	global_store_short v[25:26], v27, off
	s_cbranch_vccnz .LBB266_87
; %bb.86:
	v_add_co_u32 v24, vcc_lo, v20, v42
	v_add_co_ci_u32_e64 v25, null, v21, v43, vcc_lo
	global_load_ushort v24, v[24:25], off
	s_waitcnt vmcnt(0)
	v_mul_f16_e32 v24, s2, v24
	v_cvt_f32_f16_e32 v24, v24
.LBB266_87:
	v_pk_add_f16 v25, v0, v16
	v_pk_add_f16 v26, v1, v17
	v_max_f16_e32 v27, v83, v83
	v_lshrrev_b32_e32 v28, 16, v83
	v_max_f32_e32 v24, v24, v24
	v_lshrrev_b32_e32 v29, 16, v25
	v_lshrrev_b32_e32 v30, 16, v26
	v_min_f16_e32 v25, v27, v25
	v_min3_f16 v27, v28, v29, v30
	v_min3_f16 v25, v25, v26, v27
	v_add_co_u32 v26, vcc_lo, v22, v42
	v_add_co_ci_u32_e64 v27, null, v23, v43, vcc_lo
	v_cvt_f32_f16_e32 v25, v25
	s_and_b32 vcc_lo, exec_lo, s1
	v_min_f32_e32 v24, v24, v25
	v_mov_b32_e32 v25, 0
	v_cvt_f16_f32_e32 v28, v24
	v_mov_b32_e32 v24, 0
	global_store_short v[26:27], v28, off
	s_cbranch_vccnz .LBB266_89
; %bb.88:
	v_add_co_u32 v25, vcc_lo, v20, v40
	v_add_co_ci_u32_e64 v26, null, v21, v41, vcc_lo
	global_load_ushort v25, v[25:26], off
	s_waitcnt vmcnt(0)
	v_mul_f16_e32 v25, s2, v25
	v_cvt_f32_f16_e32 v25, v25
.LBB266_89:
	v_pk_add_f16 v26, v2, v16
	v_pk_add_f16 v27, v3, v17
	v_max_f16_e32 v28, v82, v82
	v_lshrrev_b32_e32 v29, 16, v82
	v_max_f32_e32 v25, v25, v25
	v_lshrrev_b32_e32 v30, 16, v26
	v_lshrrev_b32_e32 v31, 16, v27
	v_min_f16_e32 v26, v28, v26
	v_min3_f16 v28, v29, v30, v31
	v_min3_f16 v26, v26, v27, v28
	v_cvt_f32_f16_e32 v26, v26
	v_min_f32_e32 v25, v25, v26
	v_cvt_f16_f32_e32 v27, v25
	v_add_co_u32 v25, vcc_lo, v22, v40
	v_add_co_ci_u32_e64 v26, null, v23, v41, vcc_lo
	s_and_b32 vcc_lo, exec_lo, s1
	global_store_short v[25:26], v27, off
	s_cbranch_vccnz .LBB266_91
; %bb.90:
	v_add_co_u32 v20, vcc_lo, v20, v44
	v_add_co_ci_u32_e64 v21, null, v21, v45, vcc_lo
	global_load_ushort v20, v[20:21], off
	s_waitcnt vmcnt(0)
	v_mul_f16_e32 v20, s2, v20
	v_cvt_f32_f16_e32 v24, v20
.LBB266_91:
	v_pk_add_f16 v16, v32, v16
	v_pk_add_f16 v21, v33, v17
	v_max_f16_e32 v17, v80, v80
	v_lshrrev_b32_e32 v25, 16, v80
	v_add_nc_u32_e32 v20, 64, v81
	v_lshrrev_b32_e32 v26, 16, v16
	v_lshrrev_b32_e32 v27, 16, v21
	v_min_f16_e32 v28, v17, v16
	v_mad_i64_i32 v[16:17], null, v20, s3, 0
	v_min3_f16 v25, v25, v26, v27
	v_max_f32_e32 v26, v24, v24
	v_add_co_u32 v24, vcc_lo, v22, v44
	v_mov_b32_e32 v22, 0
	v_min3_f16 v21, v28, v21, v25
	v_lshlrev_b64 v[16:17], 1, v[16:17]
	v_add_co_ci_u32_e64 v25, null, v23, v45, vcc_lo
	v_cvt_f32_f16_e32 v21, v21
	v_add_co_u32 v16, vcc_lo, s12, v16
	v_add_co_ci_u32_e64 v17, null, s13, v17, vcc_lo
	v_min_f32_e32 v21, v26, v21
	s_and_b32 vcc_lo, exec_lo, s1
	v_cvt_f16_f32_e32 v23, v21
	v_mov_b32_e32 v21, 0
	global_store_short v[24:25], v23, off
	s_cbranch_vccnz .LBB266_93
; %bb.92:
	v_add_co_u32 v23, vcc_lo, v16, v36
	v_add_co_ci_u32_e64 v24, null, v17, v37, vcc_lo
	global_load_ushort v21, v[23:24], off
	s_waitcnt vmcnt(0)
	v_mul_f16_e32 v21, s2, v21
	v_cvt_f32_f16_e32 v21, v21
.LBB266_93:
	v_pk_add_f16 v23, v38, v18
	v_pk_add_f16 v25, v39, v19
	v_max_f16_e32 v24, v79, v79
	v_lshrrev_b32_e32 v26, 16, v79
	v_lshrrev_b32_e32 v27, 16, v23
	;; [unrolled: 1-line block ×3, first 2 shown]
	v_min_f16_e32 v29, v24, v23
	v_mad_i64_i32 v[23:24], null, v20, s4, 0
	v_min3_f16 v26, v26, v27, v28
	v_min3_f16 v20, v29, v25, v26
	v_max_f32_e32 v25, v21, v21
	v_cvt_f32_f16_e32 v26, v20
	v_lshlrev_b64 v[20:21], 1, v[23:24]
	v_min_f32_e32 v23, v25, v26
	v_add_co_u32 v20, vcc_lo, s5, v20
	v_add_co_ci_u32_e64 v21, null, s6, v21, vcc_lo
	v_cvt_f16_f32_e32 v25, v23
	v_add_co_u32 v23, vcc_lo, v20, v36
	v_add_co_ci_u32_e64 v24, null, v21, v37, vcc_lo
	s_and_b32 vcc_lo, exec_lo, s1
	global_store_short v[23:24], v25, off
	s_cbranch_vccnz .LBB266_95
; %bb.94:
	v_add_co_u32 v22, vcc_lo, v16, v42
	v_add_co_ci_u32_e64 v23, null, v17, v43, vcc_lo
	global_load_ushort v22, v[22:23], off
	s_waitcnt vmcnt(0)
	v_mul_f16_e32 v22, s2, v22
	v_cvt_f32_f16_e32 v22, v22
.LBB266_95:
	v_pk_add_f16 v23, v0, v18
	v_pk_add_f16 v24, v1, v19
	v_max_f16_e32 v25, v78, v78
	v_lshrrev_b32_e32 v26, 16, v78
	v_max_f32_e32 v22, v22, v22
	v_lshrrev_b32_e32 v27, 16, v23
	v_lshrrev_b32_e32 v28, 16, v24
	v_min_f16_e32 v23, v25, v23
	v_min3_f16 v25, v26, v27, v28
	v_min3_f16 v23, v23, v24, v25
	v_add_co_u32 v24, vcc_lo, v20, v42
	v_add_co_ci_u32_e64 v25, null, v21, v43, vcc_lo
	v_cvt_f32_f16_e32 v23, v23
	s_and_b32 vcc_lo, exec_lo, s1
	v_min_f32_e32 v22, v22, v23
	v_mov_b32_e32 v23, 0
	v_cvt_f16_f32_e32 v26, v22
	v_mov_b32_e32 v22, 0
	global_store_short v[24:25], v26, off
	s_cbranch_vccnz .LBB266_97
; %bb.96:
	v_add_co_u32 v23, vcc_lo, v16, v40
	v_add_co_ci_u32_e64 v24, null, v17, v41, vcc_lo
	global_load_ushort v23, v[23:24], off
	s_waitcnt vmcnt(0)
	v_mul_f16_e32 v23, s2, v23
	v_cvt_f32_f16_e32 v23, v23
.LBB266_97:
	v_pk_add_f16 v24, v2, v18
	v_pk_add_f16 v25, v3, v19
	v_max_f16_e32 v26, v77, v77
	v_lshrrev_b32_e32 v27, 16, v77
	v_max_f32_e32 v23, v23, v23
	v_lshrrev_b32_e32 v28, 16, v24
	v_lshrrev_b32_e32 v29, 16, v25
	v_min_f16_e32 v24, v26, v24
	v_min3_f16 v26, v27, v28, v29
	v_min3_f16 v24, v24, v25, v26
	v_cvt_f32_f16_e32 v24, v24
	v_min_f32_e32 v23, v23, v24
	v_cvt_f16_f32_e32 v25, v23
	v_add_co_u32 v23, vcc_lo, v20, v40
	v_add_co_ci_u32_e64 v24, null, v21, v41, vcc_lo
	s_and_b32 vcc_lo, exec_lo, s1
	global_store_short v[23:24], v25, off
	s_cbranch_vccnz .LBB266_99
; %bb.98:
	v_add_co_u32 v16, vcc_lo, v16, v44
	v_add_co_ci_u32_e64 v17, null, v17, v45, vcc_lo
	global_load_ushort v16, v[16:17], off
	s_waitcnt vmcnt(0)
	v_mul_f16_e32 v16, s2, v16
	v_cvt_f32_f16_e32 v22, v16
.LBB266_99:
	v_pk_add_f16 v16, v32, v18
	v_pk_add_f16 v19, v33, v19
	v_max_f16_e32 v17, v76, v76
	v_lshrrev_b32_e32 v23, 16, v76
	v_add_nc_u32_e32 v18, 0x48, v81
	v_lshrrev_b32_e32 v24, 16, v16
	v_lshrrev_b32_e32 v25, 16, v19
	v_min_f16_e32 v26, v17, v16
	v_mad_i64_i32 v[16:17], null, v18, s3, 0
	v_min3_f16 v23, v23, v24, v25
	v_max_f32_e32 v24, v22, v22
	v_add_co_u32 v22, vcc_lo, v20, v44
	v_mov_b32_e32 v20, 0
	v_min3_f16 v19, v26, v19, v23
	v_lshlrev_b64 v[16:17], 1, v[16:17]
	v_add_co_ci_u32_e64 v23, null, v21, v45, vcc_lo
	v_cvt_f32_f16_e32 v19, v19
	v_add_co_u32 v16, vcc_lo, s12, v16
	v_add_co_ci_u32_e64 v17, null, s13, v17, vcc_lo
	v_min_f32_e32 v19, v24, v19
	s_and_b32 vcc_lo, exec_lo, s1
	v_cvt_f16_f32_e32 v21, v19
	v_mov_b32_e32 v19, 0
	global_store_short v[22:23], v21, off
	s_cbranch_vccnz .LBB266_101
; %bb.100:
	v_add_co_u32 v21, vcc_lo, v16, v36
	v_add_co_ci_u32_e64 v22, null, v17, v37, vcc_lo
	global_load_ushort v19, v[21:22], off
	s_waitcnt vmcnt(0)
	v_mul_f16_e32 v19, s2, v19
	v_cvt_f32_f16_e32 v19, v19
.LBB266_101:
	v_pk_add_f16 v21, v38, v12
	v_pk_add_f16 v23, v39, v13
	v_max_f16_e32 v22, v75, v75
	v_lshrrev_b32_e32 v24, 16, v75
	v_lshrrev_b32_e32 v25, 16, v21
	;; [unrolled: 1-line block ×3, first 2 shown]
	v_min_f16_e32 v27, v22, v21
	v_mad_i64_i32 v[21:22], null, v18, s4, 0
	v_min3_f16 v24, v24, v25, v26
	v_min3_f16 v18, v27, v23, v24
	v_max_f32_e32 v23, v19, v19
	v_cvt_f32_f16_e32 v24, v18
	v_lshlrev_b64 v[18:19], 1, v[21:22]
	v_min_f32_e32 v21, v23, v24
	v_add_co_u32 v18, vcc_lo, s5, v18
	v_add_co_ci_u32_e64 v19, null, s6, v19, vcc_lo
	v_cvt_f16_f32_e32 v23, v21
	v_add_co_u32 v21, vcc_lo, v18, v36
	v_add_co_ci_u32_e64 v22, null, v19, v37, vcc_lo
	s_and_b32 vcc_lo, exec_lo, s1
	global_store_short v[21:22], v23, off
	s_cbranch_vccnz .LBB266_103
; %bb.102:
	v_add_co_u32 v20, vcc_lo, v16, v42
	v_add_co_ci_u32_e64 v21, null, v17, v43, vcc_lo
	global_load_ushort v20, v[20:21], off
	s_waitcnt vmcnt(0)
	v_mul_f16_e32 v20, s2, v20
	v_cvt_f32_f16_e32 v20, v20
.LBB266_103:
	v_pk_add_f16 v21, v0, v12
	v_pk_add_f16 v22, v1, v13
	v_max_f16_e32 v23, v74, v74
	v_lshrrev_b32_e32 v24, 16, v74
	v_max_f32_e32 v20, v20, v20
	v_lshrrev_b32_e32 v25, 16, v21
	v_lshrrev_b32_e32 v26, 16, v22
	v_min_f16_e32 v21, v23, v21
	v_min3_f16 v23, v24, v25, v26
	v_min3_f16 v21, v21, v22, v23
	v_add_co_u32 v22, vcc_lo, v18, v42
	v_add_co_ci_u32_e64 v23, null, v19, v43, vcc_lo
	v_cvt_f32_f16_e32 v21, v21
	s_and_b32 vcc_lo, exec_lo, s1
	v_min_f32_e32 v20, v20, v21
	v_mov_b32_e32 v21, 0
	v_cvt_f16_f32_e32 v24, v20
	v_mov_b32_e32 v20, 0
	global_store_short v[22:23], v24, off
	s_cbranch_vccnz .LBB266_105
; %bb.104:
	v_add_co_u32 v21, vcc_lo, v16, v40
	v_add_co_ci_u32_e64 v22, null, v17, v41, vcc_lo
	global_load_ushort v21, v[21:22], off
	s_waitcnt vmcnt(0)
	v_mul_f16_e32 v21, s2, v21
	v_cvt_f32_f16_e32 v21, v21
.LBB266_105:
	v_pk_add_f16 v22, v2, v12
	v_pk_add_f16 v23, v3, v13
	v_max_f16_e32 v24, v72, v72
	v_lshrrev_b32_e32 v25, 16, v72
	v_max_f32_e32 v21, v21, v21
	v_lshrrev_b32_e32 v26, 16, v22
	v_lshrrev_b32_e32 v27, 16, v23
	v_min_f16_e32 v22, v24, v22
	v_min3_f16 v24, v25, v26, v27
	v_min3_f16 v22, v22, v23, v24
	v_cvt_f32_f16_e32 v22, v22
	v_min_f32_e32 v21, v21, v22
	v_cvt_f16_f32_e32 v23, v21
	v_add_co_u32 v21, vcc_lo, v18, v40
	v_add_co_ci_u32_e64 v22, null, v19, v41, vcc_lo
	s_and_b32 vcc_lo, exec_lo, s1
	global_store_short v[21:22], v23, off
	s_cbranch_vccnz .LBB266_107
; %bb.106:
	v_add_co_u32 v16, vcc_lo, v16, v44
	v_add_co_ci_u32_e64 v17, null, v17, v45, vcc_lo
	global_load_ushort v16, v[16:17], off
	s_waitcnt vmcnt(0)
	v_mul_f16_e32 v16, s2, v16
	v_cvt_f32_f16_e32 v20, v16
.LBB266_107:
	v_pk_add_f16 v12, v32, v12
	v_pk_add_f16 v17, v33, v13
	v_max_f16_e32 v13, v73, v73
	v_lshrrev_b32_e32 v21, 16, v73
	v_add_nc_u32_e32 v16, 0x50, v81
	v_lshrrev_b32_e32 v22, 16, v12
	v_lshrrev_b32_e32 v23, 16, v17
	v_min_f16_e32 v24, v13, v12
	v_mad_i64_i32 v[12:13], null, v16, s3, 0
	v_min3_f16 v21, v21, v22, v23
	v_max_f32_e32 v22, v20, v20
	v_add_co_u32 v20, vcc_lo, v18, v44
	v_mov_b32_e32 v18, 0
	v_min3_f16 v17, v24, v17, v21
	v_lshlrev_b64 v[12:13], 1, v[12:13]
	v_add_co_ci_u32_e64 v21, null, v19, v45, vcc_lo
	v_cvt_f32_f16_e32 v17, v17
	v_add_co_u32 v12, vcc_lo, s12, v12
	v_add_co_ci_u32_e64 v13, null, s13, v13, vcc_lo
	v_min_f32_e32 v17, v22, v17
	s_and_b32 vcc_lo, exec_lo, s1
	v_cvt_f16_f32_e32 v19, v17
	v_mov_b32_e32 v17, 0
	global_store_short v[20:21], v19, off
	s_cbranch_vccnz .LBB266_109
; %bb.108:
	v_add_co_u32 v19, vcc_lo, v12, v36
	v_add_co_ci_u32_e64 v20, null, v13, v37, vcc_lo
	global_load_ushort v17, v[19:20], off
	s_waitcnt vmcnt(0)
	v_mul_f16_e32 v17, s2, v17
	v_cvt_f32_f16_e32 v17, v17
.LBB266_109:
	v_pk_add_f16 v19, v38, v14
	v_pk_add_f16 v21, v39, v15
	v_max_f16_e32 v20, v71, v71
	v_lshrrev_b32_e32 v22, 16, v71
	v_lshrrev_b32_e32 v23, 16, v19
	;; [unrolled: 1-line block ×3, first 2 shown]
	v_min_f16_e32 v25, v20, v19
	v_mad_i64_i32 v[19:20], null, v16, s4, 0
	v_min3_f16 v22, v22, v23, v24
	v_min3_f16 v16, v25, v21, v22
	v_max_f32_e32 v21, v17, v17
	v_cvt_f32_f16_e32 v22, v16
	v_lshlrev_b64 v[16:17], 1, v[19:20]
	v_min_f32_e32 v19, v21, v22
	v_add_co_u32 v16, vcc_lo, s5, v16
	v_add_co_ci_u32_e64 v17, null, s6, v17, vcc_lo
	v_cvt_f16_f32_e32 v21, v19
	v_add_co_u32 v19, vcc_lo, v16, v36
	v_add_co_ci_u32_e64 v20, null, v17, v37, vcc_lo
	s_and_b32 vcc_lo, exec_lo, s1
	global_store_short v[19:20], v21, off
	s_cbranch_vccnz .LBB266_111
; %bb.110:
	v_add_co_u32 v18, vcc_lo, v12, v42
	v_add_co_ci_u32_e64 v19, null, v13, v43, vcc_lo
	global_load_ushort v18, v[18:19], off
	s_waitcnt vmcnt(0)
	v_mul_f16_e32 v18, s2, v18
	v_cvt_f32_f16_e32 v18, v18
.LBB266_111:
	v_pk_add_f16 v19, v0, v14
	v_pk_add_f16 v20, v1, v15
	v_max_f16_e32 v21, v70, v70
	v_lshrrev_b32_e32 v22, 16, v70
	v_max_f32_e32 v18, v18, v18
	v_lshrrev_b32_e32 v23, 16, v19
	v_lshrrev_b32_e32 v24, 16, v20
	v_min_f16_e32 v19, v21, v19
	v_min3_f16 v21, v22, v23, v24
	v_min3_f16 v19, v19, v20, v21
	v_add_co_u32 v20, vcc_lo, v16, v42
	v_add_co_ci_u32_e64 v21, null, v17, v43, vcc_lo
	v_cvt_f32_f16_e32 v19, v19
	s_and_b32 vcc_lo, exec_lo, s1
	v_min_f32_e32 v18, v18, v19
	v_mov_b32_e32 v19, 0
	v_cvt_f16_f32_e32 v22, v18
	v_mov_b32_e32 v18, 0
	global_store_short v[20:21], v22, off
	s_cbranch_vccnz .LBB266_113
; %bb.112:
	v_add_co_u32 v19, vcc_lo, v12, v40
	v_add_co_ci_u32_e64 v20, null, v13, v41, vcc_lo
	global_load_ushort v19, v[19:20], off
	s_waitcnt vmcnt(0)
	v_mul_f16_e32 v19, s2, v19
	v_cvt_f32_f16_e32 v19, v19
.LBB266_113:
	v_pk_add_f16 v20, v2, v14
	v_pk_add_f16 v21, v3, v15
	v_max_f16_e32 v22, v69, v69
	v_lshrrev_b32_e32 v23, 16, v69
	v_max_f32_e32 v19, v19, v19
	v_lshrrev_b32_e32 v24, 16, v20
	v_lshrrev_b32_e32 v25, 16, v21
	v_min_f16_e32 v20, v22, v20
	v_min3_f16 v22, v23, v24, v25
	v_min3_f16 v20, v20, v21, v22
	v_cvt_f32_f16_e32 v20, v20
	v_min_f32_e32 v19, v19, v20
	v_cvt_f16_f32_e32 v21, v19
	v_add_co_u32 v19, vcc_lo, v16, v40
	v_add_co_ci_u32_e64 v20, null, v17, v41, vcc_lo
	s_and_b32 vcc_lo, exec_lo, s1
	global_store_short v[19:20], v21, off
	s_cbranch_vccnz .LBB266_115
; %bb.114:
	v_add_co_u32 v12, vcc_lo, v12, v44
	v_add_co_ci_u32_e64 v13, null, v13, v45, vcc_lo
	global_load_ushort v12, v[12:13], off
	s_waitcnt vmcnt(0)
	v_mul_f16_e32 v12, s2, v12
	v_cvt_f32_f16_e32 v18, v12
.LBB266_115:
	v_pk_add_f16 v12, v32, v14
	v_pk_add_f16 v15, v33, v15
	v_max_f16_e32 v13, v68, v68
	v_lshrrev_b32_e32 v19, 16, v68
	v_add_nc_u32_e32 v14, 0x58, v81
	v_lshrrev_b32_e32 v20, 16, v12
	v_lshrrev_b32_e32 v21, 16, v15
	v_min_f16_e32 v22, v13, v12
	v_mad_i64_i32 v[12:13], null, v14, s3, 0
	v_min3_f16 v19, v19, v20, v21
	v_max_f32_e32 v20, v18, v18
	v_add_co_u32 v18, vcc_lo, v16, v44
	v_mov_b32_e32 v16, 0
	v_min3_f16 v15, v22, v15, v19
	v_lshlrev_b64 v[12:13], 1, v[12:13]
	v_add_co_ci_u32_e64 v19, null, v17, v45, vcc_lo
	v_cvt_f32_f16_e32 v15, v15
	v_add_co_u32 v12, vcc_lo, s12, v12
	v_add_co_ci_u32_e64 v13, null, s13, v13, vcc_lo
	v_min_f32_e32 v15, v20, v15
	s_and_b32 vcc_lo, exec_lo, s1
	v_cvt_f16_f32_e32 v17, v15
	v_mov_b32_e32 v15, 0
	global_store_short v[18:19], v17, off
	s_cbranch_vccnz .LBB266_117
; %bb.116:
	v_add_co_u32 v17, vcc_lo, v12, v36
	v_add_co_ci_u32_e64 v18, null, v13, v37, vcc_lo
	global_load_ushort v15, v[17:18], off
	s_waitcnt vmcnt(0)
	v_mul_f16_e32 v15, s2, v15
	v_cvt_f32_f16_e32 v15, v15
.LBB266_117:
	v_pk_add_f16 v17, v38, v8
	v_pk_add_f16 v19, v39, v9
	v_max_f16_e32 v18, v67, v67
	v_lshrrev_b32_e32 v20, 16, v67
	v_lshrrev_b32_e32 v21, 16, v17
	;; [unrolled: 1-line block ×3, first 2 shown]
	v_min_f16_e32 v23, v18, v17
	v_mad_i64_i32 v[17:18], null, v14, s4, 0
	v_min3_f16 v20, v20, v21, v22
	v_min3_f16 v14, v23, v19, v20
	v_max_f32_e32 v19, v15, v15
	v_cvt_f32_f16_e32 v20, v14
	v_lshlrev_b64 v[14:15], 1, v[17:18]
	v_min_f32_e32 v17, v19, v20
	v_add_co_u32 v14, vcc_lo, s5, v14
	v_add_co_ci_u32_e64 v15, null, s6, v15, vcc_lo
	v_cvt_f16_f32_e32 v19, v17
	v_add_co_u32 v17, vcc_lo, v14, v36
	v_add_co_ci_u32_e64 v18, null, v15, v37, vcc_lo
	s_and_b32 vcc_lo, exec_lo, s1
	global_store_short v[17:18], v19, off
	s_cbranch_vccnz .LBB266_119
; %bb.118:
	v_add_co_u32 v16, vcc_lo, v12, v42
	v_add_co_ci_u32_e64 v17, null, v13, v43, vcc_lo
	global_load_ushort v16, v[16:17], off
	s_waitcnt vmcnt(0)
	v_mul_f16_e32 v16, s2, v16
	v_cvt_f32_f16_e32 v16, v16
.LBB266_119:
	v_pk_add_f16 v17, v0, v8
	v_pk_add_f16 v18, v1, v9
	v_max_f16_e32 v19, v66, v66
	v_lshrrev_b32_e32 v20, 16, v66
	v_max_f32_e32 v16, v16, v16
	v_lshrrev_b32_e32 v21, 16, v17
	v_lshrrev_b32_e32 v22, 16, v18
	v_min_f16_e32 v17, v19, v17
	v_min3_f16 v19, v20, v21, v22
	v_min3_f16 v17, v17, v18, v19
	v_add_co_u32 v18, vcc_lo, v14, v42
	v_add_co_ci_u32_e64 v19, null, v15, v43, vcc_lo
	v_cvt_f32_f16_e32 v17, v17
	s_and_b32 vcc_lo, exec_lo, s1
	v_min_f32_e32 v16, v16, v17
	v_mov_b32_e32 v17, 0
	v_cvt_f16_f32_e32 v20, v16
	v_mov_b32_e32 v16, 0
	global_store_short v[18:19], v20, off
	s_cbranch_vccnz .LBB266_121
; %bb.120:
	v_add_co_u32 v17, vcc_lo, v12, v40
	v_add_co_ci_u32_e64 v18, null, v13, v41, vcc_lo
	global_load_ushort v17, v[17:18], off
	s_waitcnt vmcnt(0)
	v_mul_f16_e32 v17, s2, v17
	v_cvt_f32_f16_e32 v17, v17
.LBB266_121:
	v_pk_add_f16 v18, v2, v8
	v_pk_add_f16 v19, v3, v9
	v_max_f16_e32 v20, v65, v65
	v_lshrrev_b32_e32 v21, 16, v65
	v_max_f32_e32 v17, v17, v17
	v_lshrrev_b32_e32 v22, 16, v18
	v_lshrrev_b32_e32 v23, 16, v19
	v_min_f16_e32 v18, v20, v18
	v_min3_f16 v20, v21, v22, v23
	v_min3_f16 v18, v18, v19, v20
	v_cvt_f32_f16_e32 v18, v18
	v_min_f32_e32 v17, v17, v18
	v_cvt_f16_f32_e32 v19, v17
	v_add_co_u32 v17, vcc_lo, v14, v40
	v_add_co_ci_u32_e64 v18, null, v15, v41, vcc_lo
	s_and_b32 vcc_lo, exec_lo, s1
	global_store_short v[17:18], v19, off
	s_cbranch_vccnz .LBB266_123
; %bb.122:
	v_add_co_u32 v12, vcc_lo, v12, v44
	v_add_co_ci_u32_e64 v13, null, v13, v45, vcc_lo
	global_load_ushort v12, v[12:13], off
	s_waitcnt vmcnt(0)
	v_mul_f16_e32 v12, s2, v12
	v_cvt_f32_f16_e32 v16, v12
.LBB266_123:
	v_pk_add_f16 v8, v32, v8
	v_pk_add_f16 v13, v33, v9
	v_max_f16_e32 v9, v64, v64
	v_lshrrev_b32_e32 v17, 16, v64
	v_add_nc_u32_e32 v12, 0x60, v81
	v_lshrrev_b32_e32 v18, 16, v8
	v_lshrrev_b32_e32 v19, 16, v13
	v_min_f16_e32 v20, v9, v8
	v_mad_i64_i32 v[8:9], null, v12, s3, 0
	v_min3_f16 v17, v17, v18, v19
	v_max_f32_e32 v18, v16, v16
	v_add_co_u32 v16, vcc_lo, v14, v44
	v_mov_b32_e32 v14, 0
	v_min3_f16 v13, v20, v13, v17
	v_lshlrev_b64 v[8:9], 1, v[8:9]
	v_add_co_ci_u32_e64 v17, null, v15, v45, vcc_lo
	v_cvt_f32_f16_e32 v13, v13
	v_add_co_u32 v8, vcc_lo, s12, v8
	v_add_co_ci_u32_e64 v9, null, s13, v9, vcc_lo
	v_min_f32_e32 v13, v18, v13
	s_and_b32 vcc_lo, exec_lo, s1
	v_cvt_f16_f32_e32 v15, v13
	v_mov_b32_e32 v13, 0
	global_store_short v[16:17], v15, off
	s_cbranch_vccnz .LBB266_125
; %bb.124:
	v_add_co_u32 v15, vcc_lo, v8, v36
	v_add_co_ci_u32_e64 v16, null, v9, v37, vcc_lo
	global_load_ushort v13, v[15:16], off
	s_waitcnt vmcnt(0)
	v_mul_f16_e32 v13, s2, v13
	v_cvt_f32_f16_e32 v13, v13
.LBB266_125:
	v_pk_add_f16 v15, v38, v10
	v_pk_add_f16 v17, v39, v11
	v_max_f16_e32 v16, v63, v63
	v_lshrrev_b32_e32 v18, 16, v63
	v_lshrrev_b32_e32 v19, 16, v15
	;; [unrolled: 1-line block ×3, first 2 shown]
	v_min_f16_e32 v21, v16, v15
	v_mad_i64_i32 v[15:16], null, v12, s4, 0
	v_min3_f16 v18, v18, v19, v20
	v_min3_f16 v12, v21, v17, v18
	v_max_f32_e32 v17, v13, v13
	v_cvt_f32_f16_e32 v18, v12
	v_lshlrev_b64 v[12:13], 1, v[15:16]
	v_min_f32_e32 v15, v17, v18
	v_add_co_u32 v12, vcc_lo, s5, v12
	v_add_co_ci_u32_e64 v13, null, s6, v13, vcc_lo
	v_cvt_f16_f32_e32 v17, v15
	v_add_co_u32 v15, vcc_lo, v12, v36
	v_add_co_ci_u32_e64 v16, null, v13, v37, vcc_lo
	s_and_b32 vcc_lo, exec_lo, s1
	global_store_short v[15:16], v17, off
	s_cbranch_vccnz .LBB266_127
; %bb.126:
	v_add_co_u32 v14, vcc_lo, v8, v42
	v_add_co_ci_u32_e64 v15, null, v9, v43, vcc_lo
	global_load_ushort v14, v[14:15], off
	s_waitcnt vmcnt(0)
	v_mul_f16_e32 v14, s2, v14
	v_cvt_f32_f16_e32 v14, v14
.LBB266_127:
	v_pk_add_f16 v15, v0, v10
	v_pk_add_f16 v16, v1, v11
	v_max_f16_e32 v17, v62, v62
	v_lshrrev_b32_e32 v18, 16, v62
	v_max_f32_e32 v14, v14, v14
	v_lshrrev_b32_e32 v19, 16, v15
	v_lshrrev_b32_e32 v20, 16, v16
	v_min_f16_e32 v15, v17, v15
	v_min3_f16 v17, v18, v19, v20
	v_min3_f16 v15, v15, v16, v17
	v_add_co_u32 v16, vcc_lo, v12, v42
	v_add_co_ci_u32_e64 v17, null, v13, v43, vcc_lo
	v_cvt_f32_f16_e32 v15, v15
	s_and_b32 vcc_lo, exec_lo, s1
	v_min_f32_e32 v14, v14, v15
	v_mov_b32_e32 v15, 0
	v_cvt_f16_f32_e32 v18, v14
	v_mov_b32_e32 v14, 0
	global_store_short v[16:17], v18, off
	s_cbranch_vccnz .LBB266_129
; %bb.128:
	v_add_co_u32 v15, vcc_lo, v8, v40
	v_add_co_ci_u32_e64 v16, null, v9, v41, vcc_lo
	global_load_ushort v15, v[15:16], off
	s_waitcnt vmcnt(0)
	v_mul_f16_e32 v15, s2, v15
	v_cvt_f32_f16_e32 v15, v15
.LBB266_129:
	v_pk_add_f16 v16, v2, v10
	v_pk_add_f16 v17, v3, v11
	v_max_f16_e32 v18, v61, v61
	v_lshrrev_b32_e32 v19, 16, v61
	v_max_f32_e32 v15, v15, v15
	v_lshrrev_b32_e32 v20, 16, v16
	v_lshrrev_b32_e32 v21, 16, v17
	v_min_f16_e32 v16, v18, v16
	v_min3_f16 v18, v19, v20, v21
	v_min3_f16 v16, v16, v17, v18
	v_cvt_f32_f16_e32 v16, v16
	v_min_f32_e32 v15, v15, v16
	v_cvt_f16_f32_e32 v17, v15
	v_add_co_u32 v15, vcc_lo, v12, v40
	v_add_co_ci_u32_e64 v16, null, v13, v41, vcc_lo
	s_and_b32 vcc_lo, exec_lo, s1
	global_store_short v[15:16], v17, off
	s_cbranch_vccnz .LBB266_131
; %bb.130:
	v_add_co_u32 v8, vcc_lo, v8, v44
	v_add_co_ci_u32_e64 v9, null, v9, v45, vcc_lo
	global_load_ushort v8, v[8:9], off
	s_waitcnt vmcnt(0)
	v_mul_f16_e32 v8, s2, v8
	v_cvt_f32_f16_e32 v14, v8
.LBB266_131:
	v_pk_add_f16 v8, v32, v10
	v_pk_add_f16 v11, v33, v11
	v_max_f16_e32 v9, v60, v60
	v_lshrrev_b32_e32 v15, 16, v60
	v_add_nc_u32_e32 v10, 0x68, v81
	v_lshrrev_b32_e32 v16, 16, v8
	v_lshrrev_b32_e32 v17, 16, v11
	v_min_f16_e32 v18, v9, v8
	v_mad_i64_i32 v[8:9], null, v10, s3, 0
	v_min3_f16 v15, v15, v16, v17
	v_max_f32_e32 v16, v14, v14
	v_add_co_u32 v14, vcc_lo, v12, v44
	v_mov_b32_e32 v12, 0
	v_min3_f16 v11, v18, v11, v15
	v_lshlrev_b64 v[8:9], 1, v[8:9]
	v_add_co_ci_u32_e64 v15, null, v13, v45, vcc_lo
	v_cvt_f32_f16_e32 v11, v11
	v_add_co_u32 v8, vcc_lo, s12, v8
	v_add_co_ci_u32_e64 v9, null, s13, v9, vcc_lo
	v_min_f32_e32 v11, v16, v11
	s_and_b32 vcc_lo, exec_lo, s1
	v_cvt_f16_f32_e32 v13, v11
	v_mov_b32_e32 v11, 0
	global_store_short v[14:15], v13, off
	s_cbranch_vccnz .LBB266_133
; %bb.132:
	v_add_co_u32 v13, vcc_lo, v8, v36
	v_add_co_ci_u32_e64 v14, null, v9, v37, vcc_lo
	global_load_ushort v11, v[13:14], off
	s_waitcnt vmcnt(0)
	v_mul_f16_e32 v11, s2, v11
	v_cvt_f32_f16_e32 v11, v11
.LBB266_133:
	v_pk_add_f16 v13, v38, v4
	v_pk_add_f16 v15, v39, v5
	v_max_f16_e32 v14, v59, v59
	v_lshrrev_b32_e32 v16, 16, v59
	v_lshrrev_b32_e32 v17, 16, v13
	;; [unrolled: 1-line block ×3, first 2 shown]
	v_min_f16_e32 v19, v14, v13
	v_mad_i64_i32 v[13:14], null, v10, s4, 0
	v_min3_f16 v16, v16, v17, v18
	v_min3_f16 v10, v19, v15, v16
	v_max_f32_e32 v15, v11, v11
	v_cvt_f32_f16_e32 v16, v10
	v_lshlrev_b64 v[10:11], 1, v[13:14]
	v_min_f32_e32 v13, v15, v16
	v_add_co_u32 v10, vcc_lo, s5, v10
	v_add_co_ci_u32_e64 v11, null, s6, v11, vcc_lo
	v_cvt_f16_f32_e32 v15, v13
	v_add_co_u32 v13, vcc_lo, v10, v36
	v_add_co_ci_u32_e64 v14, null, v11, v37, vcc_lo
	s_and_b32 vcc_lo, exec_lo, s1
	global_store_short v[13:14], v15, off
	s_cbranch_vccnz .LBB266_135
; %bb.134:
	v_add_co_u32 v12, vcc_lo, v8, v42
	v_add_co_ci_u32_e64 v13, null, v9, v43, vcc_lo
	global_load_ushort v12, v[12:13], off
	s_waitcnt vmcnt(0)
	v_mul_f16_e32 v12, s2, v12
	v_cvt_f32_f16_e32 v12, v12
.LBB266_135:
	v_pk_add_f16 v13, v0, v4
	v_pk_add_f16 v14, v1, v5
	v_max_f16_e32 v15, v58, v58
	v_lshrrev_b32_e32 v16, 16, v58
	v_max_f32_e32 v12, v12, v12
	v_lshrrev_b32_e32 v17, 16, v13
	v_lshrrev_b32_e32 v18, 16, v14
	v_min_f16_e32 v13, v15, v13
	v_min3_f16 v15, v16, v17, v18
	v_min3_f16 v13, v13, v14, v15
	v_add_co_u32 v14, vcc_lo, v10, v42
	v_add_co_ci_u32_e64 v15, null, v11, v43, vcc_lo
	v_cvt_f32_f16_e32 v13, v13
	s_and_b32 vcc_lo, exec_lo, s1
	v_min_f32_e32 v12, v12, v13
	v_mov_b32_e32 v13, 0
	v_cvt_f16_f32_e32 v16, v12
	v_mov_b32_e32 v12, 0
	global_store_short v[14:15], v16, off
	s_cbranch_vccnz .LBB266_137
; %bb.136:
	v_add_co_u32 v13, vcc_lo, v8, v40
	v_add_co_ci_u32_e64 v14, null, v9, v41, vcc_lo
	global_load_ushort v13, v[13:14], off
	s_waitcnt vmcnt(0)
	v_mul_f16_e32 v13, s2, v13
	v_cvt_f32_f16_e32 v13, v13
.LBB266_137:
	v_pk_add_f16 v14, v2, v4
	v_pk_add_f16 v15, v3, v5
	v_max_f16_e32 v16, v57, v57
	v_lshrrev_b32_e32 v17, 16, v57
	v_max_f32_e32 v13, v13, v13
	v_lshrrev_b32_e32 v18, 16, v14
	v_lshrrev_b32_e32 v19, 16, v15
	v_min_f16_e32 v14, v16, v14
	v_min3_f16 v16, v17, v18, v19
	v_min3_f16 v14, v14, v15, v16
	v_cvt_f32_f16_e32 v14, v14
	v_min_f32_e32 v13, v13, v14
	v_cvt_f16_f32_e32 v15, v13
	v_add_co_u32 v13, vcc_lo, v10, v40
	v_add_co_ci_u32_e64 v14, null, v11, v41, vcc_lo
	s_and_b32 vcc_lo, exec_lo, s1
	global_store_short v[13:14], v15, off
	s_cbranch_vccnz .LBB266_139
; %bb.138:
	v_add_co_u32 v8, vcc_lo, v8, v44
	v_add_co_ci_u32_e64 v9, null, v9, v45, vcc_lo
	global_load_ushort v8, v[8:9], off
	s_waitcnt vmcnt(0)
	v_mul_f16_e32 v8, s2, v8
	v_cvt_f32_f16_e32 v12, v8
.LBB266_139:
	v_pk_add_f16 v4, v32, v4
	v_pk_add_f16 v9, v33, v5
	v_max_f16_e32 v5, v56, v56
	v_lshrrev_b32_e32 v13, 16, v56
	v_add_nc_u32_e32 v8, 0x70, v81
	v_lshrrev_b32_e32 v14, 16, v4
	v_lshrrev_b32_e32 v15, 16, v9
	v_min_f16_e32 v16, v5, v4
	v_mad_i64_i32 v[4:5], null, v8, s3, 0
	v_min3_f16 v13, v13, v14, v15
	v_max_f32_e32 v14, v12, v12
	v_add_co_u32 v12, vcc_lo, v10, v44
	v_mov_b32_e32 v10, 0
	v_min3_f16 v9, v16, v9, v13
	v_lshlrev_b64 v[4:5], 1, v[4:5]
	v_add_co_ci_u32_e64 v13, null, v11, v45, vcc_lo
	v_cvt_f32_f16_e32 v9, v9
	v_add_co_u32 v4, vcc_lo, s12, v4
	v_add_co_ci_u32_e64 v5, null, s13, v5, vcc_lo
	v_min_f32_e32 v9, v14, v9
	s_and_b32 vcc_lo, exec_lo, s1
	v_cvt_f16_f32_e32 v11, v9
	v_mov_b32_e32 v9, 0
	global_store_short v[12:13], v11, off
	s_cbranch_vccnz .LBB266_141
; %bb.140:
	v_add_co_u32 v11, vcc_lo, v4, v36
	v_add_co_ci_u32_e64 v12, null, v5, v37, vcc_lo
	global_load_ushort v9, v[11:12], off
	s_waitcnt vmcnt(0)
	v_mul_f16_e32 v9, s2, v9
	v_cvt_f32_f16_e32 v9, v9
.LBB266_141:
	v_pk_add_f16 v11, v38, v6
	v_pk_add_f16 v13, v39, v7
	v_max_f16_e32 v12, v53, v53
	v_lshrrev_b32_e32 v14, 16, v53
	v_lshrrev_b32_e32 v15, 16, v11
	v_lshrrev_b32_e32 v16, 16, v13
	v_min_f16_e32 v17, v12, v11
	v_mad_i64_i32 v[11:12], null, v8, s4, 0
	v_min3_f16 v14, v14, v15, v16
	v_min3_f16 v8, v17, v13, v14
	v_max_f32_e32 v13, v9, v9
	v_cvt_f32_f16_e32 v14, v8
	v_lshlrev_b64 v[8:9], 1, v[11:12]
	v_min_f32_e32 v11, v13, v14
	v_add_co_u32 v8, vcc_lo, s5, v8
	v_add_co_ci_u32_e64 v9, null, s6, v9, vcc_lo
	v_cvt_f16_f32_e32 v13, v11
	v_add_co_u32 v11, vcc_lo, v8, v36
	v_add_co_ci_u32_e64 v12, null, v9, v37, vcc_lo
	s_and_b32 vcc_lo, exec_lo, s1
	global_store_short v[11:12], v13, off
	s_cbranch_vccnz .LBB266_143
; %bb.142:
	v_add_co_u32 v10, vcc_lo, v4, v42
	v_add_co_ci_u32_e64 v11, null, v5, v43, vcc_lo
	global_load_ushort v10, v[10:11], off
	s_waitcnt vmcnt(0)
	v_mul_f16_e32 v10, s2, v10
	v_cvt_f32_f16_e32 v10, v10
.LBB266_143:
	v_pk_add_f16 v11, v0, v6
	v_pk_add_f16 v12, v1, v7
	v_max_f16_e32 v13, v52, v52
	v_lshrrev_b32_e32 v14, 16, v52
	v_max_f32_e32 v10, v10, v10
	v_lshrrev_b32_e32 v15, 16, v11
	v_lshrrev_b32_e32 v16, 16, v12
	v_min_f16_e32 v11, v13, v11
	v_min3_f16 v13, v14, v15, v16
	v_min3_f16 v11, v11, v12, v13
	v_add_co_u32 v12, vcc_lo, v8, v42
	v_add_co_ci_u32_e64 v13, null, v9, v43, vcc_lo
	v_cvt_f32_f16_e32 v11, v11
	s_and_b32 vcc_lo, exec_lo, s1
	v_min_f32_e32 v10, v10, v11
	v_mov_b32_e32 v11, 0
	v_cvt_f16_f32_e32 v14, v10
	v_mov_b32_e32 v10, 0
	global_store_short v[12:13], v14, off
	s_cbranch_vccnz .LBB266_145
; %bb.144:
	v_add_co_u32 v11, vcc_lo, v4, v40
	v_add_co_ci_u32_e64 v12, null, v5, v41, vcc_lo
	global_load_ushort v11, v[11:12], off
	s_waitcnt vmcnt(0)
	v_mul_f16_e32 v11, s2, v11
	v_cvt_f32_f16_e32 v11, v11
.LBB266_145:
	v_pk_add_f16 v12, v2, v6
	v_pk_add_f16 v13, v3, v7
	v_max_f16_e32 v14, v49, v49
	v_lshrrev_b32_e32 v15, 16, v49
	v_max_f32_e32 v11, v11, v11
	v_lshrrev_b32_e32 v16, 16, v12
	v_lshrrev_b32_e32 v17, 16, v13
	v_min_f16_e32 v12, v14, v12
	v_min3_f16 v14, v15, v16, v17
	v_min3_f16 v12, v12, v13, v14
	v_cvt_f32_f16_e32 v12, v12
	v_min_f32_e32 v11, v11, v12
	v_cvt_f16_f32_e32 v13, v11
	v_add_co_u32 v11, vcc_lo, v8, v40
	v_add_co_ci_u32_e64 v12, null, v9, v41, vcc_lo
	s_and_b32 vcc_lo, exec_lo, s1
	global_store_short v[11:12], v13, off
	s_cbranch_vccnz .LBB266_147
; %bb.146:
	v_add_co_u32 v4, vcc_lo, v4, v44
	v_add_co_ci_u32_e64 v5, null, v5, v45, vcc_lo
	global_load_ushort v4, v[4:5], off
	s_waitcnt vmcnt(0)
	v_mul_f16_e32 v4, s2, v4
	v_cvt_f32_f16_e32 v10, v4
.LBB266_147:
	v_pk_add_f16 v4, v32, v6
	v_pk_add_f16 v7, v33, v7
	v_max_f16_e32 v5, v55, v55
	v_lshrrev_b32_e32 v11, 16, v55
	v_add_nc_u32_e32 v6, 0x78, v81
	v_lshrrev_b32_e32 v12, 16, v4
	v_lshrrev_b32_e32 v13, 16, v7
	v_min_f16_e32 v14, v5, v4
	v_mad_i64_i32 v[4:5], null, v6, s3, 0
	v_min3_f16 v11, v11, v12, v13
	v_max_f32_e32 v12, v10, v10
	v_add_co_u32 v10, vcc_lo, v8, v44
	v_mov_b32_e32 v8, 0
	v_min3_f16 v7, v14, v7, v11
	v_lshlrev_b64 v[4:5], 1, v[4:5]
	v_add_co_ci_u32_e64 v11, null, v9, v45, vcc_lo
	v_cvt_f32_f16_e32 v7, v7
	v_add_co_u32 v4, vcc_lo, s12, v4
	v_add_co_ci_u32_e64 v5, null, s13, v5, vcc_lo
	v_min_f32_e32 v7, v12, v7
	s_and_b32 vcc_lo, exec_lo, s1
	v_cvt_f16_f32_e32 v9, v7
	v_mov_b32_e32 v7, 0
	global_store_short v[10:11], v9, off
	s_cbranch_vccnz .LBB266_149
; %bb.148:
	v_add_co_u32 v9, vcc_lo, v4, v36
	v_add_co_ci_u32_e64 v10, null, v5, v37, vcc_lo
	global_load_ushort v7, v[9:10], off
	s_waitcnt vmcnt(0)
	v_mul_f16_e32 v7, s2, v7
	v_cvt_f32_f16_e32 v7, v7
.LBB266_149:
	v_pk_add_f16 v9, v38, v34
	v_pk_add_f16 v11, v39, v35
	v_max_f16_e32 v10, v54, v54
	v_lshrrev_b32_e32 v12, 16, v54
	v_lshrrev_b32_e32 v13, 16, v9
	;; [unrolled: 1-line block ×3, first 2 shown]
	v_min_f16_e32 v15, v10, v9
	v_mad_i64_i32 v[9:10], null, v6, s4, 0
	v_min3_f16 v12, v12, v13, v14
	v_min3_f16 v6, v15, v11, v12
	v_max_f32_e32 v11, v7, v7
	v_cvt_f32_f16_e32 v12, v6
	v_lshlrev_b64 v[6:7], 1, v[9:10]
	v_min_f32_e32 v9, v11, v12
	v_add_co_u32 v6, vcc_lo, s5, v6
	v_add_co_ci_u32_e64 v7, null, s6, v7, vcc_lo
	v_cvt_f16_f32_e32 v11, v9
	v_add_co_u32 v9, vcc_lo, v6, v36
	v_add_co_ci_u32_e64 v10, null, v7, v37, vcc_lo
	s_and_b32 vcc_lo, exec_lo, s1
	global_store_short v[9:10], v11, off
	s_cbranch_vccnz .LBB266_151
; %bb.150:
	v_add_co_u32 v8, vcc_lo, v4, v42
	v_add_co_ci_u32_e64 v9, null, v5, v43, vcc_lo
	global_load_ushort v8, v[8:9], off
	s_waitcnt vmcnt(0)
	v_mul_f16_e32 v8, s2, v8
	v_cvt_f32_f16_e32 v8, v8
.LBB266_151:
	v_pk_add_f16 v0, v0, v34
	v_pk_add_f16 v1, v1, v35
	v_max_f16_e32 v9, v51, v51
	v_lshrrev_b32_e32 v10, 16, v51
	v_pk_add_f16 v3, v3, v35
	v_lshrrev_b32_e32 v11, 16, v0
	v_lshrrev_b32_e32 v12, 16, v1
	v_min_f16_e32 v0, v9, v0
	s_mov_b32 s1, -1
	v_min3_f16 v9, v10, v11, v12
	v_lshrrev_b32_e32 v10, 16, v50
	v_lshrrev_b32_e32 v12, 16, v3
	v_min3_f16 v0, v0, v1, v9
	v_pk_add_f16 v9, v2, v34
	v_max_f32_e32 v1, v8, v8
	v_max_f16_e32 v8, v50, v50
	v_cvt_f32_f16_e32 v0, v0
	v_lshrrev_b32_e32 v11, 16, v9
	v_min_f16_e32 v8, v8, v9
	v_min_f32_e32 v0, v1, v0
	v_min3_f16 v9, v10, v11, v12
	v_add_co_u32 v1, vcc_lo, v6, v42
	v_add_co_ci_u32_e64 v2, null, v7, v43, vcc_lo
	v_cvt_f16_f32_e32 v10, v0
	v_min3_f16 v0, v8, v3, v9
	s_mov_b32 vcc_lo, s0
	global_store_short v[1:2], v10, off
	s_cbranch_vccz .LBB266_153
; %bb.152:
	v_cvt_f32_f16_e32 v1, v0
	s_mov_b32 s1, 0
	v_min_f32_e32 v1, 0, v1
	v_cvt_f16_f32_e32 v3, v1
	v_add_co_u32 v1, vcc_lo, v6, v40
	v_add_co_ci_u32_e64 v2, null, v7, v41, vcc_lo
	global_store_short v[1:2], v3, off
.LBB266_153:
	v_mov_b32_e32 v1, 0
	s_andn2_b32 vcc_lo, exec_lo, s1
	s_cbranch_vccnz .LBB266_155
; %bb.154:
	v_add_co_u32 v1, vcc_lo, v4, v40
	v_add_co_ci_u32_e64 v2, null, v5, v41, vcc_lo
	global_load_ushort v1, v[1:2], off
	v_max_f16_e32 v2, v0, v0
	v_add_co_u32 v0, vcc_lo, v6, v40
	s_waitcnt vmcnt(0)
	v_mul_f16_e32 v3, s2, v1
	v_add_co_ci_u32_e64 v1, null, v7, v41, vcc_lo
	v_min_f16_e32 v8, v3, v2
	v_add_co_u32 v2, vcc_lo, v4, v44
	v_add_co_ci_u32_e64 v3, null, v5, v45, vcc_lo
	global_store_short v[0:1], v8, off
	global_load_ushort v0, v[2:3], off
	s_waitcnt vmcnt(0)
	v_mul_f16_e32 v0, s2, v0
	v_cvt_f32_f16_e32 v1, v0
.LBB266_155:
	v_pk_add_f16 v0, v32, v34
	v_pk_add_f16 v2, v33, v35
	v_max_f16_e32 v3, v48, v48
	v_lshrrev_b32_e32 v4, 16, v48
	v_max_f32_e32 v1, v1, v1
	v_lshrrev_b32_e32 v5, 16, v0
	v_lshrrev_b32_e32 v8, 16, v2
	v_min_f16_e32 v0, v3, v0
	v_min3_f16 v3, v4, v5, v8
	v_min3_f16 v0, v0, v2, v3
	v_cvt_f32_f16_e32 v0, v0
	v_min_f32_e32 v0, v1, v0
	v_cvt_f16_f32_e32 v2, v0
	v_add_co_u32 v0, vcc_lo, v6, v44
	v_add_co_ci_u32_e64 v1, null, v7, v45, vcc_lo
	global_store_short v[0:1], v2, off
	s_endpgm
.LBB266_156:
	s_mov_b64 s[16:17], 0
	s_andn2_b32 vcc_lo, exec_lo, s8
	s_mov_b32 s0, -1
	s_cbranch_vccz .LBB266_2
	s_branch .LBB266_3
	.section	.rodata,"a",@progbits
	.p2align	6, 0x0
	.amdhsa_kernel _ZN12_GLOBAL__N_120geam_min_plus_kernelIDF16_Dv2_DF16_S1_Li32ELi8ELi128ELi128ELi4ELi4ELi64ELi4ELi64ELc84ELc78ELb0ELb0ELb1EDF16_KDF16_DF16_EEviiiT16_PT17_ilS5_ilS3_S5_ilPT18_ili26rocblas_geam_ex_operation_
		.amdhsa_group_segment_fixed_size 4096
		.amdhsa_private_segment_fixed_size 0
		.amdhsa_kernarg_size 128
		.amdhsa_user_sgpr_count 6
		.amdhsa_user_sgpr_private_segment_buffer 1
		.amdhsa_user_sgpr_dispatch_ptr 0
		.amdhsa_user_sgpr_queue_ptr 0
		.amdhsa_user_sgpr_kernarg_segment_ptr 1
		.amdhsa_user_sgpr_dispatch_id 0
		.amdhsa_user_sgpr_flat_scratch_init 0
		.amdhsa_user_sgpr_private_segment_size 0
		.amdhsa_wavefront_size32 1
		.amdhsa_uses_dynamic_stack 0
		.amdhsa_system_sgpr_private_segment_wavefront_offset 0
		.amdhsa_system_sgpr_workgroup_id_x 1
		.amdhsa_system_sgpr_workgroup_id_y 0
		.amdhsa_system_sgpr_workgroup_id_z 1
		.amdhsa_system_sgpr_workgroup_info 0
		.amdhsa_system_vgpr_workitem_id 1
		.amdhsa_next_free_vgpr 149
		.amdhsa_next_free_sgpr 23
		.amdhsa_reserve_vcc 1
		.amdhsa_reserve_flat_scratch 0
		.amdhsa_float_round_mode_32 0
		.amdhsa_float_round_mode_16_64 0
		.amdhsa_float_denorm_mode_32 3
		.amdhsa_float_denorm_mode_16_64 3
		.amdhsa_dx10_clamp 1
		.amdhsa_ieee_mode 1
		.amdhsa_fp16_overflow 0
		.amdhsa_workgroup_processor_mode 1
		.amdhsa_memory_ordered 1
		.amdhsa_forward_progress 1
		.amdhsa_shared_vgpr_count 0
		.amdhsa_exception_fp_ieee_invalid_op 0
		.amdhsa_exception_fp_denorm_src 0
		.amdhsa_exception_fp_ieee_div_zero 0
		.amdhsa_exception_fp_ieee_overflow 0
		.amdhsa_exception_fp_ieee_underflow 0
		.amdhsa_exception_fp_ieee_inexact 0
		.amdhsa_exception_int_div_zero 0
	.end_amdhsa_kernel
	.section	.text._ZN12_GLOBAL__N_120geam_min_plus_kernelIDF16_Dv2_DF16_S1_Li32ELi8ELi128ELi128ELi4ELi4ELi64ELi4ELi64ELc84ELc78ELb0ELb0ELb1EDF16_KDF16_DF16_EEviiiT16_PT17_ilS5_ilS3_S5_ilPT18_ili26rocblas_geam_ex_operation_,"axG",@progbits,_ZN12_GLOBAL__N_120geam_min_plus_kernelIDF16_Dv2_DF16_S1_Li32ELi8ELi128ELi128ELi4ELi4ELi64ELi4ELi64ELc84ELc78ELb0ELb0ELb1EDF16_KDF16_DF16_EEviiiT16_PT17_ilS5_ilS3_S5_ilPT18_ili26rocblas_geam_ex_operation_,comdat
.Lfunc_end266:
	.size	_ZN12_GLOBAL__N_120geam_min_plus_kernelIDF16_Dv2_DF16_S1_Li32ELi8ELi128ELi128ELi4ELi4ELi64ELi4ELi64ELc84ELc78ELb0ELb0ELb1EDF16_KDF16_DF16_EEviiiT16_PT17_ilS5_ilS3_S5_ilPT18_ili26rocblas_geam_ex_operation_, .Lfunc_end266-_ZN12_GLOBAL__N_120geam_min_plus_kernelIDF16_Dv2_DF16_S1_Li32ELi8ELi128ELi128ELi4ELi4ELi64ELi4ELi64ELc84ELc78ELb0ELb0ELb1EDF16_KDF16_DF16_EEviiiT16_PT17_ilS5_ilS3_S5_ilPT18_ili26rocblas_geam_ex_operation_
                                        ; -- End function
	.set _ZN12_GLOBAL__N_120geam_min_plus_kernelIDF16_Dv2_DF16_S1_Li32ELi8ELi128ELi128ELi4ELi4ELi64ELi4ELi64ELc84ELc78ELb0ELb0ELb1EDF16_KDF16_DF16_EEviiiT16_PT17_ilS5_ilS3_S5_ilPT18_ili26rocblas_geam_ex_operation_.num_vgpr, 149
	.set _ZN12_GLOBAL__N_120geam_min_plus_kernelIDF16_Dv2_DF16_S1_Li32ELi8ELi128ELi128ELi4ELi4ELi64ELi4ELi64ELc84ELc78ELb0ELb0ELb1EDF16_KDF16_DF16_EEviiiT16_PT17_ilS5_ilS3_S5_ilPT18_ili26rocblas_geam_ex_operation_.num_agpr, 0
	.set _ZN12_GLOBAL__N_120geam_min_plus_kernelIDF16_Dv2_DF16_S1_Li32ELi8ELi128ELi128ELi4ELi4ELi64ELi4ELi64ELc84ELc78ELb0ELb0ELb1EDF16_KDF16_DF16_EEviiiT16_PT17_ilS5_ilS3_S5_ilPT18_ili26rocblas_geam_ex_operation_.numbered_sgpr, 23
	.set _ZN12_GLOBAL__N_120geam_min_plus_kernelIDF16_Dv2_DF16_S1_Li32ELi8ELi128ELi128ELi4ELi4ELi64ELi4ELi64ELc84ELc78ELb0ELb0ELb1EDF16_KDF16_DF16_EEviiiT16_PT17_ilS5_ilS3_S5_ilPT18_ili26rocblas_geam_ex_operation_.num_named_barrier, 0
	.set _ZN12_GLOBAL__N_120geam_min_plus_kernelIDF16_Dv2_DF16_S1_Li32ELi8ELi128ELi128ELi4ELi4ELi64ELi4ELi64ELc84ELc78ELb0ELb0ELb1EDF16_KDF16_DF16_EEviiiT16_PT17_ilS5_ilS3_S5_ilPT18_ili26rocblas_geam_ex_operation_.private_seg_size, 0
	.set _ZN12_GLOBAL__N_120geam_min_plus_kernelIDF16_Dv2_DF16_S1_Li32ELi8ELi128ELi128ELi4ELi4ELi64ELi4ELi64ELc84ELc78ELb0ELb0ELb1EDF16_KDF16_DF16_EEviiiT16_PT17_ilS5_ilS3_S5_ilPT18_ili26rocblas_geam_ex_operation_.uses_vcc, 1
	.set _ZN12_GLOBAL__N_120geam_min_plus_kernelIDF16_Dv2_DF16_S1_Li32ELi8ELi128ELi128ELi4ELi4ELi64ELi4ELi64ELc84ELc78ELb0ELb0ELb1EDF16_KDF16_DF16_EEviiiT16_PT17_ilS5_ilS3_S5_ilPT18_ili26rocblas_geam_ex_operation_.uses_flat_scratch, 0
	.set _ZN12_GLOBAL__N_120geam_min_plus_kernelIDF16_Dv2_DF16_S1_Li32ELi8ELi128ELi128ELi4ELi4ELi64ELi4ELi64ELc84ELc78ELb0ELb0ELb1EDF16_KDF16_DF16_EEviiiT16_PT17_ilS5_ilS3_S5_ilPT18_ili26rocblas_geam_ex_operation_.has_dyn_sized_stack, 0
	.set _ZN12_GLOBAL__N_120geam_min_plus_kernelIDF16_Dv2_DF16_S1_Li32ELi8ELi128ELi128ELi4ELi4ELi64ELi4ELi64ELc84ELc78ELb0ELb0ELb1EDF16_KDF16_DF16_EEviiiT16_PT17_ilS5_ilS3_S5_ilPT18_ili26rocblas_geam_ex_operation_.has_recursion, 0
	.set _ZN12_GLOBAL__N_120geam_min_plus_kernelIDF16_Dv2_DF16_S1_Li32ELi8ELi128ELi128ELi4ELi4ELi64ELi4ELi64ELc84ELc78ELb0ELb0ELb1EDF16_KDF16_DF16_EEviiiT16_PT17_ilS5_ilS3_S5_ilPT18_ili26rocblas_geam_ex_operation_.has_indirect_call, 0
	.section	.AMDGPU.csdata,"",@progbits
; Kernel info:
; codeLenInByte = 19872
; TotalNumSgprs: 25
; NumVgprs: 149
; ScratchSize: 0
; MemoryBound: 0
; FloatMode: 240
; IeeeMode: 1
; LDSByteSize: 4096 bytes/workgroup (compile time only)
; SGPRBlocks: 0
; VGPRBlocks: 18
; NumSGPRsForWavesPerEU: 25
; NumVGPRsForWavesPerEU: 149
; Occupancy: 6
; WaveLimiterHint : 0
; COMPUTE_PGM_RSRC2:SCRATCH_EN: 0
; COMPUTE_PGM_RSRC2:USER_SGPR: 6
; COMPUTE_PGM_RSRC2:TRAP_HANDLER: 0
; COMPUTE_PGM_RSRC2:TGID_X_EN: 1
; COMPUTE_PGM_RSRC2:TGID_Y_EN: 0
; COMPUTE_PGM_RSRC2:TGID_Z_EN: 1
; COMPUTE_PGM_RSRC2:TIDIG_COMP_CNT: 1
	.section	.text._ZN12_GLOBAL__N_120geam_min_plus_kernelIDF16_Dv2_DF16_S1_Li32ELi8ELi128ELi128ELi4ELi4ELi64ELi4ELi64ELc84ELc78ELb0ELb1ELb1EPKDF16_S2_DF16_EEviiiT16_PT17_ilS6_ilS4_S6_ilPT18_ili26rocblas_geam_ex_operation_,"axG",@progbits,_ZN12_GLOBAL__N_120geam_min_plus_kernelIDF16_Dv2_DF16_S1_Li32ELi8ELi128ELi128ELi4ELi4ELi64ELi4ELi64ELc84ELc78ELb0ELb1ELb1EPKDF16_S2_DF16_EEviiiT16_PT17_ilS6_ilS4_S6_ilPT18_ili26rocblas_geam_ex_operation_,comdat
	.globl	_ZN12_GLOBAL__N_120geam_min_plus_kernelIDF16_Dv2_DF16_S1_Li32ELi8ELi128ELi128ELi4ELi4ELi64ELi4ELi64ELc84ELc78ELb0ELb1ELb1EPKDF16_S2_DF16_EEviiiT16_PT17_ilS6_ilS4_S6_ilPT18_ili26rocblas_geam_ex_operation_ ; -- Begin function _ZN12_GLOBAL__N_120geam_min_plus_kernelIDF16_Dv2_DF16_S1_Li32ELi8ELi128ELi128ELi4ELi4ELi64ELi4ELi64ELc84ELc78ELb0ELb1ELb1EPKDF16_S2_DF16_EEviiiT16_PT17_ilS6_ilS4_S6_ilPT18_ili26rocblas_geam_ex_operation_
	.p2align	8
	.type	_ZN12_GLOBAL__N_120geam_min_plus_kernelIDF16_Dv2_DF16_S1_Li32ELi8ELi128ELi128ELi4ELi4ELi64ELi4ELi64ELc84ELc78ELb0ELb1ELb1EPKDF16_S2_DF16_EEviiiT16_PT17_ilS6_ilS4_S6_ilPT18_ili26rocblas_geam_ex_operation_,@function
_ZN12_GLOBAL__N_120geam_min_plus_kernelIDF16_Dv2_DF16_S1_Li32ELi8ELi128ELi128ELi4ELi4ELi64ELi4ELi64ELc84ELc78ELb0ELb1ELb1EPKDF16_S2_DF16_EEviiiT16_PT17_ilS6_ilS4_S6_ilPT18_ili26rocblas_geam_ex_operation_: ; @_ZN12_GLOBAL__N_120geam_min_plus_kernelIDF16_Dv2_DF16_S1_Li32ELi8ELi128ELi128ELi4ELi4ELi64ELi4ELi64ELc84ELc78ELb0ELb1ELb1EPKDF16_S2_DF16_EEviiiT16_PT17_ilS6_ilS4_S6_ilPT18_ili26rocblas_geam_ex_operation_
; %bb.0:
	s_clause 0x1
	s_load_dwordx4 s[0:3], s[4:5], 0x10
	s_load_dwordx4 s[8:11], s[4:5], 0x40
	s_mov_b32 s18, s7
	s_mov_b32 s19, 0
	v_mov_b32_e32 v2, 0
	s_lshl_b64 s[20:21], s[18:19], 1
	s_clause 0x1
	s_load_dwordx4 s[12:15], s[4:5], 0x28
	s_load_dwordx2 s[16:17], s[4:5], 0x50
	s_mov_b64 s[22:23], 0
	s_waitcnt lgkmcnt(0)
	s_add_u32 s0, s0, s20
	s_addc_u32 s1, s1, s21
	global_load_ushort v101, v2, s[0:1]
	s_add_u32 s0, s10, s20
	s_addc_u32 s1, s11, s21
	s_mov_b64 s[20:21], 0
	global_load_ushort v53, v2, s[0:1]
	s_waitcnt vmcnt(1)
	v_cmp_eq_f16_e32 vcc_lo, 0, v101
	v_cmp_neq_f16_e64 s0, 0, v101
	s_cbranch_vccnz .LBB267_2
; %bb.1:
	s_mul_i32 s1, s13, s18
	s_mul_hi_u32 s7, s12, s18
	s_mul_i32 s10, s12, s18
	s_add_i32 s11, s7, s1
	s_lshl_b64 s[10:11], s[10:11], 1
	s_add_u32 s22, s2, s10
	s_addc_u32 s23, s3, s11
.LBB267_2:
	s_andn2_b32 vcc_lo, exec_lo, s0
	s_cbranch_vccnz .LBB267_4
; %bb.3:
	s_mul_i32 s0, s9, s18
	s_mul_hi_u32 s1, s8, s18
	s_add_i32 s1, s1, s0
	s_mul_i32 s0, s8, s18
	s_lshl_b64 s[0:1], s[0:1], 1
	s_add_u32 s20, s14, s0
	s_addc_u32 s21, s15, s1
.LBB267_4:
	s_load_dwordx4 s[8:11], s[4:5], 0x60
	s_waitcnt vmcnt(0)
	v_cmp_eq_f16_e32 vcc_lo, 0, v53
	v_cmp_neq_f16_e64 s1, 0, v53
	s_cbranch_vccnz .LBB267_6
; %bb.5:
	s_waitcnt lgkmcnt(0)
	s_mul_i32 s0, s9, s18
	s_mul_hi_u32 s2, s8, s18
	s_add_i32 s3, s2, s0
	s_mul_i32 s2, s8, s18
	s_lshl_b64 s[2:3], s[2:3], 1
	s_add_u32 s16, s16, s2
	s_addc_u32 s17, s17, s3
	s_branch .LBB267_7
.LBB267_6:
	s_mov_b64 s[16:17], 0
.LBB267_7:
	s_clause 0x1
	s_load_dwordx4 s[12:15], s[4:5], 0x0
	s_load_dword s24, s[4:5], 0x20
	v_and_b32_e32 v104, 3, v0
	v_lshl_add_u32 v3, v1, 5, v0
	v_cmp_eq_f16_e32 vcc_lo, 0, v101
	v_lshrrev_b32_e32 v5, 2, v3
	s_waitcnt lgkmcnt(0)
	s_add_i32 s0, s12, -1
	s_ashr_i32 s2, s0, 31
	s_lshr_b32 s2, s2, 25
	s_add_i32 s0, s0, s2
	s_ashr_i32 s0, s0, 7
	s_add_i32 s2, s0, 1
	s_not_b32 s0, s0
	v_cvt_f32_u32_e32 v2, s2
	v_rcp_iflag_f32_e32 v2, v2
	v_mul_f32_e32 v2, 0x4f7ffffe, v2
	v_cvt_u32_f32_e32 v2, v2
	v_readfirstlane_b32 s3, v2
	s_mul_i32 s0, s0, s3
	s_mul_hi_u32 s0, s3, s0
	s_add_i32 s3, s3, s0
	s_mul_hi_u32 s0, s6, s3
	s_mul_i32 s3, s0, s2
	s_add_i32 s7, s0, 1
	s_sub_i32 s3, s6, s3
	s_sub_i32 s8, s3, s2
	s_cmp_ge_u32 s3, s2
	s_cselect_b32 s0, s7, s0
	s_cselect_b32 s3, s8, s3
	s_add_i32 s7, s0, 1
	s_cmp_ge_u32 s3, s2
	s_cselect_b32 s8, s7, s0
	s_add_i32 s19, s14, -1
	s_mul_i32 s0, s8, s2
	v_min_i32_e32 v2, s19, v104
	s_sub_i32 s0, s6, s0
	v_cmp_le_i32_e64 s7, s14, v104
	s_lshl_b32 s9, s0, 7
	v_ashrrev_i32_e32 v3, 31, v2
	v_add_nc_u32_e32 v14, s9, v5
	v_lshlrev_b64 v[2:3], 1, v[2:3]
	v_cmp_le_i32_e64 s0, s12, v14
	v_add_co_u32 v7, s2, s22, v2
	v_add_co_ci_u32_e64 v8, null, s23, v3, s2
	s_or_b32 s2, s7, s0
	v_cndmask_b32_e64 v4, 0, 0x7c00, s2
	s_nor_b32 s2, vcc_lo, s2
	s_and_saveexec_b32 s3, s2
	s_cbranch_execz .LBB267_9
; %bb.8:
	v_mad_i64_i32 v[9:10], null, v14, s24, 0
	v_lshlrev_b64 v[9:10], 1, v[9:10]
	v_add_co_u32 v9, s2, v7, v9
	v_add_co_ci_u32_e64 v10, null, v8, v10, s2
	global_load_ushort v4, v[9:10], off
	s_waitcnt vmcnt(0)
	v_mul_f16_e32 v4, v101, v4
.LBB267_9:
	s_or_b32 exec_lo, exec_lo, s3
	v_add_nc_u32_e32 v15, 64, v14
	v_cmp_le_i32_e64 s2, s12, v15
	s_or_b32 s3, s7, s2
	v_cndmask_b32_e64 v6, 0, 0x7c00, s3
	s_nor_b32 s3, vcc_lo, s3
	s_and_saveexec_b32 s6, s3
	s_cbranch_execz .LBB267_11
; %bb.10:
	v_mad_i64_i32 v[9:10], null, v15, s24, 0
	v_lshlrev_b64 v[9:10], 1, v[9:10]
	v_add_co_u32 v6, s3, v7, v9
	v_add_co_ci_u32_e64 v7, null, v8, v10, s3
	global_load_ushort v6, v[6:7], off
	s_waitcnt vmcnt(0)
	v_mul_f16_e32 v6, v101, v6
.LBB267_11:
	s_or_b32 exec_lo, exec_lo, s6
	s_load_dword s25, s[4:5], 0x38
	s_lshl_b32 s15, s8, 7
	v_add_co_u32 v2, s6, s20, v2
	v_add_nc_u32_e32 v16, s15, v5
	v_add_co_ci_u32_e64 v3, null, s21, v3, s6
	v_cmp_le_i32_e64 s3, s13, v16
	s_or_b32 s6, s7, s3
	v_cndmask_b32_e64 v7, 0, 0x7c00, s6
	s_nor_b32 s6, vcc_lo, s6
	s_and_saveexec_b32 s8, s6
	s_cbranch_execz .LBB267_13
; %bb.12:
	s_waitcnt lgkmcnt(0)
	v_mad_i64_i32 v[7:8], null, v16, s25, 0
	v_lshlrev_b64 v[7:8], 1, v[7:8]
	v_add_co_u32 v7, s6, v2, v7
	v_add_co_ci_u32_e64 v8, null, v3, v8, s6
	global_load_ushort v7, v[7:8], off
	s_waitcnt vmcnt(0)
	v_mul_f16_e32 v7, v101, v7
.LBB267_13:
	s_or_b32 exec_lo, exec_lo, s8
	v_add_nc_u32_e32 v17, 64, v16
	v_cmp_le_i32_e64 s6, s13, v17
	s_or_b32 s7, s7, s6
	v_cndmask_b32_e64 v8, 0, 0x7c00, s7
	s_nor_b32 s7, vcc_lo, s7
	s_and_saveexec_b32 s8, s7
	s_cbranch_execz .LBB267_15
; %bb.14:
	s_waitcnt lgkmcnt(0)
	v_mad_i64_i32 v[8:9], null, v17, s25, 0
	v_lshlrev_b64 v[8:9], 1, v[8:9]
	v_add_co_u32 v2, s7, v2, v8
	v_add_co_ci_u32_e64 v3, null, v3, v9, s7
	global_load_ushort v2, v[2:3], off
	s_waitcnt vmcnt(0)
	v_mul_f16_e32 v8, v101, v2
.LBB267_15:
	s_or_b32 exec_lo, exec_lo, s8
	v_or_b32_e32 v9, 4, v104
	v_min_i32_e32 v2, s19, v9
	v_cmp_le_i32_e64 s7, s14, v9
	v_ashrrev_i32_e32 v3, 31, v2
	v_lshlrev_b64 v[2:3], 1, v[2:3]
	v_add_co_u32 v9, s8, s22, v2
	v_add_co_ci_u32_e64 v10, null, s23, v3, s8
	s_or_b32 s8, s7, s0
	v_cndmask_b32_e64 v18, 0, 0x7c00, s8
	s_nor_b32 s8, vcc_lo, s8
	s_and_saveexec_b32 s26, s8
	s_cbranch_execz .LBB267_17
; %bb.16:
	v_mad_i64_i32 v[11:12], null, v14, s24, 0
	v_lshlrev_b64 v[11:12], 1, v[11:12]
	v_add_co_u32 v11, s8, v9, v11
	v_add_co_ci_u32_e64 v12, null, v10, v12, s8
	global_load_ushort v11, v[11:12], off
	s_waitcnt vmcnt(0)
	v_mul_f16_e32 v18, v101, v11
.LBB267_17:
	s_or_b32 exec_lo, exec_lo, s26
	s_or_b32 s8, s7, s2
	v_cndmask_b32_e64 v19, 0, 0x7c00, s8
	s_nor_b32 s8, vcc_lo, s8
	s_and_saveexec_b32 s26, s8
	s_cbranch_execz .LBB267_19
; %bb.18:
	v_mad_i64_i32 v[11:12], null, v15, s24, 0
	v_lshlrev_b64 v[11:12], 1, v[11:12]
	v_add_co_u32 v9, s8, v9, v11
	v_add_co_ci_u32_e64 v10, null, v10, v12, s8
	global_load_ushort v9, v[9:10], off
	s_waitcnt vmcnt(0)
	v_mul_f16_e32 v19, v101, v9
.LBB267_19:
	s_or_b32 exec_lo, exec_lo, s26
	v_add_co_u32 v2, s8, s20, v2
	v_add_co_ci_u32_e64 v3, null, s21, v3, s8
	s_or_b32 s8, s7, s3
	v_cndmask_b32_e64 v20, 0, 0x7c00, s8
	s_nor_b32 s8, vcc_lo, s8
	s_and_saveexec_b32 s26, s8
	s_cbranch_execz .LBB267_21
; %bb.20:
	s_waitcnt lgkmcnt(0)
	v_mad_i64_i32 v[9:10], null, v16, s25, 0
	v_lshlrev_b64 v[9:10], 1, v[9:10]
	v_add_co_u32 v9, s8, v2, v9
	v_add_co_ci_u32_e64 v10, null, v3, v10, s8
	global_load_ushort v9, v[9:10], off
	s_waitcnt vmcnt(0)
	v_mul_f16_e32 v20, v101, v9
.LBB267_21:
	s_or_b32 exec_lo, exec_lo, s26
	s_or_b32 s7, s7, s6
	v_cndmask_b32_e64 v21, 0, 0x7c00, s7
	s_nor_b32 s7, vcc_lo, s7
	s_and_saveexec_b32 s8, s7
	s_cbranch_execz .LBB267_23
; %bb.22:
	s_waitcnt lgkmcnt(0)
	v_mad_i64_i32 v[9:10], null, v17, s25, 0
	v_lshlrev_b64 v[9:10], 1, v[9:10]
	v_add_co_u32 v2, s7, v2, v9
	v_add_co_ci_u32_e64 v3, null, v3, v10, s7
	global_load_ushort v2, v[2:3], off
	s_waitcnt vmcnt(0)
	v_mul_f16_e32 v21, v101, v2
.LBB267_23:
	s_or_b32 exec_lo, exec_lo, s8
	v_lshlrev_b32_e32 v2, 3, v5
	v_lshlrev_b32_e32 v107, 3, v1
	;; [unrolled: 1-line block ×3, first 2 shown]
	s_cmp_lt_i32 s14, 9
	v_lshl_or_b32 v112, v104, 1, v2
	v_add_nc_u32_e32 v10, 0x800, v107
	ds_write_b16 v112, v4
	ds_write_b16 v112, v6 offset:512
	ds_write_b16 v112, v7 offset:2048
	;; [unrolled: 1-line block ×3, first 2 shown]
	s_waitcnt lgkmcnt(0)
	s_barrier
	buffer_gl0_inv
	ds_read2_b64 v[6:9], v106 offset1:32
	ds_read2_b64 v[22:25], v10 offset1:8
	ds_read2_b64 v[2:5], v106 offset0:64 offset1:96
	ds_read2_b64 v[26:29], v10 offset0:16 offset1:24
	;; [unrolled: 1-line block ×8, first 2 shown]
	ds_write_b16 v112, v18 offset:1024
	ds_write_b16 v112, v19 offset:1536
	;; [unrolled: 1-line block ×4, first 2 shown]
	s_waitcnt lgkmcnt(0)
	s_barrier
	buffer_gl0_inv
	v_pk_add_f16 v50, v6, v22
	v_pk_add_f16 v51, v8, v22
	;; [unrolled: 1-line block ×64, first 2 shown]
	v_pk_min_f16 v50, 0x7c00, v50 op_sel_hi:[0,1]
	v_pk_add_f16 v82, v9, v23
	v_pk_add_f16 v83, v3, v23
	;; [unrolled: 1-line block ×3, first 2 shown]
	v_pk_min_f16 v22, 0x7c00, v22 op_sel_hi:[0,1]
	v_pk_add_f16 v2, v4, v12
	v_pk_add_f16 v4, v7, v25
	v_pk_min_f16 v12, 0x7c00, v54 op_sel_hi:[0,1]
	v_pk_min_f16 v51, 0x7c00, v51 op_sel_hi:[0,1]
	;; [unrolled: 1-line block ×3, first 2 shown]
	v_pk_min_f16 v122, v50, v81
	v_pk_min_f16 v120, v22, v23
	v_pk_add_f16 v22, v9, v25
	v_pk_min_f16 v23, 0x7c00, v55 op_sel_hi:[0,1]
	v_pk_add_f16 v50, v3, v25
	v_pk_add_f16 v25, v5, v25
	v_pk_min_f16 v24, 0x7c00, v24 op_sel_hi:[0,1]
	v_pk_min_f16 v118, v12, v4
	v_pk_add_f16 v4, v9, v27
	v_pk_min_f16 v12, 0x7c00, v58 op_sel_hi:[0,1]
	v_pk_min_f16 v121, v51, v82
	v_pk_min_f16 v119, v52, v83
	v_pk_min_f16 v51, 0x7c00, v56 op_sel_hi:[0,1]
	v_pk_add_f16 v52, v7, v27
	v_pk_min_f16 v117, v23, v22
	v_pk_min_f16 v115, v24, v25
	v_pk_add_f16 v22, v3, v27
	v_pk_min_f16 v23, 0x7c00, v59 op_sel_hi:[0,1]
	v_pk_add_f16 v24, v5, v27
	v_pk_min_f16 v25, 0x7c00, v26 op_sel_hi:[0,1]
	;; [unrolled: 2-line block ×3, first 2 shown]
	v_pk_min_f16 v113, v12, v4
	v_pk_add_f16 v4, v3, v29
	v_pk_min_f16 v12, 0x7c00, v62 op_sel_hi:[0,1]
	v_pk_min_f16 v116, v51, v50
	v_pk_add_f16 v50, v9, v29
	v_pk_min_f16 v111, v23, v22
	v_pk_min_f16 v110, v25, v24
	v_pk_min_f16 v109, v27, v26
	v_pk_add_f16 v22, v5, v29
	v_pk_min_f16 v23, 0x7c00, v28 op_sel_hi:[0,1]
	v_pk_add_f16 v24, v7, v31
	v_pk_min_f16 v25, 0x7c00, v63 op_sel_hi:[0,1]
	v_pk_add_f16 v26, v9, v31
	v_pk_min_f16 v27, 0x7c00, v64 op_sel_hi:[0,1]
	v_pk_add_f16 v28, v3, v31
	v_pk_min_f16 v29, 0x7c00, v65 op_sel_hi:[0,1]
	v_pk_min_f16 v105, v12, v4
	v_pk_add_f16 v4, v5, v31
	v_pk_min_f16 v12, 0x7c00, v30 op_sel_hi:[0,1]
	v_pk_min_f16 v103, v23, v22
	v_pk_min_f16 v102, v25, v24
	v_pk_min_f16 v100, v27, v26
	v_pk_min_f16 v99, v29, v28
	v_pk_add_f16 v22, v7, v33
	v_pk_min_f16 v23, 0x7c00, v66 op_sel_hi:[0,1]
	v_pk_add_f16 v24, v9, v33
	v_pk_min_f16 v25, 0x7c00, v67 op_sel_hi:[0,1]
	v_pk_add_f16 v26, v3, v33
	v_pk_min_f16 v27, 0x7c00, v68 op_sel_hi:[0,1]
	v_pk_add_f16 v28, v5, v33
	v_pk_min_f16 v29, 0x7c00, v32 op_sel_hi:[0,1]
	v_pk_min_f16 v98, v12, v4
	v_pk_add_f16 v4, v7, v35
	v_pk_min_f16 v12, 0x7c00, v69 op_sel_hi:[0,1]
	v_pk_min_f16 v97, v23, v22
	;; [unrolled: 15-line block ×7, first 2 shown]
	v_pk_min_f16 v71, v25, v24
	v_pk_min_f16 v70, v27, v26
	;; [unrolled: 1-line block ×3, first 2 shown]
	v_pk_add_f16 v22, v3, v47
	v_pk_min_f16 v23, 0x7c00, v131 op_sel_hi:[0,1]
	v_pk_add_f16 v24, v5, v47
	v_pk_min_f16 v25, 0x7c00, v46 op_sel_hi:[0,1]
	;; [unrolled: 2-line block ×4, first 2 shown]
	v_pk_min_f16 v68, v12, v4
	v_pk_add_f16 v4, v3, v49
	v_pk_min_f16 v12, 0x7c00, v134 op_sel_hi:[0,1]
	v_pk_min_f16 v54, 0x7c00, v57 op_sel_hi:[0,1]
	;; [unrolled: 1-line block ×3, first 2 shown]
	v_pk_min_f16 v67, v23, v22
	v_pk_min_f16 v66, v25, v24
	;; [unrolled: 1-line block ×4, first 2 shown]
	v_pk_add_f16 v22, v5, v49
	v_pk_min_f16 v23, 0x7c00, v48 op_sel_hi:[0,1]
	v_pk_add_f16 v24, v7, v11
	v_pk_min_f16 v25, 0x7c00, v135 op_sel_hi:[0,1]
	;; [unrolled: 2-line block ×4, first 2 shown]
	v_pk_min_f16 v63, v12, v4
	v_pk_add_f16 v4, v5, v11
	v_pk_min_f16 v10, 0x7c00, v10 op_sel_hi:[0,1]
	v_pk_add_f16 v7, v7, v13
	v_pk_min_f16 v6, 0x7c00, v6 op_sel_hi:[0,1]
	;; [unrolled: 2-line block ×5, first 2 shown]
	v_pk_min_f16 v114, v54, v52
	v_pk_min_f16 v108, v51, v50
	;; [unrolled: 1-line block ×11, first 2 shown]
	s_cbranch_scc1 .LBB267_42
; %bb.24:
	v_mad_i64_i32 v[2:3], null, v14, s24, 0
	v_mad_i64_i32 v[4:5], null, v15, s24, 0
	;; [unrolled: 1-line block ×4, first 2 shown]
	v_lshlrev_b64 v[45:46], 1, v[2:3]
	v_add_nc_u32_e32 v123, 0x800, v112
	v_lshlrev_b64 v[47:48], 1, v[4:5]
	v_or_b32_e32 v124, 0x800, v107
	v_lshlrev_b64 v[49:50], 1, v[6:7]
	v_add_nc_u32_e32 v125, 0x400, v112
	v_lshlrev_b64 v[51:52], 1, v[8:9]
	v_add_nc_u32_e32 v126, 0xc00, v112
	v_lshl_add_u32 v127, v0, 3, 0x400
	v_lshl_add_u32 v128, v1, 3, 0xc00
	s_add_i32 s24, s14, -8
	s_mov_b32 s25, 0
	s_branch .LBB267_26
.LBB267_25:                             ;   in Loop: Header=BB267_26 Depth=1
	s_or_b32 exec_lo, exec_lo, s8
	v_pk_add_f16 v6, v9, v41
	v_pk_max_f16 v7, v122, v122
	v_pk_add_f16 v8, v11, v41
	v_pk_add_f16 v122, v13, v41
	v_pk_add_f16 v41, v15, v41
	v_pk_max_f16 v118, v118, v118
	v_pk_min_f16 v6, v7, v6
	v_pk_max_f16 v7, v119, v119
	v_pk_max_f16 v119, v120, v120
	v_pk_add_f16 v120, v9, v43
	v_pk_max_f16 v121, v121, v121
	v_pk_add_f16 v133, v11, v43
	v_pk_max_f16 v116, v116, v116
	v_pk_min_f16 v41, v119, v41
	v_pk_min_f16 v118, v118, v120
	v_pk_add_f16 v119, v13, v43
	v_pk_add_f16 v43, v15, v43
	v_pk_max_f16 v115, v115, v115
	v_pk_add_f16 v120, v9, v37
	v_pk_max_f16 v114, v114, v114
	v_pk_min_f16 v8, v121, v8
	v_pk_min_f16 v7, v7, v122
	v_pk_add_f16 v121, v11, v37
	v_pk_add_f16 v122, v13, v37
	v_pk_min_f16 v116, v116, v119
	v_pk_min_f16 v43, v115, v43
	;; [unrolled: 1-line block ×3, first 2 shown]
	v_pk_add_f16 v37, v15, v37
	v_pk_max_f16 v110, v110, v110
	v_pk_add_f16 v115, v9, v39
	v_pk_max_f16 v109, v109, v109
	v_pk_add_f16 v119, v11, v39
	v_pk_add_f16 v120, v13, v39
	;; [unrolled: 1-line block ×3, first 2 shown]
	v_pk_max_f16 v103, v103, v103
	v_pk_max_f16 v108, v108, v108
	v_pk_min_f16 v37, v110, v37
	v_pk_min_f16 v109, v109, v115
	v_pk_max_f16 v102, v102, v102
	v_pk_min_f16 v39, v103, v39
	v_pk_add_f16 v103, v9, v33
	v_pk_add_f16 v110, v11, v33
	;; [unrolled: 1-line block ×4, first 2 shown]
	v_pk_max_f16 v98, v98, v98
	v_pk_min_f16 v108, v108, v119
	v_pk_max_f16 v100, v100, v100
	v_pk_max_f16 v99, v99, v99
	v_pk_add_f16 v119, v9, v35
	v_pk_min_f16 v102, v102, v103
	v_pk_min_f16 v33, v98, v33
	v_pk_add_f16 v98, v11, v35
	v_pk_max_f16 v96, v96, v96
	v_pk_add_f16 v103, v13, v35
	v_pk_add_f16 v35, v15, v35
	v_pk_max_f16 v94, v94, v94
	v_pk_min_f16 v100, v100, v110
	v_pk_min_f16 v99, v99, v115
	v_pk_max_f16 v95, v95, v95
	v_pk_add_f16 v110, v9, v29
	v_pk_max_f16 v93, v93, v93
	v_pk_add_f16 v115, v11, v29
	v_pk_min_f16 v96, v96, v98
	v_pk_min_f16 v35, v94, v35
	v_pk_add_f16 v94, v13, v29
	v_pk_max_f16 v91, v91, v91
	v_pk_add_f16 v29, v15, v29
	v_pk_max_f16 v90, v90, v90
	;; [unrolled: 2-line block ×3, first 2 shown]
	v_pk_min_f16 v95, v95, v103
	v_pk_min_f16 v93, v93, v110
	v_pk_add_f16 v103, v11, v31
	v_pk_add_f16 v110, v13, v31
	v_pk_min_f16 v91, v91, v94
	v_pk_min_f16 v29, v90, v29
	;; [unrolled: 1-line block ×3, first 2 shown]
	v_pk_add_f16 v31, v15, v31
	v_pk_max_f16 v86, v86, v86
	v_pk_add_f16 v90, v9, v25
	v_pk_max_f16 v85, v85, v85
	v_pk_add_f16 v94, v11, v25
	v_pk_add_f16 v98, v13, v25
	;; [unrolled: 1-line block ×3, first 2 shown]
	v_pk_max_f16 v82, v82, v82
	v_pk_max_f16 v84, v84, v84
	v_pk_min_f16 v31, v86, v31
	v_pk_min_f16 v85, v85, v90
	v_pk_max_f16 v81, v81, v81
	v_pk_min_f16 v25, v82, v25
	v_pk_add_f16 v82, v9, v27
	v_pk_add_f16 v86, v11, v27
	;; [unrolled: 1-line block ×4, first 2 shown]
	v_pk_max_f16 v78, v78, v78
	v_pk_min_f16 v84, v84, v94
	v_pk_max_f16 v80, v80, v80
	v_pk_max_f16 v79, v79, v79
	v_pk_add_f16 v94, v9, v21
	v_pk_min_f16 v81, v81, v82
	v_pk_min_f16 v27, v78, v27
	v_pk_add_f16 v78, v11, v21
	v_pk_max_f16 v76, v76, v76
	v_pk_add_f16 v82, v13, v21
	v_pk_add_f16 v21, v15, v21
	v_pk_max_f16 v74, v74, v74
	v_pk_min_f16 v80, v80, v86
	v_pk_min_f16 v79, v79, v90
	v_pk_add_f16 v86, v9, v23
	v_pk_add_f16 v90, v11, v23
	v_pk_min_f16 v76, v76, v78
	v_pk_min_f16 v21, v74, v21
	v_pk_add_f16 v74, v13, v23
	v_pk_max_f16 v71, v71, v71
	v_pk_add_f16 v23, v15, v23
	v_pk_max_f16 v70, v70, v70
	;; [unrolled: 2-line block ×3, first 2 shown]
	v_pk_max_f16 v75, v75, v75
	v_pk_max_f16 v73, v73, v73
	v_pk_min_f16 v71, v71, v74
	v_pk_min_f16 v23, v70, v23
	v_pk_min_f16 v69, v69, v78
	v_pk_add_f16 v70, v9, v4
	v_pk_add_f16 v74, v11, v4
	;; [unrolled: 1-line block ×4, first 2 shown]
	v_pk_max_f16 v62, v62, v62
	v_pk_min_f16 v75, v75, v82
	v_pk_min_f16 v73, v73, v86
	v_pk_add_f16 v82, v11, v2
	v_pk_add_f16 v86, v13, v2
	;; [unrolled: 1-line block ×3, first 2 shown]
	v_pk_max_f16 v66, v66, v66
	v_pk_max_f16 v65, v65, v65
	;; [unrolled: 1-line block ×3, first 2 shown]
	v_pk_min_f16 v62, v62, v4
	v_pk_add_f16 v4, v9, v17
	v_pk_max_f16 v60, v60, v60
	v_pk_add_f16 v9, v9, v19
	v_pk_max_f16 v58, v58, v58
	v_pk_max_f16 v67, v67, v67
	;; [unrolled: 1-line block ×3, first 2 shown]
	v_pk_min_f16 v2, v66, v2
	v_pk_min_f16 v65, v65, v70
	v_pk_min_f16 v64, v64, v74
	v_pk_add_f16 v66, v11, v17
	v_pk_add_f16 v70, v13, v17
	;; [unrolled: 1-line block ×3, first 2 shown]
	v_pk_min_f16 v60, v60, v4
	v_pk_min_f16 v74, v58, v9
	v_pk_add_f16 v4, v11, v19
	v_pk_max_f16 v9, v56, v56
	v_pk_add_f16 v11, v13, v19
	v_pk_add_f16 v15, v15, v19
	;; [unrolled: 1-line block ×3, first 2 shown]
	v_pk_max_f16 v77, v77, v77
	v_pk_max_f16 v72, v72, v72
	v_pk_min_f16 v67, v67, v86
	v_pk_min_f16 v63, v63, v78
	;; [unrolled: 1-line block ×3, first 2 shown]
	v_pk_add_f16 v4, v12, v42
	v_pk_min_f16 v86, v6, v19
	v_pk_add_f16 v6, v14, v42
	v_pk_max_f16 v83, v83, v83
	v_pk_min_f16 v77, v77, v94
	v_pk_min_f16 v72, v72, v90
	;; [unrolled: 1-line block ×3, first 2 shown]
	v_pk_add_f16 v4, v16, v42
	v_pk_min_f16 v94, v7, v6
	v_pk_add_f16 v6, v14, v44
	v_pk_min_f16 v83, v83, v98
	v_pk_add_f16 v8, v10, v44
	v_pk_add_f16 v9, v12, v44
	v_pk_min_f16 v98, v41, v4
	v_pk_add_f16 v4, v16, v44
	v_pk_min_f16 v44, v116, v6
	v_pk_add_f16 v6, v10, v38
	v_pk_max_f16 v113, v113, v113
	v_pk_max_f16 v111, v111, v111
	v_pk_min_f16 v43, v43, v4
	v_pk_add_f16 v4, v16, v38
	v_pk_min_f16 v114, v114, v6
	v_pk_add_f16 v6, v10, v40
	v_pk_max_f16 v88, v88, v88
	v_pk_min_f16 v113, v113, v121
	v_pk_min_f16 v137, v37, v4
	v_pk_add_f16 v4, v12, v40
	v_pk_min_f16 v109, v109, v6
	v_pk_add_f16 v6, v10, v34
	v_pk_min_f16 v111, v111, v122
	v_pk_max_f16 v105, v105, v105
	v_pk_min_f16 v108, v108, v4
	v_pk_add_f16 v4, v12, v34
	v_pk_min_f16 v102, v102, v6
	v_pk_add_f16 v6, v14, v34
	v_pk_min_f16 v88, v88, v103
	v_pk_min_f16 v103, v118, v8
	v_pk_add_f16 v7, v12, v38
	v_pk_add_f16 v8, v14, v38
	v_pk_min_f16 v100, v100, v4
	v_pk_add_f16 v4, v12, v36
	v_pk_min_f16 v99, v99, v6
	v_pk_add_f16 v6, v14, v36
	v_pk_min_f16 v105, v105, v120
	v_pk_max_f16 v97, v97, v97
	v_pk_min_f16 v113, v113, v7
	v_pk_min_f16 v111, v111, v8
	v_pk_add_f16 v7, v14, v40
	v_pk_add_f16 v8, v16, v40
	v_pk_min_f16 v96, v96, v4
	v_pk_add_f16 v4, v16, v36
	v_pk_min_f16 v95, v95, v6
	v_pk_add_f16 v6, v14, v30
	v_pk_min_f16 v97, v97, v119
	v_pk_max_f16 v92, v92, v92
	;; [unrolled: 10-line block ×3, first 2 shown]
	v_pk_min_f16 v139, v33, v7
	v_pk_min_f16 v97, v97, v8
	v_pk_add_f16 v7, v10, v30
	v_pk_add_f16 v8, v12, v30
	v_pk_min_f16 v141, v29, v4
	v_pk_add_f16 v4, v16, v32
	v_pk_min_f16 v89, v89, v6
	;; [unrolled: 2-line block ×3, first 2 shown]
	v_pk_min_f16 v93, v93, v7
	v_pk_min_f16 v92, v92, v8
	v_pk_add_f16 v7, v12, v32
	v_pk_add_f16 v8, v14, v32
	v_pk_min_f16 v142, v31, v4
	v_pk_add_f16 v4, v12, v26
	v_pk_min_f16 v85, v85, v6
	v_pk_add_f16 v6, v10, v28
	v_pk_min_f16 v88, v88, v7
	v_pk_min_f16 v87, v87, v8
	v_pk_add_f16 v7, v14, v26
	v_pk_add_f16 v8, v16, v26
	v_pk_min_f16 v84, v84, v4
	v_pk_add_f16 v4, v12, v28
	v_pk_min_f16 v38, v81, v6
	v_pk_add_f16 v6, v14, v28
	v_pk_min_f16 v42, v83, v7
	v_pk_min_f16 v41, v25, v8
	v_pk_add_f16 v7, v16, v28
	v_pk_add_f16 v8, v10, v22
	v_pk_min_f16 v40, v80, v4
	v_pk_add_f16 v4, v12, v22
	v_pk_min_f16 v39, v79, v6
	v_pk_add_f16 v6, v14, v22
	v_pk_max_f16 v59, v59, v59
	v_pk_max_f16 v57, v57, v57
	;; [unrolled: 1-line block ×3, first 2 shown]
	v_pk_min_f16 v37, v27, v7
	v_pk_min_f16 v35, v77, v8
	;; [unrolled: 1-line block ×3, first 2 shown]
	v_pk_add_f16 v4, v16, v22
	v_pk_add_f16 v7, v10, v24
	;; [unrolled: 1-line block ×3, first 2 shown]
	v_pk_min_f16 v36, v75, v6
	v_pk_add_f16 v6, v14, v24
	v_pk_max_f16 v117, v117, v117
	v_pk_max_f16 v68, v68, v68
	v_pk_min_f16 v59, v59, v66
	v_pk_min_f16 v66, v57, v70
	;; [unrolled: 1-line block ×3, first 2 shown]
	v_pk_max_f16 v13, v55, v55
	v_pk_max_f16 v17, v54, v54
	v_pk_min_f16 v33, v21, v4
	v_pk_min_f16 v32, v73, v7
	;; [unrolled: 1-line block ×3, first 2 shown]
	v_pk_add_f16 v4, v16, v24
	v_pk_min_f16 v30, v71, v6
	v_pk_add_f16 v6, v10, v3
	v_pk_add_f16 v7, v12, v3
	v_pk_add_f16 v8, v14, v3
	v_pk_add_f16 v3, v16, v3
	v_pk_min_f16 v117, v117, v133
	v_pk_min_f16 v68, v68, v82
	;; [unrolled: 1-line block ×6, first 2 shown]
	v_pk_add_f16 v4, v10, v5
	v_pk_min_f16 v21, v2, v3
	v_pk_add_f16 v2, v12, v5
	v_pk_add_f16 v3, v14, v5
	;; [unrolled: 1-line block ×6, first 2 shown]
	v_pk_min_f16 v110, v117, v9
	v_pk_min_f16 v27, v68, v7
	;; [unrolled: 1-line block ×6, first 2 shown]
	ds_read2_b64 v[2:5], v106 offset1:32
	ds_read2_b64 v[54:57], v124 offset1:8
	v_pk_min_f16 v26, v62, v6
	ds_read2_b64 v[6:9], v106 offset0:64 offset1:96
	v_pk_min_f16 v24, v60, v13
	v_pk_min_f16 v23, v59, v17
	v_pk_min_f16 v17, v66, v58
	ds_read2_b64 v[58:61], v124 offset0:16 offset1:24
	v_pk_add_f16 v13, v16, v18
	v_pk_add_f16 v10, v10, v20
	;; [unrolled: 1-line block ×5, first 2 shown]
	v_pk_min_f16 v14, v70, v13
	v_pk_min_f16 v13, v74, v10
	;; [unrolled: 1-line block ×5, first 2 shown]
	ds_read2_b64 v[62:65], v124 offset0:32 offset1:40
	ds_read2_b64 v[66:69], v124 offset0:48 offset1:56
	;; [unrolled: 1-line block ×3, first 2 shown]
	v_pk_max_f16 v44, v44, v44
	s_waitcnt lgkmcnt(5)
	v_pk_add_f16 v16, v2, v54
	v_pk_add_f16 v18, v4, v54
	;; [unrolled: 1-line block ×4, first 2 shown]
	s_waitcnt lgkmcnt(4)
	v_pk_add_f16 v76, v6, v56
	v_pk_add_f16 v77, v8, v56
	s_waitcnt lgkmcnt(3)
	v_pk_add_f16 v78, v2, v58
	v_pk_add_f16 v79, v4, v58
	v_pk_add_f16 v80, v6, v58
	v_pk_add_f16 v81, v8, v58
	v_pk_max_f16 v56, v86, v86
	v_pk_max_f16 v58, v90, v90
	v_pk_add_f16 v20, v6, v54
	v_pk_max_f16 v86, v94, v94
	v_pk_add_f16 v82, v2, v60
	v_pk_min_f16 v16, v56, v16
	v_pk_add_f16 v56, v5, v55
	v_pk_min_f16 v18, v58, v18
	v_pk_add_f16 v83, v4, v60
	v_pk_add_f16 v143, v6, v60
	;; [unrolled: 1-line block ×4, first 2 shown]
	v_pk_min_f16 v121, v18, v56
	v_pk_max_f16 v18, v103, v103
	v_pk_min_f16 v20, v86, v20
	v_pk_add_f16 v86, v3, v57
	v_pk_add_f16 v54, v8, v54
	;; [unrolled: 1-line block ×3, first 2 shown]
	v_pk_min_f16 v18, v18, v74
	v_pk_min_f16 v122, v16, v60
	v_pk_max_f16 v16, v98, v98
	v_pk_add_f16 v103, v3, v59
	v_pk_min_f16 v119, v20, v58
	v_pk_min_f16 v118, v18, v86
	v_pk_max_f16 v18, v114, v114
	v_pk_add_f16 v20, v9, v55
	v_pk_min_f16 v16, v16, v54
	v_pk_max_f16 v58, v110, v110
	v_pk_add_f16 v90, v5, v57
	v_pk_min_f16 v18, v18, v78
	v_pk_add_f16 v98, v9, v57
	v_pk_min_f16 v120, v16, v20
	v_pk_min_f16 v16, v58, v75
	v_pk_max_f16 v20, v43, v43
	v_pk_min_f16 v114, v18, v103
	v_pk_max_f16 v18, v111, v111
	v_pk_add_f16 v151, v7, v59
	v_pk_min_f16 v117, v16, v90
	v_pk_min_f16 v16, v20, v77
	v_pk_add_f16 v153, v3, v61
	v_pk_min_f16 v18, v18, v80
	v_pk_add_f16 v155, v7, v61
	s_waitcnt lgkmcnt(0)
	v_pk_add_f16 v77, v2, v70
	v_pk_min_f16 v115, v16, v98
	v_pk_max_f16 v16, v113, v113
	v_pk_min_f16 v111, v18, v151
	v_pk_max_f16 v18, v109, v109
	v_pk_add_f16 v78, v4, v70
	v_pk_add_f16 v80, v6, v70
	v_pk_min_f16 v16, v16, v79
	v_pk_max_f16 v79, v105, v105
	v_pk_min_f16 v18, v18, v82
	v_pk_add_f16 v145, v2, v62
	v_pk_max_f16 v74, v137, v137
	v_pk_add_f16 v110, v5, v59
	v_pk_add_f16 v152, v9, v59
	v_pk_min_f16 v109, v18, v153
	v_pk_add_f16 v18, v8, v70
	v_pk_min_f16 v70, v79, v143
	;; [unrolled: 2-line block ×4, first 2 shown]
	v_pk_min_f16 v105, v70, v155
	v_pk_max_f16 v70, v102, v102
	v_pk_min_f16 v110, v74, v152
	v_pk_max_f16 v74, v108, v108
	v_pk_add_f16 v146, v4, v62
	v_pk_add_f16 v148, v2, v64
	v_pk_min_f16 v70, v70, v145
	v_pk_add_f16 v159, v7, v63
	v_pk_min_f16 v74, v74, v83
	v_pk_max_f16 v83, v100, v100
	v_pk_max_f16 v86, v97, v97
	v_pk_min_f16 v102, v70, v157
	v_pk_max_f16 v70, v99, v99
	v_pk_add_f16 v158, v5, v63
	v_pk_add_f16 v160, v3, v65
	v_pk_min_f16 v83, v83, v146
	v_pk_add_f16 v62, v8, v62
	v_pk_min_f16 v70, v70, v147
	v_pk_add_f16 v150, v6, v64
	v_pk_add_f16 v149, v4, v64
	v_pk_min_f16 v100, v83, v158
	v_pk_max_f16 v83, v139, v139
	v_pk_min_f16 v99, v70, v159
	v_pk_min_f16 v70, v86, v148
	v_pk_add_f16 v64, v8, v64
	v_pk_add_f16 v162, v7, v65
	v_pk_min_f16 v62, v83, v62
	v_pk_max_f16 v83, v140, v140
	v_pk_min_f16 v97, v70, v160
	v_pk_max_f16 v70, v95, v95
	v_pk_add_f16 v94, v7, v57
	v_pk_add_f16 v161, v5, v65
	;; [unrolled: 1-line block ×3, first 2 shown]
	v_pk_min_f16 v43, v44, v76
	v_pk_min_f16 v70, v70, v150
	v_pk_add_f16 v20, v2, v66
	v_pk_min_f16 v64, v83, v64
	v_pk_add_f16 v44, v6, v66
	v_pk_min_f16 v116, v43, v94
	v_pk_min_f16 v95, v70, v162
	v_pk_max_f16 v70, v93, v93
	v_pk_add_f16 v43, v4, v66
	v_pk_min_f16 v94, v64, v65
	v_pk_max_f16 v64, v92, v92
	v_pk_max_f16 v65, v91, v91
	v_pk_min_f16 v20, v70, v20
	v_pk_add_f16 v70, v3, v67
	v_pk_add_f16 v66, v8, v66
	v_pk_min_f16 v43, v64, v43
	v_pk_add_f16 v64, v5, v67
	v_pk_min_f16 v44, v65, v44
	;; [unrolled: 2-line block ×3, first 2 shown]
	v_pk_max_f16 v70, v141, v141
	v_pk_add_f16 v75, v2, v68
	v_pk_add_f16 v16, v4, v68
	v_pk_min_f16 v92, v43, v64
	v_pk_min_f16 v91, v44, v65
	v_pk_max_f16 v64, v89, v89
	v_pk_min_f16 v65, v70, v66
	v_pk_max_f16 v66, v88, v88
	v_pk_add_f16 v76, v6, v68
	v_pk_add_f16 v68, v8, v68
	v_pk_min_f16 v64, v64, v75
	v_pk_add_f16 v75, v5, v69
	v_pk_min_f16 v16, v66, v16
	v_pk_add_f16 v66, v3, v69
	ds_read2_b64 v[54:57], v124 offset0:80 offset1:88
	v_pk_add_f16 v67, v9, v67
	v_pk_max_f16 v42, v42, v42
	v_pk_min_f16 v88, v16, v75
	v_pk_max_f16 v16, v142, v142
	v_pk_min_f16 v89, v64, v66
	v_pk_add_f16 v64, v9, v69
	v_pk_add_f16 v154, v5, v61
	;; [unrolled: 1-line block ×3, first 2 shown]
	v_pk_min_f16 v16, v16, v68
	v_pk_add_f16 v82, v6, v72
	v_pk_min_f16 v90, v65, v67
	v_pk_add_f16 v65, v7, v69
	v_pk_add_f16 v69, v7, v71
	v_pk_min_f16 v86, v16, v64
	v_pk_max_f16 v16, v41, v41
	v_pk_min_f16 v42, v42, v80
	v_pk_add_f16 v41, v9, v71
	v_pk_max_f16 v39, v39, v39
	v_pk_add_f16 v79, v2, v72
	v_pk_min_f16 v16, v16, v18
	v_pk_max_f16 v18, v40, v40
	v_pk_min_f16 v108, v74, v154
	v_pk_max_f16 v74, v138, v138
	v_pk_add_f16 v72, v8, v72
	v_pk_min_f16 v83, v42, v69
	v_pk_add_f16 v42, v5, v73
	v_pk_min_f16 v18, v18, v81
	v_pk_min_f16 v39, v39, v82
	;; [unrolled: 1-line block ×3, first 2 shown]
	v_pk_max_f16 v16, v37, v37
	v_pk_add_f16 v156, v9, v61
	v_pk_min_f16 v74, v74, v144
	v_pk_max_f16 v66, v84, v84
	v_pk_min_f16 v80, v18, v42
	v_pk_add_f16 v18, v9, v73
	v_pk_min_f16 v16, v16, v72
	ds_read2_b64 v[58:61], v124 offset0:96 offset1:104
	s_waitcnt lgkmcnt(1)
	v_pk_add_f16 v137, v2, v54
	v_pk_min_f16 v103, v74, v156
	v_pk_add_f16 v74, v4, v54
	v_pk_add_f16 v138, v6, v54
	;; [unrolled: 1-line block ×3, first 2 shown]
	v_pk_min_f16 v66, v66, v78
	v_pk_min_f16 v78, v16, v18
	v_pk_max_f16 v16, v33, v33
	v_pk_max_f16 v70, v87, v87
	;; [unrolled: 1-line block ×4, first 2 shown]
	v_pk_add_f16 v18, v9, v55
	v_pk_min_f16 v16, v16, v54
	v_pk_add_f16 v63, v9, v63
	v_pk_add_f16 v139, v2, v56
	;; [unrolled: 1-line block ×5, first 2 shown]
	v_pk_min_f16 v70, v70, v76
	v_pk_add_f16 v40, v3, v73
	v_pk_min_f16 v38, v38, v79
	v_pk_max_f16 v35, v35, v35
	v_pk_min_f16 v34, v34, v74
	v_pk_min_f16 v74, v16, v18
	v_pk_max_f16 v16, v29, v29
	ds_read2_b64 v[133:136], v124 offset0:112 offset1:120
	v_pk_min_f16 v98, v62, v63
	v_pk_max_f16 v62, v96, v96
	v_pk_min_f16 v87, v70, v65
	v_pk_max_f16 v65, v85, v85
	v_pk_min_f16 v81, v38, v40
	v_pk_add_f16 v37, v3, v55
	v_pk_min_f16 v35, v35, v137
	v_pk_add_f16 v38, v5, v55
	v_pk_max_f16 v31, v31, v31
	v_pk_max_f16 v30, v30, v30
	v_pk_add_f16 v18, v9, v57
	v_pk_min_f16 v16, v16, v56
	s_waitcnt lgkmcnt(1)
	v_pk_add_f16 v145, v2, v58
	v_pk_add_f16 v63, v4, v58
	;; [unrolled: 1-line block ×3, first 2 shown]
	v_pk_min_f16 v62, v62, v149
	v_pk_add_f16 v58, v8, v58
	v_pk_min_f16 v65, v65, v77
	v_pk_min_f16 v77, v35, v37
	;; [unrolled: 1-line block ×3, first 2 shown]
	v_pk_add_f16 v34, v5, v57
	v_pk_min_f16 v31, v31, v143
	v_pk_add_f16 v35, v7, v57
	v_pk_min_f16 v30, v30, v144
	v_pk_max_f16 v27, v27, v27
	v_pk_max_f16 v25, v25, v25
	v_pk_min_f16 v70, v16, v18
	v_pk_max_f16 v16, v21, v21
	v_pk_min_f16 v96, v62, v161
	v_pk_add_f16 v62, v4, v60
	v_pk_add_f16 v147, v6, v60
	;; [unrolled: 1-line block ×4, first 2 shown]
	v_pk_min_f16 v72, v31, v34
	v_pk_min_f16 v71, v30, v35
	v_pk_add_f16 v30, v5, v59
	v_pk_min_f16 v27, v27, v63
	v_pk_add_f16 v31, v7, v59
	;; [unrolled: 2-line block ×3, first 2 shown]
	v_pk_min_f16 v16, v16, v58
	v_pk_max_f16 v19, v19, v19
	v_pk_max_f16 v15, v15, v15
	v_pk_add_f16 v140, v2, v60
	v_pk_add_f16 v60, v8, v60
	v_pk_min_f16 v85, v65, v67
	v_pk_min_f16 v84, v66, v68
	v_pk_add_f16 v64, v7, v73
	v_pk_min_f16 v68, v27, v30
	v_pk_min_f16 v67, v25, v31
	v_pk_max_f16 v21, v22, v22
	v_pk_add_f16 v25, v5, v61
	v_pk_min_f16 v19, v19, v62
	v_pk_add_f16 v27, v7, v61
	v_pk_min_f16 v15, v15, v147
	v_pk_min_f16 v66, v16, v18
	v_pk_max_f16 v16, v26, v26
	s_waitcnt lgkmcnt(0)
	v_pk_add_f16 v148, v2, v133
	v_pk_add_f16 v20, v4, v133
	;; [unrolled: 1-line block ×8, first 2 shown]
	v_pk_min_f16 v79, v39, v64
	v_pk_max_f16 v36, v36, v36
	v_pk_max_f16 v32, v32, v32
	;; [unrolled: 1-line block ×3, first 2 shown]
	v_pk_add_f16 v22, v3, v61
	v_pk_min_f16 v21, v21, v140
	v_pk_min_f16 v64, v19, v25
	;; [unrolled: 1-line block ×3, first 2 shown]
	v_pk_add_f16 v15, v9, v61
	v_pk_max_f16 v18, v24, v24
	v_pk_min_f16 v16, v16, v60
	v_pk_max_f16 v19, v23, v23
	v_pk_max_f16 v17, v17, v17
	;; [unrolled: 1-line block ×7, first 2 shown]
	v_pk_add_f16 v39, v7, v55
	v_pk_min_f16 v36, v36, v138
	v_pk_add_f16 v33, v3, v57
	v_pk_min_f16 v32, v32, v139
	;; [unrolled: 2-line block ×3, first 2 shown]
	v_pk_min_f16 v65, v21, v22
	v_pk_add_f16 v21, v3, v134
	v_pk_min_f16 v18, v18, v148
	v_pk_add_f16 v22, v5, v134
	;; [unrolled: 2-line block ×3, first 2 shown]
	v_pk_min_f16 v17, v17, v43
	v_pk_min_f16 v62, v16, v15
	v_pk_add_f16 v15, v9, v134
	v_pk_min_f16 v14, v14, v44
	v_pk_add_f16 v3, v3, v136
	v_pk_min_f16 v2, v13, v2
	v_pk_add_f16 v5, v5, v136
	v_pk_min_f16 v4, v12, v4
	v_pk_add_f16 v7, v7, v136
	v_pk_min_f16 v6, v10, v6
	v_pk_add_f16 v9, v9, v136
	v_pk_min_f16 v8, v11, v8
	v_pk_min_f16 v75, v36, v39
	;; [unrolled: 1-line block ×12, first 2 shown]
	s_add_i32 s25, s25, 8
	ds_write_b16 v125, v129
	ds_write_b16 v125, v130 offset:512
	ds_write_b16 v126, v131
	ds_write_b16 v126, v132 offset:512
	s_cmp_ge_i32 s25, s24
	s_waitcnt lgkmcnt(0)
	s_barrier
	buffer_gl0_inv
	s_cbranch_scc1 .LBB267_42
.LBB267_26:                             ; =>This Inner Loop Header: Depth=1
	v_add_nc_u32_e32 v4, s25, v104
	v_add_nc_u32_e32 v5, 8, v4
	v_min_i32_e32 v2, s19, v5
	v_cmp_le_i32_e64 s7, s14, v5
	v_ashrrev_i32_e32 v3, 31, v2
	v_lshlrev_b64 v[2:3], 1, v[2:3]
	v_add_co_u32 v5, s8, s22, v2
	v_add_co_ci_u32_e64 v7, null, s23, v3, s8
	s_or_b32 s8, s0, s7
	v_cndmask_b32_e64 v6, 0, 0x7c00, s8
	s_nor_b32 s8, vcc_lo, s8
	s_and_saveexec_b32 s26, s8
	s_cbranch_execz .LBB267_28
; %bb.27:                               ;   in Loop: Header=BB267_26 Depth=1
	v_add_co_u32 v8, s8, v5, v45
	v_add_co_ci_u32_e64 v9, null, v7, v46, s8
	global_load_ushort v6, v[8:9], off
	s_waitcnt vmcnt(0)
	v_mul_f16_e32 v6, v101, v6
.LBB267_28:                             ;   in Loop: Header=BB267_26 Depth=1
	s_or_b32 exec_lo, exec_lo, s26
	s_or_b32 s8, s2, s7
	v_cndmask_b32_e64 v8, 0, 0x7c00, s8
	s_nor_b32 s8, vcc_lo, s8
	s_and_saveexec_b32 s26, s8
	s_cbranch_execz .LBB267_30
; %bb.29:                               ;   in Loop: Header=BB267_26 Depth=1
	v_add_co_u32 v8, s8, v5, v47
	v_add_co_ci_u32_e64 v9, null, v7, v48, s8
	global_load_ushort v5, v[8:9], off
	s_waitcnt vmcnt(0)
	v_mul_f16_e32 v8, v101, v5
.LBB267_30:                             ;   in Loop: Header=BB267_26 Depth=1
	s_or_b32 exec_lo, exec_lo, s26
	v_add_co_u32 v2, s8, s20, v2
	v_add_co_ci_u32_e64 v3, null, s21, v3, s8
	s_or_b32 s8, s3, s7
	v_cndmask_b32_e64 v129, 0, 0x7c00, s8
	s_nor_b32 s8, vcc_lo, s8
	s_and_saveexec_b32 s26, s8
	s_cbranch_execz .LBB267_32
; %bb.31:                               ;   in Loop: Header=BB267_26 Depth=1
	v_add_co_u32 v9, s8, v2, v49
	v_add_co_ci_u32_e64 v10, null, v3, v50, s8
	global_load_ushort v5, v[9:10], off
	s_waitcnt vmcnt(0)
	v_mul_f16_e32 v129, v101, v5
.LBB267_32:                             ;   in Loop: Header=BB267_26 Depth=1
	s_or_b32 exec_lo, exec_lo, s26
	s_or_b32 s7, s6, s7
	v_cndmask_b32_e64 v130, 0, 0x7c00, s7
	s_nor_b32 s7, vcc_lo, s7
	s_and_saveexec_b32 s8, s7
	s_cbranch_execz .LBB267_34
; %bb.33:                               ;   in Loop: Header=BB267_26 Depth=1
	v_add_co_u32 v2, s7, v2, v51
	v_add_co_ci_u32_e64 v3, null, v3, v52, s7
	global_load_ushort v2, v[2:3], off
	s_waitcnt vmcnt(0)
	v_mul_f16_e32 v130, v101, v2
.LBB267_34:                             ;   in Loop: Header=BB267_26 Depth=1
	s_or_b32 exec_lo, exec_lo, s8
	v_add_nc_u32_e32 v133, 12, v4
	ds_read2_b64 v[9:12], v127 offset1:32
	ds_read2_b64 v[13:16], v127 offset0:64 offset1:96
	ds_read2_b64 v[41:44], v128 offset1:8
	ds_read2_b64 v[37:40], v128 offset0:16 offset1:24
	ds_read2_b64 v[33:36], v128 offset0:32 offset1:40
	;; [unrolled: 1-line block ×7, first 2 shown]
	ds_write_b16 v112, v6
	v_min_i32_e32 v131, s19, v133
	v_cmp_le_i32_e64 s7, s14, v133
	ds_write_b16 v112, v8 offset:512
	ds_write_b16 v123, v129
	ds_write_b16 v123, v130 offset:512
	s_waitcnt lgkmcnt(0)
	s_barrier
	v_ashrrev_i32_e32 v132, 31, v131
	buffer_gl0_inv
	v_lshlrev_b64 v[6:7], 1, v[131:132]
	v_add_co_u32 v8, s8, s22, v6
	v_add_co_ci_u32_e64 v131, null, s23, v7, s8
	s_or_b32 s8, s0, s7
	v_cndmask_b32_e64 v129, 0, 0x7c00, s8
	s_nor_b32 s8, vcc_lo, s8
	s_and_saveexec_b32 s26, s8
	s_cbranch_execz .LBB267_36
; %bb.35:                               ;   in Loop: Header=BB267_26 Depth=1
	v_add_co_u32 v129, s8, v8, v45
	v_add_co_ci_u32_e64 v130, null, v131, v46, s8
	global_load_ushort v129, v[129:130], off
	s_waitcnt vmcnt(0)
	v_mul_f16_e32 v129, v101, v129
.LBB267_36:                             ;   in Loop: Header=BB267_26 Depth=1
	s_or_b32 exec_lo, exec_lo, s26
	s_or_b32 s8, s2, s7
	v_cndmask_b32_e64 v130, 0, 0x7c00, s8
	s_nor_b32 s8, vcc_lo, s8
	s_and_saveexec_b32 s26, s8
	s_cbranch_execz .LBB267_38
; %bb.37:                               ;   in Loop: Header=BB267_26 Depth=1
	v_add_co_u32 v130, s8, v8, v47
	v_add_co_ci_u32_e64 v131, null, v131, v48, s8
	global_load_ushort v8, v[130:131], off
	s_waitcnt vmcnt(0)
	v_mul_f16_e32 v130, v101, v8
.LBB267_38:                             ;   in Loop: Header=BB267_26 Depth=1
	s_or_b32 exec_lo, exec_lo, s26
	v_add_co_u32 v6, s8, s20, v6
	v_add_co_ci_u32_e64 v7, null, s21, v7, s8
	s_or_b32 s8, s3, s7
	v_cndmask_b32_e64 v131, 0, 0x7c00, s8
	s_nor_b32 s8, vcc_lo, s8
	s_and_saveexec_b32 s26, s8
	s_cbranch_execz .LBB267_40
; %bb.39:                               ;   in Loop: Header=BB267_26 Depth=1
	v_add_co_u32 v131, s8, v6, v49
	v_add_co_ci_u32_e64 v132, null, v7, v50, s8
	global_load_ushort v8, v[131:132], off
	s_waitcnt vmcnt(0)
	v_mul_f16_e32 v131, v101, v8
.LBB267_40:                             ;   in Loop: Header=BB267_26 Depth=1
	s_or_b32 exec_lo, exec_lo, s26
	s_or_b32 s7, s6, s7
	v_cndmask_b32_e64 v132, 0, 0x7c00, s7
	s_nor_b32 s7, vcc_lo, s7
	s_and_saveexec_b32 s8, s7
	s_cbranch_execz .LBB267_25
; %bb.41:                               ;   in Loop: Header=BB267_26 Depth=1
	v_add_co_u32 v6, s7, v6, v51
	v_add_co_ci_u32_e64 v7, null, v7, v52, s7
	global_load_ushort v6, v[6:7], off
	s_waitcnt vmcnt(0)
	v_mul_f16_e32 v132, v101, v6
	s_branch .LBB267_25
.LBB267_42:
	s_clause 0x2
	s_load_dwordx2 s[2:3], s[4:5], 0x78
	s_load_dword s6, s[4:5], 0x58
	s_load_dword s5, s[4:5], 0x70
	v_add_nc_u32_e32 v6, 0x800, v107
	v_add_nc_u32_e32 v49, s15, v1
	ds_read2_b64 v[10:13], v106 offset0:128 offset1:160
	ds_read2_b64 v[2:5], v106 offset0:192 offset1:224
	v_add_nc_u32_e32 v0, s9, v0
	ds_read2_b64 v[38:41], v6 offset0:128 offset1:136
	ds_read2_b64 v[34:37], v6 offset0:144 offset1:152
	;; [unrolled: 1-line block ×8, first 2 shown]
	v_cndmask_b32_e64 v48, 0, 1, s1
	v_cmp_gt_i32_e64 s0, s12, v0
	v_ashrrev_i32_e32 v1, 31, v0
	s_waitcnt lgkmcnt(0)
	s_mul_i32 s3, s3, s18
	v_mad_i64_i32 v[42:43], null, v49, s6, 0
	v_mad_i64_i32 v[44:45], null, v49, s5, 0
	s_mul_hi_u32 s4, s2, s18
	s_mul_i32 s2, s2, s18
	s_add_i32 s3, s4, s3
	v_cmp_gt_i32_e64 s4, s13, v49
	v_lshlrev_b64 v[42:43], 1, v[42:43]
	s_lshl_b64 s[2:3], s[2:3], 1
	v_lshlrev_b64 v[44:45], 1, v[44:45]
	s_add_u32 s7, s10, s2
	s_addc_u32 s8, s11, s3
	s_and_b32 s3, s0, s4
	v_add_co_u32 v52, vcc_lo, s16, v42
	v_add_co_ci_u32_e64 v101, null, s17, v43, vcc_lo
	v_add_co_u32 v50, vcc_lo, s7, v44
	v_add_co_ci_u32_e64 v51, null, s8, v45, vcc_lo
	s_and_saveexec_b32 s2, s3
	s_cbranch_execz .LBB267_47
; %bb.43:
	s_andn2_b32 vcc_lo, exec_lo, s1
	s_cbranch_vccnz .LBB267_45
; %bb.44:
	v_lshlrev_b64 v[42:43], 1, v[0:1]
	v_add_co_u32 v42, vcc_lo, v52, v42
	v_add_co_ci_u32_e64 v43, null, v101, v43, vcc_lo
	global_load_ushort v42, v[42:43], off
	s_waitcnt vmcnt(0)
	v_mul_f16_e32 v42, v53, v42
	v_cvt_f32_f16_e32 v42, v42
	s_branch .LBB267_46
.LBB267_45:
	v_mov_b32_e32 v42, 0
.LBB267_46:
	v_pk_add_f16 v43, v10, v38
	v_pk_add_f16 v44, v11, v39
	v_max_f16_e32 v45, v122, v122
	v_lshrrev_b32_e32 v46, 16, v122
	v_max_f32_e32 v42, v42, v42
	v_lshrrev_b32_e32 v47, 16, v43
	v_lshrrev_b32_e32 v104, 16, v44
	v_min_f16_e32 v43, v45, v43
	v_min3_f16 v45, v46, v47, v104
	v_min3_f16 v43, v43, v44, v45
	v_cvt_f32_f16_e32 v43, v43
	v_min_f32_e32 v44, v42, v43
	v_lshlrev_b64 v[42:43], 1, v[0:1]
	v_cvt_f16_f32_e32 v44, v44
	v_add_co_u32 v42, vcc_lo, v50, v42
	v_add_co_ci_u32_e64 v43, null, v51, v43, vcc_lo
	global_store_short v[42:43], v44, off
.LBB267_47:
	s_or_b32 exec_lo, exec_lo, s2
	v_add_nc_u32_e32 v42, 32, v0
	v_cmp_gt_i32_e64 s1, s12, v42
	v_ashrrev_i32_e32 v43, 31, v42
	s_and_b32 s3, s1, s4
	s_and_saveexec_b32 s2, s3
	s_cbranch_execz .LBB267_52
; %bb.48:
	v_cmp_ne_u32_e32 vcc_lo, 1, v48
	s_cbranch_vccnz .LBB267_50
; %bb.49:
	v_lshlrev_b64 v[44:45], 1, v[42:43]
	v_add_co_u32 v44, vcc_lo, v52, v44
	v_add_co_ci_u32_e64 v45, null, v101, v45, vcc_lo
	global_load_ushort v44, v[44:45], off
	s_waitcnt vmcnt(0)
	v_mul_f16_e32 v44, v53, v44
	v_cvt_f32_f16_e32 v44, v44
	s_branch .LBB267_51
.LBB267_50:
	v_mov_b32_e32 v44, 0
.LBB267_51:
	v_pk_add_f16 v45, v12, v38
	v_pk_add_f16 v46, v13, v39
	v_max_f16_e32 v47, v121, v121
	v_lshrrev_b32_e32 v104, 16, v121
	v_max_f32_e32 v44, v44, v44
	v_lshrrev_b32_e32 v106, 16, v45
	v_lshrrev_b32_e32 v107, 16, v46
	v_min_f16_e32 v45, v47, v45
	v_min3_f16 v47, v104, v106, v107
	v_min3_f16 v45, v45, v46, v47
	v_cvt_f32_f16_e32 v45, v45
	v_min_f32_e32 v46, v44, v45
	v_lshlrev_b64 v[44:45], 1, v[42:43]
	v_cvt_f16_f32_e32 v46, v46
	v_add_co_u32 v44, vcc_lo, v50, v44
	v_add_co_ci_u32_e64 v45, null, v51, v45, vcc_lo
	global_store_short v[44:45], v46, off
.LBB267_52:
	s_or_b32 exec_lo, exec_lo, s2
	v_add_nc_u32_e32 v44, 64, v0
	v_cmp_gt_i32_e64 s2, s12, v44
	v_ashrrev_i32_e32 v45, 31, v44
	s_and_b32 s9, s2, s4
	s_and_saveexec_b32 s3, s9
	s_cbranch_execz .LBB267_57
; %bb.53:
	v_cmp_ne_u32_e32 vcc_lo, 1, v48
	s_cbranch_vccnz .LBB267_55
; %bb.54:
	v_lshlrev_b64 v[46:47], 1, v[44:45]
	v_add_co_u32 v46, vcc_lo, v52, v46
	v_add_co_ci_u32_e64 v47, null, v101, v47, vcc_lo
	global_load_ushort v46, v[46:47], off
	s_waitcnt vmcnt(0)
	v_mul_f16_e32 v46, v53, v46
	v_cvt_f32_f16_e32 v46, v46
	s_branch .LBB267_56
.LBB267_55:
	v_mov_b32_e32 v46, 0
.LBB267_56:
	v_pk_add_f16 v47, v2, v38
	v_pk_add_f16 v104, v3, v39
	v_max_f16_e32 v106, v119, v119
	v_lshrrev_b32_e32 v107, 16, v119
	v_max_f32_e32 v46, v46, v46
	v_lshrrev_b32_e32 v112, 16, v47
	v_lshrrev_b32_e32 v119, 16, v104
	v_min_f16_e32 v47, v106, v47
	v_min3_f16 v106, v107, v112, v119
	v_min3_f16 v47, v47, v104, v106
	v_cvt_f32_f16_e32 v47, v47
	v_min_f32_e32 v104, v46, v47
	v_lshlrev_b64 v[46:47], 1, v[44:45]
	v_cvt_f16_f32_e32 v104, v104
	v_add_co_u32 v46, vcc_lo, v50, v46
	v_add_co_ci_u32_e64 v47, null, v51, v47, vcc_lo
	global_store_short v[46:47], v104, off
.LBB267_57:
	s_or_b32 exec_lo, exec_lo, s3
	v_add_nc_u32_e32 v46, 0x60, v0
	v_cmp_gt_i32_e64 s3, s12, v46
	v_ashrrev_i32_e32 v47, 31, v46
	s_and_b32 s9, s3, s4
	s_and_saveexec_b32 s4, s9
	s_cbranch_execz .LBB267_62
; %bb.58:
	v_cmp_ne_u32_e32 vcc_lo, 1, v48
	s_cbranch_vccnz .LBB267_60
; %bb.59:
	v_lshlrev_b64 v[106:107], 1, v[46:47]
	v_add_co_u32 v106, vcc_lo, v52, v106
	v_add_co_ci_u32_e64 v107, null, v101, v107, vcc_lo
	global_load_ushort v52, v[106:107], off
	s_waitcnt vmcnt(0)
	v_mul_f16_e32 v52, v53, v52
	v_cvt_f32_f16_e32 v52, v52
	s_branch .LBB267_61
.LBB267_60:
	v_mov_b32_e32 v52, 0
.LBB267_61:
	v_pk_add_f16 v38, v4, v38
	v_pk_add_f16 v39, v5, v39
	v_max_f16_e32 v101, v120, v120
	v_lshrrev_b32_e32 v104, 16, v120
	v_lshrrev_b32_e32 v106, 16, v38
	;; [unrolled: 1-line block ×3, first 2 shown]
	v_min_f16_e32 v38, v101, v38
	v_min3_f16 v101, v104, v106, v107
	v_min3_f16 v38, v38, v39, v101
	v_max_f32_e32 v39, v52, v52
	v_cvt_f32_f16_e32 v38, v38
	v_min_f32_e32 v52, v39, v38
	v_lshlrev_b64 v[38:39], 1, v[46:47]
	v_cvt_f16_f32_e32 v52, v52
	v_add_co_u32 v38, vcc_lo, v50, v38
	v_add_co_ci_u32_e64 v39, null, v51, v39, vcc_lo
	global_store_short v[38:39], v52, off
.LBB267_62:
	s_or_b32 exec_lo, exec_lo, s4
	v_add_nc_u32_e32 v52, 8, v49
	v_mad_i64_i32 v[38:39], null, v52, s6, 0
	v_mad_i64_i32 v[50:51], null, v52, s5, 0
	v_cmp_gt_i32_e64 s4, s13, v52
	v_lshlrev_b64 v[38:39], 1, v[38:39]
	s_and_b32 s10, s0, s4
	v_lshlrev_b64 v[106:107], 1, v[50:51]
	v_add_co_u32 v50, vcc_lo, s16, v38
	v_add_co_ci_u32_e64 v51, null, s17, v39, vcc_lo
	v_add_co_u32 v38, vcc_lo, s7, v106
	v_add_co_ci_u32_e64 v39, null, s8, v107, vcc_lo
	s_and_saveexec_b32 s9, s10
	s_cbranch_execnz .LBB267_66
; %bb.63:
	s_or_b32 exec_lo, exec_lo, s9
	s_and_b32 s10, s1, s4
	s_and_saveexec_b32 s9, s10
	s_cbranch_execnz .LBB267_70
.LBB267_64:
	s_or_b32 exec_lo, exec_lo, s9
	s_and_b32 s10, s2, s4
	s_and_saveexec_b32 s9, s10
	s_cbranch_execnz .LBB267_74
.LBB267_65:
	s_or_b32 exec_lo, exec_lo, s9
	s_and_b32 s9, s3, s4
	s_and_saveexec_b32 s4, s9
	s_cbranch_execnz .LBB267_78
	s_branch .LBB267_82
.LBB267_66:
	v_cmp_ne_u32_e32 vcc_lo, 1, v48
	s_cbranch_vccnz .LBB267_68
; %bb.67:
	v_lshlrev_b64 v[106:107], 1, v[0:1]
	v_add_co_u32 v106, vcc_lo, v50, v106
	v_add_co_ci_u32_e64 v107, null, v51, v107, vcc_lo
	global_load_ushort v52, v[106:107], off
	s_waitcnt vmcnt(0)
	v_mul_f16_e32 v52, v53, v52
	v_cvt_f32_f16_e32 v52, v52
	s_branch .LBB267_69
.LBB267_68:
	v_mov_b32_e32 v52, 0
.LBB267_69:
	v_pk_add_f16 v101, v10, v40
	v_pk_add_f16 v104, v11, v41
	v_max_f16_e32 v106, v118, v118
	v_lshrrev_b32_e32 v107, 16, v118
	v_max_f32_e32 v52, v52, v52
	v_lshrrev_b32_e32 v112, 16, v101
	v_lshrrev_b32_e32 v118, 16, v104
	v_min_f16_e32 v101, v106, v101
	v_min3_f16 v106, v107, v112, v118
	v_min3_f16 v101, v101, v104, v106
	v_lshlrev_b64 v[106:107], 1, v[0:1]
	v_cvt_f32_f16_e32 v101, v101
	v_add_co_u32 v106, vcc_lo, v38, v106
	v_add_co_ci_u32_e64 v107, null, v39, v107, vcc_lo
	v_min_f32_e32 v52, v52, v101
	v_cvt_f16_f32_e32 v52, v52
	global_store_short v[106:107], v52, off
	s_or_b32 exec_lo, exec_lo, s9
	s_and_b32 s10, s1, s4
	s_and_saveexec_b32 s9, s10
	s_cbranch_execz .LBB267_64
.LBB267_70:
	v_cmp_ne_u32_e32 vcc_lo, 1, v48
	s_cbranch_vccnz .LBB267_72
; %bb.71:
	v_lshlrev_b64 v[106:107], 1, v[42:43]
	v_add_co_u32 v106, vcc_lo, v50, v106
	v_add_co_ci_u32_e64 v107, null, v51, v107, vcc_lo
	global_load_ushort v52, v[106:107], off
	s_waitcnt vmcnt(0)
	v_mul_f16_e32 v52, v53, v52
	v_cvt_f32_f16_e32 v52, v52
	s_branch .LBB267_73
.LBB267_72:
	v_mov_b32_e32 v52, 0
.LBB267_73:
	v_pk_add_f16 v101, v12, v40
	v_pk_add_f16 v104, v13, v41
	v_max_f16_e32 v106, v117, v117
	v_lshrrev_b32_e32 v107, 16, v117
	v_max_f32_e32 v52, v52, v52
	v_lshrrev_b32_e32 v112, 16, v101
	v_lshrrev_b32_e32 v117, 16, v104
	v_min_f16_e32 v101, v106, v101
	v_min3_f16 v106, v107, v112, v117
	v_min3_f16 v101, v101, v104, v106
	v_lshlrev_b64 v[106:107], 1, v[42:43]
	v_cvt_f32_f16_e32 v101, v101
	v_add_co_u32 v106, vcc_lo, v38, v106
	v_add_co_ci_u32_e64 v107, null, v39, v107, vcc_lo
	v_min_f32_e32 v52, v52, v101
	v_cvt_f16_f32_e32 v52, v52
	global_store_short v[106:107], v52, off
	s_or_b32 exec_lo, exec_lo, s9
	s_and_b32 s10, s2, s4
	s_and_saveexec_b32 s9, s10
	s_cbranch_execz .LBB267_65
.LBB267_74:
	v_cmp_ne_u32_e32 vcc_lo, 1, v48
	s_cbranch_vccnz .LBB267_76
; %bb.75:
	v_lshlrev_b64 v[106:107], 1, v[44:45]
	v_add_co_u32 v106, vcc_lo, v50, v106
	v_add_co_ci_u32_e64 v107, null, v51, v107, vcc_lo
	global_load_ushort v52, v[106:107], off
	s_waitcnt vmcnt(0)
	v_mul_f16_e32 v52, v53, v52
	v_cvt_f32_f16_e32 v52, v52
	s_branch .LBB267_77
.LBB267_76:
	v_mov_b32_e32 v52, 0
.LBB267_77:
	v_pk_add_f16 v101, v2, v40
	v_pk_add_f16 v104, v3, v41
	v_max_f16_e32 v106, v116, v116
	v_lshrrev_b32_e32 v107, 16, v116
	v_max_f32_e32 v52, v52, v52
	v_lshrrev_b32_e32 v112, 16, v101
	v_lshrrev_b32_e32 v116, 16, v104
	v_min_f16_e32 v101, v106, v101
	v_min3_f16 v106, v107, v112, v116
	v_min3_f16 v101, v101, v104, v106
	v_lshlrev_b64 v[106:107], 1, v[44:45]
	v_cvt_f32_f16_e32 v101, v101
	v_add_co_u32 v106, vcc_lo, v38, v106
	v_add_co_ci_u32_e64 v107, null, v39, v107, vcc_lo
	v_min_f32_e32 v52, v52, v101
	v_cvt_f16_f32_e32 v52, v52
	global_store_short v[106:107], v52, off
	s_or_b32 exec_lo, exec_lo, s9
	s_and_b32 s9, s3, s4
	s_and_saveexec_b32 s4, s9
	s_cbranch_execz .LBB267_82
.LBB267_78:
	v_cmp_ne_u32_e32 vcc_lo, 1, v48
	s_cbranch_vccnz .LBB267_80
; %bb.79:
	v_lshlrev_b64 v[106:107], 1, v[46:47]
	v_add_co_u32 v50, vcc_lo, v50, v106
	v_add_co_ci_u32_e64 v51, null, v51, v107, vcc_lo
	global_load_ushort v50, v[50:51], off
	s_waitcnt vmcnt(0)
	v_mul_f16_e32 v50, v53, v50
	v_cvt_f32_f16_e32 v50, v50
	s_branch .LBB267_81
.LBB267_80:
	v_mov_b32_e32 v50, 0
.LBB267_81:
	v_pk_add_f16 v40, v4, v40
	v_pk_add_f16 v41, v5, v41
	v_max_f16_e32 v51, v115, v115
	v_lshrrev_b32_e32 v52, 16, v115
	v_lshrrev_b32_e32 v101, 16, v40
	;; [unrolled: 1-line block ×3, first 2 shown]
	v_min_f16_e32 v40, v51, v40
	v_min3_f16 v51, v52, v101, v104
	v_min3_f16 v40, v40, v41, v51
	v_max_f32_e32 v41, v50, v50
	v_cvt_f32_f16_e32 v40, v40
	v_min_f32_e32 v50, v41, v40
	v_lshlrev_b64 v[40:41], 1, v[46:47]
	v_cvt_f16_f32_e32 v50, v50
	v_add_co_u32 v38, vcc_lo, v38, v40
	v_add_co_ci_u32_e64 v39, null, v39, v41, vcc_lo
	global_store_short v[38:39], v50, off
.LBB267_82:
	s_or_b32 exec_lo, exec_lo, s4
	v_add_nc_u32_e32 v50, 16, v49
	v_mad_i64_i32 v[38:39], null, v50, s6, 0
	v_mad_i64_i32 v[40:41], null, v50, s5, 0
	v_cmp_gt_i32_e64 s4, s13, v50
	v_lshlrev_b64 v[38:39], 1, v[38:39]
	s_and_b32 s10, s0, s4
	v_lshlrev_b64 v[50:51], 1, v[40:41]
	v_add_co_u32 v40, vcc_lo, s16, v38
	v_add_co_ci_u32_e64 v41, null, s17, v39, vcc_lo
	v_add_co_u32 v38, vcc_lo, s7, v50
	v_add_co_ci_u32_e64 v39, null, s8, v51, vcc_lo
	s_and_saveexec_b32 s9, s10
	s_cbranch_execnz .LBB267_86
; %bb.83:
	s_or_b32 exec_lo, exec_lo, s9
	s_and_b32 s10, s1, s4
	s_and_saveexec_b32 s9, s10
	s_cbranch_execnz .LBB267_90
.LBB267_84:
	s_or_b32 exec_lo, exec_lo, s9
	s_and_b32 s10, s2, s4
	s_and_saveexec_b32 s9, s10
	s_cbranch_execnz .LBB267_94
.LBB267_85:
	s_or_b32 exec_lo, exec_lo, s9
	s_and_b32 s9, s3, s4
	s_and_saveexec_b32 s4, s9
	s_cbranch_execnz .LBB267_98
	s_branch .LBB267_102
.LBB267_86:
	v_cmp_ne_u32_e32 vcc_lo, 1, v48
	s_cbranch_vccnz .LBB267_88
; %bb.87:
	v_lshlrev_b64 v[50:51], 1, v[0:1]
	v_add_co_u32 v50, vcc_lo, v40, v50
	v_add_co_ci_u32_e64 v51, null, v41, v51, vcc_lo
	global_load_ushort v50, v[50:51], off
	s_waitcnt vmcnt(0)
	v_mul_f16_e32 v50, v53, v50
	v_cvt_f32_f16_e32 v50, v50
	s_branch .LBB267_89
.LBB267_88:
	v_mov_b32_e32 v50, 0
.LBB267_89:
	v_pk_add_f16 v51, v10, v34
	v_pk_add_f16 v52, v11, v35
	v_max_f16_e32 v101, v114, v114
	v_lshrrev_b32_e32 v104, 16, v114
	v_max_f32_e32 v50, v50, v50
	v_lshrrev_b32_e32 v106, 16, v51
	v_lshrrev_b32_e32 v107, 16, v52
	v_min_f16_e32 v51, v101, v51
	v_min3_f16 v101, v104, v106, v107
	v_min3_f16 v51, v51, v52, v101
	v_cvt_f32_f16_e32 v51, v51
	v_min_f32_e32 v52, v50, v51
	v_lshlrev_b64 v[50:51], 1, v[0:1]
	v_cvt_f16_f32_e32 v52, v52
	v_add_co_u32 v50, vcc_lo, v38, v50
	v_add_co_ci_u32_e64 v51, null, v39, v51, vcc_lo
	global_store_short v[50:51], v52, off
	s_or_b32 exec_lo, exec_lo, s9
	s_and_b32 s10, s1, s4
	s_and_saveexec_b32 s9, s10
	s_cbranch_execz .LBB267_84
.LBB267_90:
	v_cmp_ne_u32_e32 vcc_lo, 1, v48
	s_cbranch_vccnz .LBB267_92
; %bb.91:
	v_lshlrev_b64 v[50:51], 1, v[42:43]
	v_add_co_u32 v50, vcc_lo, v40, v50
	v_add_co_ci_u32_e64 v51, null, v41, v51, vcc_lo
	global_load_ushort v50, v[50:51], off
	s_waitcnt vmcnt(0)
	v_mul_f16_e32 v50, v53, v50
	v_cvt_f32_f16_e32 v50, v50
	s_branch .LBB267_93
.LBB267_92:
	v_mov_b32_e32 v50, 0
.LBB267_93:
	v_pk_add_f16 v51, v12, v34
	v_pk_add_f16 v52, v13, v35
	v_max_f16_e32 v101, v113, v113
	v_lshrrev_b32_e32 v104, 16, v113
	v_max_f32_e32 v50, v50, v50
	v_lshrrev_b32_e32 v106, 16, v51
	v_lshrrev_b32_e32 v107, 16, v52
	v_min_f16_e32 v51, v101, v51
	v_min3_f16 v101, v104, v106, v107
	v_min3_f16 v51, v51, v52, v101
	v_cvt_f32_f16_e32 v51, v51
	v_min_f32_e32 v52, v50, v51
	v_lshlrev_b64 v[50:51], 1, v[42:43]
	v_cvt_f16_f32_e32 v52, v52
	v_add_co_u32 v50, vcc_lo, v38, v50
	v_add_co_ci_u32_e64 v51, null, v39, v51, vcc_lo
	global_store_short v[50:51], v52, off
	s_or_b32 exec_lo, exec_lo, s9
	s_and_b32 s10, s2, s4
	s_and_saveexec_b32 s9, s10
	s_cbranch_execz .LBB267_85
.LBB267_94:
	v_cmp_ne_u32_e32 vcc_lo, 1, v48
	s_cbranch_vccnz .LBB267_96
; %bb.95:
	v_lshlrev_b64 v[50:51], 1, v[44:45]
	v_add_co_u32 v50, vcc_lo, v40, v50
	v_add_co_ci_u32_e64 v51, null, v41, v51, vcc_lo
	global_load_ushort v50, v[50:51], off
	s_waitcnt vmcnt(0)
	v_mul_f16_e32 v50, v53, v50
	v_cvt_f32_f16_e32 v50, v50
	s_branch .LBB267_97
.LBB267_96:
	v_mov_b32_e32 v50, 0
.LBB267_97:
	v_pk_add_f16 v51, v2, v34
	v_pk_add_f16 v52, v3, v35
	v_max_f16_e32 v101, v111, v111
	v_lshrrev_b32_e32 v104, 16, v111
	v_max_f32_e32 v50, v50, v50
	v_lshrrev_b32_e32 v106, 16, v51
	v_lshrrev_b32_e32 v107, 16, v52
	v_min_f16_e32 v51, v101, v51
	v_min3_f16 v101, v104, v106, v107
	v_min3_f16 v51, v51, v52, v101
	v_cvt_f32_f16_e32 v51, v51
	v_min_f32_e32 v52, v50, v51
	v_lshlrev_b64 v[50:51], 1, v[44:45]
	v_cvt_f16_f32_e32 v52, v52
	v_add_co_u32 v50, vcc_lo, v38, v50
	v_add_co_ci_u32_e64 v51, null, v39, v51, vcc_lo
	global_store_short v[50:51], v52, off
	s_or_b32 exec_lo, exec_lo, s9
	s_and_b32 s9, s3, s4
	s_and_saveexec_b32 s4, s9
	s_cbranch_execz .LBB267_102
.LBB267_98:
	v_cmp_ne_u32_e32 vcc_lo, 1, v48
	s_cbranch_vccnz .LBB267_100
; %bb.99:
	v_lshlrev_b64 v[50:51], 1, v[46:47]
	v_add_co_u32 v40, vcc_lo, v40, v50
	v_add_co_ci_u32_e64 v41, null, v41, v51, vcc_lo
	global_load_ushort v40, v[40:41], off
	s_waitcnt vmcnt(0)
	v_mul_f16_e32 v40, v53, v40
	v_cvt_f32_f16_e32 v40, v40
	s_branch .LBB267_101
.LBB267_100:
	v_mov_b32_e32 v40, 0
.LBB267_101:
	v_pk_add_f16 v34, v4, v34
	v_pk_add_f16 v35, v5, v35
	v_max_f16_e32 v41, v110, v110
	v_lshrrev_b32_e32 v50, 16, v110
	v_lshrrev_b32_e32 v51, 16, v34
	;; [unrolled: 1-line block ×3, first 2 shown]
	v_min_f16_e32 v34, v41, v34
	v_min3_f16 v41, v50, v51, v52
	v_min3_f16 v34, v34, v35, v41
	v_max_f32_e32 v35, v40, v40
	v_cvt_f32_f16_e32 v34, v34
	v_min_f32_e32 v40, v35, v34
	v_lshlrev_b64 v[34:35], 1, v[46:47]
	v_cvt_f16_f32_e32 v40, v40
	v_add_co_u32 v34, vcc_lo, v38, v34
	v_add_co_ci_u32_e64 v35, null, v39, v35, vcc_lo
	global_store_short v[34:35], v40, off
.LBB267_102:
	s_or_b32 exec_lo, exec_lo, s4
	v_add_nc_u32_e32 v40, 24, v49
	v_mad_i64_i32 v[34:35], null, v40, s6, 0
	v_mad_i64_i32 v[38:39], null, v40, s5, 0
	v_cmp_gt_i32_e64 s4, s13, v40
	v_lshlrev_b64 v[34:35], 1, v[34:35]
	s_and_b32 s10, s0, s4
	v_lshlrev_b64 v[40:41], 1, v[38:39]
	v_add_co_u32 v38, vcc_lo, s16, v34
	v_add_co_ci_u32_e64 v39, null, s17, v35, vcc_lo
	v_add_co_u32 v34, vcc_lo, s7, v40
	v_add_co_ci_u32_e64 v35, null, s8, v41, vcc_lo
	s_and_saveexec_b32 s9, s10
	s_cbranch_execnz .LBB267_106
; %bb.103:
	s_or_b32 exec_lo, exec_lo, s9
	s_and_b32 s10, s1, s4
	s_and_saveexec_b32 s9, s10
	s_cbranch_execnz .LBB267_110
.LBB267_104:
	s_or_b32 exec_lo, exec_lo, s9
	s_and_b32 s10, s2, s4
	s_and_saveexec_b32 s9, s10
	s_cbranch_execnz .LBB267_114
.LBB267_105:
	s_or_b32 exec_lo, exec_lo, s9
	s_and_b32 s9, s3, s4
	s_and_saveexec_b32 s4, s9
	s_cbranch_execnz .LBB267_118
	s_branch .LBB267_122
.LBB267_106:
	v_cmp_ne_u32_e32 vcc_lo, 1, v48
	s_cbranch_vccnz .LBB267_108
; %bb.107:
	v_lshlrev_b64 v[40:41], 1, v[0:1]
	v_add_co_u32 v40, vcc_lo, v38, v40
	v_add_co_ci_u32_e64 v41, null, v39, v41, vcc_lo
	global_load_ushort v40, v[40:41], off
	s_waitcnt vmcnt(0)
	v_mul_f16_e32 v40, v53, v40
	v_cvt_f32_f16_e32 v40, v40
	s_branch .LBB267_109
.LBB267_108:
	v_mov_b32_e32 v40, 0
.LBB267_109:
	v_pk_add_f16 v41, v10, v36
	v_pk_add_f16 v50, v11, v37
	v_max_f16_e32 v51, v109, v109
	v_lshrrev_b32_e32 v52, 16, v109
	v_max_f32_e32 v40, v40, v40
	v_lshrrev_b32_e32 v101, 16, v41
	v_lshrrev_b32_e32 v104, 16, v50
	v_min_f16_e32 v41, v51, v41
	v_min3_f16 v51, v52, v101, v104
	v_min3_f16 v41, v41, v50, v51
	v_cvt_f32_f16_e32 v41, v41
	v_min_f32_e32 v50, v40, v41
	v_lshlrev_b64 v[40:41], 1, v[0:1]
	v_cvt_f16_f32_e32 v50, v50
	v_add_co_u32 v40, vcc_lo, v34, v40
	v_add_co_ci_u32_e64 v41, null, v35, v41, vcc_lo
	global_store_short v[40:41], v50, off
	s_or_b32 exec_lo, exec_lo, s9
	s_and_b32 s10, s1, s4
	s_and_saveexec_b32 s9, s10
	s_cbranch_execz .LBB267_104
.LBB267_110:
	v_cmp_ne_u32_e32 vcc_lo, 1, v48
	s_cbranch_vccnz .LBB267_112
; %bb.111:
	v_lshlrev_b64 v[40:41], 1, v[42:43]
	v_add_co_u32 v40, vcc_lo, v38, v40
	v_add_co_ci_u32_e64 v41, null, v39, v41, vcc_lo
	global_load_ushort v40, v[40:41], off
	s_waitcnt vmcnt(0)
	v_mul_f16_e32 v40, v53, v40
	v_cvt_f32_f16_e32 v40, v40
	s_branch .LBB267_113
.LBB267_112:
	v_mov_b32_e32 v40, 0
.LBB267_113:
	v_pk_add_f16 v41, v12, v36
	v_pk_add_f16 v50, v13, v37
	v_max_f16_e32 v51, v108, v108
	v_lshrrev_b32_e32 v52, 16, v108
	v_max_f32_e32 v40, v40, v40
	v_lshrrev_b32_e32 v101, 16, v41
	v_lshrrev_b32_e32 v104, 16, v50
	v_min_f16_e32 v41, v51, v41
	v_min3_f16 v51, v52, v101, v104
	v_min3_f16 v41, v41, v50, v51
	v_cvt_f32_f16_e32 v41, v41
	v_min_f32_e32 v50, v40, v41
	v_lshlrev_b64 v[40:41], 1, v[42:43]
	v_cvt_f16_f32_e32 v50, v50
	v_add_co_u32 v40, vcc_lo, v34, v40
	v_add_co_ci_u32_e64 v41, null, v35, v41, vcc_lo
	global_store_short v[40:41], v50, off
	s_or_b32 exec_lo, exec_lo, s9
	s_and_b32 s10, s2, s4
	s_and_saveexec_b32 s9, s10
	s_cbranch_execz .LBB267_105
.LBB267_114:
	v_cmp_ne_u32_e32 vcc_lo, 1, v48
	s_cbranch_vccnz .LBB267_116
; %bb.115:
	v_lshlrev_b64 v[40:41], 1, v[44:45]
	v_add_co_u32 v40, vcc_lo, v38, v40
	v_add_co_ci_u32_e64 v41, null, v39, v41, vcc_lo
	global_load_ushort v40, v[40:41], off
	s_waitcnt vmcnt(0)
	v_mul_f16_e32 v40, v53, v40
	v_cvt_f32_f16_e32 v40, v40
	s_branch .LBB267_117
.LBB267_116:
	v_mov_b32_e32 v40, 0
.LBB267_117:
	v_pk_add_f16 v41, v2, v36
	v_pk_add_f16 v50, v3, v37
	v_max_f16_e32 v51, v105, v105
	v_lshrrev_b32_e32 v52, 16, v105
	v_max_f32_e32 v40, v40, v40
	v_lshrrev_b32_e32 v101, 16, v41
	v_lshrrev_b32_e32 v104, 16, v50
	v_min_f16_e32 v41, v51, v41
	v_min3_f16 v51, v52, v101, v104
	v_min3_f16 v41, v41, v50, v51
	v_cvt_f32_f16_e32 v41, v41
	v_min_f32_e32 v50, v40, v41
	v_lshlrev_b64 v[40:41], 1, v[44:45]
	v_cvt_f16_f32_e32 v50, v50
	v_add_co_u32 v40, vcc_lo, v34, v40
	v_add_co_ci_u32_e64 v41, null, v35, v41, vcc_lo
	global_store_short v[40:41], v50, off
	s_or_b32 exec_lo, exec_lo, s9
	s_and_b32 s9, s3, s4
	s_and_saveexec_b32 s4, s9
	s_cbranch_execz .LBB267_122
.LBB267_118:
	v_cmp_ne_u32_e32 vcc_lo, 1, v48
	s_cbranch_vccnz .LBB267_120
; %bb.119:
	v_lshlrev_b64 v[40:41], 1, v[46:47]
	v_add_co_u32 v38, vcc_lo, v38, v40
	v_add_co_ci_u32_e64 v39, null, v39, v41, vcc_lo
	global_load_ushort v38, v[38:39], off
	s_waitcnt vmcnt(0)
	v_mul_f16_e32 v38, v53, v38
	v_cvt_f32_f16_e32 v38, v38
	s_branch .LBB267_121
.LBB267_120:
	v_mov_b32_e32 v38, 0
.LBB267_121:
	v_pk_add_f16 v36, v4, v36
	v_pk_add_f16 v37, v5, v37
	v_max_f16_e32 v39, v103, v103
	v_lshrrev_b32_e32 v40, 16, v103
	v_lshrrev_b32_e32 v41, 16, v36
	;; [unrolled: 1-line block ×3, first 2 shown]
	v_min_f16_e32 v36, v39, v36
	v_min3_f16 v39, v40, v41, v50
	v_min3_f16 v36, v36, v37, v39
	v_max_f32_e32 v37, v38, v38
	v_cvt_f32_f16_e32 v36, v36
	v_min_f32_e32 v38, v37, v36
	v_lshlrev_b64 v[36:37], 1, v[46:47]
	v_cvt_f16_f32_e32 v38, v38
	v_add_co_u32 v34, vcc_lo, v34, v36
	v_add_co_ci_u32_e64 v35, null, v35, v37, vcc_lo
	global_store_short v[34:35], v38, off
.LBB267_122:
	s_or_b32 exec_lo, exec_lo, s4
	v_add_nc_u32_e32 v38, 32, v49
	v_mad_i64_i32 v[34:35], null, v38, s6, 0
	v_mad_i64_i32 v[36:37], null, v38, s5, 0
	v_cmp_gt_i32_e64 s4, s13, v38
	v_lshlrev_b64 v[34:35], 1, v[34:35]
	s_and_b32 s10, s0, s4
	v_lshlrev_b64 v[38:39], 1, v[36:37]
	v_add_co_u32 v36, vcc_lo, s16, v34
	v_add_co_ci_u32_e64 v37, null, s17, v35, vcc_lo
	v_add_co_u32 v34, vcc_lo, s7, v38
	v_add_co_ci_u32_e64 v35, null, s8, v39, vcc_lo
	s_and_saveexec_b32 s9, s10
	s_cbranch_execnz .LBB267_126
; %bb.123:
	s_or_b32 exec_lo, exec_lo, s9
	s_and_b32 s10, s1, s4
	s_and_saveexec_b32 s9, s10
	s_cbranch_execnz .LBB267_130
.LBB267_124:
	s_or_b32 exec_lo, exec_lo, s9
	s_and_b32 s10, s2, s4
	s_and_saveexec_b32 s9, s10
	s_cbranch_execnz .LBB267_134
.LBB267_125:
	s_or_b32 exec_lo, exec_lo, s9
	s_and_b32 s9, s3, s4
	s_and_saveexec_b32 s4, s9
	s_cbranch_execnz .LBB267_138
	s_branch .LBB267_142
.LBB267_126:
	v_cmp_ne_u32_e32 vcc_lo, 1, v48
	s_cbranch_vccnz .LBB267_128
; %bb.127:
	v_lshlrev_b64 v[38:39], 1, v[0:1]
	v_add_co_u32 v38, vcc_lo, v36, v38
	v_add_co_ci_u32_e64 v39, null, v37, v39, vcc_lo
	global_load_ushort v38, v[38:39], off
	s_waitcnt vmcnt(0)
	v_mul_f16_e32 v38, v53, v38
	v_cvt_f32_f16_e32 v38, v38
	s_branch .LBB267_129
.LBB267_128:
	v_mov_b32_e32 v38, 0
.LBB267_129:
	v_pk_add_f16 v39, v10, v30
	v_pk_add_f16 v40, v11, v31
	v_max_f16_e32 v41, v102, v102
	v_lshrrev_b32_e32 v50, 16, v102
	v_max_f32_e32 v38, v38, v38
	v_lshrrev_b32_e32 v51, 16, v39
	v_lshrrev_b32_e32 v52, 16, v40
	v_min_f16_e32 v39, v41, v39
	v_min3_f16 v41, v50, v51, v52
	v_min3_f16 v39, v39, v40, v41
	v_cvt_f32_f16_e32 v39, v39
	v_min_f32_e32 v40, v38, v39
	v_lshlrev_b64 v[38:39], 1, v[0:1]
	v_cvt_f16_f32_e32 v40, v40
	v_add_co_u32 v38, vcc_lo, v34, v38
	v_add_co_ci_u32_e64 v39, null, v35, v39, vcc_lo
	global_store_short v[38:39], v40, off
	s_or_b32 exec_lo, exec_lo, s9
	s_and_b32 s10, s1, s4
	s_and_saveexec_b32 s9, s10
	s_cbranch_execz .LBB267_124
.LBB267_130:
	v_cmp_ne_u32_e32 vcc_lo, 1, v48
	s_cbranch_vccnz .LBB267_132
; %bb.131:
	v_lshlrev_b64 v[38:39], 1, v[42:43]
	v_add_co_u32 v38, vcc_lo, v36, v38
	v_add_co_ci_u32_e64 v39, null, v37, v39, vcc_lo
	global_load_ushort v38, v[38:39], off
	s_waitcnt vmcnt(0)
	v_mul_f16_e32 v38, v53, v38
	v_cvt_f32_f16_e32 v38, v38
	s_branch .LBB267_133
.LBB267_132:
	v_mov_b32_e32 v38, 0
.LBB267_133:
	v_pk_add_f16 v39, v12, v30
	v_pk_add_f16 v40, v13, v31
	v_max_f16_e32 v41, v100, v100
	v_lshrrev_b32_e32 v50, 16, v100
	v_max_f32_e32 v38, v38, v38
	v_lshrrev_b32_e32 v51, 16, v39
	v_lshrrev_b32_e32 v52, 16, v40
	v_min_f16_e32 v39, v41, v39
	v_min3_f16 v41, v50, v51, v52
	v_min3_f16 v39, v39, v40, v41
	v_cvt_f32_f16_e32 v39, v39
	v_min_f32_e32 v40, v38, v39
	v_lshlrev_b64 v[38:39], 1, v[42:43]
	v_cvt_f16_f32_e32 v40, v40
	v_add_co_u32 v38, vcc_lo, v34, v38
	v_add_co_ci_u32_e64 v39, null, v35, v39, vcc_lo
	global_store_short v[38:39], v40, off
	s_or_b32 exec_lo, exec_lo, s9
	s_and_b32 s10, s2, s4
	s_and_saveexec_b32 s9, s10
	s_cbranch_execz .LBB267_125
.LBB267_134:
	v_cmp_ne_u32_e32 vcc_lo, 1, v48
	s_cbranch_vccnz .LBB267_136
; %bb.135:
	v_lshlrev_b64 v[38:39], 1, v[44:45]
	v_add_co_u32 v38, vcc_lo, v36, v38
	v_add_co_ci_u32_e64 v39, null, v37, v39, vcc_lo
	global_load_ushort v38, v[38:39], off
	s_waitcnt vmcnt(0)
	v_mul_f16_e32 v38, v53, v38
	v_cvt_f32_f16_e32 v38, v38
	s_branch .LBB267_137
.LBB267_136:
	v_mov_b32_e32 v38, 0
.LBB267_137:
	v_pk_add_f16 v39, v2, v30
	v_pk_add_f16 v40, v3, v31
	v_max_f16_e32 v41, v99, v99
	v_lshrrev_b32_e32 v50, 16, v99
	v_max_f32_e32 v38, v38, v38
	v_lshrrev_b32_e32 v51, 16, v39
	v_lshrrev_b32_e32 v52, 16, v40
	v_min_f16_e32 v39, v41, v39
	v_min3_f16 v41, v50, v51, v52
	v_min3_f16 v39, v39, v40, v41
	v_cvt_f32_f16_e32 v39, v39
	v_min_f32_e32 v40, v38, v39
	v_lshlrev_b64 v[38:39], 1, v[44:45]
	v_cvt_f16_f32_e32 v40, v40
	v_add_co_u32 v38, vcc_lo, v34, v38
	v_add_co_ci_u32_e64 v39, null, v35, v39, vcc_lo
	global_store_short v[38:39], v40, off
	s_or_b32 exec_lo, exec_lo, s9
	s_and_b32 s9, s3, s4
	s_and_saveexec_b32 s4, s9
	s_cbranch_execz .LBB267_142
.LBB267_138:
	v_cmp_ne_u32_e32 vcc_lo, 1, v48
	s_cbranch_vccnz .LBB267_140
; %bb.139:
	v_lshlrev_b64 v[38:39], 1, v[46:47]
	v_add_co_u32 v36, vcc_lo, v36, v38
	v_add_co_ci_u32_e64 v37, null, v37, v39, vcc_lo
	global_load_ushort v36, v[36:37], off
	s_waitcnt vmcnt(0)
	v_mul_f16_e32 v36, v53, v36
	v_cvt_f32_f16_e32 v36, v36
	s_branch .LBB267_141
.LBB267_140:
	v_mov_b32_e32 v36, 0
.LBB267_141:
	v_pk_add_f16 v30, v4, v30
	v_pk_add_f16 v31, v5, v31
	v_max_f16_e32 v37, v98, v98
	v_lshrrev_b32_e32 v38, 16, v98
	v_lshrrev_b32_e32 v39, 16, v30
	;; [unrolled: 1-line block ×3, first 2 shown]
	v_min_f16_e32 v30, v37, v30
	v_min3_f16 v37, v38, v39, v40
	v_min3_f16 v30, v30, v31, v37
	v_max_f32_e32 v31, v36, v36
	v_cvt_f32_f16_e32 v30, v30
	v_min_f32_e32 v36, v31, v30
	v_lshlrev_b64 v[30:31], 1, v[46:47]
	v_cvt_f16_f32_e32 v36, v36
	v_add_co_u32 v30, vcc_lo, v34, v30
	v_add_co_ci_u32_e64 v31, null, v35, v31, vcc_lo
	global_store_short v[30:31], v36, off
.LBB267_142:
	s_or_b32 exec_lo, exec_lo, s4
	v_add_nc_u32_e32 v36, 40, v49
	v_mad_i64_i32 v[30:31], null, v36, s6, 0
	v_mad_i64_i32 v[34:35], null, v36, s5, 0
	v_cmp_gt_i32_e64 s4, s13, v36
	v_lshlrev_b64 v[30:31], 1, v[30:31]
	s_and_b32 s10, s0, s4
	v_lshlrev_b64 v[36:37], 1, v[34:35]
	v_add_co_u32 v34, vcc_lo, s16, v30
	v_add_co_ci_u32_e64 v35, null, s17, v31, vcc_lo
	v_add_co_u32 v30, vcc_lo, s7, v36
	v_add_co_ci_u32_e64 v31, null, s8, v37, vcc_lo
	s_and_saveexec_b32 s9, s10
	s_cbranch_execnz .LBB267_146
; %bb.143:
	s_or_b32 exec_lo, exec_lo, s9
	s_and_b32 s10, s1, s4
	s_and_saveexec_b32 s9, s10
	s_cbranch_execnz .LBB267_150
.LBB267_144:
	s_or_b32 exec_lo, exec_lo, s9
	s_and_b32 s10, s2, s4
	s_and_saveexec_b32 s9, s10
	s_cbranch_execnz .LBB267_154
.LBB267_145:
	s_or_b32 exec_lo, exec_lo, s9
	s_and_b32 s9, s3, s4
	s_and_saveexec_b32 s4, s9
	s_cbranch_execnz .LBB267_158
	s_branch .LBB267_162
.LBB267_146:
	v_cmp_ne_u32_e32 vcc_lo, 1, v48
	s_cbranch_vccnz .LBB267_148
; %bb.147:
	v_lshlrev_b64 v[36:37], 1, v[0:1]
	v_add_co_u32 v36, vcc_lo, v34, v36
	v_add_co_ci_u32_e64 v37, null, v35, v37, vcc_lo
	global_load_ushort v36, v[36:37], off
	s_waitcnt vmcnt(0)
	v_mul_f16_e32 v36, v53, v36
	v_cvt_f32_f16_e32 v36, v36
	s_branch .LBB267_149
.LBB267_148:
	v_mov_b32_e32 v36, 0
.LBB267_149:
	v_pk_add_f16 v37, v10, v32
	v_pk_add_f16 v38, v11, v33
	v_max_f16_e32 v39, v97, v97
	v_lshrrev_b32_e32 v40, 16, v97
	v_max_f32_e32 v36, v36, v36
	v_lshrrev_b32_e32 v41, 16, v37
	v_lshrrev_b32_e32 v50, 16, v38
	v_min_f16_e32 v37, v39, v37
	v_min3_f16 v39, v40, v41, v50
	v_min3_f16 v37, v37, v38, v39
	v_cvt_f32_f16_e32 v37, v37
	v_min_f32_e32 v38, v36, v37
	v_lshlrev_b64 v[36:37], 1, v[0:1]
	v_cvt_f16_f32_e32 v38, v38
	v_add_co_u32 v36, vcc_lo, v30, v36
	v_add_co_ci_u32_e64 v37, null, v31, v37, vcc_lo
	global_store_short v[36:37], v38, off
	s_or_b32 exec_lo, exec_lo, s9
	s_and_b32 s10, s1, s4
	s_and_saveexec_b32 s9, s10
	s_cbranch_execz .LBB267_144
.LBB267_150:
	v_cmp_ne_u32_e32 vcc_lo, 1, v48
	s_cbranch_vccnz .LBB267_152
; %bb.151:
	v_lshlrev_b64 v[36:37], 1, v[42:43]
	v_add_co_u32 v36, vcc_lo, v34, v36
	v_add_co_ci_u32_e64 v37, null, v35, v37, vcc_lo
	global_load_ushort v36, v[36:37], off
	s_waitcnt vmcnt(0)
	v_mul_f16_e32 v36, v53, v36
	v_cvt_f32_f16_e32 v36, v36
	s_branch .LBB267_153
.LBB267_152:
	v_mov_b32_e32 v36, 0
.LBB267_153:
	v_pk_add_f16 v37, v12, v32
	v_pk_add_f16 v38, v13, v33
	v_max_f16_e32 v39, v96, v96
	v_lshrrev_b32_e32 v40, 16, v96
	v_max_f32_e32 v36, v36, v36
	v_lshrrev_b32_e32 v41, 16, v37
	v_lshrrev_b32_e32 v50, 16, v38
	v_min_f16_e32 v37, v39, v37
	v_min3_f16 v39, v40, v41, v50
	v_min3_f16 v37, v37, v38, v39
	v_cvt_f32_f16_e32 v37, v37
	v_min_f32_e32 v38, v36, v37
	v_lshlrev_b64 v[36:37], 1, v[42:43]
	v_cvt_f16_f32_e32 v38, v38
	v_add_co_u32 v36, vcc_lo, v30, v36
	v_add_co_ci_u32_e64 v37, null, v31, v37, vcc_lo
	global_store_short v[36:37], v38, off
	s_or_b32 exec_lo, exec_lo, s9
	s_and_b32 s10, s2, s4
	s_and_saveexec_b32 s9, s10
	s_cbranch_execz .LBB267_145
.LBB267_154:
	v_cmp_ne_u32_e32 vcc_lo, 1, v48
	s_cbranch_vccnz .LBB267_156
; %bb.155:
	v_lshlrev_b64 v[36:37], 1, v[44:45]
	v_add_co_u32 v36, vcc_lo, v34, v36
	v_add_co_ci_u32_e64 v37, null, v35, v37, vcc_lo
	global_load_ushort v36, v[36:37], off
	s_waitcnt vmcnt(0)
	v_mul_f16_e32 v36, v53, v36
	v_cvt_f32_f16_e32 v36, v36
	s_branch .LBB267_157
.LBB267_156:
	v_mov_b32_e32 v36, 0
.LBB267_157:
	v_pk_add_f16 v37, v2, v32
	v_pk_add_f16 v38, v3, v33
	v_max_f16_e32 v39, v95, v95
	v_lshrrev_b32_e32 v40, 16, v95
	v_max_f32_e32 v36, v36, v36
	v_lshrrev_b32_e32 v41, 16, v37
	v_lshrrev_b32_e32 v50, 16, v38
	v_min_f16_e32 v37, v39, v37
	v_min3_f16 v39, v40, v41, v50
	v_min3_f16 v37, v37, v38, v39
	v_cvt_f32_f16_e32 v37, v37
	v_min_f32_e32 v38, v36, v37
	v_lshlrev_b64 v[36:37], 1, v[44:45]
	v_cvt_f16_f32_e32 v38, v38
	v_add_co_u32 v36, vcc_lo, v30, v36
	v_add_co_ci_u32_e64 v37, null, v31, v37, vcc_lo
	global_store_short v[36:37], v38, off
	s_or_b32 exec_lo, exec_lo, s9
	s_and_b32 s9, s3, s4
	s_and_saveexec_b32 s4, s9
	s_cbranch_execz .LBB267_162
.LBB267_158:
	v_cmp_ne_u32_e32 vcc_lo, 1, v48
	s_cbranch_vccnz .LBB267_160
; %bb.159:
	v_lshlrev_b64 v[36:37], 1, v[46:47]
	v_add_co_u32 v34, vcc_lo, v34, v36
	v_add_co_ci_u32_e64 v35, null, v35, v37, vcc_lo
	global_load_ushort v34, v[34:35], off
	s_waitcnt vmcnt(0)
	v_mul_f16_e32 v34, v53, v34
	v_cvt_f32_f16_e32 v34, v34
	s_branch .LBB267_161
.LBB267_160:
	v_mov_b32_e32 v34, 0
.LBB267_161:
	v_pk_add_f16 v32, v4, v32
	v_pk_add_f16 v33, v5, v33
	v_max_f16_e32 v35, v94, v94
	v_lshrrev_b32_e32 v36, 16, v94
	v_lshrrev_b32_e32 v37, 16, v32
	;; [unrolled: 1-line block ×3, first 2 shown]
	v_min_f16_e32 v32, v35, v32
	v_min3_f16 v35, v36, v37, v38
	v_min3_f16 v32, v32, v33, v35
	v_max_f32_e32 v33, v34, v34
	v_cvt_f32_f16_e32 v32, v32
	v_min_f32_e32 v34, v33, v32
	v_lshlrev_b64 v[32:33], 1, v[46:47]
	v_cvt_f16_f32_e32 v34, v34
	v_add_co_u32 v30, vcc_lo, v30, v32
	v_add_co_ci_u32_e64 v31, null, v31, v33, vcc_lo
	global_store_short v[30:31], v34, off
.LBB267_162:
	s_or_b32 exec_lo, exec_lo, s4
	v_add_nc_u32_e32 v34, 48, v49
	v_mad_i64_i32 v[30:31], null, v34, s6, 0
	v_mad_i64_i32 v[32:33], null, v34, s5, 0
	v_cmp_gt_i32_e64 s4, s13, v34
	v_lshlrev_b64 v[30:31], 1, v[30:31]
	s_and_b32 s10, s0, s4
	v_lshlrev_b64 v[34:35], 1, v[32:33]
	v_add_co_u32 v32, vcc_lo, s16, v30
	v_add_co_ci_u32_e64 v33, null, s17, v31, vcc_lo
	v_add_co_u32 v30, vcc_lo, s7, v34
	v_add_co_ci_u32_e64 v31, null, s8, v35, vcc_lo
	s_and_saveexec_b32 s9, s10
	s_cbranch_execnz .LBB267_166
; %bb.163:
	s_or_b32 exec_lo, exec_lo, s9
	s_and_b32 s10, s1, s4
	s_and_saveexec_b32 s9, s10
	s_cbranch_execnz .LBB267_170
.LBB267_164:
	s_or_b32 exec_lo, exec_lo, s9
	s_and_b32 s10, s2, s4
	s_and_saveexec_b32 s9, s10
	s_cbranch_execnz .LBB267_174
.LBB267_165:
	s_or_b32 exec_lo, exec_lo, s9
	s_and_b32 s9, s3, s4
	s_and_saveexec_b32 s4, s9
	s_cbranch_execnz .LBB267_178
	s_branch .LBB267_182
.LBB267_166:
	v_cmp_ne_u32_e32 vcc_lo, 1, v48
	s_cbranch_vccnz .LBB267_168
; %bb.167:
	v_lshlrev_b64 v[34:35], 1, v[0:1]
	v_add_co_u32 v34, vcc_lo, v32, v34
	v_add_co_ci_u32_e64 v35, null, v33, v35, vcc_lo
	global_load_ushort v34, v[34:35], off
	s_waitcnt vmcnt(0)
	v_mul_f16_e32 v34, v53, v34
	v_cvt_f32_f16_e32 v34, v34
	s_branch .LBB267_169
.LBB267_168:
	v_mov_b32_e32 v34, 0
.LBB267_169:
	v_pk_add_f16 v35, v10, v26
	v_pk_add_f16 v36, v11, v27
	v_max_f16_e32 v37, v93, v93
	v_lshrrev_b32_e32 v38, 16, v93
	v_max_f32_e32 v34, v34, v34
	v_lshrrev_b32_e32 v39, 16, v35
	v_lshrrev_b32_e32 v40, 16, v36
	v_min_f16_e32 v35, v37, v35
	v_min3_f16 v37, v38, v39, v40
	v_min3_f16 v35, v35, v36, v37
	v_cvt_f32_f16_e32 v35, v35
	v_min_f32_e32 v36, v34, v35
	v_lshlrev_b64 v[34:35], 1, v[0:1]
	v_cvt_f16_f32_e32 v36, v36
	v_add_co_u32 v34, vcc_lo, v30, v34
	v_add_co_ci_u32_e64 v35, null, v31, v35, vcc_lo
	global_store_short v[34:35], v36, off
	s_or_b32 exec_lo, exec_lo, s9
	s_and_b32 s10, s1, s4
	s_and_saveexec_b32 s9, s10
	s_cbranch_execz .LBB267_164
.LBB267_170:
	v_cmp_ne_u32_e32 vcc_lo, 1, v48
	s_cbranch_vccnz .LBB267_172
; %bb.171:
	v_lshlrev_b64 v[34:35], 1, v[42:43]
	v_add_co_u32 v34, vcc_lo, v32, v34
	v_add_co_ci_u32_e64 v35, null, v33, v35, vcc_lo
	global_load_ushort v34, v[34:35], off
	s_waitcnt vmcnt(0)
	v_mul_f16_e32 v34, v53, v34
	v_cvt_f32_f16_e32 v34, v34
	s_branch .LBB267_173
.LBB267_172:
	v_mov_b32_e32 v34, 0
.LBB267_173:
	v_pk_add_f16 v35, v12, v26
	v_pk_add_f16 v36, v13, v27
	v_max_f16_e32 v37, v92, v92
	v_lshrrev_b32_e32 v38, 16, v92
	v_max_f32_e32 v34, v34, v34
	v_lshrrev_b32_e32 v39, 16, v35
	v_lshrrev_b32_e32 v40, 16, v36
	v_min_f16_e32 v35, v37, v35
	v_min3_f16 v37, v38, v39, v40
	v_min3_f16 v35, v35, v36, v37
	v_cvt_f32_f16_e32 v35, v35
	v_min_f32_e32 v36, v34, v35
	v_lshlrev_b64 v[34:35], 1, v[42:43]
	v_cvt_f16_f32_e32 v36, v36
	v_add_co_u32 v34, vcc_lo, v30, v34
	v_add_co_ci_u32_e64 v35, null, v31, v35, vcc_lo
	global_store_short v[34:35], v36, off
	s_or_b32 exec_lo, exec_lo, s9
	s_and_b32 s10, s2, s4
	s_and_saveexec_b32 s9, s10
	s_cbranch_execz .LBB267_165
.LBB267_174:
	v_cmp_ne_u32_e32 vcc_lo, 1, v48
	s_cbranch_vccnz .LBB267_176
; %bb.175:
	v_lshlrev_b64 v[34:35], 1, v[44:45]
	v_add_co_u32 v34, vcc_lo, v32, v34
	v_add_co_ci_u32_e64 v35, null, v33, v35, vcc_lo
	global_load_ushort v34, v[34:35], off
	s_waitcnt vmcnt(0)
	v_mul_f16_e32 v34, v53, v34
	v_cvt_f32_f16_e32 v34, v34
	s_branch .LBB267_177
.LBB267_176:
	v_mov_b32_e32 v34, 0
.LBB267_177:
	v_pk_add_f16 v35, v2, v26
	v_pk_add_f16 v36, v3, v27
	v_max_f16_e32 v37, v91, v91
	v_lshrrev_b32_e32 v38, 16, v91
	v_max_f32_e32 v34, v34, v34
	v_lshrrev_b32_e32 v39, 16, v35
	v_lshrrev_b32_e32 v40, 16, v36
	v_min_f16_e32 v35, v37, v35
	v_min3_f16 v37, v38, v39, v40
	v_min3_f16 v35, v35, v36, v37
	v_cvt_f32_f16_e32 v35, v35
	v_min_f32_e32 v36, v34, v35
	v_lshlrev_b64 v[34:35], 1, v[44:45]
	v_cvt_f16_f32_e32 v36, v36
	v_add_co_u32 v34, vcc_lo, v30, v34
	v_add_co_ci_u32_e64 v35, null, v31, v35, vcc_lo
	global_store_short v[34:35], v36, off
	s_or_b32 exec_lo, exec_lo, s9
	s_and_b32 s9, s3, s4
	s_and_saveexec_b32 s4, s9
	s_cbranch_execz .LBB267_182
.LBB267_178:
	v_cmp_ne_u32_e32 vcc_lo, 1, v48
	s_cbranch_vccnz .LBB267_180
; %bb.179:
	v_lshlrev_b64 v[34:35], 1, v[46:47]
	v_add_co_u32 v32, vcc_lo, v32, v34
	v_add_co_ci_u32_e64 v33, null, v33, v35, vcc_lo
	global_load_ushort v32, v[32:33], off
	s_waitcnt vmcnt(0)
	v_mul_f16_e32 v32, v53, v32
	v_cvt_f32_f16_e32 v32, v32
	s_branch .LBB267_181
.LBB267_180:
	v_mov_b32_e32 v32, 0
.LBB267_181:
	v_pk_add_f16 v26, v4, v26
	v_pk_add_f16 v27, v5, v27
	v_max_f16_e32 v33, v90, v90
	v_lshrrev_b32_e32 v34, 16, v90
	v_lshrrev_b32_e32 v35, 16, v26
	;; [unrolled: 1-line block ×3, first 2 shown]
	v_min_f16_e32 v26, v33, v26
	v_min3_f16 v33, v34, v35, v36
	v_min3_f16 v26, v26, v27, v33
	v_max_f32_e32 v27, v32, v32
	v_cvt_f32_f16_e32 v26, v26
	v_min_f32_e32 v32, v27, v26
	v_lshlrev_b64 v[26:27], 1, v[46:47]
	v_cvt_f16_f32_e32 v32, v32
	v_add_co_u32 v26, vcc_lo, v30, v26
	v_add_co_ci_u32_e64 v27, null, v31, v27, vcc_lo
	global_store_short v[26:27], v32, off
.LBB267_182:
	s_or_b32 exec_lo, exec_lo, s4
	v_add_nc_u32_e32 v32, 56, v49
	v_mad_i64_i32 v[26:27], null, v32, s6, 0
	v_mad_i64_i32 v[30:31], null, v32, s5, 0
	v_cmp_gt_i32_e64 s4, s13, v32
	v_lshlrev_b64 v[26:27], 1, v[26:27]
	s_and_b32 s10, s0, s4
	v_lshlrev_b64 v[32:33], 1, v[30:31]
	v_add_co_u32 v30, vcc_lo, s16, v26
	v_add_co_ci_u32_e64 v31, null, s17, v27, vcc_lo
	v_add_co_u32 v26, vcc_lo, s7, v32
	v_add_co_ci_u32_e64 v27, null, s8, v33, vcc_lo
	s_and_saveexec_b32 s9, s10
	s_cbranch_execnz .LBB267_186
; %bb.183:
	s_or_b32 exec_lo, exec_lo, s9
	s_and_b32 s10, s1, s4
	s_and_saveexec_b32 s9, s10
	s_cbranch_execnz .LBB267_190
.LBB267_184:
	s_or_b32 exec_lo, exec_lo, s9
	s_and_b32 s10, s2, s4
	s_and_saveexec_b32 s9, s10
	s_cbranch_execnz .LBB267_194
.LBB267_185:
	s_or_b32 exec_lo, exec_lo, s9
	s_and_b32 s9, s3, s4
	s_and_saveexec_b32 s4, s9
	s_cbranch_execnz .LBB267_198
	s_branch .LBB267_202
.LBB267_186:
	v_cmp_ne_u32_e32 vcc_lo, 1, v48
	s_cbranch_vccnz .LBB267_188
; %bb.187:
	v_lshlrev_b64 v[32:33], 1, v[0:1]
	v_add_co_u32 v32, vcc_lo, v30, v32
	v_add_co_ci_u32_e64 v33, null, v31, v33, vcc_lo
	global_load_ushort v32, v[32:33], off
	s_waitcnt vmcnt(0)
	v_mul_f16_e32 v32, v53, v32
	v_cvt_f32_f16_e32 v32, v32
	s_branch .LBB267_189
.LBB267_188:
	v_mov_b32_e32 v32, 0
.LBB267_189:
	v_pk_add_f16 v33, v10, v28
	v_pk_add_f16 v34, v11, v29
	v_max_f16_e32 v35, v89, v89
	v_lshrrev_b32_e32 v36, 16, v89
	v_max_f32_e32 v32, v32, v32
	v_lshrrev_b32_e32 v37, 16, v33
	v_lshrrev_b32_e32 v38, 16, v34
	v_min_f16_e32 v33, v35, v33
	v_min3_f16 v35, v36, v37, v38
	v_min3_f16 v33, v33, v34, v35
	v_cvt_f32_f16_e32 v33, v33
	v_min_f32_e32 v34, v32, v33
	v_lshlrev_b64 v[32:33], 1, v[0:1]
	v_cvt_f16_f32_e32 v34, v34
	v_add_co_u32 v32, vcc_lo, v26, v32
	v_add_co_ci_u32_e64 v33, null, v27, v33, vcc_lo
	global_store_short v[32:33], v34, off
	s_or_b32 exec_lo, exec_lo, s9
	s_and_b32 s10, s1, s4
	s_and_saveexec_b32 s9, s10
	s_cbranch_execz .LBB267_184
.LBB267_190:
	v_cmp_ne_u32_e32 vcc_lo, 1, v48
	s_cbranch_vccnz .LBB267_192
; %bb.191:
	v_lshlrev_b64 v[32:33], 1, v[42:43]
	v_add_co_u32 v32, vcc_lo, v30, v32
	v_add_co_ci_u32_e64 v33, null, v31, v33, vcc_lo
	global_load_ushort v32, v[32:33], off
	s_waitcnt vmcnt(0)
	v_mul_f16_e32 v32, v53, v32
	v_cvt_f32_f16_e32 v32, v32
	s_branch .LBB267_193
.LBB267_192:
	v_mov_b32_e32 v32, 0
.LBB267_193:
	v_pk_add_f16 v33, v12, v28
	v_pk_add_f16 v34, v13, v29
	v_max_f16_e32 v35, v88, v88
	v_lshrrev_b32_e32 v36, 16, v88
	v_max_f32_e32 v32, v32, v32
	v_lshrrev_b32_e32 v37, 16, v33
	v_lshrrev_b32_e32 v38, 16, v34
	v_min_f16_e32 v33, v35, v33
	v_min3_f16 v35, v36, v37, v38
	v_min3_f16 v33, v33, v34, v35
	v_cvt_f32_f16_e32 v33, v33
	v_min_f32_e32 v34, v32, v33
	v_lshlrev_b64 v[32:33], 1, v[42:43]
	v_cvt_f16_f32_e32 v34, v34
	v_add_co_u32 v32, vcc_lo, v26, v32
	v_add_co_ci_u32_e64 v33, null, v27, v33, vcc_lo
	global_store_short v[32:33], v34, off
	s_or_b32 exec_lo, exec_lo, s9
	s_and_b32 s10, s2, s4
	s_and_saveexec_b32 s9, s10
	s_cbranch_execz .LBB267_185
.LBB267_194:
	v_cmp_ne_u32_e32 vcc_lo, 1, v48
	s_cbranch_vccnz .LBB267_196
; %bb.195:
	v_lshlrev_b64 v[32:33], 1, v[44:45]
	v_add_co_u32 v32, vcc_lo, v30, v32
	v_add_co_ci_u32_e64 v33, null, v31, v33, vcc_lo
	global_load_ushort v32, v[32:33], off
	s_waitcnt vmcnt(0)
	v_mul_f16_e32 v32, v53, v32
	v_cvt_f32_f16_e32 v32, v32
	s_branch .LBB267_197
.LBB267_196:
	v_mov_b32_e32 v32, 0
.LBB267_197:
	v_pk_add_f16 v33, v2, v28
	v_pk_add_f16 v34, v3, v29
	v_max_f16_e32 v35, v87, v87
	v_lshrrev_b32_e32 v36, 16, v87
	v_max_f32_e32 v32, v32, v32
	v_lshrrev_b32_e32 v37, 16, v33
	v_lshrrev_b32_e32 v38, 16, v34
	v_min_f16_e32 v33, v35, v33
	v_min3_f16 v35, v36, v37, v38
	v_min3_f16 v33, v33, v34, v35
	v_cvt_f32_f16_e32 v33, v33
	v_min_f32_e32 v34, v32, v33
	v_lshlrev_b64 v[32:33], 1, v[44:45]
	v_cvt_f16_f32_e32 v34, v34
	v_add_co_u32 v32, vcc_lo, v26, v32
	v_add_co_ci_u32_e64 v33, null, v27, v33, vcc_lo
	global_store_short v[32:33], v34, off
	s_or_b32 exec_lo, exec_lo, s9
	s_and_b32 s9, s3, s4
	s_and_saveexec_b32 s4, s9
	s_cbranch_execz .LBB267_202
.LBB267_198:
	v_cmp_ne_u32_e32 vcc_lo, 1, v48
	s_cbranch_vccnz .LBB267_200
; %bb.199:
	v_lshlrev_b64 v[32:33], 1, v[46:47]
	v_add_co_u32 v30, vcc_lo, v30, v32
	v_add_co_ci_u32_e64 v31, null, v31, v33, vcc_lo
	global_load_ushort v30, v[30:31], off
	s_waitcnt vmcnt(0)
	v_mul_f16_e32 v30, v53, v30
	v_cvt_f32_f16_e32 v30, v30
	s_branch .LBB267_201
.LBB267_200:
	v_mov_b32_e32 v30, 0
.LBB267_201:
	v_pk_add_f16 v28, v4, v28
	v_pk_add_f16 v29, v5, v29
	v_max_f16_e32 v31, v86, v86
	v_lshrrev_b32_e32 v32, 16, v86
	v_lshrrev_b32_e32 v33, 16, v28
	;; [unrolled: 1-line block ×3, first 2 shown]
	v_min_f16_e32 v28, v31, v28
	v_min3_f16 v31, v32, v33, v34
	v_min3_f16 v28, v28, v29, v31
	v_max_f32_e32 v29, v30, v30
	v_cvt_f32_f16_e32 v28, v28
	v_min_f32_e32 v30, v29, v28
	v_lshlrev_b64 v[28:29], 1, v[46:47]
	v_cvt_f16_f32_e32 v30, v30
	v_add_co_u32 v26, vcc_lo, v26, v28
	v_add_co_ci_u32_e64 v27, null, v27, v29, vcc_lo
	global_store_short v[26:27], v30, off
.LBB267_202:
	s_or_b32 exec_lo, exec_lo, s4
	v_add_nc_u32_e32 v30, 64, v49
	v_mad_i64_i32 v[26:27], null, v30, s6, 0
	v_mad_i64_i32 v[28:29], null, v30, s5, 0
	v_cmp_gt_i32_e64 s4, s13, v30
	v_lshlrev_b64 v[26:27], 1, v[26:27]
	s_and_b32 s10, s0, s4
	v_lshlrev_b64 v[30:31], 1, v[28:29]
	v_add_co_u32 v28, vcc_lo, s16, v26
	v_add_co_ci_u32_e64 v29, null, s17, v27, vcc_lo
	v_add_co_u32 v26, vcc_lo, s7, v30
	v_add_co_ci_u32_e64 v27, null, s8, v31, vcc_lo
	s_and_saveexec_b32 s9, s10
	s_cbranch_execnz .LBB267_206
; %bb.203:
	s_or_b32 exec_lo, exec_lo, s9
	s_and_b32 s10, s1, s4
	s_and_saveexec_b32 s9, s10
	s_cbranch_execnz .LBB267_210
.LBB267_204:
	s_or_b32 exec_lo, exec_lo, s9
	s_and_b32 s10, s2, s4
	s_and_saveexec_b32 s9, s10
	s_cbranch_execnz .LBB267_214
.LBB267_205:
	s_or_b32 exec_lo, exec_lo, s9
	s_and_b32 s9, s3, s4
	s_and_saveexec_b32 s4, s9
	s_cbranch_execnz .LBB267_218
	s_branch .LBB267_222
.LBB267_206:
	v_cmp_ne_u32_e32 vcc_lo, 1, v48
	s_cbranch_vccnz .LBB267_208
; %bb.207:
	v_lshlrev_b64 v[30:31], 1, v[0:1]
	v_add_co_u32 v30, vcc_lo, v28, v30
	v_add_co_ci_u32_e64 v31, null, v29, v31, vcc_lo
	global_load_ushort v30, v[30:31], off
	s_waitcnt vmcnt(0)
	v_mul_f16_e32 v30, v53, v30
	v_cvt_f32_f16_e32 v30, v30
	s_branch .LBB267_209
.LBB267_208:
	v_mov_b32_e32 v30, 0
.LBB267_209:
	v_pk_add_f16 v31, v10, v22
	v_pk_add_f16 v32, v11, v23
	v_max_f16_e32 v33, v85, v85
	v_lshrrev_b32_e32 v34, 16, v85
	v_max_f32_e32 v30, v30, v30
	v_lshrrev_b32_e32 v35, 16, v31
	v_lshrrev_b32_e32 v36, 16, v32
	v_min_f16_e32 v31, v33, v31
	v_min3_f16 v33, v34, v35, v36
	v_min3_f16 v31, v31, v32, v33
	v_cvt_f32_f16_e32 v31, v31
	v_min_f32_e32 v32, v30, v31
	v_lshlrev_b64 v[30:31], 1, v[0:1]
	v_cvt_f16_f32_e32 v32, v32
	v_add_co_u32 v30, vcc_lo, v26, v30
	v_add_co_ci_u32_e64 v31, null, v27, v31, vcc_lo
	global_store_short v[30:31], v32, off
	s_or_b32 exec_lo, exec_lo, s9
	s_and_b32 s10, s1, s4
	s_and_saveexec_b32 s9, s10
	s_cbranch_execz .LBB267_204
.LBB267_210:
	v_cmp_ne_u32_e32 vcc_lo, 1, v48
	s_cbranch_vccnz .LBB267_212
; %bb.211:
	v_lshlrev_b64 v[30:31], 1, v[42:43]
	v_add_co_u32 v30, vcc_lo, v28, v30
	v_add_co_ci_u32_e64 v31, null, v29, v31, vcc_lo
	global_load_ushort v30, v[30:31], off
	s_waitcnt vmcnt(0)
	v_mul_f16_e32 v30, v53, v30
	v_cvt_f32_f16_e32 v30, v30
	s_branch .LBB267_213
.LBB267_212:
	v_mov_b32_e32 v30, 0
.LBB267_213:
	v_pk_add_f16 v31, v12, v22
	v_pk_add_f16 v32, v13, v23
	v_max_f16_e32 v33, v84, v84
	v_lshrrev_b32_e32 v34, 16, v84
	v_max_f32_e32 v30, v30, v30
	v_lshrrev_b32_e32 v35, 16, v31
	v_lshrrev_b32_e32 v36, 16, v32
	v_min_f16_e32 v31, v33, v31
	v_min3_f16 v33, v34, v35, v36
	v_min3_f16 v31, v31, v32, v33
	v_cvt_f32_f16_e32 v31, v31
	v_min_f32_e32 v32, v30, v31
	v_lshlrev_b64 v[30:31], 1, v[42:43]
	v_cvt_f16_f32_e32 v32, v32
	v_add_co_u32 v30, vcc_lo, v26, v30
	v_add_co_ci_u32_e64 v31, null, v27, v31, vcc_lo
	global_store_short v[30:31], v32, off
	s_or_b32 exec_lo, exec_lo, s9
	s_and_b32 s10, s2, s4
	s_and_saveexec_b32 s9, s10
	s_cbranch_execz .LBB267_205
.LBB267_214:
	v_cmp_ne_u32_e32 vcc_lo, 1, v48
	s_cbranch_vccnz .LBB267_216
; %bb.215:
	v_lshlrev_b64 v[30:31], 1, v[44:45]
	v_add_co_u32 v30, vcc_lo, v28, v30
	v_add_co_ci_u32_e64 v31, null, v29, v31, vcc_lo
	global_load_ushort v30, v[30:31], off
	s_waitcnt vmcnt(0)
	v_mul_f16_e32 v30, v53, v30
	v_cvt_f32_f16_e32 v30, v30
	s_branch .LBB267_217
.LBB267_216:
	v_mov_b32_e32 v30, 0
.LBB267_217:
	v_pk_add_f16 v31, v2, v22
	v_pk_add_f16 v32, v3, v23
	v_max_f16_e32 v33, v83, v83
	v_lshrrev_b32_e32 v34, 16, v83
	v_max_f32_e32 v30, v30, v30
	v_lshrrev_b32_e32 v35, 16, v31
	v_lshrrev_b32_e32 v36, 16, v32
	v_min_f16_e32 v31, v33, v31
	v_min3_f16 v33, v34, v35, v36
	v_min3_f16 v31, v31, v32, v33
	v_cvt_f32_f16_e32 v31, v31
	v_min_f32_e32 v32, v30, v31
	v_lshlrev_b64 v[30:31], 1, v[44:45]
	v_cvt_f16_f32_e32 v32, v32
	v_add_co_u32 v30, vcc_lo, v26, v30
	v_add_co_ci_u32_e64 v31, null, v27, v31, vcc_lo
	global_store_short v[30:31], v32, off
	s_or_b32 exec_lo, exec_lo, s9
	s_and_b32 s9, s3, s4
	s_and_saveexec_b32 s4, s9
	s_cbranch_execz .LBB267_222
.LBB267_218:
	v_cmp_ne_u32_e32 vcc_lo, 1, v48
	s_cbranch_vccnz .LBB267_220
; %bb.219:
	v_lshlrev_b64 v[30:31], 1, v[46:47]
	v_add_co_u32 v28, vcc_lo, v28, v30
	v_add_co_ci_u32_e64 v29, null, v29, v31, vcc_lo
	global_load_ushort v28, v[28:29], off
	s_waitcnt vmcnt(0)
	v_mul_f16_e32 v28, v53, v28
	v_cvt_f32_f16_e32 v28, v28
	s_branch .LBB267_221
.LBB267_220:
	v_mov_b32_e32 v28, 0
.LBB267_221:
	v_pk_add_f16 v22, v4, v22
	v_pk_add_f16 v23, v5, v23
	v_max_f16_e32 v29, v82, v82
	v_lshrrev_b32_e32 v30, 16, v82
	v_lshrrev_b32_e32 v31, 16, v22
	;; [unrolled: 1-line block ×3, first 2 shown]
	v_min_f16_e32 v22, v29, v22
	v_min3_f16 v29, v30, v31, v32
	v_min3_f16 v22, v22, v23, v29
	v_max_f32_e32 v23, v28, v28
	v_cvt_f32_f16_e32 v22, v22
	v_min_f32_e32 v28, v23, v22
	v_lshlrev_b64 v[22:23], 1, v[46:47]
	v_cvt_f16_f32_e32 v28, v28
	v_add_co_u32 v22, vcc_lo, v26, v22
	v_add_co_ci_u32_e64 v23, null, v27, v23, vcc_lo
	global_store_short v[22:23], v28, off
.LBB267_222:
	s_or_b32 exec_lo, exec_lo, s4
	v_add_nc_u32_e32 v28, 0x48, v49
	v_mad_i64_i32 v[22:23], null, v28, s6, 0
	v_mad_i64_i32 v[26:27], null, v28, s5, 0
	v_cmp_gt_i32_e64 s4, s13, v28
	v_lshlrev_b64 v[22:23], 1, v[22:23]
	s_and_b32 s10, s0, s4
	v_lshlrev_b64 v[28:29], 1, v[26:27]
	v_add_co_u32 v26, vcc_lo, s16, v22
	v_add_co_ci_u32_e64 v27, null, s17, v23, vcc_lo
	v_add_co_u32 v22, vcc_lo, s7, v28
	v_add_co_ci_u32_e64 v23, null, s8, v29, vcc_lo
	s_and_saveexec_b32 s9, s10
	s_cbranch_execnz .LBB267_226
; %bb.223:
	s_or_b32 exec_lo, exec_lo, s9
	s_and_b32 s10, s1, s4
	s_and_saveexec_b32 s9, s10
	s_cbranch_execnz .LBB267_230
.LBB267_224:
	s_or_b32 exec_lo, exec_lo, s9
	s_and_b32 s10, s2, s4
	s_and_saveexec_b32 s9, s10
	s_cbranch_execnz .LBB267_234
.LBB267_225:
	s_or_b32 exec_lo, exec_lo, s9
	s_and_b32 s9, s3, s4
	s_and_saveexec_b32 s4, s9
	s_cbranch_execnz .LBB267_238
	s_branch .LBB267_242
.LBB267_226:
	v_cmp_ne_u32_e32 vcc_lo, 1, v48
	s_cbranch_vccnz .LBB267_228
; %bb.227:
	v_lshlrev_b64 v[28:29], 1, v[0:1]
	v_add_co_u32 v28, vcc_lo, v26, v28
	v_add_co_ci_u32_e64 v29, null, v27, v29, vcc_lo
	global_load_ushort v28, v[28:29], off
	s_waitcnt vmcnt(0)
	v_mul_f16_e32 v28, v53, v28
	v_cvt_f32_f16_e32 v28, v28
	s_branch .LBB267_229
.LBB267_228:
	v_mov_b32_e32 v28, 0
.LBB267_229:
	v_pk_add_f16 v29, v10, v24
	v_pk_add_f16 v30, v11, v25
	v_max_f16_e32 v31, v81, v81
	v_lshrrev_b32_e32 v32, 16, v81
	v_max_f32_e32 v28, v28, v28
	v_lshrrev_b32_e32 v33, 16, v29
	v_lshrrev_b32_e32 v34, 16, v30
	v_min_f16_e32 v29, v31, v29
	v_min3_f16 v31, v32, v33, v34
	v_min3_f16 v29, v29, v30, v31
	v_cvt_f32_f16_e32 v29, v29
	v_min_f32_e32 v30, v28, v29
	v_lshlrev_b64 v[28:29], 1, v[0:1]
	v_cvt_f16_f32_e32 v30, v30
	v_add_co_u32 v28, vcc_lo, v22, v28
	v_add_co_ci_u32_e64 v29, null, v23, v29, vcc_lo
	global_store_short v[28:29], v30, off
	s_or_b32 exec_lo, exec_lo, s9
	s_and_b32 s10, s1, s4
	s_and_saveexec_b32 s9, s10
	s_cbranch_execz .LBB267_224
.LBB267_230:
	v_cmp_ne_u32_e32 vcc_lo, 1, v48
	s_cbranch_vccnz .LBB267_232
; %bb.231:
	v_lshlrev_b64 v[28:29], 1, v[42:43]
	v_add_co_u32 v28, vcc_lo, v26, v28
	v_add_co_ci_u32_e64 v29, null, v27, v29, vcc_lo
	global_load_ushort v28, v[28:29], off
	s_waitcnt vmcnt(0)
	v_mul_f16_e32 v28, v53, v28
	v_cvt_f32_f16_e32 v28, v28
	s_branch .LBB267_233
.LBB267_232:
	v_mov_b32_e32 v28, 0
.LBB267_233:
	v_pk_add_f16 v29, v12, v24
	v_pk_add_f16 v30, v13, v25
	v_max_f16_e32 v31, v80, v80
	v_lshrrev_b32_e32 v32, 16, v80
	v_max_f32_e32 v28, v28, v28
	v_lshrrev_b32_e32 v33, 16, v29
	v_lshrrev_b32_e32 v34, 16, v30
	v_min_f16_e32 v29, v31, v29
	v_min3_f16 v31, v32, v33, v34
	v_min3_f16 v29, v29, v30, v31
	v_cvt_f32_f16_e32 v29, v29
	v_min_f32_e32 v30, v28, v29
	v_lshlrev_b64 v[28:29], 1, v[42:43]
	v_cvt_f16_f32_e32 v30, v30
	v_add_co_u32 v28, vcc_lo, v22, v28
	v_add_co_ci_u32_e64 v29, null, v23, v29, vcc_lo
	global_store_short v[28:29], v30, off
	s_or_b32 exec_lo, exec_lo, s9
	s_and_b32 s10, s2, s4
	s_and_saveexec_b32 s9, s10
	s_cbranch_execz .LBB267_225
.LBB267_234:
	v_cmp_ne_u32_e32 vcc_lo, 1, v48
	s_cbranch_vccnz .LBB267_236
; %bb.235:
	v_lshlrev_b64 v[28:29], 1, v[44:45]
	v_add_co_u32 v28, vcc_lo, v26, v28
	v_add_co_ci_u32_e64 v29, null, v27, v29, vcc_lo
	global_load_ushort v28, v[28:29], off
	s_waitcnt vmcnt(0)
	v_mul_f16_e32 v28, v53, v28
	v_cvt_f32_f16_e32 v28, v28
	s_branch .LBB267_237
.LBB267_236:
	v_mov_b32_e32 v28, 0
.LBB267_237:
	v_pk_add_f16 v29, v2, v24
	v_pk_add_f16 v30, v3, v25
	v_max_f16_e32 v31, v79, v79
	v_lshrrev_b32_e32 v32, 16, v79
	v_max_f32_e32 v28, v28, v28
	v_lshrrev_b32_e32 v33, 16, v29
	v_lshrrev_b32_e32 v34, 16, v30
	v_min_f16_e32 v29, v31, v29
	v_min3_f16 v31, v32, v33, v34
	v_min3_f16 v29, v29, v30, v31
	v_cvt_f32_f16_e32 v29, v29
	v_min_f32_e32 v30, v28, v29
	v_lshlrev_b64 v[28:29], 1, v[44:45]
	v_cvt_f16_f32_e32 v30, v30
	v_add_co_u32 v28, vcc_lo, v22, v28
	v_add_co_ci_u32_e64 v29, null, v23, v29, vcc_lo
	global_store_short v[28:29], v30, off
	s_or_b32 exec_lo, exec_lo, s9
	s_and_b32 s9, s3, s4
	s_and_saveexec_b32 s4, s9
	s_cbranch_execz .LBB267_242
.LBB267_238:
	v_cmp_ne_u32_e32 vcc_lo, 1, v48
	s_cbranch_vccnz .LBB267_240
; %bb.239:
	v_lshlrev_b64 v[28:29], 1, v[46:47]
	v_add_co_u32 v26, vcc_lo, v26, v28
	v_add_co_ci_u32_e64 v27, null, v27, v29, vcc_lo
	global_load_ushort v26, v[26:27], off
	s_waitcnt vmcnt(0)
	v_mul_f16_e32 v26, v53, v26
	v_cvt_f32_f16_e32 v26, v26
	s_branch .LBB267_241
.LBB267_240:
	v_mov_b32_e32 v26, 0
.LBB267_241:
	v_pk_add_f16 v24, v4, v24
	v_pk_add_f16 v25, v5, v25
	v_max_f16_e32 v27, v78, v78
	v_lshrrev_b32_e32 v28, 16, v78
	v_lshrrev_b32_e32 v29, 16, v24
	;; [unrolled: 1-line block ×3, first 2 shown]
	v_min_f16_e32 v24, v27, v24
	v_min3_f16 v27, v28, v29, v30
	v_min3_f16 v24, v24, v25, v27
	v_max_f32_e32 v25, v26, v26
	v_cvt_f32_f16_e32 v24, v24
	v_min_f32_e32 v26, v25, v24
	v_lshlrev_b64 v[24:25], 1, v[46:47]
	v_cvt_f16_f32_e32 v26, v26
	v_add_co_u32 v22, vcc_lo, v22, v24
	v_add_co_ci_u32_e64 v23, null, v23, v25, vcc_lo
	global_store_short v[22:23], v26, off
.LBB267_242:
	s_or_b32 exec_lo, exec_lo, s4
	v_add_nc_u32_e32 v26, 0x50, v49
	v_mad_i64_i32 v[22:23], null, v26, s6, 0
	v_mad_i64_i32 v[24:25], null, v26, s5, 0
	v_cmp_gt_i32_e64 s4, s13, v26
	v_lshlrev_b64 v[22:23], 1, v[22:23]
	s_and_b32 s10, s0, s4
	v_lshlrev_b64 v[26:27], 1, v[24:25]
	v_add_co_u32 v24, vcc_lo, s16, v22
	v_add_co_ci_u32_e64 v25, null, s17, v23, vcc_lo
	v_add_co_u32 v22, vcc_lo, s7, v26
	v_add_co_ci_u32_e64 v23, null, s8, v27, vcc_lo
	s_and_saveexec_b32 s9, s10
	s_cbranch_execnz .LBB267_246
; %bb.243:
	s_or_b32 exec_lo, exec_lo, s9
	s_and_b32 s10, s1, s4
	s_and_saveexec_b32 s9, s10
	s_cbranch_execnz .LBB267_250
.LBB267_244:
	s_or_b32 exec_lo, exec_lo, s9
	s_and_b32 s10, s2, s4
	s_and_saveexec_b32 s9, s10
	s_cbranch_execnz .LBB267_254
.LBB267_245:
	s_or_b32 exec_lo, exec_lo, s9
	s_and_b32 s9, s3, s4
	s_and_saveexec_b32 s4, s9
	s_cbranch_execnz .LBB267_258
	s_branch .LBB267_262
.LBB267_246:
	v_cmp_ne_u32_e32 vcc_lo, 1, v48
	s_cbranch_vccnz .LBB267_248
; %bb.247:
	v_lshlrev_b64 v[26:27], 1, v[0:1]
	v_add_co_u32 v26, vcc_lo, v24, v26
	v_add_co_ci_u32_e64 v27, null, v25, v27, vcc_lo
	global_load_ushort v26, v[26:27], off
	s_waitcnt vmcnt(0)
	v_mul_f16_e32 v26, v53, v26
	v_cvt_f32_f16_e32 v26, v26
	s_branch .LBB267_249
.LBB267_248:
	v_mov_b32_e32 v26, 0
.LBB267_249:
	v_pk_add_f16 v27, v10, v18
	v_pk_add_f16 v28, v11, v19
	v_max_f16_e32 v29, v77, v77
	v_lshrrev_b32_e32 v30, 16, v77
	v_max_f32_e32 v26, v26, v26
	v_lshrrev_b32_e32 v31, 16, v27
	v_lshrrev_b32_e32 v32, 16, v28
	v_min_f16_e32 v27, v29, v27
	v_min3_f16 v29, v30, v31, v32
	v_min3_f16 v27, v27, v28, v29
	v_cvt_f32_f16_e32 v27, v27
	v_min_f32_e32 v28, v26, v27
	v_lshlrev_b64 v[26:27], 1, v[0:1]
	v_cvt_f16_f32_e32 v28, v28
	v_add_co_u32 v26, vcc_lo, v22, v26
	v_add_co_ci_u32_e64 v27, null, v23, v27, vcc_lo
	global_store_short v[26:27], v28, off
	s_or_b32 exec_lo, exec_lo, s9
	s_and_b32 s10, s1, s4
	s_and_saveexec_b32 s9, s10
	s_cbranch_execz .LBB267_244
.LBB267_250:
	v_cmp_ne_u32_e32 vcc_lo, 1, v48
	s_cbranch_vccnz .LBB267_252
; %bb.251:
	v_lshlrev_b64 v[26:27], 1, v[42:43]
	v_add_co_u32 v26, vcc_lo, v24, v26
	v_add_co_ci_u32_e64 v27, null, v25, v27, vcc_lo
	global_load_ushort v26, v[26:27], off
	s_waitcnt vmcnt(0)
	v_mul_f16_e32 v26, v53, v26
	v_cvt_f32_f16_e32 v26, v26
	s_branch .LBB267_253
.LBB267_252:
	v_mov_b32_e32 v26, 0
.LBB267_253:
	v_pk_add_f16 v27, v12, v18
	v_pk_add_f16 v28, v13, v19
	v_max_f16_e32 v29, v76, v76
	v_lshrrev_b32_e32 v30, 16, v76
	v_max_f32_e32 v26, v26, v26
	v_lshrrev_b32_e32 v31, 16, v27
	v_lshrrev_b32_e32 v32, 16, v28
	v_min_f16_e32 v27, v29, v27
	v_min3_f16 v29, v30, v31, v32
	v_min3_f16 v27, v27, v28, v29
	v_cvt_f32_f16_e32 v27, v27
	v_min_f32_e32 v28, v26, v27
	v_lshlrev_b64 v[26:27], 1, v[42:43]
	v_cvt_f16_f32_e32 v28, v28
	v_add_co_u32 v26, vcc_lo, v22, v26
	v_add_co_ci_u32_e64 v27, null, v23, v27, vcc_lo
	global_store_short v[26:27], v28, off
	s_or_b32 exec_lo, exec_lo, s9
	s_and_b32 s10, s2, s4
	s_and_saveexec_b32 s9, s10
	s_cbranch_execz .LBB267_245
.LBB267_254:
	v_cmp_ne_u32_e32 vcc_lo, 1, v48
	s_cbranch_vccnz .LBB267_256
; %bb.255:
	v_lshlrev_b64 v[26:27], 1, v[44:45]
	v_add_co_u32 v26, vcc_lo, v24, v26
	v_add_co_ci_u32_e64 v27, null, v25, v27, vcc_lo
	global_load_ushort v26, v[26:27], off
	s_waitcnt vmcnt(0)
	v_mul_f16_e32 v26, v53, v26
	v_cvt_f32_f16_e32 v26, v26
	s_branch .LBB267_257
.LBB267_256:
	v_mov_b32_e32 v26, 0
.LBB267_257:
	v_pk_add_f16 v27, v2, v18
	v_pk_add_f16 v28, v3, v19
	v_max_f16_e32 v29, v75, v75
	v_lshrrev_b32_e32 v30, 16, v75
	v_max_f32_e32 v26, v26, v26
	v_lshrrev_b32_e32 v31, 16, v27
	v_lshrrev_b32_e32 v32, 16, v28
	v_min_f16_e32 v27, v29, v27
	v_min3_f16 v29, v30, v31, v32
	v_min3_f16 v27, v27, v28, v29
	v_cvt_f32_f16_e32 v27, v27
	v_min_f32_e32 v28, v26, v27
	v_lshlrev_b64 v[26:27], 1, v[44:45]
	v_cvt_f16_f32_e32 v28, v28
	v_add_co_u32 v26, vcc_lo, v22, v26
	v_add_co_ci_u32_e64 v27, null, v23, v27, vcc_lo
	global_store_short v[26:27], v28, off
	s_or_b32 exec_lo, exec_lo, s9
	s_and_b32 s9, s3, s4
	s_and_saveexec_b32 s4, s9
	s_cbranch_execz .LBB267_262
.LBB267_258:
	v_cmp_ne_u32_e32 vcc_lo, 1, v48
	s_cbranch_vccnz .LBB267_260
; %bb.259:
	v_lshlrev_b64 v[26:27], 1, v[46:47]
	v_add_co_u32 v24, vcc_lo, v24, v26
	v_add_co_ci_u32_e64 v25, null, v25, v27, vcc_lo
	global_load_ushort v24, v[24:25], off
	s_waitcnt vmcnt(0)
	v_mul_f16_e32 v24, v53, v24
	v_cvt_f32_f16_e32 v24, v24
	s_branch .LBB267_261
.LBB267_260:
	v_mov_b32_e32 v24, 0
.LBB267_261:
	v_pk_add_f16 v18, v4, v18
	v_pk_add_f16 v19, v5, v19
	v_max_f16_e32 v25, v74, v74
	v_lshrrev_b32_e32 v26, 16, v74
	v_lshrrev_b32_e32 v27, 16, v18
	;; [unrolled: 1-line block ×3, first 2 shown]
	v_min_f16_e32 v18, v25, v18
	v_min3_f16 v25, v26, v27, v28
	v_min3_f16 v18, v18, v19, v25
	v_max_f32_e32 v19, v24, v24
	v_cvt_f32_f16_e32 v18, v18
	v_min_f32_e32 v24, v19, v18
	v_lshlrev_b64 v[18:19], 1, v[46:47]
	v_cvt_f16_f32_e32 v24, v24
	v_add_co_u32 v18, vcc_lo, v22, v18
	v_add_co_ci_u32_e64 v19, null, v23, v19, vcc_lo
	global_store_short v[18:19], v24, off
.LBB267_262:
	s_or_b32 exec_lo, exec_lo, s4
	v_add_nc_u32_e32 v24, 0x58, v49
	v_mad_i64_i32 v[18:19], null, v24, s6, 0
	v_mad_i64_i32 v[22:23], null, v24, s5, 0
	v_cmp_gt_i32_e64 s4, s13, v24
	v_lshlrev_b64 v[18:19], 1, v[18:19]
	s_and_b32 s10, s0, s4
	v_lshlrev_b64 v[24:25], 1, v[22:23]
	v_add_co_u32 v22, vcc_lo, s16, v18
	v_add_co_ci_u32_e64 v23, null, s17, v19, vcc_lo
	v_add_co_u32 v18, vcc_lo, s7, v24
	v_add_co_ci_u32_e64 v19, null, s8, v25, vcc_lo
	s_and_saveexec_b32 s9, s10
	s_cbranch_execnz .LBB267_266
; %bb.263:
	s_or_b32 exec_lo, exec_lo, s9
	s_and_b32 s10, s1, s4
	s_and_saveexec_b32 s9, s10
	s_cbranch_execnz .LBB267_270
.LBB267_264:
	s_or_b32 exec_lo, exec_lo, s9
	s_and_b32 s10, s2, s4
	s_and_saveexec_b32 s9, s10
	s_cbranch_execnz .LBB267_274
.LBB267_265:
	s_or_b32 exec_lo, exec_lo, s9
	s_and_b32 s9, s3, s4
	s_and_saveexec_b32 s4, s9
	s_cbranch_execnz .LBB267_278
	s_branch .LBB267_282
.LBB267_266:
	v_cmp_ne_u32_e32 vcc_lo, 1, v48
	s_cbranch_vccnz .LBB267_268
; %bb.267:
	v_lshlrev_b64 v[24:25], 1, v[0:1]
	v_add_co_u32 v24, vcc_lo, v22, v24
	v_add_co_ci_u32_e64 v25, null, v23, v25, vcc_lo
	global_load_ushort v24, v[24:25], off
	s_waitcnt vmcnt(0)
	v_mul_f16_e32 v24, v53, v24
	v_cvt_f32_f16_e32 v24, v24
	s_branch .LBB267_269
.LBB267_268:
	v_mov_b32_e32 v24, 0
.LBB267_269:
	v_pk_add_f16 v25, v10, v20
	v_pk_add_f16 v26, v11, v21
	v_max_f16_e32 v27, v73, v73
	v_lshrrev_b32_e32 v28, 16, v73
	v_max_f32_e32 v24, v24, v24
	v_lshrrev_b32_e32 v29, 16, v25
	v_lshrrev_b32_e32 v30, 16, v26
	v_min_f16_e32 v25, v27, v25
	v_min3_f16 v27, v28, v29, v30
	v_min3_f16 v25, v25, v26, v27
	v_cvt_f32_f16_e32 v25, v25
	v_min_f32_e32 v26, v24, v25
	v_lshlrev_b64 v[24:25], 1, v[0:1]
	v_cvt_f16_f32_e32 v26, v26
	v_add_co_u32 v24, vcc_lo, v18, v24
	v_add_co_ci_u32_e64 v25, null, v19, v25, vcc_lo
	global_store_short v[24:25], v26, off
	s_or_b32 exec_lo, exec_lo, s9
	s_and_b32 s10, s1, s4
	s_and_saveexec_b32 s9, s10
	s_cbranch_execz .LBB267_264
.LBB267_270:
	v_cmp_ne_u32_e32 vcc_lo, 1, v48
	s_cbranch_vccnz .LBB267_272
; %bb.271:
	v_lshlrev_b64 v[24:25], 1, v[42:43]
	v_add_co_u32 v24, vcc_lo, v22, v24
	v_add_co_ci_u32_e64 v25, null, v23, v25, vcc_lo
	global_load_ushort v24, v[24:25], off
	s_waitcnt vmcnt(0)
	v_mul_f16_e32 v24, v53, v24
	v_cvt_f32_f16_e32 v24, v24
	s_branch .LBB267_273
.LBB267_272:
	v_mov_b32_e32 v24, 0
.LBB267_273:
	v_pk_add_f16 v25, v12, v20
	v_pk_add_f16 v26, v13, v21
	v_max_f16_e32 v27, v72, v72
	v_lshrrev_b32_e32 v28, 16, v72
	v_max_f32_e32 v24, v24, v24
	v_lshrrev_b32_e32 v29, 16, v25
	v_lshrrev_b32_e32 v30, 16, v26
	v_min_f16_e32 v25, v27, v25
	v_min3_f16 v27, v28, v29, v30
	v_min3_f16 v25, v25, v26, v27
	v_cvt_f32_f16_e32 v25, v25
	v_min_f32_e32 v26, v24, v25
	v_lshlrev_b64 v[24:25], 1, v[42:43]
	v_cvt_f16_f32_e32 v26, v26
	v_add_co_u32 v24, vcc_lo, v18, v24
	v_add_co_ci_u32_e64 v25, null, v19, v25, vcc_lo
	global_store_short v[24:25], v26, off
	s_or_b32 exec_lo, exec_lo, s9
	s_and_b32 s10, s2, s4
	s_and_saveexec_b32 s9, s10
	s_cbranch_execz .LBB267_265
.LBB267_274:
	v_cmp_ne_u32_e32 vcc_lo, 1, v48
	s_cbranch_vccnz .LBB267_276
; %bb.275:
	v_lshlrev_b64 v[24:25], 1, v[44:45]
	v_add_co_u32 v24, vcc_lo, v22, v24
	v_add_co_ci_u32_e64 v25, null, v23, v25, vcc_lo
	global_load_ushort v24, v[24:25], off
	s_waitcnt vmcnt(0)
	v_mul_f16_e32 v24, v53, v24
	v_cvt_f32_f16_e32 v24, v24
	s_branch .LBB267_277
.LBB267_276:
	v_mov_b32_e32 v24, 0
.LBB267_277:
	v_pk_add_f16 v25, v2, v20
	v_pk_add_f16 v26, v3, v21
	v_max_f16_e32 v27, v71, v71
	v_lshrrev_b32_e32 v28, 16, v71
	v_max_f32_e32 v24, v24, v24
	v_lshrrev_b32_e32 v29, 16, v25
	v_lshrrev_b32_e32 v30, 16, v26
	v_min_f16_e32 v25, v27, v25
	v_min3_f16 v27, v28, v29, v30
	v_min3_f16 v25, v25, v26, v27
	v_cvt_f32_f16_e32 v25, v25
	v_min_f32_e32 v26, v24, v25
	v_lshlrev_b64 v[24:25], 1, v[44:45]
	v_cvt_f16_f32_e32 v26, v26
	v_add_co_u32 v24, vcc_lo, v18, v24
	v_add_co_ci_u32_e64 v25, null, v19, v25, vcc_lo
	global_store_short v[24:25], v26, off
	s_or_b32 exec_lo, exec_lo, s9
	s_and_b32 s9, s3, s4
	s_and_saveexec_b32 s4, s9
	s_cbranch_execz .LBB267_282
.LBB267_278:
	v_cmp_ne_u32_e32 vcc_lo, 1, v48
	s_cbranch_vccnz .LBB267_280
; %bb.279:
	v_lshlrev_b64 v[24:25], 1, v[46:47]
	v_add_co_u32 v22, vcc_lo, v22, v24
	v_add_co_ci_u32_e64 v23, null, v23, v25, vcc_lo
	global_load_ushort v22, v[22:23], off
	s_waitcnt vmcnt(0)
	v_mul_f16_e32 v22, v53, v22
	v_cvt_f32_f16_e32 v22, v22
	s_branch .LBB267_281
.LBB267_280:
	v_mov_b32_e32 v22, 0
.LBB267_281:
	v_pk_add_f16 v20, v4, v20
	v_pk_add_f16 v21, v5, v21
	v_max_f16_e32 v23, v70, v70
	v_lshrrev_b32_e32 v24, 16, v70
	v_lshrrev_b32_e32 v25, 16, v20
	;; [unrolled: 1-line block ×3, first 2 shown]
	v_min_f16_e32 v20, v23, v20
	v_min3_f16 v23, v24, v25, v26
	v_min3_f16 v20, v20, v21, v23
	v_max_f32_e32 v21, v22, v22
	v_cvt_f32_f16_e32 v20, v20
	v_min_f32_e32 v22, v21, v20
	v_lshlrev_b64 v[20:21], 1, v[46:47]
	v_cvt_f16_f32_e32 v22, v22
	v_add_co_u32 v18, vcc_lo, v18, v20
	v_add_co_ci_u32_e64 v19, null, v19, v21, vcc_lo
	global_store_short v[18:19], v22, off
.LBB267_282:
	s_or_b32 exec_lo, exec_lo, s4
	v_add_nc_u32_e32 v22, 0x60, v49
	v_mad_i64_i32 v[18:19], null, v22, s6, 0
	v_mad_i64_i32 v[20:21], null, v22, s5, 0
	v_cmp_gt_i32_e64 s4, s13, v22
	v_lshlrev_b64 v[18:19], 1, v[18:19]
	s_and_b32 s10, s0, s4
	v_lshlrev_b64 v[22:23], 1, v[20:21]
	v_add_co_u32 v20, vcc_lo, s16, v18
	v_add_co_ci_u32_e64 v21, null, s17, v19, vcc_lo
	v_add_co_u32 v18, vcc_lo, s7, v22
	v_add_co_ci_u32_e64 v19, null, s8, v23, vcc_lo
	s_and_saveexec_b32 s9, s10
	s_cbranch_execnz .LBB267_286
; %bb.283:
	s_or_b32 exec_lo, exec_lo, s9
	s_and_b32 s10, s1, s4
	s_and_saveexec_b32 s9, s10
	s_cbranch_execnz .LBB267_290
.LBB267_284:
	s_or_b32 exec_lo, exec_lo, s9
	s_and_b32 s10, s2, s4
	s_and_saveexec_b32 s9, s10
	s_cbranch_execnz .LBB267_294
.LBB267_285:
	s_or_b32 exec_lo, exec_lo, s9
	s_and_b32 s9, s3, s4
	s_and_saveexec_b32 s4, s9
	s_cbranch_execnz .LBB267_298
	s_branch .LBB267_302
.LBB267_286:
	v_cmp_ne_u32_e32 vcc_lo, 1, v48
	s_cbranch_vccnz .LBB267_288
; %bb.287:
	v_lshlrev_b64 v[22:23], 1, v[0:1]
	v_add_co_u32 v22, vcc_lo, v20, v22
	v_add_co_ci_u32_e64 v23, null, v21, v23, vcc_lo
	global_load_ushort v22, v[22:23], off
	s_waitcnt vmcnt(0)
	v_mul_f16_e32 v22, v53, v22
	v_cvt_f32_f16_e32 v22, v22
	s_branch .LBB267_289
.LBB267_288:
	v_mov_b32_e32 v22, 0
.LBB267_289:
	v_pk_add_f16 v23, v10, v14
	v_pk_add_f16 v24, v11, v15
	v_max_f16_e32 v25, v69, v69
	v_lshrrev_b32_e32 v26, 16, v69
	v_max_f32_e32 v22, v22, v22
	v_lshrrev_b32_e32 v27, 16, v23
	v_lshrrev_b32_e32 v28, 16, v24
	v_min_f16_e32 v23, v25, v23
	v_min3_f16 v25, v26, v27, v28
	v_min3_f16 v23, v23, v24, v25
	v_cvt_f32_f16_e32 v23, v23
	v_min_f32_e32 v24, v22, v23
	v_lshlrev_b64 v[22:23], 1, v[0:1]
	v_cvt_f16_f32_e32 v24, v24
	v_add_co_u32 v22, vcc_lo, v18, v22
	v_add_co_ci_u32_e64 v23, null, v19, v23, vcc_lo
	global_store_short v[22:23], v24, off
	s_or_b32 exec_lo, exec_lo, s9
	s_and_b32 s10, s1, s4
	s_and_saveexec_b32 s9, s10
	s_cbranch_execz .LBB267_284
.LBB267_290:
	v_cmp_ne_u32_e32 vcc_lo, 1, v48
	s_cbranch_vccnz .LBB267_292
; %bb.291:
	v_lshlrev_b64 v[22:23], 1, v[42:43]
	v_add_co_u32 v22, vcc_lo, v20, v22
	v_add_co_ci_u32_e64 v23, null, v21, v23, vcc_lo
	global_load_ushort v22, v[22:23], off
	s_waitcnt vmcnt(0)
	v_mul_f16_e32 v22, v53, v22
	v_cvt_f32_f16_e32 v22, v22
	s_branch .LBB267_293
.LBB267_292:
	v_mov_b32_e32 v22, 0
.LBB267_293:
	v_pk_add_f16 v23, v12, v14
	v_pk_add_f16 v24, v13, v15
	v_max_f16_e32 v25, v68, v68
	v_lshrrev_b32_e32 v26, 16, v68
	v_max_f32_e32 v22, v22, v22
	v_lshrrev_b32_e32 v27, 16, v23
	v_lshrrev_b32_e32 v28, 16, v24
	v_min_f16_e32 v23, v25, v23
	v_min3_f16 v25, v26, v27, v28
	v_min3_f16 v23, v23, v24, v25
	v_cvt_f32_f16_e32 v23, v23
	v_min_f32_e32 v24, v22, v23
	v_lshlrev_b64 v[22:23], 1, v[42:43]
	v_cvt_f16_f32_e32 v24, v24
	v_add_co_u32 v22, vcc_lo, v18, v22
	v_add_co_ci_u32_e64 v23, null, v19, v23, vcc_lo
	global_store_short v[22:23], v24, off
	s_or_b32 exec_lo, exec_lo, s9
	s_and_b32 s10, s2, s4
	s_and_saveexec_b32 s9, s10
	s_cbranch_execz .LBB267_285
.LBB267_294:
	v_cmp_ne_u32_e32 vcc_lo, 1, v48
	s_cbranch_vccnz .LBB267_296
; %bb.295:
	v_lshlrev_b64 v[22:23], 1, v[44:45]
	v_add_co_u32 v22, vcc_lo, v20, v22
	v_add_co_ci_u32_e64 v23, null, v21, v23, vcc_lo
	global_load_ushort v22, v[22:23], off
	s_waitcnt vmcnt(0)
	v_mul_f16_e32 v22, v53, v22
	v_cvt_f32_f16_e32 v22, v22
	s_branch .LBB267_297
.LBB267_296:
	v_mov_b32_e32 v22, 0
.LBB267_297:
	v_pk_add_f16 v23, v2, v14
	v_pk_add_f16 v24, v3, v15
	v_max_f16_e32 v25, v67, v67
	v_lshrrev_b32_e32 v26, 16, v67
	v_max_f32_e32 v22, v22, v22
	v_lshrrev_b32_e32 v27, 16, v23
	v_lshrrev_b32_e32 v28, 16, v24
	v_min_f16_e32 v23, v25, v23
	v_min3_f16 v25, v26, v27, v28
	v_min3_f16 v23, v23, v24, v25
	v_cvt_f32_f16_e32 v23, v23
	v_min_f32_e32 v24, v22, v23
	v_lshlrev_b64 v[22:23], 1, v[44:45]
	v_cvt_f16_f32_e32 v24, v24
	v_add_co_u32 v22, vcc_lo, v18, v22
	v_add_co_ci_u32_e64 v23, null, v19, v23, vcc_lo
	global_store_short v[22:23], v24, off
	s_or_b32 exec_lo, exec_lo, s9
	s_and_b32 s9, s3, s4
	s_and_saveexec_b32 s4, s9
	s_cbranch_execz .LBB267_302
.LBB267_298:
	v_cmp_ne_u32_e32 vcc_lo, 1, v48
	s_cbranch_vccnz .LBB267_300
; %bb.299:
	v_lshlrev_b64 v[22:23], 1, v[46:47]
	v_add_co_u32 v20, vcc_lo, v20, v22
	v_add_co_ci_u32_e64 v21, null, v21, v23, vcc_lo
	global_load_ushort v20, v[20:21], off
	s_waitcnt vmcnt(0)
	v_mul_f16_e32 v20, v53, v20
	v_cvt_f32_f16_e32 v20, v20
	s_branch .LBB267_301
.LBB267_300:
	v_mov_b32_e32 v20, 0
.LBB267_301:
	v_pk_add_f16 v14, v4, v14
	v_pk_add_f16 v15, v5, v15
	v_max_f16_e32 v21, v66, v66
	v_lshrrev_b32_e32 v22, 16, v66
	v_lshrrev_b32_e32 v23, 16, v14
	;; [unrolled: 1-line block ×3, first 2 shown]
	v_min_f16_e32 v14, v21, v14
	v_min3_f16 v21, v22, v23, v24
	v_min3_f16 v14, v14, v15, v21
	v_max_f32_e32 v15, v20, v20
	v_cvt_f32_f16_e32 v14, v14
	v_min_f32_e32 v20, v15, v14
	v_lshlrev_b64 v[14:15], 1, v[46:47]
	v_cvt_f16_f32_e32 v20, v20
	v_add_co_u32 v14, vcc_lo, v18, v14
	v_add_co_ci_u32_e64 v15, null, v19, v15, vcc_lo
	global_store_short v[14:15], v20, off
.LBB267_302:
	s_or_b32 exec_lo, exec_lo, s4
	v_add_nc_u32_e32 v20, 0x68, v49
	v_mad_i64_i32 v[14:15], null, v20, s6, 0
	v_mad_i64_i32 v[18:19], null, v20, s5, 0
	v_cmp_gt_i32_e64 s4, s13, v20
	v_lshlrev_b64 v[14:15], 1, v[14:15]
	s_and_b32 s10, s0, s4
	v_lshlrev_b64 v[20:21], 1, v[18:19]
	v_add_co_u32 v18, vcc_lo, s16, v14
	v_add_co_ci_u32_e64 v19, null, s17, v15, vcc_lo
	v_add_co_u32 v14, vcc_lo, s7, v20
	v_add_co_ci_u32_e64 v15, null, s8, v21, vcc_lo
	s_and_saveexec_b32 s9, s10
	s_cbranch_execnz .LBB267_306
; %bb.303:
	s_or_b32 exec_lo, exec_lo, s9
	s_and_b32 s10, s1, s4
	s_and_saveexec_b32 s9, s10
	s_cbranch_execnz .LBB267_310
.LBB267_304:
	s_or_b32 exec_lo, exec_lo, s9
	s_and_b32 s10, s2, s4
	s_and_saveexec_b32 s9, s10
	s_cbranch_execnz .LBB267_314
.LBB267_305:
	s_or_b32 exec_lo, exec_lo, s9
	s_and_b32 s9, s3, s4
	s_and_saveexec_b32 s4, s9
	s_cbranch_execnz .LBB267_318
	s_branch .LBB267_322
.LBB267_306:
	v_cmp_ne_u32_e32 vcc_lo, 1, v48
	s_cbranch_vccnz .LBB267_308
; %bb.307:
	v_lshlrev_b64 v[20:21], 1, v[0:1]
	v_add_co_u32 v20, vcc_lo, v18, v20
	v_add_co_ci_u32_e64 v21, null, v19, v21, vcc_lo
	global_load_ushort v20, v[20:21], off
	s_waitcnt vmcnt(0)
	v_mul_f16_e32 v20, v53, v20
	v_cvt_f32_f16_e32 v20, v20
	s_branch .LBB267_309
.LBB267_308:
	v_mov_b32_e32 v20, 0
.LBB267_309:
	v_pk_add_f16 v21, v10, v16
	v_pk_add_f16 v22, v11, v17
	v_max_f16_e32 v23, v65, v65
	v_lshrrev_b32_e32 v24, 16, v65
	v_max_f32_e32 v20, v20, v20
	v_lshrrev_b32_e32 v25, 16, v21
	v_lshrrev_b32_e32 v26, 16, v22
	v_min_f16_e32 v21, v23, v21
	v_min3_f16 v23, v24, v25, v26
	v_min3_f16 v21, v21, v22, v23
	v_cvt_f32_f16_e32 v21, v21
	v_min_f32_e32 v22, v20, v21
	v_lshlrev_b64 v[20:21], 1, v[0:1]
	v_cvt_f16_f32_e32 v22, v22
	v_add_co_u32 v20, vcc_lo, v14, v20
	v_add_co_ci_u32_e64 v21, null, v15, v21, vcc_lo
	global_store_short v[20:21], v22, off
	s_or_b32 exec_lo, exec_lo, s9
	s_and_b32 s10, s1, s4
	s_and_saveexec_b32 s9, s10
	s_cbranch_execz .LBB267_304
.LBB267_310:
	v_cmp_ne_u32_e32 vcc_lo, 1, v48
	s_cbranch_vccnz .LBB267_312
; %bb.311:
	v_lshlrev_b64 v[20:21], 1, v[42:43]
	v_add_co_u32 v20, vcc_lo, v18, v20
	v_add_co_ci_u32_e64 v21, null, v19, v21, vcc_lo
	global_load_ushort v20, v[20:21], off
	s_waitcnt vmcnt(0)
	v_mul_f16_e32 v20, v53, v20
	v_cvt_f32_f16_e32 v20, v20
	s_branch .LBB267_313
.LBB267_312:
	v_mov_b32_e32 v20, 0
.LBB267_313:
	v_pk_add_f16 v21, v12, v16
	v_pk_add_f16 v22, v13, v17
	v_max_f16_e32 v23, v64, v64
	v_lshrrev_b32_e32 v24, 16, v64
	v_max_f32_e32 v20, v20, v20
	v_lshrrev_b32_e32 v25, 16, v21
	v_lshrrev_b32_e32 v26, 16, v22
	v_min_f16_e32 v21, v23, v21
	v_min3_f16 v23, v24, v25, v26
	v_min3_f16 v21, v21, v22, v23
	v_cvt_f32_f16_e32 v21, v21
	v_min_f32_e32 v22, v20, v21
	v_lshlrev_b64 v[20:21], 1, v[42:43]
	v_cvt_f16_f32_e32 v22, v22
	v_add_co_u32 v20, vcc_lo, v14, v20
	v_add_co_ci_u32_e64 v21, null, v15, v21, vcc_lo
	global_store_short v[20:21], v22, off
	s_or_b32 exec_lo, exec_lo, s9
	s_and_b32 s10, s2, s4
	s_and_saveexec_b32 s9, s10
	s_cbranch_execz .LBB267_305
.LBB267_314:
	v_cmp_ne_u32_e32 vcc_lo, 1, v48
	s_cbranch_vccnz .LBB267_316
; %bb.315:
	v_lshlrev_b64 v[20:21], 1, v[44:45]
	v_add_co_u32 v20, vcc_lo, v18, v20
	v_add_co_ci_u32_e64 v21, null, v19, v21, vcc_lo
	global_load_ushort v20, v[20:21], off
	s_waitcnt vmcnt(0)
	v_mul_f16_e32 v20, v53, v20
	v_cvt_f32_f16_e32 v20, v20
	s_branch .LBB267_317
.LBB267_316:
	v_mov_b32_e32 v20, 0
.LBB267_317:
	v_pk_add_f16 v21, v2, v16
	v_pk_add_f16 v22, v3, v17
	v_max_f16_e32 v23, v63, v63
	v_lshrrev_b32_e32 v24, 16, v63
	v_max_f32_e32 v20, v20, v20
	v_lshrrev_b32_e32 v25, 16, v21
	v_lshrrev_b32_e32 v26, 16, v22
	v_min_f16_e32 v21, v23, v21
	v_min3_f16 v23, v24, v25, v26
	v_min3_f16 v21, v21, v22, v23
	v_cvt_f32_f16_e32 v21, v21
	v_min_f32_e32 v22, v20, v21
	v_lshlrev_b64 v[20:21], 1, v[44:45]
	v_cvt_f16_f32_e32 v22, v22
	v_add_co_u32 v20, vcc_lo, v14, v20
	v_add_co_ci_u32_e64 v21, null, v15, v21, vcc_lo
	global_store_short v[20:21], v22, off
	s_or_b32 exec_lo, exec_lo, s9
	s_and_b32 s9, s3, s4
	s_and_saveexec_b32 s4, s9
	s_cbranch_execz .LBB267_322
.LBB267_318:
	v_cmp_ne_u32_e32 vcc_lo, 1, v48
	s_cbranch_vccnz .LBB267_320
; %bb.319:
	v_lshlrev_b64 v[20:21], 1, v[46:47]
	v_add_co_u32 v18, vcc_lo, v18, v20
	v_add_co_ci_u32_e64 v19, null, v19, v21, vcc_lo
	global_load_ushort v18, v[18:19], off
	s_waitcnt vmcnt(0)
	v_mul_f16_e32 v18, v53, v18
	v_cvt_f32_f16_e32 v18, v18
	s_branch .LBB267_321
.LBB267_320:
	v_mov_b32_e32 v18, 0
.LBB267_321:
	v_pk_add_f16 v16, v4, v16
	v_pk_add_f16 v17, v5, v17
	v_max_f16_e32 v19, v62, v62
	v_lshrrev_b32_e32 v20, 16, v62
	v_lshrrev_b32_e32 v21, 16, v16
	;; [unrolled: 1-line block ×3, first 2 shown]
	v_min_f16_e32 v16, v19, v16
	v_min3_f16 v19, v20, v21, v22
	v_min3_f16 v16, v16, v17, v19
	v_max_f32_e32 v17, v18, v18
	v_cvt_f32_f16_e32 v16, v16
	v_min_f32_e32 v18, v17, v16
	v_lshlrev_b64 v[16:17], 1, v[46:47]
	v_cvt_f16_f32_e32 v18, v18
	v_add_co_u32 v14, vcc_lo, v14, v16
	v_add_co_ci_u32_e64 v15, null, v15, v17, vcc_lo
	global_store_short v[14:15], v18, off
.LBB267_322:
	s_or_b32 exec_lo, exec_lo, s4
	v_add_nc_u32_e32 v18, 0x70, v49
	v_mad_i64_i32 v[14:15], null, v18, s6, 0
	v_mad_i64_i32 v[16:17], null, v18, s5, 0
	v_cmp_gt_i32_e64 s4, s13, v18
	v_lshlrev_b64 v[14:15], 1, v[14:15]
	s_and_b32 s10, s0, s4
	v_lshlrev_b64 v[18:19], 1, v[16:17]
	v_add_co_u32 v16, vcc_lo, s16, v14
	v_add_co_ci_u32_e64 v17, null, s17, v15, vcc_lo
	v_add_co_u32 v14, vcc_lo, s7, v18
	v_add_co_ci_u32_e64 v15, null, s8, v19, vcc_lo
	s_and_saveexec_b32 s9, s10
	s_cbranch_execnz .LBB267_326
; %bb.323:
	s_or_b32 exec_lo, exec_lo, s9
	s_and_b32 s10, s1, s4
	s_and_saveexec_b32 s9, s10
	s_cbranch_execnz .LBB267_330
.LBB267_324:
	s_or_b32 exec_lo, exec_lo, s9
	s_and_b32 s10, s2, s4
	s_and_saveexec_b32 s9, s10
	s_cbranch_execnz .LBB267_334
.LBB267_325:
	s_or_b32 exec_lo, exec_lo, s9
	s_and_b32 s9, s3, s4
	s_and_saveexec_b32 s4, s9
	s_cbranch_execnz .LBB267_338
	s_branch .LBB267_342
.LBB267_326:
	v_cmp_ne_u32_e32 vcc_lo, 1, v48
	s_cbranch_vccnz .LBB267_328
; %bb.327:
	v_lshlrev_b64 v[18:19], 1, v[0:1]
	v_add_co_u32 v18, vcc_lo, v16, v18
	v_add_co_ci_u32_e64 v19, null, v17, v19, vcc_lo
	global_load_ushort v18, v[18:19], off
	s_waitcnt vmcnt(0)
	v_mul_f16_e32 v18, v53, v18
	v_cvt_f32_f16_e32 v18, v18
	s_branch .LBB267_329
.LBB267_328:
	v_mov_b32_e32 v18, 0
.LBB267_329:
	v_pk_add_f16 v19, v10, v6
	v_pk_add_f16 v20, v11, v7
	v_max_f16_e32 v21, v60, v60
	v_lshrrev_b32_e32 v22, 16, v60
	v_max_f32_e32 v18, v18, v18
	v_lshrrev_b32_e32 v23, 16, v19
	v_lshrrev_b32_e32 v24, 16, v20
	v_min_f16_e32 v19, v21, v19
	v_min3_f16 v21, v22, v23, v24
	v_min3_f16 v19, v19, v20, v21
	v_cvt_f32_f16_e32 v19, v19
	v_min_f32_e32 v20, v18, v19
	v_lshlrev_b64 v[18:19], 1, v[0:1]
	v_cvt_f16_f32_e32 v20, v20
	v_add_co_u32 v18, vcc_lo, v14, v18
	v_add_co_ci_u32_e64 v19, null, v15, v19, vcc_lo
	global_store_short v[18:19], v20, off
	s_or_b32 exec_lo, exec_lo, s9
	s_and_b32 s10, s1, s4
	s_and_saveexec_b32 s9, s10
	s_cbranch_execz .LBB267_324
.LBB267_330:
	v_cmp_ne_u32_e32 vcc_lo, 1, v48
	s_cbranch_vccnz .LBB267_332
; %bb.331:
	v_lshlrev_b64 v[18:19], 1, v[42:43]
	v_add_co_u32 v18, vcc_lo, v16, v18
	v_add_co_ci_u32_e64 v19, null, v17, v19, vcc_lo
	global_load_ushort v18, v[18:19], off
	s_waitcnt vmcnt(0)
	v_mul_f16_e32 v18, v53, v18
	v_cvt_f32_f16_e32 v18, v18
	s_branch .LBB267_333
.LBB267_332:
	v_mov_b32_e32 v18, 0
.LBB267_333:
	v_pk_add_f16 v19, v12, v6
	v_pk_add_f16 v20, v13, v7
	v_max_f16_e32 v21, v59, v59
	v_lshrrev_b32_e32 v22, 16, v59
	v_max_f32_e32 v18, v18, v18
	v_lshrrev_b32_e32 v23, 16, v19
	v_lshrrev_b32_e32 v24, 16, v20
	v_min_f16_e32 v19, v21, v19
	v_min3_f16 v21, v22, v23, v24
	v_min3_f16 v19, v19, v20, v21
	v_cvt_f32_f16_e32 v19, v19
	v_min_f32_e32 v20, v18, v19
	v_lshlrev_b64 v[18:19], 1, v[42:43]
	v_cvt_f16_f32_e32 v20, v20
	v_add_co_u32 v18, vcc_lo, v14, v18
	v_add_co_ci_u32_e64 v19, null, v15, v19, vcc_lo
	global_store_short v[18:19], v20, off
	s_or_b32 exec_lo, exec_lo, s9
	s_and_b32 s10, s2, s4
	s_and_saveexec_b32 s9, s10
	s_cbranch_execz .LBB267_325
.LBB267_334:
	v_cmp_ne_u32_e32 vcc_lo, 1, v48
	s_cbranch_vccnz .LBB267_336
; %bb.335:
	v_lshlrev_b64 v[18:19], 1, v[44:45]
	v_add_co_u32 v18, vcc_lo, v16, v18
	v_add_co_ci_u32_e64 v19, null, v17, v19, vcc_lo
	global_load_ushort v18, v[18:19], off
	s_waitcnt vmcnt(0)
	v_mul_f16_e32 v18, v53, v18
	v_cvt_f32_f16_e32 v18, v18
	s_branch .LBB267_337
.LBB267_336:
	v_mov_b32_e32 v18, 0
.LBB267_337:
	v_pk_add_f16 v19, v2, v6
	v_pk_add_f16 v20, v3, v7
	v_max_f16_e32 v21, v57, v57
	v_lshrrev_b32_e32 v22, 16, v57
	v_max_f32_e32 v18, v18, v18
	v_lshrrev_b32_e32 v23, 16, v19
	v_lshrrev_b32_e32 v24, 16, v20
	v_min_f16_e32 v19, v21, v19
	v_min3_f16 v21, v22, v23, v24
	v_min3_f16 v19, v19, v20, v21
	v_cvt_f32_f16_e32 v19, v19
	v_min_f32_e32 v20, v18, v19
	v_lshlrev_b64 v[18:19], 1, v[44:45]
	v_cvt_f16_f32_e32 v20, v20
	v_add_co_u32 v18, vcc_lo, v14, v18
	v_add_co_ci_u32_e64 v19, null, v15, v19, vcc_lo
	global_store_short v[18:19], v20, off
	s_or_b32 exec_lo, exec_lo, s9
	s_and_b32 s9, s3, s4
	s_and_saveexec_b32 s4, s9
	s_cbranch_execz .LBB267_342
.LBB267_338:
	v_cmp_ne_u32_e32 vcc_lo, 1, v48
	s_cbranch_vccnz .LBB267_340
; %bb.339:
	v_lshlrev_b64 v[18:19], 1, v[46:47]
	v_add_co_u32 v16, vcc_lo, v16, v18
	v_add_co_ci_u32_e64 v17, null, v17, v19, vcc_lo
	global_load_ushort v16, v[16:17], off
	s_waitcnt vmcnt(0)
	v_mul_f16_e32 v16, v53, v16
	v_cvt_f32_f16_e32 v16, v16
	s_branch .LBB267_341
.LBB267_340:
	v_mov_b32_e32 v16, 0
.LBB267_341:
	v_pk_add_f16 v6, v4, v6
	v_pk_add_f16 v7, v5, v7
	v_max_f16_e32 v17, v61, v61
	v_lshrrev_b32_e32 v18, 16, v61
	v_lshrrev_b32_e32 v19, 16, v6
	;; [unrolled: 1-line block ×3, first 2 shown]
	v_min_f16_e32 v6, v17, v6
	v_min3_f16 v17, v18, v19, v20
	v_min3_f16 v6, v6, v7, v17
	v_max_f32_e32 v7, v16, v16
	v_cvt_f32_f16_e32 v6, v6
	v_min_f32_e32 v16, v7, v6
	v_lshlrev_b64 v[6:7], 1, v[46:47]
	v_cvt_f16_f32_e32 v16, v16
	v_add_co_u32 v6, vcc_lo, v14, v6
	v_add_co_ci_u32_e64 v7, null, v15, v7, vcc_lo
	global_store_short v[6:7], v16, off
.LBB267_342:
	s_or_b32 exec_lo, exec_lo, s4
	v_add_nc_u32_e32 v16, 0x78, v49
	v_mad_i64_i32 v[6:7], null, v16, s6, 0
	v_mad_i64_i32 v[14:15], null, v16, s5, 0
	v_cmp_gt_i32_e64 s4, s13, v16
	v_lshlrev_b64 v[6:7], 1, v[6:7]
	s_and_b32 s5, s0, s4
	v_lshlrev_b64 v[16:17], 1, v[14:15]
	v_add_co_u32 v14, vcc_lo, s16, v6
	v_add_co_ci_u32_e64 v15, null, s17, v7, vcc_lo
	v_add_co_u32 v6, vcc_lo, s7, v16
	v_add_co_ci_u32_e64 v7, null, s8, v17, vcc_lo
	s_and_saveexec_b32 s0, s5
	s_cbranch_execnz .LBB267_347
; %bb.343:
	s_or_b32 exec_lo, exec_lo, s0
	s_and_b32 s1, s1, s4
	s_and_saveexec_b32 s0, s1
	s_cbranch_execnz .LBB267_351
.LBB267_344:
	s_or_b32 exec_lo, exec_lo, s0
	s_and_b32 s1, s2, s4
	s_and_saveexec_b32 s0, s1
	s_cbranch_execnz .LBB267_355
.LBB267_345:
	s_or_b32 exec_lo, exec_lo, s0
	s_and_b32 s0, s3, s4
	s_and_saveexec_b32 s1, s0
	s_cbranch_execnz .LBB267_359
.LBB267_346:
	s_endpgm
.LBB267_347:
	v_cmp_ne_u32_e32 vcc_lo, 1, v48
	v_lshlrev_b64 v[0:1], 1, v[0:1]
	s_cbranch_vccnz .LBB267_349
; %bb.348:
	v_add_co_u32 v16, vcc_lo, v14, v0
	v_add_co_ci_u32_e64 v17, null, v15, v1, vcc_lo
	global_load_ushort v16, v[16:17], off
	s_waitcnt vmcnt(0)
	v_mul_f16_e32 v16, v53, v16
	v_cvt_f32_f16_e32 v16, v16
	s_branch .LBB267_350
.LBB267_349:
	v_mov_b32_e32 v16, 0
.LBB267_350:
	v_pk_add_f16 v10, v10, v8
	v_pk_add_f16 v11, v11, v9
	v_max_f16_e32 v17, v58, v58
	v_lshrrev_b32_e32 v18, 16, v58
	v_add_co_u32 v0, vcc_lo, v6, v0
	v_lshrrev_b32_e32 v19, 16, v10
	v_lshrrev_b32_e32 v20, 16, v11
	v_min_f16_e32 v10, v17, v10
	v_add_co_ci_u32_e64 v1, null, v7, v1, vcc_lo
	v_min3_f16 v17, v18, v19, v20
	v_min3_f16 v10, v10, v11, v17
	v_max_f32_e32 v11, v16, v16
	v_cvt_f32_f16_e32 v10, v10
	v_min_f32_e32 v10, v11, v10
	v_cvt_f16_f32_e32 v10, v10
	global_store_short v[0:1], v10, off
	s_or_b32 exec_lo, exec_lo, s0
	s_and_b32 s1, s1, s4
	s_and_saveexec_b32 s0, s1
	s_cbranch_execz .LBB267_344
.LBB267_351:
	v_cmp_ne_u32_e32 vcc_lo, 1, v48
	v_lshlrev_b64 v[0:1], 1, v[42:43]
	s_cbranch_vccnz .LBB267_353
; %bb.352:
	v_add_co_u32 v10, vcc_lo, v14, v0
	v_add_co_ci_u32_e64 v11, null, v15, v1, vcc_lo
	global_load_ushort v10, v[10:11], off
	s_waitcnt vmcnt(0)
	v_mul_f16_e32 v10, v53, v10
	v_cvt_f32_f16_e32 v10, v10
	s_branch .LBB267_354
.LBB267_353:
	v_mov_b32_e32 v10, 0
.LBB267_354:
	v_pk_add_f16 v11, v12, v8
	v_pk_add_f16 v12, v13, v9
	v_max_f16_e32 v13, v56, v56
	v_lshrrev_b32_e32 v16, 16, v56
	v_max_f32_e32 v10, v10, v10
	v_lshrrev_b32_e32 v17, 16, v11
	v_lshrrev_b32_e32 v18, 16, v12
	v_min_f16_e32 v11, v13, v11
	v_add_co_u32 v0, vcc_lo, v6, v0
	v_add_co_ci_u32_e64 v1, null, v7, v1, vcc_lo
	v_min3_f16 v13, v16, v17, v18
	v_min3_f16 v11, v11, v12, v13
	v_cvt_f32_f16_e32 v11, v11
	v_min_f32_e32 v10, v10, v11
	v_cvt_f16_f32_e32 v10, v10
	global_store_short v[0:1], v10, off
	s_or_b32 exec_lo, exec_lo, s0
	s_and_b32 s1, s2, s4
	s_and_saveexec_b32 s0, s1
	s_cbranch_execz .LBB267_345
.LBB267_355:
	v_cmp_ne_u32_e32 vcc_lo, 1, v48
	v_lshlrev_b64 v[0:1], 1, v[44:45]
	s_cbranch_vccnz .LBB267_357
; %bb.356:
	v_add_co_u32 v10, vcc_lo, v14, v0
	v_add_co_ci_u32_e64 v11, null, v15, v1, vcc_lo
	global_load_ushort v10, v[10:11], off
	s_waitcnt vmcnt(0)
	v_mul_f16_e32 v10, v53, v10
	v_cvt_f32_f16_e32 v10, v10
	s_branch .LBB267_358
.LBB267_357:
	v_mov_b32_e32 v10, 0
.LBB267_358:
	v_pk_add_f16 v2, v2, v8
	v_pk_add_f16 v3, v3, v9
	v_max_f16_e32 v11, v55, v55
	v_lshrrev_b32_e32 v12, 16, v55
	v_add_co_u32 v0, vcc_lo, v6, v0
	v_lshrrev_b32_e32 v13, 16, v2
	v_lshrrev_b32_e32 v16, 16, v3
	v_min_f16_e32 v2, v11, v2
	v_add_co_ci_u32_e64 v1, null, v7, v1, vcc_lo
	v_min3_f16 v11, v12, v13, v16
	v_min3_f16 v2, v2, v3, v11
	v_max_f32_e32 v3, v10, v10
	v_cvt_f32_f16_e32 v2, v2
	v_min_f32_e32 v2, v3, v2
	v_cvt_f16_f32_e32 v2, v2
	global_store_short v[0:1], v2, off
	s_or_b32 exec_lo, exec_lo, s0
	s_and_b32 s0, s3, s4
	s_and_saveexec_b32 s1, s0
	s_cbranch_execz .LBB267_346
.LBB267_359:
	v_cmp_ne_u32_e32 vcc_lo, 1, v48
	v_lshlrev_b64 v[0:1], 1, v[46:47]
	s_cbranch_vccnz .LBB267_361
; %bb.360:
	v_add_co_u32 v2, vcc_lo, v14, v0
	v_add_co_ci_u32_e64 v3, null, v15, v1, vcc_lo
	global_load_ushort v2, v[2:3], off
	s_waitcnt vmcnt(0)
	v_mul_f16_e32 v2, v53, v2
	v_cvt_f32_f16_e32 v2, v2
	s_branch .LBB267_362
.LBB267_361:
	v_mov_b32_e32 v2, 0
.LBB267_362:
	v_pk_add_f16 v3, v4, v8
	v_pk_add_f16 v4, v5, v9
	v_max_f16_e32 v5, v54, v54
	v_lshrrev_b32_e32 v8, 16, v54
	v_max_f32_e32 v2, v2, v2
	v_lshrrev_b32_e32 v9, 16, v3
	v_lshrrev_b32_e32 v10, 16, v4
	v_min_f16_e32 v3, v5, v3
	v_add_co_u32 v0, vcc_lo, v6, v0
	v_add_co_ci_u32_e64 v1, null, v7, v1, vcc_lo
	v_min3_f16 v5, v8, v9, v10
	v_min3_f16 v3, v3, v4, v5
	v_cvt_f32_f16_e32 v3, v3
	v_min_f32_e32 v2, v2, v3
	v_cvt_f16_f32_e32 v2, v2
	global_store_short v[0:1], v2, off
	s_endpgm
	.section	.rodata,"a",@progbits
	.p2align	6, 0x0
	.amdhsa_kernel _ZN12_GLOBAL__N_120geam_min_plus_kernelIDF16_Dv2_DF16_S1_Li32ELi8ELi128ELi128ELi4ELi4ELi64ELi4ELi64ELc84ELc78ELb0ELb1ELb1EPKDF16_S2_DF16_EEviiiT16_PT17_ilS6_ilS4_S6_ilPT18_ili26rocblas_geam_ex_operation_
		.amdhsa_group_segment_fixed_size 4096
		.amdhsa_private_segment_fixed_size 0
		.amdhsa_kernarg_size 136
		.amdhsa_user_sgpr_count 6
		.amdhsa_user_sgpr_private_segment_buffer 1
		.amdhsa_user_sgpr_dispatch_ptr 0
		.amdhsa_user_sgpr_queue_ptr 0
		.amdhsa_user_sgpr_kernarg_segment_ptr 1
		.amdhsa_user_sgpr_dispatch_id 0
		.amdhsa_user_sgpr_flat_scratch_init 0
		.amdhsa_user_sgpr_private_segment_size 0
		.amdhsa_wavefront_size32 1
		.amdhsa_uses_dynamic_stack 0
		.amdhsa_system_sgpr_private_segment_wavefront_offset 0
		.amdhsa_system_sgpr_workgroup_id_x 1
		.amdhsa_system_sgpr_workgroup_id_y 0
		.amdhsa_system_sgpr_workgroup_id_z 1
		.amdhsa_system_sgpr_workgroup_info 0
		.amdhsa_system_vgpr_workitem_id 1
		.amdhsa_next_free_vgpr 163
		.amdhsa_next_free_sgpr 27
		.amdhsa_reserve_vcc 1
		.amdhsa_reserve_flat_scratch 0
		.amdhsa_float_round_mode_32 0
		.amdhsa_float_round_mode_16_64 0
		.amdhsa_float_denorm_mode_32 3
		.amdhsa_float_denorm_mode_16_64 3
		.amdhsa_dx10_clamp 1
		.amdhsa_ieee_mode 1
		.amdhsa_fp16_overflow 0
		.amdhsa_workgroup_processor_mode 1
		.amdhsa_memory_ordered 1
		.amdhsa_forward_progress 1
		.amdhsa_shared_vgpr_count 0
		.amdhsa_exception_fp_ieee_invalid_op 0
		.amdhsa_exception_fp_denorm_src 0
		.amdhsa_exception_fp_ieee_div_zero 0
		.amdhsa_exception_fp_ieee_overflow 0
		.amdhsa_exception_fp_ieee_underflow 0
		.amdhsa_exception_fp_ieee_inexact 0
		.amdhsa_exception_int_div_zero 0
	.end_amdhsa_kernel
	.section	.text._ZN12_GLOBAL__N_120geam_min_plus_kernelIDF16_Dv2_DF16_S1_Li32ELi8ELi128ELi128ELi4ELi4ELi64ELi4ELi64ELc84ELc78ELb0ELb1ELb1EPKDF16_S2_DF16_EEviiiT16_PT17_ilS6_ilS4_S6_ilPT18_ili26rocblas_geam_ex_operation_,"axG",@progbits,_ZN12_GLOBAL__N_120geam_min_plus_kernelIDF16_Dv2_DF16_S1_Li32ELi8ELi128ELi128ELi4ELi4ELi64ELi4ELi64ELc84ELc78ELb0ELb1ELb1EPKDF16_S2_DF16_EEviiiT16_PT17_ilS6_ilS4_S6_ilPT18_ili26rocblas_geam_ex_operation_,comdat
.Lfunc_end267:
	.size	_ZN12_GLOBAL__N_120geam_min_plus_kernelIDF16_Dv2_DF16_S1_Li32ELi8ELi128ELi128ELi4ELi4ELi64ELi4ELi64ELc84ELc78ELb0ELb1ELb1EPKDF16_S2_DF16_EEviiiT16_PT17_ilS6_ilS4_S6_ilPT18_ili26rocblas_geam_ex_operation_, .Lfunc_end267-_ZN12_GLOBAL__N_120geam_min_plus_kernelIDF16_Dv2_DF16_S1_Li32ELi8ELi128ELi128ELi4ELi4ELi64ELi4ELi64ELc84ELc78ELb0ELb1ELb1EPKDF16_S2_DF16_EEviiiT16_PT17_ilS6_ilS4_S6_ilPT18_ili26rocblas_geam_ex_operation_
                                        ; -- End function
	.set _ZN12_GLOBAL__N_120geam_min_plus_kernelIDF16_Dv2_DF16_S1_Li32ELi8ELi128ELi128ELi4ELi4ELi64ELi4ELi64ELc84ELc78ELb0ELb1ELb1EPKDF16_S2_DF16_EEviiiT16_PT17_ilS6_ilS4_S6_ilPT18_ili26rocblas_geam_ex_operation_.num_vgpr, 163
	.set _ZN12_GLOBAL__N_120geam_min_plus_kernelIDF16_Dv2_DF16_S1_Li32ELi8ELi128ELi128ELi4ELi4ELi64ELi4ELi64ELc84ELc78ELb0ELb1ELb1EPKDF16_S2_DF16_EEviiiT16_PT17_ilS6_ilS4_S6_ilPT18_ili26rocblas_geam_ex_operation_.num_agpr, 0
	.set _ZN12_GLOBAL__N_120geam_min_plus_kernelIDF16_Dv2_DF16_S1_Li32ELi8ELi128ELi128ELi4ELi4ELi64ELi4ELi64ELc84ELc78ELb0ELb1ELb1EPKDF16_S2_DF16_EEviiiT16_PT17_ilS6_ilS4_S6_ilPT18_ili26rocblas_geam_ex_operation_.numbered_sgpr, 27
	.set _ZN12_GLOBAL__N_120geam_min_plus_kernelIDF16_Dv2_DF16_S1_Li32ELi8ELi128ELi128ELi4ELi4ELi64ELi4ELi64ELc84ELc78ELb0ELb1ELb1EPKDF16_S2_DF16_EEviiiT16_PT17_ilS6_ilS4_S6_ilPT18_ili26rocblas_geam_ex_operation_.num_named_barrier, 0
	.set _ZN12_GLOBAL__N_120geam_min_plus_kernelIDF16_Dv2_DF16_S1_Li32ELi8ELi128ELi128ELi4ELi4ELi64ELi4ELi64ELc84ELc78ELb0ELb1ELb1EPKDF16_S2_DF16_EEviiiT16_PT17_ilS6_ilS4_S6_ilPT18_ili26rocblas_geam_ex_operation_.private_seg_size, 0
	.set _ZN12_GLOBAL__N_120geam_min_plus_kernelIDF16_Dv2_DF16_S1_Li32ELi8ELi128ELi128ELi4ELi4ELi64ELi4ELi64ELc84ELc78ELb0ELb1ELb1EPKDF16_S2_DF16_EEviiiT16_PT17_ilS6_ilS4_S6_ilPT18_ili26rocblas_geam_ex_operation_.uses_vcc, 1
	.set _ZN12_GLOBAL__N_120geam_min_plus_kernelIDF16_Dv2_DF16_S1_Li32ELi8ELi128ELi128ELi4ELi4ELi64ELi4ELi64ELc84ELc78ELb0ELb1ELb1EPKDF16_S2_DF16_EEviiiT16_PT17_ilS6_ilS4_S6_ilPT18_ili26rocblas_geam_ex_operation_.uses_flat_scratch, 0
	.set _ZN12_GLOBAL__N_120geam_min_plus_kernelIDF16_Dv2_DF16_S1_Li32ELi8ELi128ELi128ELi4ELi4ELi64ELi4ELi64ELc84ELc78ELb0ELb1ELb1EPKDF16_S2_DF16_EEviiiT16_PT17_ilS6_ilS4_S6_ilPT18_ili26rocblas_geam_ex_operation_.has_dyn_sized_stack, 0
	.set _ZN12_GLOBAL__N_120geam_min_plus_kernelIDF16_Dv2_DF16_S1_Li32ELi8ELi128ELi128ELi4ELi4ELi64ELi4ELi64ELc84ELc78ELb0ELb1ELb1EPKDF16_S2_DF16_EEviiiT16_PT17_ilS6_ilS4_S6_ilPT18_ili26rocblas_geam_ex_operation_.has_recursion, 0
	.set _ZN12_GLOBAL__N_120geam_min_plus_kernelIDF16_Dv2_DF16_S1_Li32ELi8ELi128ELi128ELi4ELi4ELi64ELi4ELi64ELc84ELc78ELb0ELb1ELb1EPKDF16_S2_DF16_EEviiiT16_PT17_ilS6_ilS4_S6_ilPT18_ili26rocblas_geam_ex_operation_.has_indirect_call, 0
	.section	.AMDGPU.csdata,"",@progbits
; Kernel info:
; codeLenInByte = 23436
; TotalNumSgprs: 29
; NumVgprs: 163
; ScratchSize: 0
; MemoryBound: 0
; FloatMode: 240
; IeeeMode: 1
; LDSByteSize: 4096 bytes/workgroup (compile time only)
; SGPRBlocks: 0
; VGPRBlocks: 20
; NumSGPRsForWavesPerEU: 29
; NumVGPRsForWavesPerEU: 163
; Occupancy: 5
; WaveLimiterHint : 0
; COMPUTE_PGM_RSRC2:SCRATCH_EN: 0
; COMPUTE_PGM_RSRC2:USER_SGPR: 6
; COMPUTE_PGM_RSRC2:TRAP_HANDLER: 0
; COMPUTE_PGM_RSRC2:TGID_X_EN: 1
; COMPUTE_PGM_RSRC2:TGID_Y_EN: 0
; COMPUTE_PGM_RSRC2:TGID_Z_EN: 1
; COMPUTE_PGM_RSRC2:TIDIG_COMP_CNT: 1
	.section	.text._ZN12_GLOBAL__N_120geam_min_plus_kernelIDF16_Dv2_DF16_S1_Li32ELi8ELi128ELi128ELi4ELi4ELi64ELi4ELi64ELc84ELc78ELb1ELb1ELb1EDF16_KDF16_DF16_EEviiiT16_PT17_ilS5_ilS3_S5_ilPT18_ili26rocblas_geam_ex_operation_,"axG",@progbits,_ZN12_GLOBAL__N_120geam_min_plus_kernelIDF16_Dv2_DF16_S1_Li32ELi8ELi128ELi128ELi4ELi4ELi64ELi4ELi64ELc84ELc78ELb1ELb1ELb1EDF16_KDF16_DF16_EEviiiT16_PT17_ilS5_ilS3_S5_ilPT18_ili26rocblas_geam_ex_operation_,comdat
	.globl	_ZN12_GLOBAL__N_120geam_min_plus_kernelIDF16_Dv2_DF16_S1_Li32ELi8ELi128ELi128ELi4ELi4ELi64ELi4ELi64ELc84ELc78ELb1ELb1ELb1EDF16_KDF16_DF16_EEviiiT16_PT17_ilS5_ilS3_S5_ilPT18_ili26rocblas_geam_ex_operation_ ; -- Begin function _ZN12_GLOBAL__N_120geam_min_plus_kernelIDF16_Dv2_DF16_S1_Li32ELi8ELi128ELi128ELi4ELi4ELi64ELi4ELi64ELc84ELc78ELb1ELb1ELb1EDF16_KDF16_DF16_EEviiiT16_PT17_ilS5_ilS3_S5_ilPT18_ili26rocblas_geam_ex_operation_
	.p2align	8
	.type	_ZN12_GLOBAL__N_120geam_min_plus_kernelIDF16_Dv2_DF16_S1_Li32ELi8ELi128ELi128ELi4ELi4ELi64ELi4ELi64ELc84ELc78ELb1ELb1ELb1EDF16_KDF16_DF16_EEviiiT16_PT17_ilS5_ilS3_S5_ilPT18_ili26rocblas_geam_ex_operation_,@function
_ZN12_GLOBAL__N_120geam_min_plus_kernelIDF16_Dv2_DF16_S1_Li32ELi8ELi128ELi128ELi4ELi4ELi64ELi4ELi64ELc84ELc78ELb1ELb1ELb1EDF16_KDF16_DF16_EEviiiT16_PT17_ilS5_ilS3_S5_ilPT18_ili26rocblas_geam_ex_operation_: ; @_ZN12_GLOBAL__N_120geam_min_plus_kernelIDF16_Dv2_DF16_S1_Li32ELi8ELi128ELi128ELi4ELi4ELi64ELi4ELi64ELc84ELc78ELb1ELb1ELb1EDF16_KDF16_DF16_EEviiiT16_PT17_ilS5_ilS3_S5_ilPT18_ili26rocblas_geam_ex_operation_
; %bb.0:
	s_clause 0x1
	s_load_dwordx4 s[8:11], s[4:5], 0x0
	s_load_dwordx4 s[0:3], s[4:5], 0x20
	s_waitcnt lgkmcnt(0)
	v_cmp_eq_f16_e64 s11, s11, 0
	s_and_b32 vcc_lo, exec_lo, s11
	s_cbranch_vccnz .LBB268_45
; %bb.1:
	s_load_dwordx2 s[12:13], s[4:5], 0x10
	s_mul_i32 s1, s1, s7
	s_mul_hi_u32 s14, s0, s7
	s_mul_i32 s0, s0, s7
	s_add_i32 s1, s14, s1
	s_lshl_b64 s[0:1], s[0:1], 1
	s_waitcnt lgkmcnt(0)
	s_add_u32 s18, s12, s0
	s_addc_u32 s19, s13, s1
	s_andn2_b32 vcc_lo, exec_lo, s11
	s_mov_b32 s0, -1
	s_cbranch_vccnz .LBB268_3
.LBB268_2:
	s_mov_b32 s0, 0
.LBB268_3:
	s_mov_b64 s[16:17], 0
	s_andn2_b32 vcc_lo, exec_lo, s0
	s_mov_b64 s[20:21], 0
	s_cbranch_vccnz .LBB268_5
; %bb.4:
	s_load_dwordx2 s[0:1], s[4:5], 0x38
	s_waitcnt lgkmcnt(0)
	s_mul_i32 s1, s1, s7
	s_mul_hi_u32 s11, s0, s7
	s_mul_i32 s0, s0, s7
	s_add_i32 s1, s11, s1
	s_lshl_b64 s[0:1], s[0:1], 1
	s_add_u32 s20, s2, s0
	s_addc_u32 s21, s3, s1
.LBB268_5:
	s_clause 0x1
	s_load_dword s11, s[4:5], 0x40
	s_load_dwordx4 s[12:15], s[4:5], 0x58
	s_waitcnt lgkmcnt(0)
	v_cmp_eq_f16_e64 s0, s11, 0
	v_cmp_neq_f16_e64 s22, s11, 0
	s_and_b32 vcc_lo, exec_lo, s0
	s_cbranch_vccnz .LBB268_7
; %bb.6:
	s_load_dwordx2 s[0:1], s[4:5], 0x48
	s_mul_i32 s2, s13, s7
	s_mul_hi_u32 s3, s12, s7
	s_add_i32 s3, s3, s2
	s_mul_i32 s2, s12, s7
	s_lshl_b64 s[2:3], s[2:3], 1
	s_waitcnt lgkmcnt(0)
	s_add_u32 s16, s0, s2
	s_addc_u32 s17, s1, s3
.LBB268_7:
	s_add_i32 s0, s8, -1
	s_load_dword s23, s[4:5], 0x18
	s_ashr_i32 s1, s0, 31
	v_and_b32_e32 v45, 3, v0
	s_lshr_b32 s1, s1, 25
	v_mov_b32_e32 v3, 0x7c00
	s_add_i32 s0, s0, s1
	v_lshlrev_b32_e32 v71, 1, v45
	s_ashr_i32 s0, s0, 7
	s_add_i32 s1, s0, 1
	s_not_b32 s0, s0
	v_cvt_f32_u32_e32 v2, s1
	v_rcp_iflag_f32_e32 v2, v2
	v_mul_f32_e32 v2, 0x4f7ffffe, v2
	v_cvt_u32_f32_e32 v2, v2
	v_readfirstlane_b32 s2, v2
	v_lshl_add_u32 v2, v1, 5, v0
	s_mul_i32 s0, s0, s2
	v_lshrrev_b32_e32 v4, 2, v2
	s_mul_hi_u32 s0, s2, s0
	v_mov_b32_e32 v2, 0x7c00
	s_add_i32 s2, s2, s0
	s_mul_hi_u32 s0, s6, s2
	s_mul_i32 s2, s0, s1
	s_add_i32 s3, s0, 1
	s_sub_i32 s2, s6, s2
	s_sub_i32 s12, s2, s1
	s_cmp_ge_u32 s2, s1
	s_cselect_b32 s0, s3, s0
	s_cselect_b32 s2, s12, s2
	s_add_i32 s3, s0, 1
	s_cmp_ge_u32 s2, s1
	s_cselect_b32 s2, s3, s0
	v_cmp_le_i32_e64 s3, s10, v45
	s_mul_i32 s0, s2, s1
	s_sub_i32 s0, s6, s0
	s_lshl_b32 s12, s0, 7
	v_add_co_u32 v7, s0, s18, v71
	v_add_nc_u32_e32 v14, s12, v4
	v_add_co_ci_u32_e64 v8, null, s19, 0, s0
	v_cmp_le_i32_e32 vcc_lo, s8, v14
	s_nor_b32 s0, s3, vcc_lo
	s_and_saveexec_b32 s1, s0
	s_cbranch_execz .LBB268_9
; %bb.8:
	s_waitcnt lgkmcnt(0)
	v_mad_i64_i32 v[5:6], null, v14, s23, 0
	v_lshlrev_b64 v[5:6], 1, v[5:6]
	v_add_co_u32 v5, s0, v7, v5
	v_add_co_ci_u32_e64 v6, null, v8, v6, s0
	global_load_ushort v3, v[5:6], off
.LBB268_9:
	s_or_b32 exec_lo, exec_lo, s1
	v_add_nc_u32_e32 v15, 64, v14
	v_cmp_le_i32_e64 s0, s8, v15
	s_nor_b32 s1, s3, s0
	s_and_saveexec_b32 s6, s1
	s_cbranch_execz .LBB268_11
; %bb.10:
	s_waitcnt lgkmcnt(0)
	v_mad_i64_i32 v[5:6], null, v15, s23, 0
	v_lshlrev_b64 v[5:6], 1, v[5:6]
	v_add_co_u32 v5, s1, v7, v5
	v_add_co_ci_u32_e64 v6, null, v8, v6, s1
	global_load_ushort v2, v[5:6], off
.LBB268_11:
	s_or_b32 exec_lo, exec_lo, s6
	s_load_dword s24, s[4:5], 0x30
	s_lshl_b32 s13, s2, 7
	v_add_co_u32 v9, s1, s20, v71
	v_add_nc_u32_e32 v16, s13, v4
	v_add_co_ci_u32_e64 v10, null, s21, 0, s1
	v_mov_b32_e32 v5, 0x7c00
	v_mov_b32_e32 v6, 0x7c00
	v_cmp_le_i32_e64 s1, s9, v16
	s_nor_b32 s2, s3, s1
	s_and_saveexec_b32 s6, s2
	s_cbranch_execz .LBB268_13
; %bb.12:
	s_waitcnt lgkmcnt(0)
	v_mad_i64_i32 v[11:12], null, v16, s24, 0
	v_lshlrev_b64 v[11:12], 1, v[11:12]
	v_add_co_u32 v11, s2, v9, v11
	v_add_co_ci_u32_e64 v12, null, v10, v12, s2
	global_load_ushort v6, v[11:12], off
.LBB268_13:
	s_or_b32 exec_lo, exec_lo, s6
	v_add_nc_u32_e32 v17, 64, v16
	v_cmp_le_i32_e64 s2, s9, v17
	s_nor_b32 s3, s3, s2
	s_and_saveexec_b32 s6, s3
	s_cbranch_execz .LBB268_15
; %bb.14:
	s_waitcnt lgkmcnt(0)
	v_mad_i64_i32 v[11:12], null, v17, s24, 0
	v_lshlrev_b64 v[11:12], 1, v[11:12]
	v_add_co_u32 v11, s3, v9, v11
	v_add_co_ci_u32_e64 v12, null, v10, v12, s3
	global_load_ushort v5, v[11:12], off
.LBB268_15:
	s_or_b32 exec_lo, exec_lo, s6
	v_or_b32_e32 v11, 4, v45
	v_mov_b32_e32 v18, 0x7c00
	v_mov_b32_e32 v19, 0x7c00
	v_cmp_le_i32_e64 s3, s10, v11
	s_nor_b32 s6, s3, vcc_lo
	s_and_saveexec_b32 s25, s6
	s_cbranch_execz .LBB268_17
; %bb.16:
	s_waitcnt lgkmcnt(0)
	v_mad_i64_i32 v[11:12], null, v14, s23, 0
	v_lshlrev_b64 v[11:12], 1, v[11:12]
	v_add_co_u32 v11, s6, v7, v11
	v_add_co_ci_u32_e64 v12, null, v8, v12, s6
	global_load_ushort v19, v[11:12], off offset:8
.LBB268_17:
	s_or_b32 exec_lo, exec_lo, s25
	s_nor_b32 s6, s3, s0
	s_and_saveexec_b32 s25, s6
	s_cbranch_execz .LBB268_19
; %bb.18:
	s_waitcnt lgkmcnt(0)
	v_mad_i64_i32 v[11:12], null, v15, s23, 0
	v_lshlrev_b64 v[11:12], 1, v[11:12]
	v_add_co_u32 v7, s6, v7, v11
	v_add_co_ci_u32_e64 v8, null, v8, v12, s6
	global_load_ushort v18, v[7:8], off offset:8
.LBB268_19:
	s_or_b32 exec_lo, exec_lo, s25
	v_mov_b32_e32 v20, 0x7c00
	v_mov_b32_e32 v21, 0x7c00
	s_nor_b32 s6, s3, s1
	s_and_saveexec_b32 s25, s6
	s_cbranch_execz .LBB268_21
; %bb.20:
	s_waitcnt lgkmcnt(0)
	v_mad_i64_i32 v[7:8], null, v16, s24, 0
	v_lshlrev_b64 v[7:8], 1, v[7:8]
	v_add_co_u32 v7, s6, v9, v7
	v_add_co_ci_u32_e64 v8, null, v10, v8, s6
	global_load_ushort v21, v[7:8], off offset:8
.LBB268_21:
	s_or_b32 exec_lo, exec_lo, s25
	s_nor_b32 s3, s3, s2
	s_and_saveexec_b32 s6, s3
	s_cbranch_execz .LBB268_23
; %bb.22:
	s_waitcnt lgkmcnt(0)
	v_mad_i64_i32 v[7:8], null, v17, s24, 0
	v_lshlrev_b64 v[7:8], 1, v[7:8]
	v_add_co_u32 v7, s3, v9, v7
	v_add_co_ci_u32_e64 v8, null, v10, v8, s3
	global_load_ushort v20, v[7:8], off offset:8
.LBB268_23:
	s_or_b32 exec_lo, exec_lo, s6
	v_lshlrev_b32_e32 v4, 3, v4
	v_lshlrev_b32_e32 v47, 3, v1
	v_lshlrev_b32_e32 v46, 3, v0
	s_cmp_lt_i32 s10, 9
	v_lshl_or_b32 v75, v45, 1, v4
	v_add_nc_u32_e32 v10, 0x800, v47
	s_waitcnt vmcnt(0)
	ds_write_b16 v75, v3
	ds_write_b16 v75, v2 offset:512
	ds_write_b16 v75, v6 offset:2048
	;; [unrolled: 1-line block ×3, first 2 shown]
	s_waitcnt lgkmcnt(0)
	s_barrier
	buffer_gl0_inv
	ds_read2_b64 v[6:9], v46 offset1:32
	ds_read2_b64 v[22:25], v10 offset1:8
	ds_read2_b64 v[2:5], v46 offset0:64 offset1:96
	ds_read2_b64 v[26:29], v10 offset0:16 offset1:24
	;; [unrolled: 1-line block ×8, first 2 shown]
	ds_write_b16 v75, v19 offset:1024
	ds_write_b16 v75, v18 offset:1536
	;; [unrolled: 1-line block ×4, first 2 shown]
	s_waitcnt lgkmcnt(0)
	s_barrier
	buffer_gl0_inv
	v_pk_add_f16 v42, v6, v22
	v_pk_add_f16 v43, v8, v22
	;; [unrolled: 1-line block ×64, first 2 shown]
	v_pk_min_f16 v42, 0x7c00, v42 op_sel_hi:[0,1]
	v_pk_add_f16 v82, v9, v23
	v_pk_add_f16 v83, v3, v23
	v_pk_add_f16 v23, v5, v23
	v_pk_min_f16 v22, 0x7c00, v22 op_sel_hi:[0,1]
	v_pk_add_f16 v2, v4, v12
	v_pk_add_f16 v4, v7, v25
	v_pk_min_f16 v12, 0x7c00, v56 op_sel_hi:[0,1]
	v_pk_min_f16 v43, 0x7c00, v43 op_sel_hi:[0,1]
	;; [unrolled: 1-line block ×3, first 2 shown]
	v_pk_min_f16 v113, v42, v81
	v_pk_min_f16 v110, v22, v23
	v_pk_add_f16 v22, v9, v25
	v_pk_min_f16 v23, 0x7c00, v57 op_sel_hi:[0,1]
	v_pk_add_f16 v42, v3, v25
	v_pk_add_f16 v25, v5, v25
	v_pk_min_f16 v24, 0x7c00, v24 op_sel_hi:[0,1]
	v_pk_min_f16 v109, v12, v4
	v_pk_add_f16 v4, v9, v27
	v_pk_min_f16 v12, 0x7c00, v60 op_sel_hi:[0,1]
	v_pk_min_f16 v112, v43, v82
	v_pk_min_f16 v111, v44, v83
	v_pk_min_f16 v43, 0x7c00, v58 op_sel_hi:[0,1]
	v_pk_add_f16 v44, v7, v27
	v_pk_min_f16 v108, v23, v22
	v_pk_min_f16 v106, v24, v25
	v_pk_add_f16 v22, v3, v27
	v_pk_min_f16 v23, 0x7c00, v61 op_sel_hi:[0,1]
	v_pk_add_f16 v24, v5, v27
	v_pk_min_f16 v25, 0x7c00, v26 op_sel_hi:[0,1]
	;; [unrolled: 2-line block ×3, first 2 shown]
	v_pk_min_f16 v104, v12, v4
	v_pk_add_f16 v4, v3, v29
	v_pk_min_f16 v12, 0x7c00, v64 op_sel_hi:[0,1]
	v_pk_min_f16 v107, v43, v42
	v_pk_add_f16 v42, v9, v29
	v_pk_min_f16 v103, v23, v22
	v_pk_min_f16 v102, v25, v24
	v_pk_min_f16 v99, v27, v26
	v_pk_add_f16 v22, v5, v29
	v_pk_min_f16 v23, 0x7c00, v28 op_sel_hi:[0,1]
	v_pk_add_f16 v24, v7, v31
	v_pk_min_f16 v25, 0x7c00, v65 op_sel_hi:[0,1]
	v_pk_add_f16 v26, v9, v31
	v_pk_min_f16 v27, 0x7c00, v66 op_sel_hi:[0,1]
	v_pk_add_f16 v28, v3, v31
	v_pk_min_f16 v29, 0x7c00, v67 op_sel_hi:[0,1]
	v_pk_min_f16 v100, v12, v4
	v_pk_add_f16 v4, v5, v31
	v_pk_min_f16 v12, 0x7c00, v30 op_sel_hi:[0,1]
	v_pk_min_f16 v98, v23, v22
	v_pk_min_f16 v97, v25, v24
	v_pk_min_f16 v96, v27, v26
	v_pk_min_f16 v95, v29, v28
	v_pk_add_f16 v22, v7, v33
	v_pk_min_f16 v23, 0x7c00, v68 op_sel_hi:[0,1]
	v_pk_add_f16 v24, v9, v33
	v_pk_min_f16 v25, 0x7c00, v69 op_sel_hi:[0,1]
	v_pk_add_f16 v26, v3, v33
	v_pk_min_f16 v27, 0x7c00, v70 op_sel_hi:[0,1]
	v_pk_add_f16 v28, v5, v33
	v_pk_min_f16 v29, 0x7c00, v32 op_sel_hi:[0,1]
	v_pk_min_f16 v94, v12, v4
	v_pk_add_f16 v4, v7, v35
	v_pk_min_f16 v12, 0x7c00, v72 op_sel_hi:[0,1]
	v_pk_min_f16 v93, v23, v22
	;; [unrolled: 15-line block ×6, first 2 shown]
	v_pk_min_f16 v70, v25, v24
	v_pk_min_f16 v69, v27, v26
	;; [unrolled: 1-line block ×3, first 2 shown]
	v_pk_add_f16 v22, v9, v51
	v_pk_min_f16 v23, 0x7c00, v122 op_sel_hi:[0,1]
	v_pk_add_f16 v24, v3, v51
	v_pk_min_f16 v25, 0x7c00, v123 op_sel_hi:[0,1]
	;; [unrolled: 2-line block ×4, first 2 shown]
	v_pk_min_f16 v67, v12, v4
	v_pk_add_f16 v4, v9, v53
	v_pk_min_f16 v12, 0x7c00, v125 op_sel_hi:[0,1]
	v_pk_min_f16 v43, 0x7c00, v63 op_sel_hi:[0,1]
	v_pk_min_f16 v66, v23, v22
	v_pk_min_f16 v65, v25, v24
	;; [unrolled: 1-line block ×4, first 2 shown]
	v_pk_add_f16 v22, v3, v53
	v_pk_min_f16 v23, 0x7c00, v126 op_sel_hi:[0,1]
	v_pk_add_f16 v24, v5, v53
	v_pk_min_f16 v25, 0x7c00, v52 op_sel_hi:[0,1]
	;; [unrolled: 2-line block ×4, first 2 shown]
	v_pk_min_f16 v62, v12, v4
	v_pk_add_f16 v4, v3, v55
	v_pk_min_f16 v12, 0x7c00, v129 op_sel_hi:[0,1]
	v_pk_min_f16 v56, 0x7c00, v59 op_sel_hi:[0,1]
	v_pk_min_f16 v61, v23, v22
	v_pk_min_f16 v60, v25, v24
	;; [unrolled: 1-line block ×4, first 2 shown]
	v_pk_add_f16 v22, v5, v55
	v_pk_min_f16 v23, 0x7c00, v54 op_sel_hi:[0,1]
	v_pk_add_f16 v24, v7, v11
	v_pk_min_f16 v25, 0x7c00, v130 op_sel_hi:[0,1]
	;; [unrolled: 2-line block ×4, first 2 shown]
	v_pk_min_f16 v57, v12, v4
	v_pk_add_f16 v4, v5, v11
	v_pk_min_f16 v10, 0x7c00, v10 op_sel_hi:[0,1]
	v_pk_add_f16 v7, v7, v13
	v_pk_min_f16 v6, 0x7c00, v6 op_sel_hi:[0,1]
	v_pk_add_f16 v9, v9, v13
	v_pk_min_f16 v8, 0x7c00, v8 op_sel_hi:[0,1]
	v_pk_add_f16 v3, v3, v13
	v_pk_min_f16 v11, 0x7c00, v133 op_sel_hi:[0,1]
	v_pk_add_f16 v5, v5, v13
	v_pk_min_f16 v2, 0x7c00, v2 op_sel_hi:[0,1]
	v_pk_min_f16 v105, v56, v44
	v_pk_min_f16 v101, v43, v42
	;; [unrolled: 1-line block ×11, first 2 shown]
	s_cbranch_scc1 .LBB268_42
; %bb.24:
	v_mad_i64_i32 v[2:3], null, s24, v16, 0
	v_mad_i64_i32 v[4:5], null, s24, v17, 0
	;; [unrolled: 1-line block ×4, first 2 shown]
	v_lshlrev_b64 v[2:3], 1, v[2:3]
	v_add_nc_u32_e32 v114, 0x800, v75
	v_lshlrev_b64 v[4:5], 1, v[4:5]
	v_or_b32_e32 v115, 0x800, v47
	v_add_nc_u32_e32 v116, 0x400, v75
	v_add_nc_u32_e32 v117, 0xc00, v75
	v_add_co_u32 v120, s3, s20, v2
	v_add_co_ci_u32_e64 v121, null, s21, v3, s3
	v_lshlrev_b64 v[2:3], 1, v[6:7]
	v_add_co_u32 v122, s3, s20, v4
	v_add_co_ci_u32_e64 v123, null, s21, v5, s3
	v_lshlrev_b64 v[4:5], 1, v[8:9]
	v_add_co_u32 v124, s3, s18, v2
	v_add_co_ci_u32_e64 v125, null, s19, v3, s3
	v_lshl_add_u32 v118, v0, 3, 0x400
	v_add_co_u32 v126, s3, s18, v4
	v_lshl_add_u32 v119, v1, 3, 0xc00
	v_add_co_ci_u32_e64 v127, null, s19, v5, s3
	s_add_i32 s18, s10, -8
	s_mov_b32 s19, 0
	s_branch .LBB268_26
.LBB268_25:                             ;   in Loop: Header=BB268_26 Depth=1
	s_or_b32 exec_lo, exec_lo, s6
	v_pk_add_f16 v6, v9, v41
	v_pk_max_f16 v7, v113, v113
	v_pk_add_f16 v8, v11, v41
	v_pk_add_f16 v113, v13, v41
	;; [unrolled: 1-line block ×3, first 2 shown]
	v_pk_max_f16 v110, v110, v110
	v_pk_min_f16 v6, v7, v6
	v_pk_max_f16 v7, v111, v111
	v_pk_add_f16 v111, v9, v43
	v_pk_max_f16 v109, v109, v109
	v_pk_max_f16 v112, v112, v112
	v_pk_add_f16 v132, v11, v43
	v_pk_min_f16 v41, v110, v41
	v_pk_add_f16 v110, v13, v43
	v_pk_min_f16 v109, v109, v111
	v_pk_max_f16 v107, v107, v107
	v_pk_add_f16 v43, v15, v43
	v_pk_max_f16 v106, v106, v106
	v_pk_add_f16 v111, v9, v37
	v_pk_max_f16 v105, v105, v105
	v_pk_min_f16 v8, v112, v8
	v_pk_min_f16 v7, v7, v113
	v_pk_add_f16 v112, v11, v37
	v_pk_add_f16 v113, v13, v37
	v_pk_min_f16 v107, v107, v110
	v_pk_min_f16 v43, v106, v43
	;; [unrolled: 1-line block ×3, first 2 shown]
	v_pk_add_f16 v37, v15, v37
	v_pk_max_f16 v102, v102, v102
	v_pk_add_f16 v106, v9, v39
	v_pk_max_f16 v99, v99, v99
	v_pk_add_f16 v110, v11, v39
	v_pk_add_f16 v111, v13, v39
	;; [unrolled: 1-line block ×3, first 2 shown]
	v_pk_max_f16 v98, v98, v98
	v_pk_max_f16 v101, v101, v101
	v_pk_min_f16 v37, v102, v37
	v_pk_min_f16 v99, v99, v106
	v_pk_max_f16 v97, v97, v97
	v_pk_min_f16 v39, v98, v39
	v_pk_add_f16 v98, v9, v33
	v_pk_add_f16 v102, v11, v33
	;; [unrolled: 1-line block ×4, first 2 shown]
	v_pk_max_f16 v94, v94, v94
	v_pk_min_f16 v101, v101, v110
	v_pk_max_f16 v96, v96, v96
	v_pk_max_f16 v95, v95, v95
	v_pk_add_f16 v110, v9, v35
	v_pk_min_f16 v97, v97, v98
	v_pk_min_f16 v33, v94, v33
	v_pk_add_f16 v94, v11, v35
	v_pk_max_f16 v92, v92, v92
	v_pk_add_f16 v98, v13, v35
	v_pk_add_f16 v35, v15, v35
	v_pk_max_f16 v90, v90, v90
	v_pk_min_f16 v96, v96, v102
	v_pk_min_f16 v95, v95, v106
	v_pk_max_f16 v91, v91, v91
	v_pk_add_f16 v102, v9, v29
	v_pk_max_f16 v89, v89, v89
	v_pk_add_f16 v106, v11, v29
	v_pk_min_f16 v92, v92, v94
	v_pk_min_f16 v35, v90, v35
	v_pk_add_f16 v90, v13, v29
	v_pk_max_f16 v87, v87, v87
	v_pk_add_f16 v29, v15, v29
	v_pk_max_f16 v86, v86, v86
	;; [unrolled: 2-line block ×3, first 2 shown]
	v_pk_min_f16 v91, v91, v98
	v_pk_min_f16 v89, v89, v102
	v_pk_add_f16 v98, v11, v31
	v_pk_add_f16 v102, v13, v31
	v_pk_min_f16 v87, v87, v90
	v_pk_min_f16 v29, v86, v29
	;; [unrolled: 1-line block ×3, first 2 shown]
	v_pk_add_f16 v31, v15, v31
	v_pk_max_f16 v82, v82, v82
	v_pk_add_f16 v86, v9, v25
	v_pk_max_f16 v81, v81, v81
	v_pk_add_f16 v90, v11, v25
	v_pk_add_f16 v94, v13, v25
	;; [unrolled: 1-line block ×3, first 2 shown]
	v_pk_max_f16 v78, v78, v78
	v_pk_max_f16 v80, v80, v80
	v_pk_min_f16 v31, v82, v31
	v_pk_min_f16 v81, v81, v86
	v_pk_max_f16 v77, v77, v77
	v_pk_min_f16 v25, v78, v25
	v_pk_add_f16 v78, v9, v27
	v_pk_add_f16 v82, v11, v27
	;; [unrolled: 1-line block ×4, first 2 shown]
	v_pk_max_f16 v73, v73, v73
	v_pk_min_f16 v80, v80, v90
	v_pk_max_f16 v76, v76, v76
	v_pk_max_f16 v74, v74, v74
	v_pk_add_f16 v90, v9, v21
	v_pk_min_f16 v77, v77, v78
	v_pk_min_f16 v27, v73, v27
	v_pk_add_f16 v73, v11, v21
	v_pk_max_f16 v70, v70, v70
	v_pk_add_f16 v78, v13, v21
	v_pk_add_f16 v21, v15, v21
	v_pk_max_f16 v68, v68, v68
	v_pk_min_f16 v76, v76, v82
	v_pk_min_f16 v74, v74, v86
	v_pk_add_f16 v82, v9, v23
	v_pk_add_f16 v86, v11, v23
	v_pk_min_f16 v70, v70, v73
	v_pk_min_f16 v21, v68, v21
	v_pk_add_f16 v68, v13, v23
	v_pk_max_f16 v65, v65, v65
	v_pk_add_f16 v23, v15, v23
	v_pk_max_f16 v64, v64, v64
	;; [unrolled: 2-line block ×3, first 2 shown]
	v_pk_max_f16 v69, v69, v69
	v_pk_max_f16 v67, v67, v67
	v_pk_min_f16 v65, v65, v68
	v_pk_min_f16 v23, v64, v23
	;; [unrolled: 1-line block ×3, first 2 shown]
	v_pk_add_f16 v64, v9, v4
	v_pk_add_f16 v68, v11, v4
	;; [unrolled: 1-line block ×4, first 2 shown]
	v_pk_max_f16 v56, v56, v56
	v_pk_min_f16 v69, v69, v78
	v_pk_min_f16 v67, v67, v82
	v_pk_add_f16 v78, v11, v2
	v_pk_add_f16 v82, v13, v2
	v_pk_add_f16 v2, v15, v2
	v_pk_max_f16 v60, v60, v60
	v_pk_max_f16 v59, v59, v59
	;; [unrolled: 1-line block ×3, first 2 shown]
	v_pk_min_f16 v56, v56, v4
	v_pk_add_f16 v4, v9, v17
	v_pk_max_f16 v54, v54, v54
	v_pk_add_f16 v9, v9, v19
	v_pk_max_f16 v52, v52, v52
	v_pk_max_f16 v61, v61, v61
	;; [unrolled: 1-line block ×3, first 2 shown]
	v_pk_min_f16 v2, v60, v2
	v_pk_min_f16 v59, v59, v64
	;; [unrolled: 1-line block ×3, first 2 shown]
	v_pk_add_f16 v60, v11, v17
	v_pk_add_f16 v64, v13, v17
	;; [unrolled: 1-line block ×3, first 2 shown]
	v_pk_min_f16 v54, v54, v4
	v_pk_min_f16 v68, v52, v9
	v_pk_add_f16 v4, v11, v19
	v_pk_max_f16 v9, v50, v50
	v_pk_add_f16 v11, v13, v19
	v_pk_add_f16 v15, v15, v19
	v_pk_add_f16 v19, v10, v42
	v_pk_max_f16 v66, v66, v66
	v_pk_min_f16 v61, v61, v82
	v_pk_min_f16 v57, v57, v73
	;; [unrolled: 1-line block ×3, first 2 shown]
	v_pk_add_f16 v4, v12, v42
	v_pk_min_f16 v82, v6, v19
	v_pk_add_f16 v6, v14, v42
	v_pk_max_f16 v72, v72, v72
	v_pk_min_f16 v66, v66, v86
	v_pk_min_f16 v86, v8, v4
	v_pk_add_f16 v4, v16, v42
	v_pk_min_f16 v42, v7, v6
	v_pk_add_f16 v6, v14, v44
	v_pk_max_f16 v83, v83, v83
	v_pk_min_f16 v72, v72, v90
	v_pk_add_f16 v8, v10, v44
	v_pk_add_f16 v9, v12, v44
	v_pk_min_f16 v90, v41, v4
	v_pk_add_f16 v4, v16, v44
	v_pk_min_f16 v44, v107, v6
	v_pk_add_f16 v6, v10, v38
	v_pk_max_f16 v108, v108, v108
	v_pk_min_f16 v83, v83, v102
	v_pk_min_f16 v43, v43, v4
	v_pk_add_f16 v4, v16, v38
	v_pk_min_f16 v102, v105, v6
	v_pk_add_f16 v6, v10, v40
	v_pk_min_f16 v108, v108, v132
	v_pk_max_f16 v104, v104, v104
	v_pk_min_f16 v132, v37, v4
	v_pk_add_f16 v4, v12, v40
	v_pk_min_f16 v99, v99, v6
	v_pk_add_f16 v6, v10, v34
	v_pk_max_f16 v103, v103, v103
	v_pk_max_f16 v79, v79, v79
	v_pk_min_f16 v101, v101, v4
	v_pk_add_f16 v4, v12, v34
	v_pk_min_f16 v97, v97, v6
	v_pk_add_f16 v6, v14, v34
	v_pk_min_f16 v104, v104, v112
	v_pk_min_f16 v103, v103, v113
	v_pk_max_f16 v100, v100, v100
	v_pk_min_f16 v79, v79, v94
	v_pk_min_f16 v94, v109, v8
	v_pk_add_f16 v7, v12, v38
	v_pk_add_f16 v8, v14, v38
	v_pk_min_f16 v96, v96, v4
	v_pk_add_f16 v4, v12, v36
	v_pk_min_f16 v95, v95, v6
	v_pk_add_f16 v6, v14, v36
	v_pk_min_f16 v100, v100, v111
	v_pk_max_f16 v93, v93, v93
	v_pk_min_f16 v104, v104, v7
	v_pk_min_f16 v103, v103, v8
	v_pk_add_f16 v7, v14, v40
	v_pk_add_f16 v8, v16, v40
	v_pk_min_f16 v92, v92, v4
	v_pk_add_f16 v4, v16, v36
	v_pk_min_f16 v91, v91, v6
	v_pk_add_f16 v6, v14, v30
	;; [unrolled: 10-line block ×4, first 2 shown]
	v_pk_min_f16 v84, v84, v98
	v_pk_min_f16 v89, v89, v7
	v_pk_min_f16 v88, v88, v8
	v_pk_add_f16 v7, v12, v32
	v_pk_add_f16 v8, v14, v32
	v_pk_min_f16 v139, v31, v4
	v_pk_add_f16 v4, v12, v26
	v_pk_min_f16 v81, v81, v6
	v_pk_add_f16 v6, v10, v28
	v_pk_min_f16 v84, v84, v7
	v_pk_min_f16 v83, v83, v8
	v_pk_add_f16 v7, v14, v26
	v_pk_add_f16 v8, v16, v26
	v_pk_min_f16 v80, v80, v4
	v_pk_add_f16 v4, v12, v28
	v_pk_min_f16 v39, v77, v6
	v_pk_add_f16 v6, v14, v28
	v_pk_min_f16 v79, v79, v7
	v_pk_min_f16 v41, v25, v8
	;; [unrolled: 8-line block ×3, first 2 shown]
	v_pk_min_f16 v34, v70, v4
	v_pk_add_f16 v4, v16, v22
	v_pk_add_f16 v7, v10, v24
	;; [unrolled: 1-line block ×3, first 2 shown]
	v_pk_min_f16 v36, v69, v6
	v_pk_add_f16 v6, v14, v24
	v_pk_max_f16 v53, v53, v53
	v_pk_max_f16 v51, v51, v51
	;; [unrolled: 1-line block ×3, first 2 shown]
	v_pk_min_f16 v33, v21, v4
	v_pk_min_f16 v32, v67, v7
	;; [unrolled: 1-line block ×3, first 2 shown]
	v_pk_add_f16 v4, v16, v24
	v_pk_min_f16 v30, v65, v6
	v_pk_add_f16 v6, v10, v3
	v_pk_add_f16 v7, v12, v3
	v_pk_add_f16 v8, v14, v3
	v_pk_add_f16 v3, v16, v3
	v_pk_max_f16 v62, v62, v62
	v_pk_min_f16 v53, v53, v60
	v_pk_min_f16 v60, v51, v64
	;; [unrolled: 1-line block ×3, first 2 shown]
	v_pk_max_f16 v17, v48, v48
	v_pk_min_f16 v29, v23, v4
	v_pk_add_f16 v4, v10, v5
	v_pk_min_f16 v21, v2, v3
	v_pk_add_f16 v2, v12, v5
	v_pk_add_f16 v3, v14, v5
	v_pk_min_f16 v62, v62, v78
	v_pk_max_f16 v13, v49, v49
	v_pk_min_f16 v78, v17, v15
	v_pk_min_f16 v28, v63, v6
	v_pk_add_f16 v6, v16, v5
	v_pk_min_f16 v22, v59, v4
	v_pk_min_f16 v19, v58, v2
	;; [unrolled: 1-line block ×3, first 2 shown]
	ds_read2_b64 v[2:5], v46 offset1:32
	ds_read2_b64 v[48:51], v115 offset1:8
	v_pk_min_f16 v98, v108, v9
	v_pk_min_f16 v27, v62, v7
	v_pk_min_f16 v25, v61, v8
	v_pk_min_f16 v26, v56, v6
	ds_read2_b64 v[6:9], v46 offset0:64 offset1:96
	v_pk_min_f16 v11, v13, v11
	v_pk_add_f16 v13, v10, v18
	v_pk_add_f16 v17, v12, v18
	;; [unrolled: 1-line block ×4, first 2 shown]
	v_pk_max_f16 v86, v86, v86
	v_pk_min_f16 v24, v54, v13
	v_pk_add_f16 v13, v16, v18
	v_pk_add_f16 v18, v14, v20
	v_pk_min_f16 v23, v53, v17
	v_pk_min_f16 v17, v60, v52
	ds_read2_b64 v[52:55], v115 offset0:16 offset1:24
	v_pk_min_f16 v14, v64, v13
	v_pk_min_f16 v13, v68, v10
	;; [unrolled: 1-line block ×3, first 2 shown]
	s_waitcnt lgkmcnt(2)
	v_pk_add_f16 v18, v4, v48
	v_pk_add_f16 v12, v12, v20
	;; [unrolled: 1-line block ×4, first 2 shown]
	s_waitcnt lgkmcnt(1)
	v_pk_add_f16 v20, v6, v48
	v_pk_max_f16 v42, v42, v42
	v_pk_min_f16 v18, v86, v18
	v_pk_min_f16 v11, v78, v16
	v_pk_add_f16 v16, v2, v48
	v_pk_add_f16 v48, v8, v48
	;; [unrolled: 1-line block ×3, first 2 shown]
	v_pk_min_f16 v20, v42, v20
	v_pk_min_f16 v112, v18, v106
	v_pk_max_f16 v18, v90, v90
	v_pk_add_f16 v68, v2, v50
	v_pk_add_f16 v69, v4, v50
	v_pk_min_f16 v111, v20, v107
	v_pk_max_f16 v20, v94, v94
	v_pk_min_f16 v18, v18, v48
	v_pk_max_f16 v48, v98, v98
	v_pk_add_f16 v70, v6, v50
	v_pk_add_f16 v50, v8, v50
	;; [unrolled: 1-line block ×4, first 2 shown]
	v_pk_min_f16 v20, v20, v68
	v_pk_min_f16 v48, v48, v69
	v_pk_max_f16 v44, v44, v44
	v_pk_max_f16 v43, v43, v43
	s_waitcnt lgkmcnt(0)
	v_pk_add_f16 v72, v2, v52
	v_pk_max_f16 v82, v82, v82
	v_pk_add_f16 v140, v7, v51
	v_pk_add_f16 v51, v9, v51
	v_pk_min_f16 v109, v20, v108
	v_pk_min_f16 v108, v48, v135
	v_pk_max_f16 v48, v102, v102
	v_pk_min_f16 v44, v44, v70
	v_pk_min_f16 v43, v43, v50
	;; [unrolled: 1-line block ×3, first 2 shown]
	ds_read2_b64 v[56:59], v115 offset0:32 offset1:40
	v_pk_add_f16 v73, v4, v52
	v_pk_add_f16 v74, v6, v52
	;; [unrolled: 1-line block ×5, first 2 shown]
	v_pk_min_f16 v16, v82, v16
	v_pk_add_f16 v50, v3, v53
	v_pk_min_f16 v48, v48, v72
	v_pk_min_f16 v107, v44, v140
	;; [unrolled: 1-line block ×3, first 2 shown]
	v_pk_max_f16 v43, v103, v103
	v_pk_max_f16 v44, v132, v132
	v_pk_min_f16 v113, v16, v105
	v_pk_min_f16 v110, v18, v49
	v_pk_max_f16 v49, v104, v104
	v_pk_min_f16 v105, v48, v50
	v_pk_add_f16 v48, v7, v53
	v_pk_min_f16 v43, v43, v74
	v_pk_add_f16 v50, v9, v53
	;; [unrolled: 2-line block ×3, first 2 shown]
	v_pk_add_f16 v78, v6, v54
	v_pk_add_f16 v69, v5, v53
	v_pk_min_f16 v49, v49, v73
	v_pk_min_f16 v103, v43, v48
	v_pk_max_f16 v43, v101, v101
	v_pk_min_f16 v102, v44, v50
	v_pk_max_f16 v44, v100, v100
	ds_read2_b64 v[60:63], v115 offset0:48 offset1:56
	ds_read2_b64 v[64:67], v115 offset0:64 offset1:72
	v_pk_add_f16 v76, v2, v54
	v_pk_add_f16 v54, v8, v54
	v_pk_min_f16 v104, v49, v69
	v_pk_add_f16 v52, v5, v55
	v_pk_min_f16 v43, v43, v77
	v_pk_add_f16 v69, v7, v55
	v_pk_max_f16 v53, v133, v133
	v_pk_min_f16 v44, v44, v78
	s_waitcnt lgkmcnt(2)
	v_pk_add_f16 v141, v4, v56
	v_pk_add_f16 v142, v6, v56
	v_pk_max_f16 v49, v99, v99
	v_pk_add_f16 v70, v9, v55
	v_pk_min_f16 v101, v43, v52
	v_pk_min_f16 v43, v53, v54
	v_pk_max_f16 v78, v96, v96
	v_pk_min_f16 v100, v44, v69
	v_pk_max_f16 v44, v95, v95
	v_pk_add_f16 v134, v2, v56
	v_pk_add_f16 v51, v3, v55
	v_pk_min_f16 v49, v49, v76
	v_pk_add_f16 v73, v5, v57
	v_pk_add_f16 v74, v7, v57
	v_pk_max_f16 v55, v97, v97
	v_pk_min_f16 v98, v43, v70
	v_pk_min_f16 v43, v78, v141
	;; [unrolled: 1-line block ×3, first 2 shown]
	v_pk_add_f16 v56, v8, v56
	v_pk_add_f16 v82, v2, v58
	v_pk_min_f16 v99, v49, v51
	v_pk_add_f16 v72, v3, v57
	ds_read2_b64 v[48:51], v115 offset0:80 offset1:88
	v_pk_min_f16 v94, v55, v134
	v_pk_min_f16 v96, v43, v73
	v_pk_max_f16 v43, v136, v136
	v_pk_min_f16 v95, v44, v74
	v_pk_max_f16 v44, v93, v93
	v_pk_add_f16 v86, v4, v58
	v_pk_add_f16 v57, v9, v57
	;; [unrolled: 1-line block ×3, first 2 shown]
	v_pk_min_f16 v97, v94, v72
	s_waitcnt lgkmcnt(1)
	v_pk_add_f16 v69, v2, v64
	v_pk_add_f16 v70, v4, v64
	;; [unrolled: 1-line block ×3, first 2 shown]
	v_pk_min_f16 v43, v43, v56
	v_pk_add_f16 v56, v8, v64
	v_pk_max_f16 v64, v92, v92
	v_pk_min_f16 v44, v44, v82
	v_pk_add_f16 v16, v6, v58
	v_pk_add_f16 v77, v5, v59
	v_pk_min_f16 v94, v43, v57
	v_pk_min_f16 v57, v64, v86
	;; [unrolled: 1-line block ×3, first 2 shown]
	v_pk_max_f16 v44, v91, v91
	v_pk_add_f16 v42, v8, v58
	v_pk_add_f16 v58, v2, v60
	;; [unrolled: 1-line block ×3, first 2 shown]
	v_pk_min_f16 v92, v57, v77
	v_pk_max_f16 v57, v137, v137
	v_pk_min_f16 v16, v44, v16
	v_pk_max_f16 v74, v89, v89
	v_pk_add_f16 v143, v4, v60
	v_pk_add_f16 v144, v6, v60
	v_pk_add_f16 v60, v8, v60
	s_waitcnt lgkmcnt(0)
	v_pk_add_f16 v136, v2, v48
	v_pk_add_f16 v44, v4, v48
	v_pk_min_f16 v42, v57, v42
	v_pk_add_f16 v57, v6, v48
	v_pk_min_f16 v91, v16, v90
	;; [unrolled: 2-line block ×3, first 2 shown]
	v_pk_max_f16 v74, v138, v138
	v_pk_add_f16 v140, v3, v61
	v_pk_add_f16 v145, v5, v61
	;; [unrolled: 1-line block ×4, first 2 shown]
	v_pk_min_f16 v60, v74, v60
	v_pk_add_f16 v20, v6, v62
	v_pk_add_f16 v18, v2, v62
	v_pk_add_f16 v68, v4, v62
	v_pk_add_f16 v62, v8, v62
	v_pk_min_f16 v86, v60, v61
	v_pk_max_f16 v61, v83, v83
	v_pk_add_f16 v43, v4, v66
	v_pk_max_f16 v60, v84, v84
	v_pk_max_f16 v40, v40, v40
	v_pk_add_f16 v148, v5, v63
	v_pk_min_f16 v20, v61, v20
	v_pk_max_f16 v61, v139, v139
	v_pk_min_f16 v60, v60, v68
	v_pk_min_f16 v40, v40, v43
	v_pk_add_f16 v43, v5, v67
	v_pk_max_f16 v34, v34, v34
	v_pk_min_f16 v61, v61, v62
	v_pk_max_f16 v62, v80, v80
	v_pk_add_f16 v147, v3, v63
	v_pk_add_f16 v149, v7, v63
	;; [unrolled: 1-line block ×3, first 2 shown]
	ds_read2_b64 v[52:55], v115 offset0:96 offset1:104
	v_pk_min_f16 v84, v60, v148
	v_pk_max_f16 v60, v81, v81
	v_pk_max_f16 v68, v79, v79
	v_pk_min_f16 v62, v62, v70
	v_pk_add_f16 v70, v5, v65
	v_pk_min_f16 v76, v40, v43
	v_pk_add_f16 v40, v5, v49
	v_pk_min_f16 v34, v34, v44
	v_pk_max_f16 v33, v33, v33
	v_pk_add_f16 v59, v9, v59
	v_pk_add_f16 v73, v2, v66
	v_pk_min_f16 v60, v60, v69
	v_pk_add_f16 v69, v3, v65
	v_pk_min_f16 v68, v68, v72
	v_pk_min_f16 v82, v61, v63
	v_pk_add_f16 v61, v7, v65
	v_pk_max_f16 v41, v41, v41
	v_pk_min_f16 v80, v62, v70
	v_pk_max_f16 v39, v39, v39
	v_pk_min_f16 v70, v34, v40
	v_pk_add_f16 v34, v9, v49
	v_pk_min_f16 v16, v33, v16
	v_pk_add_f16 v58, v2, v50
	v_pk_min_f16 v90, v42, v59
	v_pk_max_f16 v42, v88, v88
	v_pk_add_f16 v59, v4, v50
	v_pk_min_f16 v89, v48, v140
	v_pk_max_f16 v48, v87, v87
	v_pk_add_f16 v137, v6, v50
	v_pk_add_f16 v50, v8, v50
	v_pk_min_f16 v81, v60, v69
	v_pk_min_f16 v79, v68, v61
	;; [unrolled: 1-line block ×3, first 2 shown]
	v_pk_add_f16 v56, v9, v65
	v_pk_min_f16 v39, v39, v73
	v_pk_add_f16 v60, v3, v67
	v_pk_max_f16 v35, v35, v35
	v_pk_max_f16 v36, v36, v36
	v_pk_min_f16 v68, v16, v34
	v_pk_max_f16 v16, v29, v29
	ds_read2_b64 v[132:135], v115 offset0:112 offset1:120
	v_pk_add_f16 v64, v6, v66
	v_pk_min_f16 v42, v42, v143
	v_pk_min_f16 v48, v48, v144
	v_pk_max_f16 v38, v38, v38
	v_pk_min_f16 v78, v41, v56
	v_pk_min_f16 v77, v39, v60
	v_pk_add_f16 v39, v3, v49
	v_pk_min_f16 v35, v35, v136
	v_pk_add_f16 v41, v7, v49
	v_pk_min_f16 v36, v36, v57
	v_pk_max_f16 v31, v31, v31
	v_pk_max_f16 v30, v30, v30
	v_pk_add_f16 v29, v9, v51
	v_pk_min_f16 v16, v16, v50
	v_pk_add_f16 v66, v8, v66
	s_waitcnt lgkmcnt(1)
	v_pk_add_f16 v138, v2, v52
	v_pk_min_f16 v88, v42, v145
	v_pk_add_f16 v42, v4, v52
	v_pk_add_f16 v140, v6, v52
	v_pk_min_f16 v87, v48, v146
	v_pk_add_f16 v48, v8, v52
	v_pk_max_f16 v52, v85, v85
	v_pk_min_f16 v38, v38, v64
	v_pk_max_f16 v37, v37, v37
	v_pk_min_f16 v72, v35, v39
	v_pk_min_f16 v69, v36, v41
	v_pk_max_f16 v32, v32, v32
	v_pk_add_f16 v35, v5, v51
	v_pk_min_f16 v31, v31, v59
	v_pk_add_f16 v36, v7, v51
	v_pk_min_f16 v30, v30, v137
	v_pk_max_f16 v28, v28, v28
	v_pk_max_f16 v27, v27, v27
	v_pk_min_f16 v64, v16, v29
	v_pk_max_f16 v16, v21, v21
	v_pk_min_f16 v18, v52, v18
	v_pk_add_f16 v52, v4, v54
	v_pk_add_f16 v142, v6, v54
	;; [unrolled: 1-line block ×3, first 2 shown]
	v_pk_min_f16 v37, v37, v66
	v_pk_add_f16 v33, v3, v51
	v_pk_min_f16 v32, v32, v58
	v_pk_min_f16 v66, v31, v35
	;; [unrolled: 1-line block ×3, first 2 shown]
	v_pk_add_f16 v30, v3, v53
	v_pk_max_f16 v25, v25, v25
	v_pk_min_f16 v28, v28, v138
	v_pk_add_f16 v31, v5, v53
	v_pk_min_f16 v27, v27, v42
	v_pk_add_f16 v21, v9, v53
	v_pk_min_f16 v16, v16, v48
	v_pk_max_f16 v19, v19, v19
	v_pk_max_f16 v15, v15, v15
	v_pk_add_f16 v141, v2, v54
	v_pk_add_f16 v54, v8, v54
	v_pk_min_f16 v74, v38, v61
	v_pk_add_f16 v38, v9, v67
	v_pk_min_f16 v67, v32, v33
	;; [unrolled: 2-line block ×3, first 2 shown]
	v_pk_min_f16 v63, v28, v30
	v_pk_min_f16 v62, v27, v31
	v_pk_max_f16 v22, v22, v22
	v_pk_add_f16 v27, v5, v55
	v_pk_min_f16 v19, v19, v52
	v_pk_add_f16 v28, v7, v55
	v_pk_min_f16 v15, v15, v142
	v_pk_min_f16 v60, v16, v21
	v_pk_max_f16 v16, v26, v26
	v_pk_min_f16 v85, v18, v147
	s_waitcnt lgkmcnt(0)
	v_pk_add_f16 v18, v2, v132
	v_pk_add_f16 v139, v4, v132
	v_pk_min_f16 v83, v20, v149
	v_pk_add_f16 v20, v6, v132
	v_pk_add_f16 v132, v8, v132
	;; [unrolled: 1-line block ×6, first 2 shown]
	v_pk_min_f16 v61, v25, v32
	v_pk_add_f16 v25, v3, v55
	v_pk_min_f16 v22, v22, v141
	v_pk_min_f16 v58, v19, v27
	;; [unrolled: 1-line block ×3, first 2 shown]
	v_pk_add_f16 v15, v9, v55
	v_pk_max_f16 v19, v24, v24
	v_pk_min_f16 v16, v16, v54
	v_pk_max_f16 v21, v23, v23
	v_pk_max_f16 v17, v17, v17
	v_pk_max_f16 v14, v14, v14
	v_pk_max_f16 v13, v13, v13
	v_pk_max_f16 v12, v12, v12
	v_pk_max_f16 v10, v10, v10
	v_pk_max_f16 v11, v11, v11
	v_add_co_u32 v120, s3, v120, 16
	v_add_co_ci_u32_e64 v121, null, 0, v121, s3
	v_add_co_u32 v122, s3, v122, 16
	v_pk_min_f16 v59, v22, v25
	v_pk_add_f16 v22, v3, v133
	v_pk_min_f16 v18, v19, v18
	v_pk_add_f16 v19, v5, v133
	;; [unrolled: 2-line block ×3, first 2 shown]
	v_pk_min_f16 v17, v17, v20
	v_pk_min_f16 v56, v16, v15
	v_pk_add_f16 v15, v9, v133
	v_pk_min_f16 v14, v14, v132
	v_pk_add_f16 v3, v3, v135
	;; [unrolled: 2-line block ×5, first 2 shown]
	v_pk_min_f16 v8, v11, v8
	v_add_co_ci_u32_e64 v123, null, 0, v123, s3
	v_add_co_u32 v124, s3, v124, 16
	v_add_co_ci_u32_e64 v125, null, 0, v125, s3
	v_add_co_u32 v126, s3, v126, 16
	v_pk_min_f16 v73, v37, v38
	v_pk_min_f16 v54, v18, v22
	;; [unrolled: 1-line block ×9, first 2 shown]
	v_add_co_ci_u32_e64 v127, null, 0, v127, s3
	s_add_i32 s19, s19, 8
	s_waitcnt vmcnt(0)
	ds_write_b16 v116, v129
	ds_write_b16 v116, v128 offset:512
	ds_write_b16 v117, v131
	ds_write_b16 v117, v130 offset:512
	s_cmp_ge_i32 s19, s18
	s_waitcnt lgkmcnt(0)
	s_barrier
	buffer_gl0_inv
	s_cbranch_scc1 .LBB268_42
.LBB268_26:                             ; =>This Inner Loop Header: Depth=1
	v_add_nc_u32_e32 v6, s19, v45
	v_mov_b32_e32 v7, 0x7c00
	v_mov_b32_e32 v8, 0x7c00
	v_add_nc_u32_e32 v2, 8, v6
	v_cmp_le_i32_e64 s3, s10, v2
	s_nor_b32 s6, vcc_lo, s3
	s_and_saveexec_b32 s20, s6
	s_cbranch_execz .LBB268_28
; %bb.27:                               ;   in Loop: Header=BB268_26 Depth=1
	v_add_co_u32 v2, s6, v124, v71
	v_add_co_ci_u32_e64 v3, null, 0, v125, s6
	global_load_ushort v8, v[2:3], off offset:16
.LBB268_28:                             ;   in Loop: Header=BB268_26 Depth=1
	s_or_b32 exec_lo, exec_lo, s20
	s_nor_b32 s6, s0, s3
	s_and_saveexec_b32 s20, s6
	s_cbranch_execz .LBB268_30
; %bb.29:                               ;   in Loop: Header=BB268_26 Depth=1
	v_add_co_u32 v2, s6, v126, v71
	v_add_co_ci_u32_e64 v3, null, 0, v127, s6
	global_load_ushort v7, v[2:3], off offset:16
.LBB268_30:                             ;   in Loop: Header=BB268_26 Depth=1
	s_or_b32 exec_lo, exec_lo, s20
	v_mov_b32_e32 v128, 0x7c00
	v_mov_b32_e32 v129, 0x7c00
	s_nor_b32 s6, s1, s3
	s_and_saveexec_b32 s20, s6
	s_cbranch_execz .LBB268_32
; %bb.31:                               ;   in Loop: Header=BB268_26 Depth=1
	v_add_co_u32 v2, s6, v120, v71
	v_add_co_ci_u32_e64 v3, null, 0, v121, s6
	global_load_ushort v129, v[2:3], off offset:16
.LBB268_32:                             ;   in Loop: Header=BB268_26 Depth=1
	s_or_b32 exec_lo, exec_lo, s20
	s_nor_b32 s3, s2, s3
	s_and_saveexec_b32 s6, s3
	s_cbranch_execz .LBB268_34
; %bb.33:                               ;   in Loop: Header=BB268_26 Depth=1
	v_add_co_u32 v2, s3, v122, v71
	v_add_co_ci_u32_e64 v3, null, 0, v123, s3
	global_load_ushort v128, v[2:3], off offset:16
.LBB268_34:                             ;   in Loop: Header=BB268_26 Depth=1
	s_or_b32 exec_lo, exec_lo, s6
	ds_read2_b64 v[9:12], v118 offset1:32
	ds_read2_b64 v[13:16], v118 offset0:64 offset1:96
	ds_read2_b64 v[41:44], v119 offset1:8
	ds_read2_b64 v[37:40], v119 offset0:16 offset1:24
	ds_read2_b64 v[33:36], v119 offset0:32 offset1:40
	;; [unrolled: 1-line block ×7, first 2 shown]
	v_add_nc_u32_e32 v6, 12, v6
	s_waitcnt vmcnt(0)
	ds_write_b16 v75, v8
	ds_write_b16 v75, v7 offset:512
	ds_write_b16 v114, v129
	ds_write_b16 v114, v128 offset:512
	v_mov_b32_e32 v128, 0x7c00
	v_mov_b32_e32 v129, 0x7c00
	s_waitcnt lgkmcnt(0)
	v_cmp_le_i32_e64 s3, s10, v6
	s_barrier
	buffer_gl0_inv
	s_nor_b32 s6, vcc_lo, s3
	s_and_saveexec_b32 s20, s6
	s_cbranch_execz .LBB268_36
; %bb.35:                               ;   in Loop: Header=BB268_26 Depth=1
	v_add_co_u32 v6, s6, v124, v71
	v_add_co_ci_u32_e64 v7, null, 0, v125, s6
	global_load_ushort v129, v[6:7], off offset:24
.LBB268_36:                             ;   in Loop: Header=BB268_26 Depth=1
	s_or_b32 exec_lo, exec_lo, s20
	s_nor_b32 s6, s0, s3
	s_and_saveexec_b32 s20, s6
	s_cbranch_execz .LBB268_38
; %bb.37:                               ;   in Loop: Header=BB268_26 Depth=1
	v_add_co_u32 v6, s6, v126, v71
	v_add_co_ci_u32_e64 v7, null, 0, v127, s6
	global_load_ushort v128, v[6:7], off offset:24
.LBB268_38:                             ;   in Loop: Header=BB268_26 Depth=1
	s_or_b32 exec_lo, exec_lo, s20
	v_mov_b32_e32 v130, 0x7c00
	v_mov_b32_e32 v131, 0x7c00
	s_nor_b32 s6, s1, s3
	s_and_saveexec_b32 s20, s6
	s_cbranch_execz .LBB268_40
; %bb.39:                               ;   in Loop: Header=BB268_26 Depth=1
	v_add_co_u32 v6, s6, v120, v71
	v_add_co_ci_u32_e64 v7, null, 0, v121, s6
	global_load_ushort v131, v[6:7], off offset:24
.LBB268_40:                             ;   in Loop: Header=BB268_26 Depth=1
	s_or_b32 exec_lo, exec_lo, s20
	s_nor_b32 s3, s2, s3
	s_and_saveexec_b32 s6, s3
	s_cbranch_execz .LBB268_25
; %bb.41:                               ;   in Loop: Header=BB268_26 Depth=1
	v_add_co_u32 v6, s3, v122, v71
	v_add_co_ci_u32_e64 v7, null, 0, v123, s3
	global_load_ushort v130, v[6:7], off offset:24
	s_branch .LBB268_25
.LBB268_42:
	s_clause 0x2
	s_load_dwordx2 s[2:3], s[4:5], 0x70
	s_load_dword s6, s[4:5], 0x50
	s_load_dword s5, s[4:5], 0x68
	v_add_nc_u32_e32 v6, 0x800, v47
	v_add_nc_u32_e32 v75, s13, v1
	ds_read2_b64 v[10:13], v46 offset0:128 offset1:160
	ds_read2_b64 v[2:5], v46 offset0:192 offset1:224
	v_add_nc_u32_e32 v0, s12, v0
	ds_read2_b64 v[38:41], v6 offset0:128 offset1:136
	ds_read2_b64 v[34:37], v6 offset0:144 offset1:152
	;; [unrolled: 1-line block ×8, first 2 shown]
	v_cmp_gt_i32_e64 s4, s9, v75
	v_cndmask_b32_e64 v71, 0, 1, s22
	v_cmp_gt_i32_e64 s0, s8, v0
	v_ashrrev_i32_e32 v1, 31, v0
	s_waitcnt lgkmcnt(0)
	s_mul_i32 s1, s3, s7
	v_mad_i64_i32 v[42:43], null, v75, s6, 0
	v_mad_i64_i32 v[44:45], null, v75, s5, 0
	s_mul_hi_u32 s3, s2, s7
	s_mul_i32 s2, s2, s7
	s_add_i32 s3, s3, s1
	s_lshl_b64 s[2:3], s[2:3], 1
	v_lshlrev_b64 v[42:43], 1, v[42:43]
	v_lshlrev_b64 v[44:45], 1, v[44:45]
	s_add_u32 s7, s14, s2
	s_addc_u32 s10, s15, s3
	s_and_b32 s2, s0, s4
	v_add_co_u32 v116, vcc_lo, s16, v42
	v_add_co_ci_u32_e64 v117, null, s17, v43, vcc_lo
	v_add_co_u32 v114, vcc_lo, s7, v44
	v_add_co_ci_u32_e64 v115, null, s10, v45, vcc_lo
	s_and_saveexec_b32 s1, s2
	s_cbranch_execz .LBB268_48
; %bb.43:
	s_andn2_b32 vcc_lo, exec_lo, s22
	s_cbranch_vccnz .LBB268_46
; %bb.44:
	v_lshlrev_b64 v[42:43], 1, v[0:1]
	v_add_co_u32 v42, vcc_lo, v116, v42
	v_add_co_ci_u32_e64 v43, null, v117, v43, vcc_lo
	global_load_ushort v42, v[42:43], off
	s_waitcnt vmcnt(0)
	v_mul_f16_e32 v42, s11, v42
	v_cvt_f32_f16_e32 v42, v42
	s_branch .LBB268_47
.LBB268_45:
	s_mov_b64 s[18:19], 0
	s_andn2_b32 vcc_lo, exec_lo, s11
	s_mov_b32 s0, -1
	s_cbranch_vccz .LBB268_2
	s_branch .LBB268_3
.LBB268_46:
	v_mov_b32_e32 v42, 0
.LBB268_47:
	v_pk_add_f16 v43, v10, v38
	v_pk_add_f16 v44, v11, v39
	v_max_f16_e32 v45, v113, v113
	v_lshrrev_b32_e32 v46, 16, v113
	v_max_f32_e32 v42, v42, v42
	v_lshrrev_b32_e32 v47, 16, v43
	v_lshrrev_b32_e32 v113, 16, v44
	v_min_f16_e32 v43, v45, v43
	v_min3_f16 v45, v46, v47, v113
	v_min3_f16 v43, v43, v44, v45
	v_cvt_f32_f16_e32 v43, v43
	v_min_f32_e32 v44, v42, v43
	v_lshlrev_b64 v[42:43], 1, v[0:1]
	v_cvt_f16_f32_e32 v44, v44
	v_add_co_u32 v42, vcc_lo, v114, v42
	v_add_co_ci_u32_e64 v43, null, v115, v43, vcc_lo
	global_store_short v[42:43], v44, off
.LBB268_48:
	s_or_b32 exec_lo, exec_lo, s1
	v_add_nc_u32_e32 v42, 32, v0
	v_cmp_gt_i32_e64 s1, s8, v42
	v_ashrrev_i32_e32 v43, 31, v42
	s_and_b32 s3, s1, s4
	s_and_saveexec_b32 s2, s3
	s_cbranch_execz .LBB268_53
; %bb.49:
	v_cmp_ne_u32_e32 vcc_lo, 1, v71
	s_cbranch_vccnz .LBB268_51
; %bb.50:
	v_lshlrev_b64 v[44:45], 1, v[42:43]
	v_add_co_u32 v44, vcc_lo, v116, v44
	v_add_co_ci_u32_e64 v45, null, v117, v45, vcc_lo
	global_load_ushort v44, v[44:45], off
	s_waitcnt vmcnt(0)
	v_mul_f16_e32 v44, s11, v44
	v_cvt_f32_f16_e32 v44, v44
	s_branch .LBB268_52
.LBB268_51:
	v_mov_b32_e32 v44, 0
.LBB268_52:
	v_pk_add_f16 v45, v12, v38
	v_pk_add_f16 v46, v13, v39
	v_max_f16_e32 v47, v112, v112
	v_lshrrev_b32_e32 v112, 16, v112
	v_max_f32_e32 v44, v44, v44
	v_lshrrev_b32_e32 v113, 16, v45
	v_lshrrev_b32_e32 v118, 16, v46
	v_min_f16_e32 v45, v47, v45
	v_min3_f16 v47, v112, v113, v118
	v_min3_f16 v45, v45, v46, v47
	v_cvt_f32_f16_e32 v45, v45
	v_min_f32_e32 v46, v44, v45
	v_lshlrev_b64 v[44:45], 1, v[42:43]
	v_cvt_f16_f32_e32 v46, v46
	v_add_co_u32 v44, vcc_lo, v114, v44
	v_add_co_ci_u32_e64 v45, null, v115, v45, vcc_lo
	global_store_short v[44:45], v46, off
.LBB268_53:
	s_or_b32 exec_lo, exec_lo, s2
	v_add_nc_u32_e32 v44, 64, v0
	v_cmp_gt_i32_e64 s2, s8, v44
	v_ashrrev_i32_e32 v45, 31, v44
	s_and_b32 s12, s2, s4
	s_and_saveexec_b32 s3, s12
	s_cbranch_execz .LBB268_58
; %bb.54:
	v_cmp_ne_u32_e32 vcc_lo, 1, v71
	s_cbranch_vccnz .LBB268_56
; %bb.55:
	v_lshlrev_b64 v[46:47], 1, v[44:45]
	v_add_co_u32 v46, vcc_lo, v116, v46
	v_add_co_ci_u32_e64 v47, null, v117, v47, vcc_lo
	global_load_ushort v46, v[46:47], off
	s_waitcnt vmcnt(0)
	v_mul_f16_e32 v46, s11, v46
	v_cvt_f32_f16_e32 v46, v46
	s_branch .LBB268_57
.LBB268_56:
	v_mov_b32_e32 v46, 0
.LBB268_57:
	v_pk_add_f16 v47, v2, v38
	v_pk_add_f16 v112, v3, v39
	v_max_f16_e32 v113, v111, v111
	v_lshrrev_b32_e32 v111, 16, v111
	v_max_f32_e32 v46, v46, v46
	v_lshrrev_b32_e32 v118, 16, v47
	v_lshrrev_b32_e32 v119, 16, v112
	v_min_f16_e32 v47, v113, v47
	v_min3_f16 v111, v111, v118, v119
	v_min3_f16 v47, v47, v112, v111
	v_cvt_f32_f16_e32 v47, v47
	v_min_f32_e32 v111, v46, v47
	v_lshlrev_b64 v[46:47], 1, v[44:45]
	v_cvt_f16_f32_e32 v111, v111
	v_add_co_u32 v46, vcc_lo, v114, v46
	v_add_co_ci_u32_e64 v47, null, v115, v47, vcc_lo
	global_store_short v[46:47], v111, off
.LBB268_58:
	s_or_b32 exec_lo, exec_lo, s3
	v_add_nc_u32_e32 v46, 0x60, v0
	v_cmp_gt_i32_e64 s3, s8, v46
	v_ashrrev_i32_e32 v47, 31, v46
	s_and_b32 s8, s3, s4
	s_and_saveexec_b32 s4, s8
	s_cbranch_execz .LBB268_63
; %bb.59:
	v_cmp_ne_u32_e32 vcc_lo, 1, v71
	s_cbranch_vccnz .LBB268_61
; %bb.60:
	v_lshlrev_b64 v[111:112], 1, v[46:47]
	v_add_co_u32 v111, vcc_lo, v116, v111
	v_add_co_ci_u32_e64 v112, null, v117, v112, vcc_lo
	global_load_ushort v111, v[111:112], off
	s_waitcnt vmcnt(0)
	v_mul_f16_e32 v111, s11, v111
	v_cvt_f32_f16_e32 v111, v111
	s_branch .LBB268_62
.LBB268_61:
	v_mov_b32_e32 v111, 0
.LBB268_62:
	v_pk_add_f16 v38, v4, v38
	v_pk_add_f16 v39, v5, v39
	v_max_f16_e32 v112, v110, v110
	v_lshrrev_b32_e32 v110, 16, v110
	v_lshrrev_b32_e32 v113, 16, v38
	;; [unrolled: 1-line block ×3, first 2 shown]
	v_min_f16_e32 v38, v112, v38
	v_min3_f16 v110, v110, v113, v116
	v_min3_f16 v38, v38, v39, v110
	v_max_f32_e32 v39, v111, v111
	v_cvt_f32_f16_e32 v38, v38
	v_min_f32_e32 v110, v39, v38
	v_lshlrev_b64 v[38:39], 1, v[46:47]
	v_cvt_f16_f32_e32 v110, v110
	v_add_co_u32 v38, vcc_lo, v114, v38
	v_add_co_ci_u32_e64 v39, null, v115, v39, vcc_lo
	global_store_short v[38:39], v110, off
.LBB268_63:
	s_or_b32 exec_lo, exec_lo, s4
	v_add_nc_u32_e32 v112, 8, v75
	v_mad_i64_i32 v[38:39], null, v112, s6, 0
	v_mad_i64_i32 v[110:111], null, v112, s5, 0
	v_cmp_gt_i32_e64 s4, s9, v112
	v_lshlrev_b64 v[38:39], 1, v[38:39]
	s_and_b32 s12, s0, s4
	v_lshlrev_b64 v[112:113], 1, v[110:111]
	v_add_co_u32 v110, vcc_lo, s16, v38
	v_add_co_ci_u32_e64 v111, null, s17, v39, vcc_lo
	v_add_co_u32 v38, vcc_lo, s7, v112
	v_add_co_ci_u32_e64 v39, null, s10, v113, vcc_lo
	s_and_saveexec_b32 s8, s12
	s_cbranch_execnz .LBB268_67
; %bb.64:
	s_or_b32 exec_lo, exec_lo, s8
	s_and_b32 s12, s1, s4
	s_and_saveexec_b32 s8, s12
	s_cbranch_execnz .LBB268_71
.LBB268_65:
	s_or_b32 exec_lo, exec_lo, s8
	s_and_b32 s12, s2, s4
	s_and_saveexec_b32 s8, s12
	s_cbranch_execnz .LBB268_75
.LBB268_66:
	s_or_b32 exec_lo, exec_lo, s8
	s_and_b32 s8, s3, s4
	s_and_saveexec_b32 s4, s8
	s_cbranch_execnz .LBB268_79
	s_branch .LBB268_83
.LBB268_67:
	v_cmp_ne_u32_e32 vcc_lo, 1, v71
	s_cbranch_vccnz .LBB268_69
; %bb.68:
	v_lshlrev_b64 v[112:113], 1, v[0:1]
	v_add_co_u32 v112, vcc_lo, v110, v112
	v_add_co_ci_u32_e64 v113, null, v111, v113, vcc_lo
	global_load_ushort v112, v[112:113], off
	s_waitcnt vmcnt(0)
	v_mul_f16_e32 v112, s11, v112
	v_cvt_f32_f16_e32 v112, v112
	s_branch .LBB268_70
.LBB268_69:
	v_mov_b32_e32 v112, 0
.LBB268_70:
	v_pk_add_f16 v113, v10, v40
	v_pk_add_f16 v114, v11, v41
	v_max_f16_e32 v115, v109, v109
	v_lshrrev_b32_e32 v109, 16, v109
	v_max_f32_e32 v112, v112, v112
	v_lshrrev_b32_e32 v116, 16, v113
	v_lshrrev_b32_e32 v117, 16, v114
	v_min_f16_e32 v113, v115, v113
	v_min3_f16 v109, v109, v116, v117
	v_min3_f16 v109, v113, v114, v109
	v_cvt_f32_f16_e32 v109, v109
	v_min_f32_e32 v109, v112, v109
	v_lshlrev_b64 v[112:113], 1, v[0:1]
	v_cvt_f16_f32_e32 v109, v109
	v_add_co_u32 v112, vcc_lo, v38, v112
	v_add_co_ci_u32_e64 v113, null, v39, v113, vcc_lo
	global_store_short v[112:113], v109, off
	s_or_b32 exec_lo, exec_lo, s8
	s_and_b32 s12, s1, s4
	s_and_saveexec_b32 s8, s12
	s_cbranch_execz .LBB268_65
.LBB268_71:
	v_cmp_ne_u32_e32 vcc_lo, 1, v71
	s_cbranch_vccnz .LBB268_73
; %bb.72:
	v_lshlrev_b64 v[112:113], 1, v[42:43]
	v_add_co_u32 v112, vcc_lo, v110, v112
	v_add_co_ci_u32_e64 v113, null, v111, v113, vcc_lo
	global_load_ushort v109, v[112:113], off
	s_waitcnt vmcnt(0)
	v_mul_f16_e32 v109, s11, v109
	v_cvt_f32_f16_e32 v109, v109
	s_branch .LBB268_74
.LBB268_73:
	v_mov_b32_e32 v109, 0
.LBB268_74:
	v_pk_add_f16 v112, v12, v40
	v_pk_add_f16 v113, v13, v41
	v_max_f16_e32 v114, v108, v108
	v_lshrrev_b32_e32 v108, 16, v108
	v_max_f32_e32 v109, v109, v109
	v_lshrrev_b32_e32 v115, 16, v112
	v_lshrrev_b32_e32 v116, 16, v113
	v_min_f16_e32 v112, v114, v112
	v_min3_f16 v108, v108, v115, v116
	v_min3_f16 v108, v112, v113, v108
	v_cvt_f32_f16_e32 v108, v108
	v_min_f32_e32 v112, v109, v108
	v_lshlrev_b64 v[108:109], 1, v[42:43]
	v_cvt_f16_f32_e32 v112, v112
	v_add_co_u32 v108, vcc_lo, v38, v108
	v_add_co_ci_u32_e64 v109, null, v39, v109, vcc_lo
	global_store_short v[108:109], v112, off
	s_or_b32 exec_lo, exec_lo, s8
	s_and_b32 s12, s2, s4
	s_and_saveexec_b32 s8, s12
	s_cbranch_execz .LBB268_66
.LBB268_75:
	v_cmp_ne_u32_e32 vcc_lo, 1, v71
	s_cbranch_vccnz .LBB268_77
; %bb.76:
	v_lshlrev_b64 v[108:109], 1, v[44:45]
	v_add_co_u32 v108, vcc_lo, v110, v108
	v_add_co_ci_u32_e64 v109, null, v111, v109, vcc_lo
	global_load_ushort v108, v[108:109], off
	s_waitcnt vmcnt(0)
	v_mul_f16_e32 v108, s11, v108
	v_cvt_f32_f16_e32 v108, v108
	s_branch .LBB268_78
.LBB268_77:
	v_mov_b32_e32 v108, 0
.LBB268_78:
	v_pk_add_f16 v109, v2, v40
	v_pk_add_f16 v112, v3, v41
	v_max_f16_e32 v113, v107, v107
	v_lshrrev_b32_e32 v107, 16, v107
	v_max_f32_e32 v108, v108, v108
	v_lshrrev_b32_e32 v114, 16, v109
	v_lshrrev_b32_e32 v115, 16, v112
	v_min_f16_e32 v109, v113, v109
	v_min3_f16 v107, v107, v114, v115
	v_min3_f16 v107, v109, v112, v107
	v_cvt_f32_f16_e32 v107, v107
	v_min_f32_e32 v109, v108, v107
	v_lshlrev_b64 v[107:108], 1, v[44:45]
	v_cvt_f16_f32_e32 v109, v109
	v_add_co_u32 v107, vcc_lo, v38, v107
	v_add_co_ci_u32_e64 v108, null, v39, v108, vcc_lo
	global_store_short v[107:108], v109, off
	s_or_b32 exec_lo, exec_lo, s8
	s_and_b32 s8, s3, s4
	s_and_saveexec_b32 s4, s8
	s_cbranch_execz .LBB268_83
.LBB268_79:
	v_cmp_ne_u32_e32 vcc_lo, 1, v71
	s_cbranch_vccnz .LBB268_81
; %bb.80:
	v_lshlrev_b64 v[107:108], 1, v[46:47]
	v_add_co_u32 v107, vcc_lo, v110, v107
	v_add_co_ci_u32_e64 v108, null, v111, v108, vcc_lo
	global_load_ushort v107, v[107:108], off
	s_waitcnt vmcnt(0)
	v_mul_f16_e32 v107, s11, v107
	v_cvt_f32_f16_e32 v107, v107
	s_branch .LBB268_82
.LBB268_81:
	v_mov_b32_e32 v107, 0
.LBB268_82:
	v_pk_add_f16 v40, v4, v40
	v_pk_add_f16 v41, v5, v41
	v_max_f16_e32 v108, v106, v106
	v_lshrrev_b32_e32 v106, 16, v106
	v_lshrrev_b32_e32 v109, 16, v40
	;; [unrolled: 1-line block ×3, first 2 shown]
	v_min_f16_e32 v40, v108, v40
	v_min3_f16 v106, v106, v109, v110
	v_min3_f16 v40, v40, v41, v106
	v_max_f32_e32 v41, v107, v107
	v_cvt_f32_f16_e32 v40, v40
	v_min_f32_e32 v106, v41, v40
	v_lshlrev_b64 v[40:41], 1, v[46:47]
	v_cvt_f16_f32_e32 v106, v106
	v_add_co_u32 v38, vcc_lo, v38, v40
	v_add_co_ci_u32_e64 v39, null, v39, v41, vcc_lo
	global_store_short v[38:39], v106, off
.LBB268_83:
	s_or_b32 exec_lo, exec_lo, s4
	v_add_nc_u32_e32 v106, 16, v75
	v_mad_i64_i32 v[38:39], null, v106, s6, 0
	v_mad_i64_i32 v[40:41], null, v106, s5, 0
	v_cmp_gt_i32_e64 s4, s9, v106
	v_lshlrev_b64 v[38:39], 1, v[38:39]
	s_and_b32 s12, s0, s4
	v_lshlrev_b64 v[106:107], 1, v[40:41]
	v_add_co_u32 v40, vcc_lo, s16, v38
	v_add_co_ci_u32_e64 v41, null, s17, v39, vcc_lo
	v_add_co_u32 v38, vcc_lo, s7, v106
	v_add_co_ci_u32_e64 v39, null, s10, v107, vcc_lo
	s_and_saveexec_b32 s8, s12
	s_cbranch_execnz .LBB268_87
; %bb.84:
	s_or_b32 exec_lo, exec_lo, s8
	s_and_b32 s12, s1, s4
	s_and_saveexec_b32 s8, s12
	s_cbranch_execnz .LBB268_91
.LBB268_85:
	s_or_b32 exec_lo, exec_lo, s8
	s_and_b32 s12, s2, s4
	s_and_saveexec_b32 s8, s12
	s_cbranch_execnz .LBB268_95
.LBB268_86:
	s_or_b32 exec_lo, exec_lo, s8
	s_and_b32 s8, s3, s4
	s_and_saveexec_b32 s4, s8
	s_cbranch_execnz .LBB268_99
	s_branch .LBB268_103
.LBB268_87:
	v_cmp_ne_u32_e32 vcc_lo, 1, v71
	s_cbranch_vccnz .LBB268_89
; %bb.88:
	v_lshlrev_b64 v[106:107], 1, v[0:1]
	v_add_co_u32 v106, vcc_lo, v40, v106
	v_add_co_ci_u32_e64 v107, null, v41, v107, vcc_lo
	global_load_ushort v106, v[106:107], off
	s_waitcnt vmcnt(0)
	v_mul_f16_e32 v106, s11, v106
	v_cvt_f32_f16_e32 v106, v106
	s_branch .LBB268_90
.LBB268_89:
	v_mov_b32_e32 v106, 0
.LBB268_90:
	v_pk_add_f16 v107, v10, v34
	v_pk_add_f16 v108, v11, v35
	v_max_f16_e32 v109, v105, v105
	v_lshrrev_b32_e32 v105, 16, v105
	v_max_f32_e32 v106, v106, v106
	v_lshrrev_b32_e32 v110, 16, v107
	v_lshrrev_b32_e32 v111, 16, v108
	v_min_f16_e32 v107, v109, v107
	v_min3_f16 v105, v105, v110, v111
	v_min3_f16 v105, v107, v108, v105
	v_cvt_f32_f16_e32 v105, v105
	v_min_f32_e32 v107, v106, v105
	v_lshlrev_b64 v[105:106], 1, v[0:1]
	v_cvt_f16_f32_e32 v107, v107
	v_add_co_u32 v105, vcc_lo, v38, v105
	v_add_co_ci_u32_e64 v106, null, v39, v106, vcc_lo
	global_store_short v[105:106], v107, off
	s_or_b32 exec_lo, exec_lo, s8
	s_and_b32 s12, s1, s4
	s_and_saveexec_b32 s8, s12
	s_cbranch_execz .LBB268_85
.LBB268_91:
	v_cmp_ne_u32_e32 vcc_lo, 1, v71
	s_cbranch_vccnz .LBB268_93
; %bb.92:
	v_lshlrev_b64 v[105:106], 1, v[42:43]
	v_add_co_u32 v105, vcc_lo, v40, v105
	v_add_co_ci_u32_e64 v106, null, v41, v106, vcc_lo
	global_load_ushort v105, v[105:106], off
	s_waitcnt vmcnt(0)
	v_mul_f16_e32 v105, s11, v105
	v_cvt_f32_f16_e32 v105, v105
	s_branch .LBB268_94
.LBB268_93:
	v_mov_b32_e32 v105, 0
.LBB268_94:
	v_pk_add_f16 v106, v12, v34
	v_pk_add_f16 v107, v13, v35
	v_max_f16_e32 v108, v104, v104
	v_lshrrev_b32_e32 v104, 16, v104
	v_max_f32_e32 v105, v105, v105
	v_lshrrev_b32_e32 v109, 16, v106
	v_lshrrev_b32_e32 v110, 16, v107
	v_min_f16_e32 v106, v108, v106
	v_min3_f16 v104, v104, v109, v110
	v_min3_f16 v104, v106, v107, v104
	v_cvt_f32_f16_e32 v104, v104
	v_min_f32_e32 v106, v105, v104
	v_lshlrev_b64 v[104:105], 1, v[42:43]
	v_cvt_f16_f32_e32 v106, v106
	v_add_co_u32 v104, vcc_lo, v38, v104
	v_add_co_ci_u32_e64 v105, null, v39, v105, vcc_lo
	global_store_short v[104:105], v106, off
	s_or_b32 exec_lo, exec_lo, s8
	s_and_b32 s12, s2, s4
	s_and_saveexec_b32 s8, s12
	s_cbranch_execz .LBB268_86
.LBB268_95:
	v_cmp_ne_u32_e32 vcc_lo, 1, v71
	s_cbranch_vccnz .LBB268_97
; %bb.96:
	v_lshlrev_b64 v[104:105], 1, v[44:45]
	v_add_co_u32 v104, vcc_lo, v40, v104
	v_add_co_ci_u32_e64 v105, null, v41, v105, vcc_lo
	global_load_ushort v104, v[104:105], off
	s_waitcnt vmcnt(0)
	v_mul_f16_e32 v104, s11, v104
	v_cvt_f32_f16_e32 v104, v104
	s_branch .LBB268_98
.LBB268_97:
	v_mov_b32_e32 v104, 0
.LBB268_98:
	v_pk_add_f16 v105, v2, v34
	v_pk_add_f16 v106, v3, v35
	v_max_f16_e32 v107, v103, v103
	v_lshrrev_b32_e32 v103, 16, v103
	v_max_f32_e32 v104, v104, v104
	v_lshrrev_b32_e32 v108, 16, v105
	v_lshrrev_b32_e32 v109, 16, v106
	v_min_f16_e32 v105, v107, v105
	v_min3_f16 v103, v103, v108, v109
	v_min3_f16 v103, v105, v106, v103
	v_cvt_f32_f16_e32 v103, v103
	v_min_f32_e32 v105, v104, v103
	v_lshlrev_b64 v[103:104], 1, v[44:45]
	v_cvt_f16_f32_e32 v105, v105
	v_add_co_u32 v103, vcc_lo, v38, v103
	v_add_co_ci_u32_e64 v104, null, v39, v104, vcc_lo
	global_store_short v[103:104], v105, off
	s_or_b32 exec_lo, exec_lo, s8
	s_and_b32 s8, s3, s4
	s_and_saveexec_b32 s4, s8
	s_cbranch_execz .LBB268_103
.LBB268_99:
	v_cmp_ne_u32_e32 vcc_lo, 1, v71
	s_cbranch_vccnz .LBB268_101
; %bb.100:
	v_lshlrev_b64 v[103:104], 1, v[46:47]
	v_add_co_u32 v40, vcc_lo, v40, v103
	v_add_co_ci_u32_e64 v41, null, v41, v104, vcc_lo
	global_load_ushort v40, v[40:41], off
	s_waitcnt vmcnt(0)
	v_mul_f16_e32 v40, s11, v40
	v_cvt_f32_f16_e32 v40, v40
	s_branch .LBB268_102
.LBB268_101:
	v_mov_b32_e32 v40, 0
.LBB268_102:
	v_pk_add_f16 v34, v4, v34
	v_pk_add_f16 v35, v5, v35
	v_max_f16_e32 v41, v102, v102
	v_lshrrev_b32_e32 v102, 16, v102
	v_lshrrev_b32_e32 v103, 16, v34
	;; [unrolled: 1-line block ×3, first 2 shown]
	v_min_f16_e32 v34, v41, v34
	v_min3_f16 v41, v102, v103, v104
	v_min3_f16 v34, v34, v35, v41
	v_max_f32_e32 v35, v40, v40
	v_cvt_f32_f16_e32 v34, v34
	v_min_f32_e32 v40, v35, v34
	v_lshlrev_b64 v[34:35], 1, v[46:47]
	v_cvt_f16_f32_e32 v40, v40
	v_add_co_u32 v34, vcc_lo, v38, v34
	v_add_co_ci_u32_e64 v35, null, v39, v35, vcc_lo
	global_store_short v[34:35], v40, off
.LBB268_103:
	s_or_b32 exec_lo, exec_lo, s4
	v_add_nc_u32_e32 v40, 24, v75
	v_mad_i64_i32 v[34:35], null, v40, s6, 0
	v_mad_i64_i32 v[38:39], null, v40, s5, 0
	v_cmp_gt_i32_e64 s4, s9, v40
	v_lshlrev_b64 v[34:35], 1, v[34:35]
	s_and_b32 s12, s0, s4
	v_lshlrev_b64 v[40:41], 1, v[38:39]
	v_add_co_u32 v38, vcc_lo, s16, v34
	v_add_co_ci_u32_e64 v39, null, s17, v35, vcc_lo
	v_add_co_u32 v34, vcc_lo, s7, v40
	v_add_co_ci_u32_e64 v35, null, s10, v41, vcc_lo
	s_and_saveexec_b32 s8, s12
	s_cbranch_execnz .LBB268_107
; %bb.104:
	s_or_b32 exec_lo, exec_lo, s8
	s_and_b32 s12, s1, s4
	s_and_saveexec_b32 s8, s12
	s_cbranch_execnz .LBB268_111
.LBB268_105:
	s_or_b32 exec_lo, exec_lo, s8
	s_and_b32 s12, s2, s4
	s_and_saveexec_b32 s8, s12
	s_cbranch_execnz .LBB268_115
.LBB268_106:
	s_or_b32 exec_lo, exec_lo, s8
	s_and_b32 s8, s3, s4
	s_and_saveexec_b32 s4, s8
	s_cbranch_execnz .LBB268_119
	s_branch .LBB268_123
.LBB268_107:
	v_cmp_ne_u32_e32 vcc_lo, 1, v71
	s_cbranch_vccnz .LBB268_109
; %bb.108:
	v_lshlrev_b64 v[40:41], 1, v[0:1]
	v_add_co_u32 v40, vcc_lo, v38, v40
	v_add_co_ci_u32_e64 v41, null, v39, v41, vcc_lo
	global_load_ushort v40, v[40:41], off
	s_waitcnt vmcnt(0)
	v_mul_f16_e32 v40, s11, v40
	v_cvt_f32_f16_e32 v40, v40
	s_branch .LBB268_110
.LBB268_109:
	v_mov_b32_e32 v40, 0
.LBB268_110:
	v_pk_add_f16 v41, v10, v36
	v_pk_add_f16 v102, v11, v37
	v_max_f16_e32 v103, v99, v99
	v_lshrrev_b32_e32 v99, 16, v99
	v_max_f32_e32 v40, v40, v40
	v_lshrrev_b32_e32 v104, 16, v41
	v_lshrrev_b32_e32 v105, 16, v102
	v_min_f16_e32 v41, v103, v41
	v_min3_f16 v99, v99, v104, v105
	v_min3_f16 v41, v41, v102, v99
	v_cvt_f32_f16_e32 v41, v41
	v_min_f32_e32 v99, v40, v41
	v_lshlrev_b64 v[40:41], 1, v[0:1]
	v_cvt_f16_f32_e32 v99, v99
	v_add_co_u32 v40, vcc_lo, v34, v40
	v_add_co_ci_u32_e64 v41, null, v35, v41, vcc_lo
	global_store_short v[40:41], v99, off
	s_or_b32 exec_lo, exec_lo, s8
	s_and_b32 s12, s1, s4
	s_and_saveexec_b32 s8, s12
	s_cbranch_execz .LBB268_105
.LBB268_111:
	v_cmp_ne_u32_e32 vcc_lo, 1, v71
	s_cbranch_vccnz .LBB268_113
; %bb.112:
	v_lshlrev_b64 v[40:41], 1, v[42:43]
	v_add_co_u32 v40, vcc_lo, v38, v40
	v_add_co_ci_u32_e64 v41, null, v39, v41, vcc_lo
	global_load_ushort v40, v[40:41], off
	s_waitcnt vmcnt(0)
	v_mul_f16_e32 v40, s11, v40
	v_cvt_f32_f16_e32 v40, v40
	s_branch .LBB268_114
.LBB268_113:
	v_mov_b32_e32 v40, 0
.LBB268_114:
	v_pk_add_f16 v41, v12, v36
	v_pk_add_f16 v99, v13, v37
	v_max_f16_e32 v102, v101, v101
	v_lshrrev_b32_e32 v101, 16, v101
	v_max_f32_e32 v40, v40, v40
	v_lshrrev_b32_e32 v103, 16, v41
	v_lshrrev_b32_e32 v104, 16, v99
	v_min_f16_e32 v41, v102, v41
	v_min3_f16 v101, v101, v103, v104
	v_min3_f16 v41, v41, v99, v101
	v_cvt_f32_f16_e32 v41, v41
	v_min_f32_e32 v99, v40, v41
	v_lshlrev_b64 v[40:41], 1, v[42:43]
	v_cvt_f16_f32_e32 v99, v99
	v_add_co_u32 v40, vcc_lo, v34, v40
	v_add_co_ci_u32_e64 v41, null, v35, v41, vcc_lo
	global_store_short v[40:41], v99, off
	s_or_b32 exec_lo, exec_lo, s8
	s_and_b32 s12, s2, s4
	s_and_saveexec_b32 s8, s12
	s_cbranch_execz .LBB268_106
.LBB268_115:
	v_cmp_ne_u32_e32 vcc_lo, 1, v71
	s_cbranch_vccnz .LBB268_117
; %bb.116:
	v_lshlrev_b64 v[40:41], 1, v[44:45]
	v_add_co_u32 v40, vcc_lo, v38, v40
	v_add_co_ci_u32_e64 v41, null, v39, v41, vcc_lo
	global_load_ushort v40, v[40:41], off
	s_waitcnt vmcnt(0)
	v_mul_f16_e32 v40, s11, v40
	v_cvt_f32_f16_e32 v40, v40
	s_branch .LBB268_118
.LBB268_117:
	v_mov_b32_e32 v40, 0
.LBB268_118:
	v_pk_add_f16 v41, v2, v36
	v_pk_add_f16 v99, v3, v37
	v_max_f16_e32 v101, v100, v100
	v_lshrrev_b32_e32 v100, 16, v100
	v_max_f32_e32 v40, v40, v40
	v_lshrrev_b32_e32 v102, 16, v41
	v_lshrrev_b32_e32 v103, 16, v99
	v_min_f16_e32 v41, v101, v41
	v_min3_f16 v100, v100, v102, v103
	v_min3_f16 v41, v41, v99, v100
	v_cvt_f32_f16_e32 v41, v41
	v_min_f32_e32 v99, v40, v41
	v_lshlrev_b64 v[40:41], 1, v[44:45]
	v_cvt_f16_f32_e32 v99, v99
	v_add_co_u32 v40, vcc_lo, v34, v40
	v_add_co_ci_u32_e64 v41, null, v35, v41, vcc_lo
	global_store_short v[40:41], v99, off
	s_or_b32 exec_lo, exec_lo, s8
	s_and_b32 s8, s3, s4
	s_and_saveexec_b32 s4, s8
	s_cbranch_execz .LBB268_123
.LBB268_119:
	v_cmp_ne_u32_e32 vcc_lo, 1, v71
	s_cbranch_vccnz .LBB268_121
; %bb.120:
	v_lshlrev_b64 v[40:41], 1, v[46:47]
	v_add_co_u32 v38, vcc_lo, v38, v40
	v_add_co_ci_u32_e64 v39, null, v39, v41, vcc_lo
	global_load_ushort v38, v[38:39], off
	s_waitcnt vmcnt(0)
	v_mul_f16_e32 v38, s11, v38
	v_cvt_f32_f16_e32 v38, v38
	s_branch .LBB268_122
.LBB268_121:
	v_mov_b32_e32 v38, 0
.LBB268_122:
	v_pk_add_f16 v36, v4, v36
	v_pk_add_f16 v37, v5, v37
	v_max_f16_e32 v39, v98, v98
	v_lshrrev_b32_e32 v40, 16, v98
	v_lshrrev_b32_e32 v41, 16, v36
	v_lshrrev_b32_e32 v98, 16, v37
	v_min_f16_e32 v36, v39, v36
	v_min3_f16 v39, v40, v41, v98
	v_min3_f16 v36, v36, v37, v39
	v_max_f32_e32 v37, v38, v38
	v_cvt_f32_f16_e32 v36, v36
	v_min_f32_e32 v38, v37, v36
	v_lshlrev_b64 v[36:37], 1, v[46:47]
	v_cvt_f16_f32_e32 v38, v38
	v_add_co_u32 v34, vcc_lo, v34, v36
	v_add_co_ci_u32_e64 v35, null, v35, v37, vcc_lo
	global_store_short v[34:35], v38, off
.LBB268_123:
	s_or_b32 exec_lo, exec_lo, s4
	v_add_nc_u32_e32 v38, 32, v75
	v_mad_i64_i32 v[34:35], null, v38, s6, 0
	v_mad_i64_i32 v[36:37], null, v38, s5, 0
	v_cmp_gt_i32_e64 s4, s9, v38
	v_lshlrev_b64 v[34:35], 1, v[34:35]
	s_and_b32 s12, s0, s4
	v_lshlrev_b64 v[38:39], 1, v[36:37]
	v_add_co_u32 v36, vcc_lo, s16, v34
	v_add_co_ci_u32_e64 v37, null, s17, v35, vcc_lo
	v_add_co_u32 v34, vcc_lo, s7, v38
	v_add_co_ci_u32_e64 v35, null, s10, v39, vcc_lo
	s_and_saveexec_b32 s8, s12
	s_cbranch_execnz .LBB268_127
; %bb.124:
	s_or_b32 exec_lo, exec_lo, s8
	s_and_b32 s12, s1, s4
	s_and_saveexec_b32 s8, s12
	s_cbranch_execnz .LBB268_131
.LBB268_125:
	s_or_b32 exec_lo, exec_lo, s8
	s_and_b32 s12, s2, s4
	s_and_saveexec_b32 s8, s12
	s_cbranch_execnz .LBB268_135
.LBB268_126:
	s_or_b32 exec_lo, exec_lo, s8
	s_and_b32 s8, s3, s4
	s_and_saveexec_b32 s4, s8
	s_cbranch_execnz .LBB268_139
	s_branch .LBB268_143
.LBB268_127:
	v_cmp_ne_u32_e32 vcc_lo, 1, v71
	s_cbranch_vccnz .LBB268_129
; %bb.128:
	v_lshlrev_b64 v[38:39], 1, v[0:1]
	v_add_co_u32 v38, vcc_lo, v36, v38
	v_add_co_ci_u32_e64 v39, null, v37, v39, vcc_lo
	global_load_ushort v38, v[38:39], off
	s_waitcnt vmcnt(0)
	v_mul_f16_e32 v38, s11, v38
	v_cvt_f32_f16_e32 v38, v38
	s_branch .LBB268_130
.LBB268_129:
	v_mov_b32_e32 v38, 0
.LBB268_130:
	v_pk_add_f16 v39, v10, v30
	v_pk_add_f16 v40, v11, v31
	v_max_f16_e32 v41, v97, v97
	v_lshrrev_b32_e32 v97, 16, v97
	v_max_f32_e32 v38, v38, v38
	v_lshrrev_b32_e32 v98, 16, v39
	v_lshrrev_b32_e32 v99, 16, v40
	v_min_f16_e32 v39, v41, v39
	v_min3_f16 v41, v97, v98, v99
	v_min3_f16 v39, v39, v40, v41
	v_cvt_f32_f16_e32 v39, v39
	v_min_f32_e32 v40, v38, v39
	v_lshlrev_b64 v[38:39], 1, v[0:1]
	v_cvt_f16_f32_e32 v40, v40
	v_add_co_u32 v38, vcc_lo, v34, v38
	v_add_co_ci_u32_e64 v39, null, v35, v39, vcc_lo
	global_store_short v[38:39], v40, off
	s_or_b32 exec_lo, exec_lo, s8
	s_and_b32 s12, s1, s4
	s_and_saveexec_b32 s8, s12
	s_cbranch_execz .LBB268_125
.LBB268_131:
	v_cmp_ne_u32_e32 vcc_lo, 1, v71
	s_cbranch_vccnz .LBB268_133
; %bb.132:
	v_lshlrev_b64 v[38:39], 1, v[42:43]
	v_add_co_u32 v38, vcc_lo, v36, v38
	v_add_co_ci_u32_e64 v39, null, v37, v39, vcc_lo
	global_load_ushort v38, v[38:39], off
	s_waitcnt vmcnt(0)
	v_mul_f16_e32 v38, s11, v38
	v_cvt_f32_f16_e32 v38, v38
	s_branch .LBB268_134
.LBB268_133:
	v_mov_b32_e32 v38, 0
.LBB268_134:
	v_pk_add_f16 v39, v12, v30
	v_pk_add_f16 v40, v13, v31
	v_max_f16_e32 v41, v96, v96
	v_lshrrev_b32_e32 v96, 16, v96
	v_max_f32_e32 v38, v38, v38
	v_lshrrev_b32_e32 v97, 16, v39
	v_lshrrev_b32_e32 v98, 16, v40
	v_min_f16_e32 v39, v41, v39
	v_min3_f16 v41, v96, v97, v98
	v_min3_f16 v39, v39, v40, v41
	v_cvt_f32_f16_e32 v39, v39
	v_min_f32_e32 v40, v38, v39
	v_lshlrev_b64 v[38:39], 1, v[42:43]
	v_cvt_f16_f32_e32 v40, v40
	v_add_co_u32 v38, vcc_lo, v34, v38
	v_add_co_ci_u32_e64 v39, null, v35, v39, vcc_lo
	global_store_short v[38:39], v40, off
	s_or_b32 exec_lo, exec_lo, s8
	s_and_b32 s12, s2, s4
	s_and_saveexec_b32 s8, s12
	s_cbranch_execz .LBB268_126
.LBB268_135:
	v_cmp_ne_u32_e32 vcc_lo, 1, v71
	s_cbranch_vccnz .LBB268_137
; %bb.136:
	v_lshlrev_b64 v[38:39], 1, v[44:45]
	v_add_co_u32 v38, vcc_lo, v36, v38
	v_add_co_ci_u32_e64 v39, null, v37, v39, vcc_lo
	global_load_ushort v38, v[38:39], off
	s_waitcnt vmcnt(0)
	v_mul_f16_e32 v38, s11, v38
	v_cvt_f32_f16_e32 v38, v38
	s_branch .LBB268_138
.LBB268_137:
	v_mov_b32_e32 v38, 0
.LBB268_138:
	v_pk_add_f16 v39, v2, v30
	v_pk_add_f16 v40, v3, v31
	v_max_f16_e32 v41, v95, v95
	v_lshrrev_b32_e32 v95, 16, v95
	v_max_f32_e32 v38, v38, v38
	v_lshrrev_b32_e32 v96, 16, v39
	v_lshrrev_b32_e32 v97, 16, v40
	v_min_f16_e32 v39, v41, v39
	v_min3_f16 v41, v95, v96, v97
	v_min3_f16 v39, v39, v40, v41
	v_cvt_f32_f16_e32 v39, v39
	v_min_f32_e32 v40, v38, v39
	v_lshlrev_b64 v[38:39], 1, v[44:45]
	v_cvt_f16_f32_e32 v40, v40
	v_add_co_u32 v38, vcc_lo, v34, v38
	v_add_co_ci_u32_e64 v39, null, v35, v39, vcc_lo
	global_store_short v[38:39], v40, off
	s_or_b32 exec_lo, exec_lo, s8
	s_and_b32 s8, s3, s4
	s_and_saveexec_b32 s4, s8
	s_cbranch_execz .LBB268_143
.LBB268_139:
	v_cmp_ne_u32_e32 vcc_lo, 1, v71
	s_cbranch_vccnz .LBB268_141
; %bb.140:
	v_lshlrev_b64 v[38:39], 1, v[46:47]
	v_add_co_u32 v36, vcc_lo, v36, v38
	v_add_co_ci_u32_e64 v37, null, v37, v39, vcc_lo
	global_load_ushort v36, v[36:37], off
	s_waitcnt vmcnt(0)
	v_mul_f16_e32 v36, s11, v36
	v_cvt_f32_f16_e32 v36, v36
	s_branch .LBB268_142
.LBB268_141:
	v_mov_b32_e32 v36, 0
.LBB268_142:
	v_pk_add_f16 v30, v4, v30
	v_pk_add_f16 v31, v5, v31
	v_max_f16_e32 v37, v94, v94
	v_lshrrev_b32_e32 v38, 16, v94
	v_lshrrev_b32_e32 v39, 16, v30
	;; [unrolled: 1-line block ×3, first 2 shown]
	v_min_f16_e32 v30, v37, v30
	v_min3_f16 v37, v38, v39, v40
	v_min3_f16 v30, v30, v31, v37
	v_max_f32_e32 v31, v36, v36
	v_cvt_f32_f16_e32 v30, v30
	v_min_f32_e32 v36, v31, v30
	v_lshlrev_b64 v[30:31], 1, v[46:47]
	v_cvt_f16_f32_e32 v36, v36
	v_add_co_u32 v30, vcc_lo, v34, v30
	v_add_co_ci_u32_e64 v31, null, v35, v31, vcc_lo
	global_store_short v[30:31], v36, off
.LBB268_143:
	s_or_b32 exec_lo, exec_lo, s4
	v_add_nc_u32_e32 v36, 40, v75
	v_mad_i64_i32 v[30:31], null, v36, s6, 0
	v_mad_i64_i32 v[34:35], null, v36, s5, 0
	v_cmp_gt_i32_e64 s4, s9, v36
	v_lshlrev_b64 v[30:31], 1, v[30:31]
	s_and_b32 s12, s0, s4
	v_lshlrev_b64 v[36:37], 1, v[34:35]
	v_add_co_u32 v34, vcc_lo, s16, v30
	v_add_co_ci_u32_e64 v35, null, s17, v31, vcc_lo
	v_add_co_u32 v30, vcc_lo, s7, v36
	v_add_co_ci_u32_e64 v31, null, s10, v37, vcc_lo
	s_and_saveexec_b32 s8, s12
	s_cbranch_execnz .LBB268_147
; %bb.144:
	s_or_b32 exec_lo, exec_lo, s8
	s_and_b32 s12, s1, s4
	s_and_saveexec_b32 s8, s12
	s_cbranch_execnz .LBB268_151
.LBB268_145:
	s_or_b32 exec_lo, exec_lo, s8
	s_and_b32 s12, s2, s4
	s_and_saveexec_b32 s8, s12
	s_cbranch_execnz .LBB268_155
.LBB268_146:
	s_or_b32 exec_lo, exec_lo, s8
	s_and_b32 s8, s3, s4
	s_and_saveexec_b32 s4, s8
	s_cbranch_execnz .LBB268_159
	s_branch .LBB268_163
.LBB268_147:
	v_cmp_ne_u32_e32 vcc_lo, 1, v71
	s_cbranch_vccnz .LBB268_149
; %bb.148:
	v_lshlrev_b64 v[36:37], 1, v[0:1]
	v_add_co_u32 v36, vcc_lo, v34, v36
	v_add_co_ci_u32_e64 v37, null, v35, v37, vcc_lo
	global_load_ushort v36, v[36:37], off
	s_waitcnt vmcnt(0)
	v_mul_f16_e32 v36, s11, v36
	v_cvt_f32_f16_e32 v36, v36
	s_branch .LBB268_150
.LBB268_149:
	v_mov_b32_e32 v36, 0
.LBB268_150:
	v_pk_add_f16 v37, v10, v32
	v_pk_add_f16 v38, v11, v33
	v_max_f16_e32 v39, v93, v93
	v_lshrrev_b32_e32 v40, 16, v93
	v_max_f32_e32 v36, v36, v36
	v_lshrrev_b32_e32 v41, 16, v37
	v_lshrrev_b32_e32 v93, 16, v38
	v_min_f16_e32 v37, v39, v37
	v_min3_f16 v39, v40, v41, v93
	v_min3_f16 v37, v37, v38, v39
	v_cvt_f32_f16_e32 v37, v37
	v_min_f32_e32 v38, v36, v37
	v_lshlrev_b64 v[36:37], 1, v[0:1]
	v_cvt_f16_f32_e32 v38, v38
	v_add_co_u32 v36, vcc_lo, v30, v36
	v_add_co_ci_u32_e64 v37, null, v31, v37, vcc_lo
	global_store_short v[36:37], v38, off
	s_or_b32 exec_lo, exec_lo, s8
	s_and_b32 s12, s1, s4
	s_and_saveexec_b32 s8, s12
	s_cbranch_execz .LBB268_145
.LBB268_151:
	v_cmp_ne_u32_e32 vcc_lo, 1, v71
	s_cbranch_vccnz .LBB268_153
; %bb.152:
	v_lshlrev_b64 v[36:37], 1, v[42:43]
	v_add_co_u32 v36, vcc_lo, v34, v36
	v_add_co_ci_u32_e64 v37, null, v35, v37, vcc_lo
	global_load_ushort v36, v[36:37], off
	s_waitcnt vmcnt(0)
	v_mul_f16_e32 v36, s11, v36
	v_cvt_f32_f16_e32 v36, v36
	s_branch .LBB268_154
.LBB268_153:
	v_mov_b32_e32 v36, 0
.LBB268_154:
	v_pk_add_f16 v37, v12, v32
	v_pk_add_f16 v38, v13, v33
	v_max_f16_e32 v39, v92, v92
	v_lshrrev_b32_e32 v40, 16, v92
	v_max_f32_e32 v36, v36, v36
	v_lshrrev_b32_e32 v41, 16, v37
	v_lshrrev_b32_e32 v92, 16, v38
	v_min_f16_e32 v37, v39, v37
	v_min3_f16 v39, v40, v41, v92
	v_min3_f16 v37, v37, v38, v39
	v_cvt_f32_f16_e32 v37, v37
	v_min_f32_e32 v38, v36, v37
	v_lshlrev_b64 v[36:37], 1, v[42:43]
	v_cvt_f16_f32_e32 v38, v38
	v_add_co_u32 v36, vcc_lo, v30, v36
	v_add_co_ci_u32_e64 v37, null, v31, v37, vcc_lo
	global_store_short v[36:37], v38, off
	s_or_b32 exec_lo, exec_lo, s8
	s_and_b32 s12, s2, s4
	s_and_saveexec_b32 s8, s12
	s_cbranch_execz .LBB268_146
.LBB268_155:
	v_cmp_ne_u32_e32 vcc_lo, 1, v71
	s_cbranch_vccnz .LBB268_157
; %bb.156:
	v_lshlrev_b64 v[36:37], 1, v[44:45]
	v_add_co_u32 v36, vcc_lo, v34, v36
	v_add_co_ci_u32_e64 v37, null, v35, v37, vcc_lo
	global_load_ushort v36, v[36:37], off
	s_waitcnt vmcnt(0)
	v_mul_f16_e32 v36, s11, v36
	v_cvt_f32_f16_e32 v36, v36
	s_branch .LBB268_158
.LBB268_157:
	v_mov_b32_e32 v36, 0
.LBB268_158:
	v_pk_add_f16 v37, v2, v32
	v_pk_add_f16 v38, v3, v33
	v_max_f16_e32 v39, v91, v91
	v_lshrrev_b32_e32 v40, 16, v91
	v_max_f32_e32 v36, v36, v36
	v_lshrrev_b32_e32 v41, 16, v37
	v_lshrrev_b32_e32 v91, 16, v38
	v_min_f16_e32 v37, v39, v37
	v_min3_f16 v39, v40, v41, v91
	v_min3_f16 v37, v37, v38, v39
	v_cvt_f32_f16_e32 v37, v37
	v_min_f32_e32 v38, v36, v37
	v_lshlrev_b64 v[36:37], 1, v[44:45]
	v_cvt_f16_f32_e32 v38, v38
	v_add_co_u32 v36, vcc_lo, v30, v36
	v_add_co_ci_u32_e64 v37, null, v31, v37, vcc_lo
	global_store_short v[36:37], v38, off
	s_or_b32 exec_lo, exec_lo, s8
	s_and_b32 s8, s3, s4
	s_and_saveexec_b32 s4, s8
	s_cbranch_execz .LBB268_163
.LBB268_159:
	v_cmp_ne_u32_e32 vcc_lo, 1, v71
	s_cbranch_vccnz .LBB268_161
; %bb.160:
	v_lshlrev_b64 v[36:37], 1, v[46:47]
	v_add_co_u32 v34, vcc_lo, v34, v36
	v_add_co_ci_u32_e64 v35, null, v35, v37, vcc_lo
	global_load_ushort v34, v[34:35], off
	s_waitcnt vmcnt(0)
	v_mul_f16_e32 v34, s11, v34
	v_cvt_f32_f16_e32 v34, v34
	s_branch .LBB268_162
.LBB268_161:
	v_mov_b32_e32 v34, 0
.LBB268_162:
	v_pk_add_f16 v32, v4, v32
	v_pk_add_f16 v33, v5, v33
	v_max_f16_e32 v35, v90, v90
	v_lshrrev_b32_e32 v36, 16, v90
	v_lshrrev_b32_e32 v37, 16, v32
	;; [unrolled: 1-line block ×3, first 2 shown]
	v_min_f16_e32 v32, v35, v32
	v_min3_f16 v35, v36, v37, v38
	v_min3_f16 v32, v32, v33, v35
	v_max_f32_e32 v33, v34, v34
	v_cvt_f32_f16_e32 v32, v32
	v_min_f32_e32 v34, v33, v32
	v_lshlrev_b64 v[32:33], 1, v[46:47]
	v_cvt_f16_f32_e32 v34, v34
	v_add_co_u32 v30, vcc_lo, v30, v32
	v_add_co_ci_u32_e64 v31, null, v31, v33, vcc_lo
	global_store_short v[30:31], v34, off
.LBB268_163:
	s_or_b32 exec_lo, exec_lo, s4
	v_add_nc_u32_e32 v34, 48, v75
	v_mad_i64_i32 v[30:31], null, v34, s6, 0
	v_mad_i64_i32 v[32:33], null, v34, s5, 0
	v_cmp_gt_i32_e64 s4, s9, v34
	v_lshlrev_b64 v[30:31], 1, v[30:31]
	s_and_b32 s12, s0, s4
	v_lshlrev_b64 v[34:35], 1, v[32:33]
	v_add_co_u32 v32, vcc_lo, s16, v30
	v_add_co_ci_u32_e64 v33, null, s17, v31, vcc_lo
	v_add_co_u32 v30, vcc_lo, s7, v34
	v_add_co_ci_u32_e64 v31, null, s10, v35, vcc_lo
	s_and_saveexec_b32 s8, s12
	s_cbranch_execnz .LBB268_167
; %bb.164:
	s_or_b32 exec_lo, exec_lo, s8
	s_and_b32 s12, s1, s4
	s_and_saveexec_b32 s8, s12
	s_cbranch_execnz .LBB268_171
.LBB268_165:
	s_or_b32 exec_lo, exec_lo, s8
	s_and_b32 s12, s2, s4
	s_and_saveexec_b32 s8, s12
	s_cbranch_execnz .LBB268_175
.LBB268_166:
	s_or_b32 exec_lo, exec_lo, s8
	s_and_b32 s8, s3, s4
	s_and_saveexec_b32 s4, s8
	s_cbranch_execnz .LBB268_179
	s_branch .LBB268_183
.LBB268_167:
	v_cmp_ne_u32_e32 vcc_lo, 1, v71
	s_cbranch_vccnz .LBB268_169
; %bb.168:
	v_lshlrev_b64 v[34:35], 1, v[0:1]
	v_add_co_u32 v34, vcc_lo, v32, v34
	v_add_co_ci_u32_e64 v35, null, v33, v35, vcc_lo
	global_load_ushort v34, v[34:35], off
	s_waitcnt vmcnt(0)
	v_mul_f16_e32 v34, s11, v34
	v_cvt_f32_f16_e32 v34, v34
	s_branch .LBB268_170
.LBB268_169:
	v_mov_b32_e32 v34, 0
.LBB268_170:
	v_pk_add_f16 v35, v10, v26
	v_pk_add_f16 v36, v11, v27
	v_max_f16_e32 v37, v89, v89
	v_lshrrev_b32_e32 v38, 16, v89
	v_max_f32_e32 v34, v34, v34
	v_lshrrev_b32_e32 v39, 16, v35
	v_lshrrev_b32_e32 v40, 16, v36
	v_min_f16_e32 v35, v37, v35
	v_min3_f16 v37, v38, v39, v40
	v_min3_f16 v35, v35, v36, v37
	v_cvt_f32_f16_e32 v35, v35
	v_min_f32_e32 v36, v34, v35
	v_lshlrev_b64 v[34:35], 1, v[0:1]
	v_cvt_f16_f32_e32 v36, v36
	v_add_co_u32 v34, vcc_lo, v30, v34
	v_add_co_ci_u32_e64 v35, null, v31, v35, vcc_lo
	global_store_short v[34:35], v36, off
	s_or_b32 exec_lo, exec_lo, s8
	s_and_b32 s12, s1, s4
	s_and_saveexec_b32 s8, s12
	s_cbranch_execz .LBB268_165
.LBB268_171:
	v_cmp_ne_u32_e32 vcc_lo, 1, v71
	s_cbranch_vccnz .LBB268_173
; %bb.172:
	v_lshlrev_b64 v[34:35], 1, v[42:43]
	v_add_co_u32 v34, vcc_lo, v32, v34
	v_add_co_ci_u32_e64 v35, null, v33, v35, vcc_lo
	global_load_ushort v34, v[34:35], off
	s_waitcnt vmcnt(0)
	v_mul_f16_e32 v34, s11, v34
	v_cvt_f32_f16_e32 v34, v34
	s_branch .LBB268_174
.LBB268_173:
	v_mov_b32_e32 v34, 0
.LBB268_174:
	v_pk_add_f16 v35, v12, v26
	v_pk_add_f16 v36, v13, v27
	v_max_f16_e32 v37, v88, v88
	v_lshrrev_b32_e32 v38, 16, v88
	v_max_f32_e32 v34, v34, v34
	v_lshrrev_b32_e32 v39, 16, v35
	v_lshrrev_b32_e32 v40, 16, v36
	v_min_f16_e32 v35, v37, v35
	v_min3_f16 v37, v38, v39, v40
	v_min3_f16 v35, v35, v36, v37
	v_cvt_f32_f16_e32 v35, v35
	v_min_f32_e32 v36, v34, v35
	v_lshlrev_b64 v[34:35], 1, v[42:43]
	v_cvt_f16_f32_e32 v36, v36
	v_add_co_u32 v34, vcc_lo, v30, v34
	v_add_co_ci_u32_e64 v35, null, v31, v35, vcc_lo
	global_store_short v[34:35], v36, off
	s_or_b32 exec_lo, exec_lo, s8
	s_and_b32 s12, s2, s4
	s_and_saveexec_b32 s8, s12
	s_cbranch_execz .LBB268_166
.LBB268_175:
	v_cmp_ne_u32_e32 vcc_lo, 1, v71
	s_cbranch_vccnz .LBB268_177
; %bb.176:
	v_lshlrev_b64 v[34:35], 1, v[44:45]
	v_add_co_u32 v34, vcc_lo, v32, v34
	v_add_co_ci_u32_e64 v35, null, v33, v35, vcc_lo
	global_load_ushort v34, v[34:35], off
	s_waitcnt vmcnt(0)
	v_mul_f16_e32 v34, s11, v34
	v_cvt_f32_f16_e32 v34, v34
	s_branch .LBB268_178
.LBB268_177:
	v_mov_b32_e32 v34, 0
.LBB268_178:
	v_pk_add_f16 v35, v2, v26
	v_pk_add_f16 v36, v3, v27
	v_max_f16_e32 v37, v87, v87
	v_lshrrev_b32_e32 v38, 16, v87
	v_max_f32_e32 v34, v34, v34
	v_lshrrev_b32_e32 v39, 16, v35
	v_lshrrev_b32_e32 v40, 16, v36
	v_min_f16_e32 v35, v37, v35
	v_min3_f16 v37, v38, v39, v40
	v_min3_f16 v35, v35, v36, v37
	v_cvt_f32_f16_e32 v35, v35
	v_min_f32_e32 v36, v34, v35
	v_lshlrev_b64 v[34:35], 1, v[44:45]
	v_cvt_f16_f32_e32 v36, v36
	v_add_co_u32 v34, vcc_lo, v30, v34
	v_add_co_ci_u32_e64 v35, null, v31, v35, vcc_lo
	global_store_short v[34:35], v36, off
	s_or_b32 exec_lo, exec_lo, s8
	s_and_b32 s8, s3, s4
	s_and_saveexec_b32 s4, s8
	s_cbranch_execz .LBB268_183
.LBB268_179:
	v_cmp_ne_u32_e32 vcc_lo, 1, v71
	s_cbranch_vccnz .LBB268_181
; %bb.180:
	v_lshlrev_b64 v[34:35], 1, v[46:47]
	v_add_co_u32 v32, vcc_lo, v32, v34
	v_add_co_ci_u32_e64 v33, null, v33, v35, vcc_lo
	global_load_ushort v32, v[32:33], off
	s_waitcnt vmcnt(0)
	v_mul_f16_e32 v32, s11, v32
	v_cvt_f32_f16_e32 v32, v32
	s_branch .LBB268_182
.LBB268_181:
	v_mov_b32_e32 v32, 0
.LBB268_182:
	v_pk_add_f16 v26, v4, v26
	v_pk_add_f16 v27, v5, v27
	v_max_f16_e32 v33, v86, v86
	v_lshrrev_b32_e32 v34, 16, v86
	v_lshrrev_b32_e32 v35, 16, v26
	;; [unrolled: 1-line block ×3, first 2 shown]
	v_min_f16_e32 v26, v33, v26
	v_min3_f16 v33, v34, v35, v36
	v_min3_f16 v26, v26, v27, v33
	v_max_f32_e32 v27, v32, v32
	v_cvt_f32_f16_e32 v26, v26
	v_min_f32_e32 v32, v27, v26
	v_lshlrev_b64 v[26:27], 1, v[46:47]
	v_cvt_f16_f32_e32 v32, v32
	v_add_co_u32 v26, vcc_lo, v30, v26
	v_add_co_ci_u32_e64 v27, null, v31, v27, vcc_lo
	global_store_short v[26:27], v32, off
.LBB268_183:
	s_or_b32 exec_lo, exec_lo, s4
	v_add_nc_u32_e32 v32, 56, v75
	v_mad_i64_i32 v[26:27], null, v32, s6, 0
	v_mad_i64_i32 v[30:31], null, v32, s5, 0
	v_cmp_gt_i32_e64 s4, s9, v32
	v_lshlrev_b64 v[26:27], 1, v[26:27]
	s_and_b32 s12, s0, s4
	v_lshlrev_b64 v[32:33], 1, v[30:31]
	v_add_co_u32 v30, vcc_lo, s16, v26
	v_add_co_ci_u32_e64 v31, null, s17, v27, vcc_lo
	v_add_co_u32 v26, vcc_lo, s7, v32
	v_add_co_ci_u32_e64 v27, null, s10, v33, vcc_lo
	s_and_saveexec_b32 s8, s12
	s_cbranch_execnz .LBB268_187
; %bb.184:
	s_or_b32 exec_lo, exec_lo, s8
	s_and_b32 s12, s1, s4
	s_and_saveexec_b32 s8, s12
	s_cbranch_execnz .LBB268_191
.LBB268_185:
	s_or_b32 exec_lo, exec_lo, s8
	s_and_b32 s12, s2, s4
	s_and_saveexec_b32 s8, s12
	s_cbranch_execnz .LBB268_195
.LBB268_186:
	s_or_b32 exec_lo, exec_lo, s8
	s_and_b32 s8, s3, s4
	s_and_saveexec_b32 s4, s8
	s_cbranch_execnz .LBB268_199
	s_branch .LBB268_203
.LBB268_187:
	v_cmp_ne_u32_e32 vcc_lo, 1, v71
	s_cbranch_vccnz .LBB268_189
; %bb.188:
	v_lshlrev_b64 v[32:33], 1, v[0:1]
	v_add_co_u32 v32, vcc_lo, v30, v32
	v_add_co_ci_u32_e64 v33, null, v31, v33, vcc_lo
	global_load_ushort v32, v[32:33], off
	s_waitcnt vmcnt(0)
	v_mul_f16_e32 v32, s11, v32
	v_cvt_f32_f16_e32 v32, v32
	s_branch .LBB268_190
.LBB268_189:
	v_mov_b32_e32 v32, 0
.LBB268_190:
	v_pk_add_f16 v33, v10, v28
	v_pk_add_f16 v34, v11, v29
	v_max_f16_e32 v35, v85, v85
	v_lshrrev_b32_e32 v36, 16, v85
	v_max_f32_e32 v32, v32, v32
	v_lshrrev_b32_e32 v37, 16, v33
	v_lshrrev_b32_e32 v38, 16, v34
	v_min_f16_e32 v33, v35, v33
	v_min3_f16 v35, v36, v37, v38
	v_min3_f16 v33, v33, v34, v35
	v_cvt_f32_f16_e32 v33, v33
	v_min_f32_e32 v34, v32, v33
	v_lshlrev_b64 v[32:33], 1, v[0:1]
	v_cvt_f16_f32_e32 v34, v34
	v_add_co_u32 v32, vcc_lo, v26, v32
	v_add_co_ci_u32_e64 v33, null, v27, v33, vcc_lo
	global_store_short v[32:33], v34, off
	s_or_b32 exec_lo, exec_lo, s8
	s_and_b32 s12, s1, s4
	s_and_saveexec_b32 s8, s12
	s_cbranch_execz .LBB268_185
.LBB268_191:
	v_cmp_ne_u32_e32 vcc_lo, 1, v71
	s_cbranch_vccnz .LBB268_193
; %bb.192:
	v_lshlrev_b64 v[32:33], 1, v[42:43]
	v_add_co_u32 v32, vcc_lo, v30, v32
	v_add_co_ci_u32_e64 v33, null, v31, v33, vcc_lo
	global_load_ushort v32, v[32:33], off
	s_waitcnt vmcnt(0)
	v_mul_f16_e32 v32, s11, v32
	v_cvt_f32_f16_e32 v32, v32
	s_branch .LBB268_194
.LBB268_193:
	v_mov_b32_e32 v32, 0
.LBB268_194:
	v_pk_add_f16 v33, v12, v28
	v_pk_add_f16 v34, v13, v29
	v_max_f16_e32 v35, v84, v84
	v_lshrrev_b32_e32 v36, 16, v84
	v_max_f32_e32 v32, v32, v32
	v_lshrrev_b32_e32 v37, 16, v33
	v_lshrrev_b32_e32 v38, 16, v34
	v_min_f16_e32 v33, v35, v33
	v_min3_f16 v35, v36, v37, v38
	v_min3_f16 v33, v33, v34, v35
	v_cvt_f32_f16_e32 v33, v33
	v_min_f32_e32 v34, v32, v33
	v_lshlrev_b64 v[32:33], 1, v[42:43]
	v_cvt_f16_f32_e32 v34, v34
	v_add_co_u32 v32, vcc_lo, v26, v32
	v_add_co_ci_u32_e64 v33, null, v27, v33, vcc_lo
	global_store_short v[32:33], v34, off
	s_or_b32 exec_lo, exec_lo, s8
	s_and_b32 s12, s2, s4
	s_and_saveexec_b32 s8, s12
	s_cbranch_execz .LBB268_186
.LBB268_195:
	v_cmp_ne_u32_e32 vcc_lo, 1, v71
	s_cbranch_vccnz .LBB268_197
; %bb.196:
	v_lshlrev_b64 v[32:33], 1, v[44:45]
	v_add_co_u32 v32, vcc_lo, v30, v32
	v_add_co_ci_u32_e64 v33, null, v31, v33, vcc_lo
	global_load_ushort v32, v[32:33], off
	s_waitcnt vmcnt(0)
	v_mul_f16_e32 v32, s11, v32
	v_cvt_f32_f16_e32 v32, v32
	s_branch .LBB268_198
.LBB268_197:
	v_mov_b32_e32 v32, 0
.LBB268_198:
	v_pk_add_f16 v33, v2, v28
	v_pk_add_f16 v34, v3, v29
	v_max_f16_e32 v35, v83, v83
	v_lshrrev_b32_e32 v36, 16, v83
	v_max_f32_e32 v32, v32, v32
	v_lshrrev_b32_e32 v37, 16, v33
	v_lshrrev_b32_e32 v38, 16, v34
	v_min_f16_e32 v33, v35, v33
	v_min3_f16 v35, v36, v37, v38
	v_min3_f16 v33, v33, v34, v35
	v_cvt_f32_f16_e32 v33, v33
	v_min_f32_e32 v34, v32, v33
	v_lshlrev_b64 v[32:33], 1, v[44:45]
	v_cvt_f16_f32_e32 v34, v34
	v_add_co_u32 v32, vcc_lo, v26, v32
	v_add_co_ci_u32_e64 v33, null, v27, v33, vcc_lo
	global_store_short v[32:33], v34, off
	s_or_b32 exec_lo, exec_lo, s8
	s_and_b32 s8, s3, s4
	s_and_saveexec_b32 s4, s8
	s_cbranch_execz .LBB268_203
.LBB268_199:
	v_cmp_ne_u32_e32 vcc_lo, 1, v71
	s_cbranch_vccnz .LBB268_201
; %bb.200:
	v_lshlrev_b64 v[32:33], 1, v[46:47]
	v_add_co_u32 v30, vcc_lo, v30, v32
	v_add_co_ci_u32_e64 v31, null, v31, v33, vcc_lo
	global_load_ushort v30, v[30:31], off
	s_waitcnt vmcnt(0)
	v_mul_f16_e32 v30, s11, v30
	v_cvt_f32_f16_e32 v30, v30
	s_branch .LBB268_202
.LBB268_201:
	v_mov_b32_e32 v30, 0
.LBB268_202:
	v_pk_add_f16 v28, v4, v28
	v_pk_add_f16 v29, v5, v29
	v_max_f16_e32 v31, v82, v82
	v_lshrrev_b32_e32 v32, 16, v82
	v_lshrrev_b32_e32 v33, 16, v28
	;; [unrolled: 1-line block ×3, first 2 shown]
	v_min_f16_e32 v28, v31, v28
	v_min3_f16 v31, v32, v33, v34
	v_min3_f16 v28, v28, v29, v31
	v_max_f32_e32 v29, v30, v30
	v_cvt_f32_f16_e32 v28, v28
	v_min_f32_e32 v30, v29, v28
	v_lshlrev_b64 v[28:29], 1, v[46:47]
	v_cvt_f16_f32_e32 v30, v30
	v_add_co_u32 v26, vcc_lo, v26, v28
	v_add_co_ci_u32_e64 v27, null, v27, v29, vcc_lo
	global_store_short v[26:27], v30, off
.LBB268_203:
	s_or_b32 exec_lo, exec_lo, s4
	v_add_nc_u32_e32 v30, 64, v75
	v_mad_i64_i32 v[26:27], null, v30, s6, 0
	v_mad_i64_i32 v[28:29], null, v30, s5, 0
	v_cmp_gt_i32_e64 s4, s9, v30
	v_lshlrev_b64 v[26:27], 1, v[26:27]
	s_and_b32 s12, s0, s4
	v_lshlrev_b64 v[30:31], 1, v[28:29]
	v_add_co_u32 v28, vcc_lo, s16, v26
	v_add_co_ci_u32_e64 v29, null, s17, v27, vcc_lo
	v_add_co_u32 v26, vcc_lo, s7, v30
	v_add_co_ci_u32_e64 v27, null, s10, v31, vcc_lo
	s_and_saveexec_b32 s8, s12
	s_cbranch_execnz .LBB268_207
; %bb.204:
	s_or_b32 exec_lo, exec_lo, s8
	s_and_b32 s12, s1, s4
	s_and_saveexec_b32 s8, s12
	s_cbranch_execnz .LBB268_211
.LBB268_205:
	s_or_b32 exec_lo, exec_lo, s8
	s_and_b32 s12, s2, s4
	s_and_saveexec_b32 s8, s12
	s_cbranch_execnz .LBB268_215
.LBB268_206:
	s_or_b32 exec_lo, exec_lo, s8
	s_and_b32 s8, s3, s4
	s_and_saveexec_b32 s4, s8
	s_cbranch_execnz .LBB268_219
	s_branch .LBB268_223
.LBB268_207:
	v_cmp_ne_u32_e32 vcc_lo, 1, v71
	s_cbranch_vccnz .LBB268_209
; %bb.208:
	v_lshlrev_b64 v[30:31], 1, v[0:1]
	v_add_co_u32 v30, vcc_lo, v28, v30
	v_add_co_ci_u32_e64 v31, null, v29, v31, vcc_lo
	global_load_ushort v30, v[30:31], off
	s_waitcnt vmcnt(0)
	v_mul_f16_e32 v30, s11, v30
	v_cvt_f32_f16_e32 v30, v30
	s_branch .LBB268_210
.LBB268_209:
	v_mov_b32_e32 v30, 0
.LBB268_210:
	v_pk_add_f16 v31, v10, v22
	v_pk_add_f16 v32, v11, v23
	v_max_f16_e32 v33, v81, v81
	v_lshrrev_b32_e32 v34, 16, v81
	v_max_f32_e32 v30, v30, v30
	v_lshrrev_b32_e32 v35, 16, v31
	v_lshrrev_b32_e32 v36, 16, v32
	v_min_f16_e32 v31, v33, v31
	v_min3_f16 v33, v34, v35, v36
	v_min3_f16 v31, v31, v32, v33
	v_cvt_f32_f16_e32 v31, v31
	v_min_f32_e32 v32, v30, v31
	v_lshlrev_b64 v[30:31], 1, v[0:1]
	v_cvt_f16_f32_e32 v32, v32
	v_add_co_u32 v30, vcc_lo, v26, v30
	v_add_co_ci_u32_e64 v31, null, v27, v31, vcc_lo
	global_store_short v[30:31], v32, off
	s_or_b32 exec_lo, exec_lo, s8
	s_and_b32 s12, s1, s4
	s_and_saveexec_b32 s8, s12
	s_cbranch_execz .LBB268_205
.LBB268_211:
	v_cmp_ne_u32_e32 vcc_lo, 1, v71
	s_cbranch_vccnz .LBB268_213
; %bb.212:
	v_lshlrev_b64 v[30:31], 1, v[42:43]
	v_add_co_u32 v30, vcc_lo, v28, v30
	v_add_co_ci_u32_e64 v31, null, v29, v31, vcc_lo
	global_load_ushort v30, v[30:31], off
	s_waitcnt vmcnt(0)
	v_mul_f16_e32 v30, s11, v30
	v_cvt_f32_f16_e32 v30, v30
	s_branch .LBB268_214
.LBB268_213:
	v_mov_b32_e32 v30, 0
.LBB268_214:
	v_pk_add_f16 v31, v12, v22
	v_pk_add_f16 v32, v13, v23
	v_max_f16_e32 v33, v80, v80
	v_lshrrev_b32_e32 v34, 16, v80
	v_max_f32_e32 v30, v30, v30
	v_lshrrev_b32_e32 v35, 16, v31
	v_lshrrev_b32_e32 v36, 16, v32
	v_min_f16_e32 v31, v33, v31
	v_min3_f16 v33, v34, v35, v36
	v_min3_f16 v31, v31, v32, v33
	v_cvt_f32_f16_e32 v31, v31
	v_min_f32_e32 v32, v30, v31
	v_lshlrev_b64 v[30:31], 1, v[42:43]
	v_cvt_f16_f32_e32 v32, v32
	v_add_co_u32 v30, vcc_lo, v26, v30
	v_add_co_ci_u32_e64 v31, null, v27, v31, vcc_lo
	global_store_short v[30:31], v32, off
	s_or_b32 exec_lo, exec_lo, s8
	s_and_b32 s12, s2, s4
	s_and_saveexec_b32 s8, s12
	s_cbranch_execz .LBB268_206
.LBB268_215:
	v_cmp_ne_u32_e32 vcc_lo, 1, v71
	s_cbranch_vccnz .LBB268_217
; %bb.216:
	v_lshlrev_b64 v[30:31], 1, v[44:45]
	v_add_co_u32 v30, vcc_lo, v28, v30
	v_add_co_ci_u32_e64 v31, null, v29, v31, vcc_lo
	global_load_ushort v30, v[30:31], off
	s_waitcnt vmcnt(0)
	v_mul_f16_e32 v30, s11, v30
	v_cvt_f32_f16_e32 v30, v30
	s_branch .LBB268_218
.LBB268_217:
	v_mov_b32_e32 v30, 0
.LBB268_218:
	v_pk_add_f16 v31, v2, v22
	v_pk_add_f16 v32, v3, v23
	v_max_f16_e32 v33, v79, v79
	v_lshrrev_b32_e32 v34, 16, v79
	v_max_f32_e32 v30, v30, v30
	v_lshrrev_b32_e32 v35, 16, v31
	v_lshrrev_b32_e32 v36, 16, v32
	v_min_f16_e32 v31, v33, v31
	v_min3_f16 v33, v34, v35, v36
	v_min3_f16 v31, v31, v32, v33
	v_cvt_f32_f16_e32 v31, v31
	v_min_f32_e32 v32, v30, v31
	v_lshlrev_b64 v[30:31], 1, v[44:45]
	v_cvt_f16_f32_e32 v32, v32
	v_add_co_u32 v30, vcc_lo, v26, v30
	v_add_co_ci_u32_e64 v31, null, v27, v31, vcc_lo
	global_store_short v[30:31], v32, off
	s_or_b32 exec_lo, exec_lo, s8
	s_and_b32 s8, s3, s4
	s_and_saveexec_b32 s4, s8
	s_cbranch_execz .LBB268_223
.LBB268_219:
	v_cmp_ne_u32_e32 vcc_lo, 1, v71
	s_cbranch_vccnz .LBB268_221
; %bb.220:
	v_lshlrev_b64 v[30:31], 1, v[46:47]
	v_add_co_u32 v28, vcc_lo, v28, v30
	v_add_co_ci_u32_e64 v29, null, v29, v31, vcc_lo
	global_load_ushort v28, v[28:29], off
	s_waitcnt vmcnt(0)
	v_mul_f16_e32 v28, s11, v28
	v_cvt_f32_f16_e32 v28, v28
	s_branch .LBB268_222
.LBB268_221:
	v_mov_b32_e32 v28, 0
.LBB268_222:
	v_pk_add_f16 v22, v4, v22
	v_pk_add_f16 v23, v5, v23
	v_max_f16_e32 v29, v78, v78
	v_lshrrev_b32_e32 v30, 16, v78
	v_lshrrev_b32_e32 v31, 16, v22
	;; [unrolled: 1-line block ×3, first 2 shown]
	v_min_f16_e32 v22, v29, v22
	v_min3_f16 v29, v30, v31, v32
	v_min3_f16 v22, v22, v23, v29
	v_max_f32_e32 v23, v28, v28
	v_cvt_f32_f16_e32 v22, v22
	v_min_f32_e32 v28, v23, v22
	v_lshlrev_b64 v[22:23], 1, v[46:47]
	v_cvt_f16_f32_e32 v28, v28
	v_add_co_u32 v22, vcc_lo, v26, v22
	v_add_co_ci_u32_e64 v23, null, v27, v23, vcc_lo
	global_store_short v[22:23], v28, off
.LBB268_223:
	s_or_b32 exec_lo, exec_lo, s4
	v_add_nc_u32_e32 v28, 0x48, v75
	v_mad_i64_i32 v[22:23], null, v28, s6, 0
	v_mad_i64_i32 v[26:27], null, v28, s5, 0
	v_cmp_gt_i32_e64 s4, s9, v28
	v_lshlrev_b64 v[22:23], 1, v[22:23]
	s_and_b32 s12, s0, s4
	v_lshlrev_b64 v[28:29], 1, v[26:27]
	v_add_co_u32 v26, vcc_lo, s16, v22
	v_add_co_ci_u32_e64 v27, null, s17, v23, vcc_lo
	v_add_co_u32 v22, vcc_lo, s7, v28
	v_add_co_ci_u32_e64 v23, null, s10, v29, vcc_lo
	s_and_saveexec_b32 s8, s12
	s_cbranch_execnz .LBB268_227
; %bb.224:
	s_or_b32 exec_lo, exec_lo, s8
	s_and_b32 s12, s1, s4
	s_and_saveexec_b32 s8, s12
	s_cbranch_execnz .LBB268_231
.LBB268_225:
	s_or_b32 exec_lo, exec_lo, s8
	s_and_b32 s12, s2, s4
	s_and_saveexec_b32 s8, s12
	s_cbranch_execnz .LBB268_235
.LBB268_226:
	s_or_b32 exec_lo, exec_lo, s8
	s_and_b32 s8, s3, s4
	s_and_saveexec_b32 s4, s8
	s_cbranch_execnz .LBB268_239
	s_branch .LBB268_243
.LBB268_227:
	v_cmp_ne_u32_e32 vcc_lo, 1, v71
	s_cbranch_vccnz .LBB268_229
; %bb.228:
	v_lshlrev_b64 v[28:29], 1, v[0:1]
	v_add_co_u32 v28, vcc_lo, v26, v28
	v_add_co_ci_u32_e64 v29, null, v27, v29, vcc_lo
	global_load_ushort v28, v[28:29], off
	s_waitcnt vmcnt(0)
	v_mul_f16_e32 v28, s11, v28
	v_cvt_f32_f16_e32 v28, v28
	s_branch .LBB268_230
.LBB268_229:
	v_mov_b32_e32 v28, 0
.LBB268_230:
	v_pk_add_f16 v29, v10, v24
	v_pk_add_f16 v30, v11, v25
	v_max_f16_e32 v31, v77, v77
	v_lshrrev_b32_e32 v32, 16, v77
	v_max_f32_e32 v28, v28, v28
	v_lshrrev_b32_e32 v33, 16, v29
	v_lshrrev_b32_e32 v34, 16, v30
	v_min_f16_e32 v29, v31, v29
	v_min3_f16 v31, v32, v33, v34
	v_min3_f16 v29, v29, v30, v31
	v_cvt_f32_f16_e32 v29, v29
	v_min_f32_e32 v30, v28, v29
	v_lshlrev_b64 v[28:29], 1, v[0:1]
	v_cvt_f16_f32_e32 v30, v30
	v_add_co_u32 v28, vcc_lo, v22, v28
	v_add_co_ci_u32_e64 v29, null, v23, v29, vcc_lo
	global_store_short v[28:29], v30, off
	s_or_b32 exec_lo, exec_lo, s8
	s_and_b32 s12, s1, s4
	s_and_saveexec_b32 s8, s12
	s_cbranch_execz .LBB268_225
.LBB268_231:
	v_cmp_ne_u32_e32 vcc_lo, 1, v71
	s_cbranch_vccnz .LBB268_233
; %bb.232:
	v_lshlrev_b64 v[28:29], 1, v[42:43]
	v_add_co_u32 v28, vcc_lo, v26, v28
	v_add_co_ci_u32_e64 v29, null, v27, v29, vcc_lo
	global_load_ushort v28, v[28:29], off
	s_waitcnt vmcnt(0)
	v_mul_f16_e32 v28, s11, v28
	v_cvt_f32_f16_e32 v28, v28
	s_branch .LBB268_234
.LBB268_233:
	v_mov_b32_e32 v28, 0
.LBB268_234:
	v_pk_add_f16 v29, v12, v24
	v_pk_add_f16 v30, v13, v25
	v_max_f16_e32 v31, v76, v76
	v_lshrrev_b32_e32 v32, 16, v76
	v_max_f32_e32 v28, v28, v28
	v_lshrrev_b32_e32 v33, 16, v29
	v_lshrrev_b32_e32 v34, 16, v30
	v_min_f16_e32 v29, v31, v29
	v_min3_f16 v31, v32, v33, v34
	v_min3_f16 v29, v29, v30, v31
	v_cvt_f32_f16_e32 v29, v29
	v_min_f32_e32 v30, v28, v29
	v_lshlrev_b64 v[28:29], 1, v[42:43]
	v_cvt_f16_f32_e32 v30, v30
	v_add_co_u32 v28, vcc_lo, v22, v28
	v_add_co_ci_u32_e64 v29, null, v23, v29, vcc_lo
	global_store_short v[28:29], v30, off
	s_or_b32 exec_lo, exec_lo, s8
	s_and_b32 s12, s2, s4
	s_and_saveexec_b32 s8, s12
	s_cbranch_execz .LBB268_226
.LBB268_235:
	v_cmp_ne_u32_e32 vcc_lo, 1, v71
	s_cbranch_vccnz .LBB268_237
; %bb.236:
	v_lshlrev_b64 v[28:29], 1, v[44:45]
	v_add_co_u32 v28, vcc_lo, v26, v28
	v_add_co_ci_u32_e64 v29, null, v27, v29, vcc_lo
	global_load_ushort v28, v[28:29], off
	s_waitcnt vmcnt(0)
	v_mul_f16_e32 v28, s11, v28
	v_cvt_f32_f16_e32 v28, v28
	s_branch .LBB268_238
.LBB268_237:
	v_mov_b32_e32 v28, 0
.LBB268_238:
	v_pk_add_f16 v29, v2, v24
	v_pk_add_f16 v30, v3, v25
	v_max_f16_e32 v31, v74, v74
	v_lshrrev_b32_e32 v32, 16, v74
	v_max_f32_e32 v28, v28, v28
	v_lshrrev_b32_e32 v33, 16, v29
	v_lshrrev_b32_e32 v34, 16, v30
	v_min_f16_e32 v29, v31, v29
	v_min3_f16 v31, v32, v33, v34
	v_min3_f16 v29, v29, v30, v31
	v_cvt_f32_f16_e32 v29, v29
	v_min_f32_e32 v30, v28, v29
	v_lshlrev_b64 v[28:29], 1, v[44:45]
	v_cvt_f16_f32_e32 v30, v30
	v_add_co_u32 v28, vcc_lo, v22, v28
	v_add_co_ci_u32_e64 v29, null, v23, v29, vcc_lo
	global_store_short v[28:29], v30, off
	s_or_b32 exec_lo, exec_lo, s8
	s_and_b32 s8, s3, s4
	s_and_saveexec_b32 s4, s8
	s_cbranch_execz .LBB268_243
.LBB268_239:
	v_cmp_ne_u32_e32 vcc_lo, 1, v71
	s_cbranch_vccnz .LBB268_241
; %bb.240:
	v_lshlrev_b64 v[28:29], 1, v[46:47]
	v_add_co_u32 v26, vcc_lo, v26, v28
	v_add_co_ci_u32_e64 v27, null, v27, v29, vcc_lo
	global_load_ushort v26, v[26:27], off
	s_waitcnt vmcnt(0)
	v_mul_f16_e32 v26, s11, v26
	v_cvt_f32_f16_e32 v26, v26
	s_branch .LBB268_242
.LBB268_241:
	v_mov_b32_e32 v26, 0
.LBB268_242:
	v_pk_add_f16 v24, v4, v24
	v_pk_add_f16 v25, v5, v25
	v_max_f16_e32 v27, v73, v73
	v_lshrrev_b32_e32 v28, 16, v73
	v_lshrrev_b32_e32 v29, 16, v24
	;; [unrolled: 1-line block ×3, first 2 shown]
	v_min_f16_e32 v24, v27, v24
	v_min3_f16 v27, v28, v29, v30
	v_min3_f16 v24, v24, v25, v27
	v_max_f32_e32 v25, v26, v26
	v_cvt_f32_f16_e32 v24, v24
	v_min_f32_e32 v26, v25, v24
	v_lshlrev_b64 v[24:25], 1, v[46:47]
	v_cvt_f16_f32_e32 v26, v26
	v_add_co_u32 v22, vcc_lo, v22, v24
	v_add_co_ci_u32_e64 v23, null, v23, v25, vcc_lo
	global_store_short v[22:23], v26, off
.LBB268_243:
	s_or_b32 exec_lo, exec_lo, s4
	v_add_nc_u32_e32 v26, 0x50, v75
	v_mad_i64_i32 v[22:23], null, v26, s6, 0
	v_mad_i64_i32 v[24:25], null, v26, s5, 0
	v_cmp_gt_i32_e64 s4, s9, v26
	v_lshlrev_b64 v[22:23], 1, v[22:23]
	s_and_b32 s12, s0, s4
	v_lshlrev_b64 v[26:27], 1, v[24:25]
	v_add_co_u32 v24, vcc_lo, s16, v22
	v_add_co_ci_u32_e64 v25, null, s17, v23, vcc_lo
	v_add_co_u32 v22, vcc_lo, s7, v26
	v_add_co_ci_u32_e64 v23, null, s10, v27, vcc_lo
	s_and_saveexec_b32 s8, s12
	s_cbranch_execnz .LBB268_247
; %bb.244:
	s_or_b32 exec_lo, exec_lo, s8
	s_and_b32 s12, s1, s4
	s_and_saveexec_b32 s8, s12
	s_cbranch_execnz .LBB268_251
.LBB268_245:
	s_or_b32 exec_lo, exec_lo, s8
	s_and_b32 s12, s2, s4
	s_and_saveexec_b32 s8, s12
	s_cbranch_execnz .LBB268_255
.LBB268_246:
	s_or_b32 exec_lo, exec_lo, s8
	s_and_b32 s8, s3, s4
	s_and_saveexec_b32 s4, s8
	s_cbranch_execnz .LBB268_259
	s_branch .LBB268_263
.LBB268_247:
	v_cmp_ne_u32_e32 vcc_lo, 1, v71
	s_cbranch_vccnz .LBB268_249
; %bb.248:
	v_lshlrev_b64 v[26:27], 1, v[0:1]
	v_add_co_u32 v26, vcc_lo, v24, v26
	v_add_co_ci_u32_e64 v27, null, v25, v27, vcc_lo
	global_load_ushort v26, v[26:27], off
	s_waitcnt vmcnt(0)
	v_mul_f16_e32 v26, s11, v26
	v_cvt_f32_f16_e32 v26, v26
	s_branch .LBB268_250
.LBB268_249:
	v_mov_b32_e32 v26, 0
.LBB268_250:
	v_pk_add_f16 v27, v10, v18
	v_pk_add_f16 v28, v11, v19
	v_max_f16_e32 v29, v72, v72
	v_lshrrev_b32_e32 v30, 16, v72
	v_max_f32_e32 v26, v26, v26
	v_lshrrev_b32_e32 v31, 16, v27
	v_lshrrev_b32_e32 v32, 16, v28
	v_min_f16_e32 v27, v29, v27
	v_min3_f16 v29, v30, v31, v32
	v_min3_f16 v27, v27, v28, v29
	v_cvt_f32_f16_e32 v27, v27
	v_min_f32_e32 v28, v26, v27
	v_lshlrev_b64 v[26:27], 1, v[0:1]
	v_cvt_f16_f32_e32 v28, v28
	v_add_co_u32 v26, vcc_lo, v22, v26
	v_add_co_ci_u32_e64 v27, null, v23, v27, vcc_lo
	global_store_short v[26:27], v28, off
	s_or_b32 exec_lo, exec_lo, s8
	s_and_b32 s12, s1, s4
	s_and_saveexec_b32 s8, s12
	s_cbranch_execz .LBB268_245
.LBB268_251:
	v_cmp_ne_u32_e32 vcc_lo, 1, v71
	s_cbranch_vccnz .LBB268_253
; %bb.252:
	v_lshlrev_b64 v[26:27], 1, v[42:43]
	v_add_co_u32 v26, vcc_lo, v24, v26
	v_add_co_ci_u32_e64 v27, null, v25, v27, vcc_lo
	global_load_ushort v26, v[26:27], off
	s_waitcnt vmcnt(0)
	v_mul_f16_e32 v26, s11, v26
	v_cvt_f32_f16_e32 v26, v26
	s_branch .LBB268_254
.LBB268_253:
	v_mov_b32_e32 v26, 0
.LBB268_254:
	v_pk_add_f16 v27, v12, v18
	v_pk_add_f16 v28, v13, v19
	v_max_f16_e32 v29, v70, v70
	v_lshrrev_b32_e32 v30, 16, v70
	v_max_f32_e32 v26, v26, v26
	v_lshrrev_b32_e32 v31, 16, v27
	v_lshrrev_b32_e32 v32, 16, v28
	v_min_f16_e32 v27, v29, v27
	v_min3_f16 v29, v30, v31, v32
	v_min3_f16 v27, v27, v28, v29
	v_cvt_f32_f16_e32 v27, v27
	v_min_f32_e32 v28, v26, v27
	v_lshlrev_b64 v[26:27], 1, v[42:43]
	v_cvt_f16_f32_e32 v28, v28
	v_add_co_u32 v26, vcc_lo, v22, v26
	v_add_co_ci_u32_e64 v27, null, v23, v27, vcc_lo
	global_store_short v[26:27], v28, off
	s_or_b32 exec_lo, exec_lo, s8
	s_and_b32 s12, s2, s4
	s_and_saveexec_b32 s8, s12
	s_cbranch_execz .LBB268_246
.LBB268_255:
	v_cmp_ne_u32_e32 vcc_lo, 1, v71
	s_cbranch_vccnz .LBB268_257
; %bb.256:
	v_lshlrev_b64 v[26:27], 1, v[44:45]
	v_add_co_u32 v26, vcc_lo, v24, v26
	v_add_co_ci_u32_e64 v27, null, v25, v27, vcc_lo
	global_load_ushort v26, v[26:27], off
	s_waitcnt vmcnt(0)
	v_mul_f16_e32 v26, s11, v26
	v_cvt_f32_f16_e32 v26, v26
	s_branch .LBB268_258
.LBB268_257:
	v_mov_b32_e32 v26, 0
.LBB268_258:
	v_pk_add_f16 v27, v2, v18
	v_pk_add_f16 v28, v3, v19
	v_max_f16_e32 v29, v69, v69
	v_lshrrev_b32_e32 v30, 16, v69
	v_max_f32_e32 v26, v26, v26
	v_lshrrev_b32_e32 v31, 16, v27
	v_lshrrev_b32_e32 v32, 16, v28
	v_min_f16_e32 v27, v29, v27
	v_min3_f16 v29, v30, v31, v32
	v_min3_f16 v27, v27, v28, v29
	v_cvt_f32_f16_e32 v27, v27
	v_min_f32_e32 v28, v26, v27
	v_lshlrev_b64 v[26:27], 1, v[44:45]
	v_cvt_f16_f32_e32 v28, v28
	v_add_co_u32 v26, vcc_lo, v22, v26
	v_add_co_ci_u32_e64 v27, null, v23, v27, vcc_lo
	global_store_short v[26:27], v28, off
	s_or_b32 exec_lo, exec_lo, s8
	s_and_b32 s8, s3, s4
	s_and_saveexec_b32 s4, s8
	s_cbranch_execz .LBB268_263
.LBB268_259:
	v_cmp_ne_u32_e32 vcc_lo, 1, v71
	s_cbranch_vccnz .LBB268_261
; %bb.260:
	v_lshlrev_b64 v[26:27], 1, v[46:47]
	v_add_co_u32 v24, vcc_lo, v24, v26
	v_add_co_ci_u32_e64 v25, null, v25, v27, vcc_lo
	global_load_ushort v24, v[24:25], off
	s_waitcnt vmcnt(0)
	v_mul_f16_e32 v24, s11, v24
	v_cvt_f32_f16_e32 v24, v24
	s_branch .LBB268_262
.LBB268_261:
	v_mov_b32_e32 v24, 0
.LBB268_262:
	v_pk_add_f16 v18, v4, v18
	v_pk_add_f16 v19, v5, v19
	v_max_f16_e32 v25, v68, v68
	v_lshrrev_b32_e32 v26, 16, v68
	v_lshrrev_b32_e32 v27, 16, v18
	;; [unrolled: 1-line block ×3, first 2 shown]
	v_min_f16_e32 v18, v25, v18
	v_min3_f16 v25, v26, v27, v28
	v_min3_f16 v18, v18, v19, v25
	v_max_f32_e32 v19, v24, v24
	v_cvt_f32_f16_e32 v18, v18
	v_min_f32_e32 v24, v19, v18
	v_lshlrev_b64 v[18:19], 1, v[46:47]
	v_cvt_f16_f32_e32 v24, v24
	v_add_co_u32 v18, vcc_lo, v22, v18
	v_add_co_ci_u32_e64 v19, null, v23, v19, vcc_lo
	global_store_short v[18:19], v24, off
.LBB268_263:
	s_or_b32 exec_lo, exec_lo, s4
	v_add_nc_u32_e32 v24, 0x58, v75
	v_mad_i64_i32 v[18:19], null, v24, s6, 0
	v_mad_i64_i32 v[22:23], null, v24, s5, 0
	v_cmp_gt_i32_e64 s4, s9, v24
	v_lshlrev_b64 v[18:19], 1, v[18:19]
	s_and_b32 s12, s0, s4
	v_lshlrev_b64 v[24:25], 1, v[22:23]
	v_add_co_u32 v22, vcc_lo, s16, v18
	v_add_co_ci_u32_e64 v23, null, s17, v19, vcc_lo
	v_add_co_u32 v18, vcc_lo, s7, v24
	v_add_co_ci_u32_e64 v19, null, s10, v25, vcc_lo
	s_and_saveexec_b32 s8, s12
	s_cbranch_execnz .LBB268_267
; %bb.264:
	s_or_b32 exec_lo, exec_lo, s8
	s_and_b32 s12, s1, s4
	s_and_saveexec_b32 s8, s12
	s_cbranch_execnz .LBB268_271
.LBB268_265:
	s_or_b32 exec_lo, exec_lo, s8
	s_and_b32 s12, s2, s4
	s_and_saveexec_b32 s8, s12
	s_cbranch_execnz .LBB268_275
.LBB268_266:
	s_or_b32 exec_lo, exec_lo, s8
	s_and_b32 s8, s3, s4
	s_and_saveexec_b32 s4, s8
	s_cbranch_execnz .LBB268_279
	s_branch .LBB268_283
.LBB268_267:
	v_cmp_ne_u32_e32 vcc_lo, 1, v71
	s_cbranch_vccnz .LBB268_269
; %bb.268:
	v_lshlrev_b64 v[24:25], 1, v[0:1]
	v_add_co_u32 v24, vcc_lo, v22, v24
	v_add_co_ci_u32_e64 v25, null, v23, v25, vcc_lo
	global_load_ushort v24, v[24:25], off
	s_waitcnt vmcnt(0)
	v_mul_f16_e32 v24, s11, v24
	v_cvt_f32_f16_e32 v24, v24
	s_branch .LBB268_270
.LBB268_269:
	v_mov_b32_e32 v24, 0
.LBB268_270:
	v_pk_add_f16 v25, v10, v20
	v_pk_add_f16 v26, v11, v21
	v_max_f16_e32 v27, v67, v67
	v_lshrrev_b32_e32 v28, 16, v67
	v_max_f32_e32 v24, v24, v24
	v_lshrrev_b32_e32 v29, 16, v25
	v_lshrrev_b32_e32 v30, 16, v26
	v_min_f16_e32 v25, v27, v25
	v_min3_f16 v27, v28, v29, v30
	v_min3_f16 v25, v25, v26, v27
	v_cvt_f32_f16_e32 v25, v25
	v_min_f32_e32 v26, v24, v25
	v_lshlrev_b64 v[24:25], 1, v[0:1]
	v_cvt_f16_f32_e32 v26, v26
	v_add_co_u32 v24, vcc_lo, v18, v24
	v_add_co_ci_u32_e64 v25, null, v19, v25, vcc_lo
	global_store_short v[24:25], v26, off
	s_or_b32 exec_lo, exec_lo, s8
	s_and_b32 s12, s1, s4
	s_and_saveexec_b32 s8, s12
	s_cbranch_execz .LBB268_265
.LBB268_271:
	v_cmp_ne_u32_e32 vcc_lo, 1, v71
	s_cbranch_vccnz .LBB268_273
; %bb.272:
	v_lshlrev_b64 v[24:25], 1, v[42:43]
	v_add_co_u32 v24, vcc_lo, v22, v24
	v_add_co_ci_u32_e64 v25, null, v23, v25, vcc_lo
	global_load_ushort v24, v[24:25], off
	s_waitcnt vmcnt(0)
	v_mul_f16_e32 v24, s11, v24
	v_cvt_f32_f16_e32 v24, v24
	s_branch .LBB268_274
.LBB268_273:
	v_mov_b32_e32 v24, 0
.LBB268_274:
	v_pk_add_f16 v25, v12, v20
	v_pk_add_f16 v26, v13, v21
	v_max_f16_e32 v27, v66, v66
	v_lshrrev_b32_e32 v28, 16, v66
	v_max_f32_e32 v24, v24, v24
	v_lshrrev_b32_e32 v29, 16, v25
	v_lshrrev_b32_e32 v30, 16, v26
	v_min_f16_e32 v25, v27, v25
	v_min3_f16 v27, v28, v29, v30
	v_min3_f16 v25, v25, v26, v27
	v_cvt_f32_f16_e32 v25, v25
	v_min_f32_e32 v26, v24, v25
	v_lshlrev_b64 v[24:25], 1, v[42:43]
	v_cvt_f16_f32_e32 v26, v26
	v_add_co_u32 v24, vcc_lo, v18, v24
	v_add_co_ci_u32_e64 v25, null, v19, v25, vcc_lo
	global_store_short v[24:25], v26, off
	s_or_b32 exec_lo, exec_lo, s8
	s_and_b32 s12, s2, s4
	s_and_saveexec_b32 s8, s12
	s_cbranch_execz .LBB268_266
.LBB268_275:
	v_cmp_ne_u32_e32 vcc_lo, 1, v71
	s_cbranch_vccnz .LBB268_277
; %bb.276:
	v_lshlrev_b64 v[24:25], 1, v[44:45]
	v_add_co_u32 v24, vcc_lo, v22, v24
	v_add_co_ci_u32_e64 v25, null, v23, v25, vcc_lo
	global_load_ushort v24, v[24:25], off
	s_waitcnt vmcnt(0)
	v_mul_f16_e32 v24, s11, v24
	v_cvt_f32_f16_e32 v24, v24
	s_branch .LBB268_278
.LBB268_277:
	v_mov_b32_e32 v24, 0
.LBB268_278:
	v_pk_add_f16 v25, v2, v20
	v_pk_add_f16 v26, v3, v21
	v_max_f16_e32 v27, v65, v65
	v_lshrrev_b32_e32 v28, 16, v65
	v_max_f32_e32 v24, v24, v24
	v_lshrrev_b32_e32 v29, 16, v25
	v_lshrrev_b32_e32 v30, 16, v26
	v_min_f16_e32 v25, v27, v25
	v_min3_f16 v27, v28, v29, v30
	v_min3_f16 v25, v25, v26, v27
	v_cvt_f32_f16_e32 v25, v25
	v_min_f32_e32 v26, v24, v25
	v_lshlrev_b64 v[24:25], 1, v[44:45]
	v_cvt_f16_f32_e32 v26, v26
	v_add_co_u32 v24, vcc_lo, v18, v24
	v_add_co_ci_u32_e64 v25, null, v19, v25, vcc_lo
	global_store_short v[24:25], v26, off
	s_or_b32 exec_lo, exec_lo, s8
	s_and_b32 s8, s3, s4
	s_and_saveexec_b32 s4, s8
	s_cbranch_execz .LBB268_283
.LBB268_279:
	v_cmp_ne_u32_e32 vcc_lo, 1, v71
	s_cbranch_vccnz .LBB268_281
; %bb.280:
	v_lshlrev_b64 v[24:25], 1, v[46:47]
	v_add_co_u32 v22, vcc_lo, v22, v24
	v_add_co_ci_u32_e64 v23, null, v23, v25, vcc_lo
	global_load_ushort v22, v[22:23], off
	s_waitcnt vmcnt(0)
	v_mul_f16_e32 v22, s11, v22
	v_cvt_f32_f16_e32 v22, v22
	s_branch .LBB268_282
.LBB268_281:
	v_mov_b32_e32 v22, 0
.LBB268_282:
	v_pk_add_f16 v20, v4, v20
	v_pk_add_f16 v21, v5, v21
	v_max_f16_e32 v23, v64, v64
	v_lshrrev_b32_e32 v24, 16, v64
	v_lshrrev_b32_e32 v25, 16, v20
	;; [unrolled: 1-line block ×3, first 2 shown]
	v_min_f16_e32 v20, v23, v20
	v_min3_f16 v23, v24, v25, v26
	v_min3_f16 v20, v20, v21, v23
	v_max_f32_e32 v21, v22, v22
	v_cvt_f32_f16_e32 v20, v20
	v_min_f32_e32 v22, v21, v20
	v_lshlrev_b64 v[20:21], 1, v[46:47]
	v_cvt_f16_f32_e32 v22, v22
	v_add_co_u32 v18, vcc_lo, v18, v20
	v_add_co_ci_u32_e64 v19, null, v19, v21, vcc_lo
	global_store_short v[18:19], v22, off
.LBB268_283:
	s_or_b32 exec_lo, exec_lo, s4
	v_add_nc_u32_e32 v22, 0x60, v75
	v_mad_i64_i32 v[18:19], null, v22, s6, 0
	v_mad_i64_i32 v[20:21], null, v22, s5, 0
	v_cmp_gt_i32_e64 s4, s9, v22
	v_lshlrev_b64 v[18:19], 1, v[18:19]
	s_and_b32 s12, s0, s4
	v_lshlrev_b64 v[22:23], 1, v[20:21]
	v_add_co_u32 v20, vcc_lo, s16, v18
	v_add_co_ci_u32_e64 v21, null, s17, v19, vcc_lo
	v_add_co_u32 v18, vcc_lo, s7, v22
	v_add_co_ci_u32_e64 v19, null, s10, v23, vcc_lo
	s_and_saveexec_b32 s8, s12
	s_cbranch_execnz .LBB268_287
; %bb.284:
	s_or_b32 exec_lo, exec_lo, s8
	s_and_b32 s12, s1, s4
	s_and_saveexec_b32 s8, s12
	s_cbranch_execnz .LBB268_291
.LBB268_285:
	s_or_b32 exec_lo, exec_lo, s8
	s_and_b32 s12, s2, s4
	s_and_saveexec_b32 s8, s12
	s_cbranch_execnz .LBB268_295
.LBB268_286:
	s_or_b32 exec_lo, exec_lo, s8
	s_and_b32 s8, s3, s4
	s_and_saveexec_b32 s4, s8
	s_cbranch_execnz .LBB268_299
	s_branch .LBB268_303
.LBB268_287:
	v_cmp_ne_u32_e32 vcc_lo, 1, v71
	s_cbranch_vccnz .LBB268_289
; %bb.288:
	v_lshlrev_b64 v[22:23], 1, v[0:1]
	v_add_co_u32 v22, vcc_lo, v20, v22
	v_add_co_ci_u32_e64 v23, null, v21, v23, vcc_lo
	global_load_ushort v22, v[22:23], off
	s_waitcnt vmcnt(0)
	v_mul_f16_e32 v22, s11, v22
	v_cvt_f32_f16_e32 v22, v22
	s_branch .LBB268_290
.LBB268_289:
	v_mov_b32_e32 v22, 0
.LBB268_290:
	v_pk_add_f16 v23, v10, v14
	v_pk_add_f16 v24, v11, v15
	v_max_f16_e32 v25, v63, v63
	v_lshrrev_b32_e32 v26, 16, v63
	v_max_f32_e32 v22, v22, v22
	v_lshrrev_b32_e32 v27, 16, v23
	v_lshrrev_b32_e32 v28, 16, v24
	v_min_f16_e32 v23, v25, v23
	v_min3_f16 v25, v26, v27, v28
	v_min3_f16 v23, v23, v24, v25
	v_cvt_f32_f16_e32 v23, v23
	v_min_f32_e32 v24, v22, v23
	v_lshlrev_b64 v[22:23], 1, v[0:1]
	v_cvt_f16_f32_e32 v24, v24
	v_add_co_u32 v22, vcc_lo, v18, v22
	v_add_co_ci_u32_e64 v23, null, v19, v23, vcc_lo
	global_store_short v[22:23], v24, off
	s_or_b32 exec_lo, exec_lo, s8
	s_and_b32 s12, s1, s4
	s_and_saveexec_b32 s8, s12
	s_cbranch_execz .LBB268_285
.LBB268_291:
	v_cmp_ne_u32_e32 vcc_lo, 1, v71
	s_cbranch_vccnz .LBB268_293
; %bb.292:
	v_lshlrev_b64 v[22:23], 1, v[42:43]
	v_add_co_u32 v22, vcc_lo, v20, v22
	v_add_co_ci_u32_e64 v23, null, v21, v23, vcc_lo
	global_load_ushort v22, v[22:23], off
	s_waitcnt vmcnt(0)
	v_mul_f16_e32 v22, s11, v22
	v_cvt_f32_f16_e32 v22, v22
	s_branch .LBB268_294
.LBB268_293:
	v_mov_b32_e32 v22, 0
.LBB268_294:
	v_pk_add_f16 v23, v12, v14
	v_pk_add_f16 v24, v13, v15
	v_max_f16_e32 v25, v62, v62
	v_lshrrev_b32_e32 v26, 16, v62
	v_max_f32_e32 v22, v22, v22
	v_lshrrev_b32_e32 v27, 16, v23
	v_lshrrev_b32_e32 v28, 16, v24
	v_min_f16_e32 v23, v25, v23
	v_min3_f16 v25, v26, v27, v28
	v_min3_f16 v23, v23, v24, v25
	v_cvt_f32_f16_e32 v23, v23
	v_min_f32_e32 v24, v22, v23
	v_lshlrev_b64 v[22:23], 1, v[42:43]
	v_cvt_f16_f32_e32 v24, v24
	v_add_co_u32 v22, vcc_lo, v18, v22
	v_add_co_ci_u32_e64 v23, null, v19, v23, vcc_lo
	global_store_short v[22:23], v24, off
	s_or_b32 exec_lo, exec_lo, s8
	s_and_b32 s12, s2, s4
	s_and_saveexec_b32 s8, s12
	s_cbranch_execz .LBB268_286
.LBB268_295:
	v_cmp_ne_u32_e32 vcc_lo, 1, v71
	s_cbranch_vccnz .LBB268_297
; %bb.296:
	v_lshlrev_b64 v[22:23], 1, v[44:45]
	v_add_co_u32 v22, vcc_lo, v20, v22
	v_add_co_ci_u32_e64 v23, null, v21, v23, vcc_lo
	global_load_ushort v22, v[22:23], off
	s_waitcnt vmcnt(0)
	v_mul_f16_e32 v22, s11, v22
	v_cvt_f32_f16_e32 v22, v22
	s_branch .LBB268_298
.LBB268_297:
	v_mov_b32_e32 v22, 0
.LBB268_298:
	v_pk_add_f16 v23, v2, v14
	v_pk_add_f16 v24, v3, v15
	v_max_f16_e32 v25, v61, v61
	v_lshrrev_b32_e32 v26, 16, v61
	v_max_f32_e32 v22, v22, v22
	v_lshrrev_b32_e32 v27, 16, v23
	v_lshrrev_b32_e32 v28, 16, v24
	v_min_f16_e32 v23, v25, v23
	v_min3_f16 v25, v26, v27, v28
	v_min3_f16 v23, v23, v24, v25
	v_cvt_f32_f16_e32 v23, v23
	v_min_f32_e32 v24, v22, v23
	v_lshlrev_b64 v[22:23], 1, v[44:45]
	v_cvt_f16_f32_e32 v24, v24
	v_add_co_u32 v22, vcc_lo, v18, v22
	v_add_co_ci_u32_e64 v23, null, v19, v23, vcc_lo
	global_store_short v[22:23], v24, off
	s_or_b32 exec_lo, exec_lo, s8
	s_and_b32 s8, s3, s4
	s_and_saveexec_b32 s4, s8
	s_cbranch_execz .LBB268_303
.LBB268_299:
	v_cmp_ne_u32_e32 vcc_lo, 1, v71
	s_cbranch_vccnz .LBB268_301
; %bb.300:
	v_lshlrev_b64 v[22:23], 1, v[46:47]
	v_add_co_u32 v20, vcc_lo, v20, v22
	v_add_co_ci_u32_e64 v21, null, v21, v23, vcc_lo
	global_load_ushort v20, v[20:21], off
	s_waitcnt vmcnt(0)
	v_mul_f16_e32 v20, s11, v20
	v_cvt_f32_f16_e32 v20, v20
	s_branch .LBB268_302
.LBB268_301:
	v_mov_b32_e32 v20, 0
.LBB268_302:
	v_pk_add_f16 v14, v4, v14
	v_pk_add_f16 v15, v5, v15
	v_max_f16_e32 v21, v60, v60
	v_lshrrev_b32_e32 v22, 16, v60
	v_lshrrev_b32_e32 v23, 16, v14
	;; [unrolled: 1-line block ×3, first 2 shown]
	v_min_f16_e32 v14, v21, v14
	v_min3_f16 v21, v22, v23, v24
	v_min3_f16 v14, v14, v15, v21
	v_max_f32_e32 v15, v20, v20
	v_cvt_f32_f16_e32 v14, v14
	v_min_f32_e32 v20, v15, v14
	v_lshlrev_b64 v[14:15], 1, v[46:47]
	v_cvt_f16_f32_e32 v20, v20
	v_add_co_u32 v14, vcc_lo, v18, v14
	v_add_co_ci_u32_e64 v15, null, v19, v15, vcc_lo
	global_store_short v[14:15], v20, off
.LBB268_303:
	s_or_b32 exec_lo, exec_lo, s4
	v_add_nc_u32_e32 v20, 0x68, v75
	v_mad_i64_i32 v[14:15], null, v20, s6, 0
	v_mad_i64_i32 v[18:19], null, v20, s5, 0
	v_cmp_gt_i32_e64 s4, s9, v20
	v_lshlrev_b64 v[14:15], 1, v[14:15]
	s_and_b32 s12, s0, s4
	v_lshlrev_b64 v[20:21], 1, v[18:19]
	v_add_co_u32 v18, vcc_lo, s16, v14
	v_add_co_ci_u32_e64 v19, null, s17, v15, vcc_lo
	v_add_co_u32 v14, vcc_lo, s7, v20
	v_add_co_ci_u32_e64 v15, null, s10, v21, vcc_lo
	s_and_saveexec_b32 s8, s12
	s_cbranch_execnz .LBB268_307
; %bb.304:
	s_or_b32 exec_lo, exec_lo, s8
	s_and_b32 s12, s1, s4
	s_and_saveexec_b32 s8, s12
	s_cbranch_execnz .LBB268_311
.LBB268_305:
	s_or_b32 exec_lo, exec_lo, s8
	s_and_b32 s12, s2, s4
	s_and_saveexec_b32 s8, s12
	s_cbranch_execnz .LBB268_315
.LBB268_306:
	s_or_b32 exec_lo, exec_lo, s8
	s_and_b32 s8, s3, s4
	s_and_saveexec_b32 s4, s8
	s_cbranch_execnz .LBB268_319
	s_branch .LBB268_323
.LBB268_307:
	v_cmp_ne_u32_e32 vcc_lo, 1, v71
	s_cbranch_vccnz .LBB268_309
; %bb.308:
	v_lshlrev_b64 v[20:21], 1, v[0:1]
	v_add_co_u32 v20, vcc_lo, v18, v20
	v_add_co_ci_u32_e64 v21, null, v19, v21, vcc_lo
	global_load_ushort v20, v[20:21], off
	s_waitcnt vmcnt(0)
	v_mul_f16_e32 v20, s11, v20
	v_cvt_f32_f16_e32 v20, v20
	s_branch .LBB268_310
.LBB268_309:
	v_mov_b32_e32 v20, 0
.LBB268_310:
	v_pk_add_f16 v21, v10, v16
	v_pk_add_f16 v22, v11, v17
	v_max_f16_e32 v23, v59, v59
	v_lshrrev_b32_e32 v24, 16, v59
	v_max_f32_e32 v20, v20, v20
	v_lshrrev_b32_e32 v25, 16, v21
	v_lshrrev_b32_e32 v26, 16, v22
	v_min_f16_e32 v21, v23, v21
	v_min3_f16 v23, v24, v25, v26
	v_min3_f16 v21, v21, v22, v23
	v_cvt_f32_f16_e32 v21, v21
	v_min_f32_e32 v22, v20, v21
	v_lshlrev_b64 v[20:21], 1, v[0:1]
	v_cvt_f16_f32_e32 v22, v22
	v_add_co_u32 v20, vcc_lo, v14, v20
	v_add_co_ci_u32_e64 v21, null, v15, v21, vcc_lo
	global_store_short v[20:21], v22, off
	s_or_b32 exec_lo, exec_lo, s8
	s_and_b32 s12, s1, s4
	s_and_saveexec_b32 s8, s12
	s_cbranch_execz .LBB268_305
.LBB268_311:
	v_cmp_ne_u32_e32 vcc_lo, 1, v71
	s_cbranch_vccnz .LBB268_313
; %bb.312:
	v_lshlrev_b64 v[20:21], 1, v[42:43]
	v_add_co_u32 v20, vcc_lo, v18, v20
	v_add_co_ci_u32_e64 v21, null, v19, v21, vcc_lo
	global_load_ushort v20, v[20:21], off
	s_waitcnt vmcnt(0)
	v_mul_f16_e32 v20, s11, v20
	v_cvt_f32_f16_e32 v20, v20
	s_branch .LBB268_314
.LBB268_313:
	v_mov_b32_e32 v20, 0
.LBB268_314:
	v_pk_add_f16 v21, v12, v16
	v_pk_add_f16 v22, v13, v17
	v_max_f16_e32 v23, v58, v58
	v_lshrrev_b32_e32 v24, 16, v58
	v_max_f32_e32 v20, v20, v20
	v_lshrrev_b32_e32 v25, 16, v21
	v_lshrrev_b32_e32 v26, 16, v22
	v_min_f16_e32 v21, v23, v21
	v_min3_f16 v23, v24, v25, v26
	v_min3_f16 v21, v21, v22, v23
	v_cvt_f32_f16_e32 v21, v21
	v_min_f32_e32 v22, v20, v21
	v_lshlrev_b64 v[20:21], 1, v[42:43]
	v_cvt_f16_f32_e32 v22, v22
	v_add_co_u32 v20, vcc_lo, v14, v20
	v_add_co_ci_u32_e64 v21, null, v15, v21, vcc_lo
	global_store_short v[20:21], v22, off
	s_or_b32 exec_lo, exec_lo, s8
	s_and_b32 s12, s2, s4
	s_and_saveexec_b32 s8, s12
	s_cbranch_execz .LBB268_306
.LBB268_315:
	v_cmp_ne_u32_e32 vcc_lo, 1, v71
	s_cbranch_vccnz .LBB268_317
; %bb.316:
	v_lshlrev_b64 v[20:21], 1, v[44:45]
	v_add_co_u32 v20, vcc_lo, v18, v20
	v_add_co_ci_u32_e64 v21, null, v19, v21, vcc_lo
	global_load_ushort v20, v[20:21], off
	s_waitcnt vmcnt(0)
	v_mul_f16_e32 v20, s11, v20
	v_cvt_f32_f16_e32 v20, v20
	s_branch .LBB268_318
.LBB268_317:
	v_mov_b32_e32 v20, 0
.LBB268_318:
	v_pk_add_f16 v21, v2, v16
	v_pk_add_f16 v22, v3, v17
	v_max_f16_e32 v23, v57, v57
	v_lshrrev_b32_e32 v24, 16, v57
	v_max_f32_e32 v20, v20, v20
	v_lshrrev_b32_e32 v25, 16, v21
	v_lshrrev_b32_e32 v26, 16, v22
	v_min_f16_e32 v21, v23, v21
	v_min3_f16 v23, v24, v25, v26
	v_min3_f16 v21, v21, v22, v23
	v_cvt_f32_f16_e32 v21, v21
	v_min_f32_e32 v22, v20, v21
	v_lshlrev_b64 v[20:21], 1, v[44:45]
	v_cvt_f16_f32_e32 v22, v22
	v_add_co_u32 v20, vcc_lo, v14, v20
	v_add_co_ci_u32_e64 v21, null, v15, v21, vcc_lo
	global_store_short v[20:21], v22, off
	s_or_b32 exec_lo, exec_lo, s8
	s_and_b32 s8, s3, s4
	s_and_saveexec_b32 s4, s8
	s_cbranch_execz .LBB268_323
.LBB268_319:
	v_cmp_ne_u32_e32 vcc_lo, 1, v71
	s_cbranch_vccnz .LBB268_321
; %bb.320:
	v_lshlrev_b64 v[20:21], 1, v[46:47]
	v_add_co_u32 v18, vcc_lo, v18, v20
	v_add_co_ci_u32_e64 v19, null, v19, v21, vcc_lo
	global_load_ushort v18, v[18:19], off
	s_waitcnt vmcnt(0)
	v_mul_f16_e32 v18, s11, v18
	v_cvt_f32_f16_e32 v18, v18
	s_branch .LBB268_322
.LBB268_321:
	v_mov_b32_e32 v18, 0
.LBB268_322:
	v_pk_add_f16 v16, v4, v16
	v_pk_add_f16 v17, v5, v17
	v_max_f16_e32 v19, v56, v56
	v_lshrrev_b32_e32 v20, 16, v56
	v_lshrrev_b32_e32 v21, 16, v16
	;; [unrolled: 1-line block ×3, first 2 shown]
	v_min_f16_e32 v16, v19, v16
	v_min3_f16 v19, v20, v21, v22
	v_min3_f16 v16, v16, v17, v19
	v_max_f32_e32 v17, v18, v18
	v_cvt_f32_f16_e32 v16, v16
	v_min_f32_e32 v18, v17, v16
	v_lshlrev_b64 v[16:17], 1, v[46:47]
	v_cvt_f16_f32_e32 v18, v18
	v_add_co_u32 v14, vcc_lo, v14, v16
	v_add_co_ci_u32_e64 v15, null, v15, v17, vcc_lo
	global_store_short v[14:15], v18, off
.LBB268_323:
	s_or_b32 exec_lo, exec_lo, s4
	v_add_nc_u32_e32 v18, 0x70, v75
	v_mad_i64_i32 v[14:15], null, v18, s6, 0
	v_mad_i64_i32 v[16:17], null, v18, s5, 0
	v_cmp_gt_i32_e64 s4, s9, v18
	v_lshlrev_b64 v[14:15], 1, v[14:15]
	s_and_b32 s12, s0, s4
	v_lshlrev_b64 v[18:19], 1, v[16:17]
	v_add_co_u32 v16, vcc_lo, s16, v14
	v_add_co_ci_u32_e64 v17, null, s17, v15, vcc_lo
	v_add_co_u32 v14, vcc_lo, s7, v18
	v_add_co_ci_u32_e64 v15, null, s10, v19, vcc_lo
	s_and_saveexec_b32 s8, s12
	s_cbranch_execnz .LBB268_327
; %bb.324:
	s_or_b32 exec_lo, exec_lo, s8
	s_and_b32 s12, s1, s4
	s_and_saveexec_b32 s8, s12
	s_cbranch_execnz .LBB268_331
.LBB268_325:
	s_or_b32 exec_lo, exec_lo, s8
	s_and_b32 s12, s2, s4
	s_and_saveexec_b32 s8, s12
	s_cbranch_execnz .LBB268_335
.LBB268_326:
	s_or_b32 exec_lo, exec_lo, s8
	s_and_b32 s8, s3, s4
	s_and_saveexec_b32 s4, s8
	s_cbranch_execnz .LBB268_339
	s_branch .LBB268_343
.LBB268_327:
	v_cmp_ne_u32_e32 vcc_lo, 1, v71
	s_cbranch_vccnz .LBB268_329
; %bb.328:
	v_lshlrev_b64 v[18:19], 1, v[0:1]
	v_add_co_u32 v18, vcc_lo, v16, v18
	v_add_co_ci_u32_e64 v19, null, v17, v19, vcc_lo
	global_load_ushort v18, v[18:19], off
	s_waitcnt vmcnt(0)
	v_mul_f16_e32 v18, s11, v18
	v_cvt_f32_f16_e32 v18, v18
	s_branch .LBB268_330
.LBB268_329:
	v_mov_b32_e32 v18, 0
.LBB268_330:
	v_pk_add_f16 v19, v10, v6
	v_pk_add_f16 v20, v11, v7
	v_max_f16_e32 v21, v54, v54
	v_lshrrev_b32_e32 v22, 16, v54
	v_max_f32_e32 v18, v18, v18
	v_lshrrev_b32_e32 v23, 16, v19
	v_lshrrev_b32_e32 v24, 16, v20
	v_min_f16_e32 v19, v21, v19
	v_min3_f16 v21, v22, v23, v24
	v_min3_f16 v19, v19, v20, v21
	v_cvt_f32_f16_e32 v19, v19
	v_min_f32_e32 v20, v18, v19
	v_lshlrev_b64 v[18:19], 1, v[0:1]
	v_cvt_f16_f32_e32 v20, v20
	v_add_co_u32 v18, vcc_lo, v14, v18
	v_add_co_ci_u32_e64 v19, null, v15, v19, vcc_lo
	global_store_short v[18:19], v20, off
	s_or_b32 exec_lo, exec_lo, s8
	s_and_b32 s12, s1, s4
	s_and_saveexec_b32 s8, s12
	s_cbranch_execz .LBB268_325
.LBB268_331:
	v_cmp_ne_u32_e32 vcc_lo, 1, v71
	s_cbranch_vccnz .LBB268_333
; %bb.332:
	v_lshlrev_b64 v[18:19], 1, v[42:43]
	v_add_co_u32 v18, vcc_lo, v16, v18
	v_add_co_ci_u32_e64 v19, null, v17, v19, vcc_lo
	global_load_ushort v18, v[18:19], off
	s_waitcnt vmcnt(0)
	v_mul_f16_e32 v18, s11, v18
	v_cvt_f32_f16_e32 v18, v18
	s_branch .LBB268_334
.LBB268_333:
	v_mov_b32_e32 v18, 0
.LBB268_334:
	v_pk_add_f16 v19, v12, v6
	v_pk_add_f16 v20, v13, v7
	v_max_f16_e32 v21, v53, v53
	v_lshrrev_b32_e32 v22, 16, v53
	v_max_f32_e32 v18, v18, v18
	v_lshrrev_b32_e32 v23, 16, v19
	v_lshrrev_b32_e32 v24, 16, v20
	v_min_f16_e32 v19, v21, v19
	v_min3_f16 v21, v22, v23, v24
	v_min3_f16 v19, v19, v20, v21
	v_cvt_f32_f16_e32 v19, v19
	v_min_f32_e32 v20, v18, v19
	v_lshlrev_b64 v[18:19], 1, v[42:43]
	v_cvt_f16_f32_e32 v20, v20
	v_add_co_u32 v18, vcc_lo, v14, v18
	v_add_co_ci_u32_e64 v19, null, v15, v19, vcc_lo
	global_store_short v[18:19], v20, off
	s_or_b32 exec_lo, exec_lo, s8
	s_and_b32 s12, s2, s4
	s_and_saveexec_b32 s8, s12
	s_cbranch_execz .LBB268_326
.LBB268_335:
	v_cmp_ne_u32_e32 vcc_lo, 1, v71
	s_cbranch_vccnz .LBB268_337
; %bb.336:
	v_lshlrev_b64 v[18:19], 1, v[44:45]
	v_add_co_u32 v18, vcc_lo, v16, v18
	v_add_co_ci_u32_e64 v19, null, v17, v19, vcc_lo
	global_load_ushort v18, v[18:19], off
	s_waitcnt vmcnt(0)
	v_mul_f16_e32 v18, s11, v18
	v_cvt_f32_f16_e32 v18, v18
	s_branch .LBB268_338
.LBB268_337:
	v_mov_b32_e32 v18, 0
.LBB268_338:
	v_pk_add_f16 v19, v2, v6
	v_pk_add_f16 v20, v3, v7
	v_max_f16_e32 v21, v51, v51
	v_lshrrev_b32_e32 v22, 16, v51
	v_max_f32_e32 v18, v18, v18
	v_lshrrev_b32_e32 v23, 16, v19
	v_lshrrev_b32_e32 v24, 16, v20
	v_min_f16_e32 v19, v21, v19
	v_min3_f16 v21, v22, v23, v24
	v_min3_f16 v19, v19, v20, v21
	v_cvt_f32_f16_e32 v19, v19
	v_min_f32_e32 v20, v18, v19
	v_lshlrev_b64 v[18:19], 1, v[44:45]
	v_cvt_f16_f32_e32 v20, v20
	v_add_co_u32 v18, vcc_lo, v14, v18
	v_add_co_ci_u32_e64 v19, null, v15, v19, vcc_lo
	global_store_short v[18:19], v20, off
	s_or_b32 exec_lo, exec_lo, s8
	s_and_b32 s8, s3, s4
	s_and_saveexec_b32 s4, s8
	s_cbranch_execz .LBB268_343
.LBB268_339:
	v_cmp_ne_u32_e32 vcc_lo, 1, v71
	s_cbranch_vccnz .LBB268_341
; %bb.340:
	v_lshlrev_b64 v[18:19], 1, v[46:47]
	v_add_co_u32 v16, vcc_lo, v16, v18
	v_add_co_ci_u32_e64 v17, null, v17, v19, vcc_lo
	global_load_ushort v16, v[16:17], off
	s_waitcnt vmcnt(0)
	v_mul_f16_e32 v16, s11, v16
	v_cvt_f32_f16_e32 v16, v16
	s_branch .LBB268_342
.LBB268_341:
	v_mov_b32_e32 v16, 0
.LBB268_342:
	v_pk_add_f16 v6, v4, v6
	v_pk_add_f16 v7, v5, v7
	v_max_f16_e32 v17, v55, v55
	v_lshrrev_b32_e32 v18, 16, v55
	v_lshrrev_b32_e32 v19, 16, v6
	;; [unrolled: 1-line block ×3, first 2 shown]
	v_min_f16_e32 v6, v17, v6
	v_min3_f16 v17, v18, v19, v20
	v_min3_f16 v6, v6, v7, v17
	v_max_f32_e32 v7, v16, v16
	v_cvt_f32_f16_e32 v6, v6
	v_min_f32_e32 v16, v7, v6
	v_lshlrev_b64 v[6:7], 1, v[46:47]
	v_cvt_f16_f32_e32 v16, v16
	v_add_co_u32 v6, vcc_lo, v14, v6
	v_add_co_ci_u32_e64 v7, null, v15, v7, vcc_lo
	global_store_short v[6:7], v16, off
.LBB268_343:
	s_or_b32 exec_lo, exec_lo, s4
	v_add_nc_u32_e32 v16, 0x78, v75
	v_mad_i64_i32 v[6:7], null, v16, s6, 0
	v_mad_i64_i32 v[14:15], null, v16, s5, 0
	v_cmp_gt_i32_e64 s4, s9, v16
	v_lshlrev_b64 v[6:7], 1, v[6:7]
	s_and_b32 s5, s0, s4
	v_lshlrev_b64 v[16:17], 1, v[14:15]
	v_add_co_u32 v14, vcc_lo, s16, v6
	v_add_co_ci_u32_e64 v15, null, s17, v7, vcc_lo
	v_add_co_u32 v6, vcc_lo, s7, v16
	v_add_co_ci_u32_e64 v7, null, s10, v17, vcc_lo
	s_and_saveexec_b32 s0, s5
	s_cbranch_execnz .LBB268_348
; %bb.344:
	s_or_b32 exec_lo, exec_lo, s0
	s_and_b32 s1, s1, s4
	s_and_saveexec_b32 s0, s1
	s_cbranch_execnz .LBB268_352
.LBB268_345:
	s_or_b32 exec_lo, exec_lo, s0
	s_and_b32 s1, s2, s4
	s_and_saveexec_b32 s0, s1
	s_cbranch_execnz .LBB268_356
.LBB268_346:
	s_or_b32 exec_lo, exec_lo, s0
	s_and_b32 s0, s3, s4
	s_and_saveexec_b32 s1, s0
	s_cbranch_execnz .LBB268_360
.LBB268_347:
	s_endpgm
.LBB268_348:
	v_cmp_ne_u32_e32 vcc_lo, 1, v71
	v_lshlrev_b64 v[0:1], 1, v[0:1]
	s_cbranch_vccnz .LBB268_350
; %bb.349:
	v_add_co_u32 v16, vcc_lo, v14, v0
	v_add_co_ci_u32_e64 v17, null, v15, v1, vcc_lo
	global_load_ushort v16, v[16:17], off
	s_waitcnt vmcnt(0)
	v_mul_f16_e32 v16, s11, v16
	v_cvt_f32_f16_e32 v16, v16
	s_branch .LBB268_351
.LBB268_350:
	v_mov_b32_e32 v16, 0
.LBB268_351:
	v_pk_add_f16 v10, v10, v8
	v_pk_add_f16 v11, v11, v9
	v_max_f16_e32 v17, v52, v52
	v_lshrrev_b32_e32 v18, 16, v52
	v_add_co_u32 v0, vcc_lo, v6, v0
	v_lshrrev_b32_e32 v19, 16, v10
	v_lshrrev_b32_e32 v20, 16, v11
	v_min_f16_e32 v10, v17, v10
	v_add_co_ci_u32_e64 v1, null, v7, v1, vcc_lo
	v_min3_f16 v17, v18, v19, v20
	v_min3_f16 v10, v10, v11, v17
	v_max_f32_e32 v11, v16, v16
	v_cvt_f32_f16_e32 v10, v10
	v_min_f32_e32 v10, v11, v10
	v_cvt_f16_f32_e32 v10, v10
	global_store_short v[0:1], v10, off
	s_or_b32 exec_lo, exec_lo, s0
	s_and_b32 s1, s1, s4
	s_and_saveexec_b32 s0, s1
	s_cbranch_execz .LBB268_345
.LBB268_352:
	v_cmp_ne_u32_e32 vcc_lo, 1, v71
	v_lshlrev_b64 v[0:1], 1, v[42:43]
	s_cbranch_vccnz .LBB268_354
; %bb.353:
	v_add_co_u32 v10, vcc_lo, v14, v0
	v_add_co_ci_u32_e64 v11, null, v15, v1, vcc_lo
	global_load_ushort v10, v[10:11], off
	s_waitcnt vmcnt(0)
	v_mul_f16_e32 v10, s11, v10
	v_cvt_f32_f16_e32 v10, v10
	s_branch .LBB268_355
.LBB268_354:
	v_mov_b32_e32 v10, 0
.LBB268_355:
	v_pk_add_f16 v11, v12, v8
	v_pk_add_f16 v12, v13, v9
	v_max_f16_e32 v13, v50, v50
	v_lshrrev_b32_e32 v16, 16, v50
	v_max_f32_e32 v10, v10, v10
	v_lshrrev_b32_e32 v17, 16, v11
	v_lshrrev_b32_e32 v18, 16, v12
	v_min_f16_e32 v11, v13, v11
	v_add_co_u32 v0, vcc_lo, v6, v0
	v_add_co_ci_u32_e64 v1, null, v7, v1, vcc_lo
	v_min3_f16 v13, v16, v17, v18
	v_min3_f16 v11, v11, v12, v13
	v_cvt_f32_f16_e32 v11, v11
	v_min_f32_e32 v10, v10, v11
	v_cvt_f16_f32_e32 v10, v10
	global_store_short v[0:1], v10, off
	s_or_b32 exec_lo, exec_lo, s0
	s_and_b32 s1, s2, s4
	s_and_saveexec_b32 s0, s1
	s_cbranch_execz .LBB268_346
.LBB268_356:
	v_cmp_ne_u32_e32 vcc_lo, 1, v71
	v_lshlrev_b64 v[0:1], 1, v[44:45]
	s_cbranch_vccnz .LBB268_358
; %bb.357:
	v_add_co_u32 v10, vcc_lo, v14, v0
	v_add_co_ci_u32_e64 v11, null, v15, v1, vcc_lo
	global_load_ushort v10, v[10:11], off
	s_waitcnt vmcnt(0)
	v_mul_f16_e32 v10, s11, v10
	v_cvt_f32_f16_e32 v10, v10
	s_branch .LBB268_359
.LBB268_358:
	v_mov_b32_e32 v10, 0
.LBB268_359:
	v_pk_add_f16 v2, v2, v8
	v_pk_add_f16 v3, v3, v9
	v_max_f16_e32 v11, v49, v49
	v_lshrrev_b32_e32 v12, 16, v49
	v_add_co_u32 v0, vcc_lo, v6, v0
	v_lshrrev_b32_e32 v13, 16, v2
	v_lshrrev_b32_e32 v16, 16, v3
	v_min_f16_e32 v2, v11, v2
	v_add_co_ci_u32_e64 v1, null, v7, v1, vcc_lo
	v_min3_f16 v11, v12, v13, v16
	v_min3_f16 v2, v2, v3, v11
	v_max_f32_e32 v3, v10, v10
	v_cvt_f32_f16_e32 v2, v2
	v_min_f32_e32 v2, v3, v2
	v_cvt_f16_f32_e32 v2, v2
	global_store_short v[0:1], v2, off
	s_or_b32 exec_lo, exec_lo, s0
	s_and_b32 s0, s3, s4
	s_and_saveexec_b32 s1, s0
	s_cbranch_execz .LBB268_347
.LBB268_360:
	v_cmp_ne_u32_e32 vcc_lo, 1, v71
	v_lshlrev_b64 v[0:1], 1, v[46:47]
	s_cbranch_vccnz .LBB268_362
; %bb.361:
	v_add_co_u32 v2, vcc_lo, v14, v0
	v_add_co_ci_u32_e64 v3, null, v15, v1, vcc_lo
	global_load_ushort v2, v[2:3], off
	s_waitcnt vmcnt(0)
	v_mul_f16_e32 v2, s11, v2
	v_cvt_f32_f16_e32 v2, v2
	s_branch .LBB268_363
.LBB268_362:
	v_mov_b32_e32 v2, 0
.LBB268_363:
	v_pk_add_f16 v3, v4, v8
	v_pk_add_f16 v4, v5, v9
	v_max_f16_e32 v5, v48, v48
	v_lshrrev_b32_e32 v8, 16, v48
	v_max_f32_e32 v2, v2, v2
	v_lshrrev_b32_e32 v9, 16, v3
	v_lshrrev_b32_e32 v10, 16, v4
	v_min_f16_e32 v3, v5, v3
	v_add_co_u32 v0, vcc_lo, v6, v0
	v_add_co_ci_u32_e64 v1, null, v7, v1, vcc_lo
	v_min3_f16 v5, v8, v9, v10
	v_min3_f16 v3, v3, v4, v5
	v_cvt_f32_f16_e32 v3, v3
	v_min_f32_e32 v2, v2, v3
	v_cvt_f16_f32_e32 v2, v2
	global_store_short v[0:1], v2, off
	s_endpgm
	.section	.rodata,"a",@progbits
	.p2align	6, 0x0
	.amdhsa_kernel _ZN12_GLOBAL__N_120geam_min_plus_kernelIDF16_Dv2_DF16_S1_Li32ELi8ELi128ELi128ELi4ELi4ELi64ELi4ELi64ELc84ELc78ELb1ELb1ELb1EDF16_KDF16_DF16_EEviiiT16_PT17_ilS5_ilS3_S5_ilPT18_ili26rocblas_geam_ex_operation_
		.amdhsa_group_segment_fixed_size 4096
		.amdhsa_private_segment_fixed_size 0
		.amdhsa_kernarg_size 128
		.amdhsa_user_sgpr_count 6
		.amdhsa_user_sgpr_private_segment_buffer 1
		.amdhsa_user_sgpr_dispatch_ptr 0
		.amdhsa_user_sgpr_queue_ptr 0
		.amdhsa_user_sgpr_kernarg_segment_ptr 1
		.amdhsa_user_sgpr_dispatch_id 0
		.amdhsa_user_sgpr_flat_scratch_init 0
		.amdhsa_user_sgpr_private_segment_size 0
		.amdhsa_wavefront_size32 1
		.amdhsa_uses_dynamic_stack 0
		.amdhsa_system_sgpr_private_segment_wavefront_offset 0
		.amdhsa_system_sgpr_workgroup_id_x 1
		.amdhsa_system_sgpr_workgroup_id_y 0
		.amdhsa_system_sgpr_workgroup_id_z 1
		.amdhsa_system_sgpr_workgroup_info 0
		.amdhsa_system_vgpr_workitem_id 1
		.amdhsa_next_free_vgpr 150
		.amdhsa_next_free_sgpr 26
		.amdhsa_reserve_vcc 1
		.amdhsa_reserve_flat_scratch 0
		.amdhsa_float_round_mode_32 0
		.amdhsa_float_round_mode_16_64 0
		.amdhsa_float_denorm_mode_32 3
		.amdhsa_float_denorm_mode_16_64 3
		.amdhsa_dx10_clamp 1
		.amdhsa_ieee_mode 1
		.amdhsa_fp16_overflow 0
		.amdhsa_workgroup_processor_mode 1
		.amdhsa_memory_ordered 1
		.amdhsa_forward_progress 1
		.amdhsa_shared_vgpr_count 0
		.amdhsa_exception_fp_ieee_invalid_op 0
		.amdhsa_exception_fp_denorm_src 0
		.amdhsa_exception_fp_ieee_div_zero 0
		.amdhsa_exception_fp_ieee_overflow 0
		.amdhsa_exception_fp_ieee_underflow 0
		.amdhsa_exception_fp_ieee_inexact 0
		.amdhsa_exception_int_div_zero 0
	.end_amdhsa_kernel
	.section	.text._ZN12_GLOBAL__N_120geam_min_plus_kernelIDF16_Dv2_DF16_S1_Li32ELi8ELi128ELi128ELi4ELi4ELi64ELi4ELi64ELc84ELc78ELb1ELb1ELb1EDF16_KDF16_DF16_EEviiiT16_PT17_ilS5_ilS3_S5_ilPT18_ili26rocblas_geam_ex_operation_,"axG",@progbits,_ZN12_GLOBAL__N_120geam_min_plus_kernelIDF16_Dv2_DF16_S1_Li32ELi8ELi128ELi128ELi4ELi4ELi64ELi4ELi64ELc84ELc78ELb1ELb1ELb1EDF16_KDF16_DF16_EEviiiT16_PT17_ilS5_ilS3_S5_ilPT18_ili26rocblas_geam_ex_operation_,comdat
.Lfunc_end268:
	.size	_ZN12_GLOBAL__N_120geam_min_plus_kernelIDF16_Dv2_DF16_S1_Li32ELi8ELi128ELi128ELi4ELi4ELi64ELi4ELi64ELc84ELc78ELb1ELb1ELb1EDF16_KDF16_DF16_EEviiiT16_PT17_ilS5_ilS3_S5_ilPT18_ili26rocblas_geam_ex_operation_, .Lfunc_end268-_ZN12_GLOBAL__N_120geam_min_plus_kernelIDF16_Dv2_DF16_S1_Li32ELi8ELi128ELi128ELi4ELi4ELi64ELi4ELi64ELc84ELc78ELb1ELb1ELb1EDF16_KDF16_DF16_EEviiiT16_PT17_ilS5_ilS3_S5_ilPT18_ili26rocblas_geam_ex_operation_
                                        ; -- End function
	.set _ZN12_GLOBAL__N_120geam_min_plus_kernelIDF16_Dv2_DF16_S1_Li32ELi8ELi128ELi128ELi4ELi4ELi64ELi4ELi64ELc84ELc78ELb1ELb1ELb1EDF16_KDF16_DF16_EEviiiT16_PT17_ilS5_ilS3_S5_ilPT18_ili26rocblas_geam_ex_operation_.num_vgpr, 150
	.set _ZN12_GLOBAL__N_120geam_min_plus_kernelIDF16_Dv2_DF16_S1_Li32ELi8ELi128ELi128ELi4ELi4ELi64ELi4ELi64ELc84ELc78ELb1ELb1ELb1EDF16_KDF16_DF16_EEviiiT16_PT17_ilS5_ilS3_S5_ilPT18_ili26rocblas_geam_ex_operation_.num_agpr, 0
	.set _ZN12_GLOBAL__N_120geam_min_plus_kernelIDF16_Dv2_DF16_S1_Li32ELi8ELi128ELi128ELi4ELi4ELi64ELi4ELi64ELc84ELc78ELb1ELb1ELb1EDF16_KDF16_DF16_EEviiiT16_PT17_ilS5_ilS3_S5_ilPT18_ili26rocblas_geam_ex_operation_.numbered_sgpr, 26
	.set _ZN12_GLOBAL__N_120geam_min_plus_kernelIDF16_Dv2_DF16_S1_Li32ELi8ELi128ELi128ELi4ELi4ELi64ELi4ELi64ELc84ELc78ELb1ELb1ELb1EDF16_KDF16_DF16_EEviiiT16_PT17_ilS5_ilS3_S5_ilPT18_ili26rocblas_geam_ex_operation_.num_named_barrier, 0
	.set _ZN12_GLOBAL__N_120geam_min_plus_kernelIDF16_Dv2_DF16_S1_Li32ELi8ELi128ELi128ELi4ELi4ELi64ELi4ELi64ELc84ELc78ELb1ELb1ELb1EDF16_KDF16_DF16_EEviiiT16_PT17_ilS5_ilS3_S5_ilPT18_ili26rocblas_geam_ex_operation_.private_seg_size, 0
	.set _ZN12_GLOBAL__N_120geam_min_plus_kernelIDF16_Dv2_DF16_S1_Li32ELi8ELi128ELi128ELi4ELi4ELi64ELi4ELi64ELc84ELc78ELb1ELb1ELb1EDF16_KDF16_DF16_EEviiiT16_PT17_ilS5_ilS3_S5_ilPT18_ili26rocblas_geam_ex_operation_.uses_vcc, 1
	.set _ZN12_GLOBAL__N_120geam_min_plus_kernelIDF16_Dv2_DF16_S1_Li32ELi8ELi128ELi128ELi4ELi4ELi64ELi4ELi64ELc84ELc78ELb1ELb1ELb1EDF16_KDF16_DF16_EEviiiT16_PT17_ilS5_ilS3_S5_ilPT18_ili26rocblas_geam_ex_operation_.uses_flat_scratch, 0
	.set _ZN12_GLOBAL__N_120geam_min_plus_kernelIDF16_Dv2_DF16_S1_Li32ELi8ELi128ELi128ELi4ELi4ELi64ELi4ELi64ELc84ELc78ELb1ELb1ELb1EDF16_KDF16_DF16_EEviiiT16_PT17_ilS5_ilS3_S5_ilPT18_ili26rocblas_geam_ex_operation_.has_dyn_sized_stack, 0
	.set _ZN12_GLOBAL__N_120geam_min_plus_kernelIDF16_Dv2_DF16_S1_Li32ELi8ELi128ELi128ELi4ELi4ELi64ELi4ELi64ELc84ELc78ELb1ELb1ELb1EDF16_KDF16_DF16_EEviiiT16_PT17_ilS5_ilS3_S5_ilPT18_ili26rocblas_geam_ex_operation_.has_recursion, 0
	.set _ZN12_GLOBAL__N_120geam_min_plus_kernelIDF16_Dv2_DF16_S1_Li32ELi8ELi128ELi128ELi4ELi4ELi64ELi4ELi64ELc84ELc78ELb1ELb1ELb1EDF16_KDF16_DF16_EEviiiT16_PT17_ilS5_ilS3_S5_ilPT18_ili26rocblas_geam_ex_operation_.has_indirect_call, 0
	.section	.AMDGPU.csdata,"",@progbits
; Kernel info:
; codeLenInByte = 23164
; TotalNumSgprs: 28
; NumVgprs: 150
; ScratchSize: 0
; MemoryBound: 0
; FloatMode: 240
; IeeeMode: 1
; LDSByteSize: 4096 bytes/workgroup (compile time only)
; SGPRBlocks: 0
; VGPRBlocks: 18
; NumSGPRsForWavesPerEU: 28
; NumVGPRsForWavesPerEU: 150
; Occupancy: 6
; WaveLimiterHint : 0
; COMPUTE_PGM_RSRC2:SCRATCH_EN: 0
; COMPUTE_PGM_RSRC2:USER_SGPR: 6
; COMPUTE_PGM_RSRC2:TRAP_HANDLER: 0
; COMPUTE_PGM_RSRC2:TGID_X_EN: 1
; COMPUTE_PGM_RSRC2:TGID_Y_EN: 0
; COMPUTE_PGM_RSRC2:TGID_Z_EN: 1
; COMPUTE_PGM_RSRC2:TIDIG_COMP_CNT: 1
	.section	.text._ZN12_GLOBAL__N_120geam_min_plus_kernelIDF16_Dv2_DF16_S1_Li32ELi8ELi128ELi128ELi4ELi4ELi64ELi4ELi64ELc84ELc78ELb0ELb1ELb1EDF16_KDF16_DF16_EEviiiT16_PT17_ilS5_ilS3_S5_ilPT18_ili26rocblas_geam_ex_operation_,"axG",@progbits,_ZN12_GLOBAL__N_120geam_min_plus_kernelIDF16_Dv2_DF16_S1_Li32ELi8ELi128ELi128ELi4ELi4ELi64ELi4ELi64ELc84ELc78ELb0ELb1ELb1EDF16_KDF16_DF16_EEviiiT16_PT17_ilS5_ilS3_S5_ilPT18_ili26rocblas_geam_ex_operation_,comdat
	.globl	_ZN12_GLOBAL__N_120geam_min_plus_kernelIDF16_Dv2_DF16_S1_Li32ELi8ELi128ELi128ELi4ELi4ELi64ELi4ELi64ELc84ELc78ELb0ELb1ELb1EDF16_KDF16_DF16_EEviiiT16_PT17_ilS5_ilS3_S5_ilPT18_ili26rocblas_geam_ex_operation_ ; -- Begin function _ZN12_GLOBAL__N_120geam_min_plus_kernelIDF16_Dv2_DF16_S1_Li32ELi8ELi128ELi128ELi4ELi4ELi64ELi4ELi64ELc84ELc78ELb0ELb1ELb1EDF16_KDF16_DF16_EEviiiT16_PT17_ilS5_ilS3_S5_ilPT18_ili26rocblas_geam_ex_operation_
	.p2align	8
	.type	_ZN12_GLOBAL__N_120geam_min_plus_kernelIDF16_Dv2_DF16_S1_Li32ELi8ELi128ELi128ELi4ELi4ELi64ELi4ELi64ELc84ELc78ELb0ELb1ELb1EDF16_KDF16_DF16_EEviiiT16_PT17_ilS5_ilS3_S5_ilPT18_ili26rocblas_geam_ex_operation_,@function
_ZN12_GLOBAL__N_120geam_min_plus_kernelIDF16_Dv2_DF16_S1_Li32ELi8ELi128ELi128ELi4ELi4ELi64ELi4ELi64ELc84ELc78ELb0ELb1ELb1EDF16_KDF16_DF16_EEviiiT16_PT17_ilS5_ilS3_S5_ilPT18_ili26rocblas_geam_ex_operation_: ; @_ZN12_GLOBAL__N_120geam_min_plus_kernelIDF16_Dv2_DF16_S1_Li32ELi8ELi128ELi128ELi4ELi4ELi64ELi4ELi64ELc84ELc78ELb0ELb1ELb1EDF16_KDF16_DF16_EEviiiT16_PT17_ilS5_ilS3_S5_ilPT18_ili26rocblas_geam_ex_operation_
; %bb.0:
	s_clause 0x1
	s_load_dwordx4 s[8:11], s[4:5], 0x0
	s_load_dwordx4 s[0:3], s[4:5], 0x20
	s_waitcnt lgkmcnt(0)
	v_cmp_eq_f16_e64 s12, s11, 0
	s_and_b32 vcc_lo, exec_lo, s12
	s_cbranch_vccnz .LBB269_45
; %bb.1:
	s_load_dwordx2 s[14:15], s[4:5], 0x10
	s_mul_i32 s1, s1, s7
	s_mul_hi_u32 s13, s0, s7
	s_mul_i32 s0, s0, s7
	s_add_i32 s1, s13, s1
	s_lshl_b64 s[0:1], s[0:1], 1
	s_waitcnt lgkmcnt(0)
	s_add_u32 s18, s14, s0
	s_addc_u32 s19, s15, s1
	s_andn2_b32 vcc_lo, exec_lo, s12
	s_mov_b32 s0, -1
	s_cbranch_vccnz .LBB269_3
.LBB269_2:
	s_mov_b32 s0, 0
.LBB269_3:
	s_mov_b64 s[16:17], 0
	s_andn2_b32 vcc_lo, exec_lo, s0
	s_mov_b64 s[20:21], 0
	s_cbranch_vccnz .LBB269_5
; %bb.4:
	s_load_dwordx2 s[0:1], s[4:5], 0x38
	s_waitcnt lgkmcnt(0)
	s_mul_i32 s1, s1, s7
	s_mul_hi_u32 s12, s0, s7
	s_mul_i32 s0, s0, s7
	s_add_i32 s1, s12, s1
	s_lshl_b64 s[0:1], s[0:1], 1
	s_add_u32 s20, s2, s0
	s_addc_u32 s21, s3, s1
.LBB269_5:
	s_clause 0x1
	s_load_dword s22, s[4:5], 0x40
	s_load_dwordx4 s[12:15], s[4:5], 0x58
	s_waitcnt lgkmcnt(0)
	v_cmp_eq_f16_e64 s0, s22, 0
	v_cmp_neq_f16_e64 s23, s22, 0
	s_and_b32 vcc_lo, exec_lo, s0
	s_cbranch_vccnz .LBB269_7
; %bb.6:
	s_load_dwordx2 s[0:1], s[4:5], 0x48
	s_mul_i32 s2, s13, s7
	s_mul_hi_u32 s3, s12, s7
	s_add_i32 s3, s3, s2
	s_mul_i32 s2, s12, s7
	s_lshl_b64 s[2:3], s[2:3], 1
	s_waitcnt lgkmcnt(0)
	s_add_u32 s16, s0, s2
	s_addc_u32 s17, s1, s3
.LBB269_7:
	s_add_i32 s0, s8, -1
	v_and_b32_e32 v102, 3, v0
	s_ashr_i32 s1, s0, 31
	v_lshl_add_u32 v3, v1, 5, v0
	s_lshr_b32 s1, s1, 25
	s_load_dword s26, s[4:5], 0x18
	s_add_i32 s0, s0, s1
	v_cmp_eq_f16_e64 s25, s11, 0
	s_ashr_i32 s0, s0, 7
	v_lshrrev_b32_e32 v5, 2, v3
	s_add_i32 s1, s0, 1
	s_not_b32 s0, s0
	v_cvt_f32_u32_e32 v2, s1
	v_rcp_iflag_f32_e32 v2, v2
	v_mul_f32_e32 v2, 0x4f7ffffe, v2
	v_cvt_u32_f32_e32 v2, v2
	v_readfirstlane_b32 s2, v2
	s_mul_i32 s0, s0, s2
	s_mul_hi_u32 s0, s2, s0
	s_add_i32 s2, s2, s0
	s_mul_hi_u32 s0, s6, s2
	s_mul_i32 s2, s0, s1
	s_add_i32 s3, s0, 1
	s_sub_i32 s2, s6, s2
	s_sub_i32 s12, s2, s1
	s_cmp_ge_u32 s2, s1
	s_cselect_b32 s0, s3, s0
	s_cselect_b32 s2, s12, s2
	s_add_i32 s3, s0, 1
	s_cmp_ge_u32 s2, s1
	s_cselect_b32 s2, s3, s0
	s_add_i32 s24, s10, -1
	s_mul_i32 s0, s2, s1
	v_min_i32_e32 v2, s24, v102
	s_sub_i32 s0, s6, s0
	v_cmp_le_i32_e64 s3, s10, v102
	s_lshl_b32 s12, s0, 7
	v_ashrrev_i32_e32 v3, 31, v2
	v_add_nc_u32_e32 v14, s12, v5
	v_lshlrev_b64 v[2:3], 1, v[2:3]
	v_cmp_le_i32_e32 vcc_lo, s8, v14
	v_add_co_u32 v7, s0, s18, v2
	v_add_co_ci_u32_e64 v8, null, s19, v3, s0
	s_or_b32 s0, s3, vcc_lo
	v_cndmask_b32_e64 v4, 0, 0x7c00, s0
	s_nor_b32 s0, s25, s0
	s_and_saveexec_b32 s1, s0
	s_cbranch_execz .LBB269_9
; %bb.8:
	s_waitcnt lgkmcnt(0)
	v_mad_i64_i32 v[9:10], null, v14, s26, 0
	v_lshlrev_b64 v[9:10], 1, v[9:10]
	v_add_co_u32 v9, s0, v7, v9
	v_add_co_ci_u32_e64 v10, null, v8, v10, s0
	global_load_ushort v4, v[9:10], off
	s_waitcnt vmcnt(0)
	v_mul_f16_e32 v4, s11, v4
.LBB269_9:
	s_or_b32 exec_lo, exec_lo, s1
	v_add_nc_u32_e32 v15, 64, v14
	v_cmp_le_i32_e64 s0, s8, v15
	s_or_b32 s1, s3, s0
	v_cndmask_b32_e64 v6, 0, 0x7c00, s1
	s_nor_b32 s1, s25, s1
	s_and_saveexec_b32 s6, s1
	s_cbranch_execz .LBB269_11
; %bb.10:
	s_waitcnt lgkmcnt(0)
	v_mad_i64_i32 v[9:10], null, v15, s26, 0
	v_lshlrev_b64 v[9:10], 1, v[9:10]
	v_add_co_u32 v6, s1, v7, v9
	v_add_co_ci_u32_e64 v7, null, v8, v10, s1
	global_load_ushort v6, v[6:7], off
	s_waitcnt vmcnt(0)
	v_mul_f16_e32 v6, s11, v6
.LBB269_11:
	s_or_b32 exec_lo, exec_lo, s6
	s_load_dword s27, s[4:5], 0x30
	s_lshl_b32 s13, s2, 7
	v_add_co_u32 v2, s2, s20, v2
	v_add_nc_u32_e32 v16, s13, v5
	v_add_co_ci_u32_e64 v3, null, s21, v3, s2
	v_cmp_le_i32_e64 s1, s9, v16
	s_or_b32 s2, s3, s1
	v_cndmask_b32_e64 v7, 0, 0x7c00, s2
	s_nor_b32 s2, s25, s2
	s_and_saveexec_b32 s6, s2
	s_cbranch_execz .LBB269_13
; %bb.12:
	s_waitcnt lgkmcnt(0)
	v_mad_i64_i32 v[7:8], null, v16, s27, 0
	v_lshlrev_b64 v[7:8], 1, v[7:8]
	v_add_co_u32 v7, s2, v2, v7
	v_add_co_ci_u32_e64 v8, null, v3, v8, s2
	global_load_ushort v7, v[7:8], off
	s_waitcnt vmcnt(0)
	v_mul_f16_e32 v7, s11, v7
.LBB269_13:
	s_or_b32 exec_lo, exec_lo, s6
	v_add_nc_u32_e32 v17, 64, v16
	v_cmp_le_i32_e64 s2, s9, v17
	s_or_b32 s3, s3, s2
	v_cndmask_b32_e64 v8, 0, 0x7c00, s3
	s_nor_b32 s3, s25, s3
	s_and_saveexec_b32 s6, s3
	s_cbranch_execz .LBB269_15
; %bb.14:
	s_waitcnt lgkmcnt(0)
	v_mad_i64_i32 v[8:9], null, v17, s27, 0
	v_lshlrev_b64 v[8:9], 1, v[8:9]
	v_add_co_u32 v2, s3, v2, v8
	v_add_co_ci_u32_e64 v3, null, v3, v9, s3
	global_load_ushort v2, v[2:3], off
	s_waitcnt vmcnt(0)
	v_mul_f16_e32 v8, s11, v2
.LBB269_15:
	s_or_b32 exec_lo, exec_lo, s6
	v_or_b32_e32 v9, 4, v102
	v_min_i32_e32 v2, s24, v9
	v_cmp_le_i32_e64 s3, s10, v9
	v_ashrrev_i32_e32 v3, 31, v2
	v_lshlrev_b64 v[2:3], 1, v[2:3]
	v_add_co_u32 v9, s6, s18, v2
	v_add_co_ci_u32_e64 v10, null, s19, v3, s6
	s_or_b32 s6, s3, vcc_lo
	v_cndmask_b32_e64 v18, 0, 0x7c00, s6
	s_nor_b32 s6, s25, s6
	s_and_saveexec_b32 s28, s6
	s_cbranch_execz .LBB269_17
; %bb.16:
	s_waitcnt lgkmcnt(0)
	v_mad_i64_i32 v[11:12], null, v14, s26, 0
	v_lshlrev_b64 v[11:12], 1, v[11:12]
	v_add_co_u32 v11, s6, v9, v11
	v_add_co_ci_u32_e64 v12, null, v10, v12, s6
	global_load_ushort v11, v[11:12], off
	s_waitcnt vmcnt(0)
	v_mul_f16_e32 v18, s11, v11
.LBB269_17:
	s_or_b32 exec_lo, exec_lo, s28
	s_or_b32 s6, s3, s0
	v_cndmask_b32_e64 v19, 0, 0x7c00, s6
	s_nor_b32 s6, s25, s6
	s_and_saveexec_b32 s28, s6
	s_cbranch_execz .LBB269_19
; %bb.18:
	s_waitcnt lgkmcnt(0)
	v_mad_i64_i32 v[11:12], null, v15, s26, 0
	v_lshlrev_b64 v[11:12], 1, v[11:12]
	v_add_co_u32 v9, s6, v9, v11
	v_add_co_ci_u32_e64 v10, null, v10, v12, s6
	global_load_ushort v9, v[9:10], off
	s_waitcnt vmcnt(0)
	v_mul_f16_e32 v19, s11, v9
.LBB269_19:
	s_or_b32 exec_lo, exec_lo, s28
	v_add_co_u32 v2, s6, s20, v2
	v_add_co_ci_u32_e64 v3, null, s21, v3, s6
	s_or_b32 s6, s3, s1
	v_cndmask_b32_e64 v20, 0, 0x7c00, s6
	s_nor_b32 s6, s25, s6
	s_and_saveexec_b32 s28, s6
	s_cbranch_execz .LBB269_21
; %bb.20:
	s_waitcnt lgkmcnt(0)
	v_mad_i64_i32 v[9:10], null, v16, s27, 0
	v_lshlrev_b64 v[9:10], 1, v[9:10]
	v_add_co_u32 v9, s6, v2, v9
	v_add_co_ci_u32_e64 v10, null, v3, v10, s6
	global_load_ushort v9, v[9:10], off
	s_waitcnt vmcnt(0)
	v_mul_f16_e32 v20, s11, v9
.LBB269_21:
	s_or_b32 exec_lo, exec_lo, s28
	s_or_b32 s3, s3, s2
	v_cndmask_b32_e64 v21, 0, 0x7c00, s3
	s_nor_b32 s3, s25, s3
	s_and_saveexec_b32 s6, s3
	s_cbranch_execz .LBB269_23
; %bb.22:
	s_waitcnt lgkmcnt(0)
	v_mad_i64_i32 v[9:10], null, v17, s27, 0
	v_lshlrev_b64 v[9:10], 1, v[9:10]
	v_add_co_u32 v2, s3, v2, v9
	v_add_co_ci_u32_e64 v3, null, v3, v10, s3
	global_load_ushort v2, v[2:3], off
	s_waitcnt vmcnt(0)
	v_mul_f16_e32 v21, s11, v2
.LBB269_23:
	s_or_b32 exec_lo, exec_lo, s6
	v_lshlrev_b32_e32 v2, 3, v5
	v_lshlrev_b32_e32 v105, 3, v1
	;; [unrolled: 1-line block ×3, first 2 shown]
	s_cmp_lt_i32 s10, 9
	v_lshl_or_b32 v110, v102, 1, v2
	v_add_nc_u32_e32 v10, 0x800, v105
	ds_write_b16 v110, v4
	ds_write_b16 v110, v6 offset:512
	ds_write_b16 v110, v7 offset:2048
	;; [unrolled: 1-line block ×3, first 2 shown]
	s_waitcnt lgkmcnt(0)
	s_barrier
	buffer_gl0_inv
	ds_read2_b64 v[6:9], v104 offset1:32
	ds_read2_b64 v[22:25], v10 offset1:8
	ds_read2_b64 v[2:5], v104 offset0:64 offset1:96
	ds_read2_b64 v[26:29], v10 offset0:16 offset1:24
	;; [unrolled: 1-line block ×8, first 2 shown]
	ds_write_b16 v110, v18 offset:1024
	ds_write_b16 v110, v19 offset:1536
	ds_write_b16 v110, v20 offset:3072
	ds_write_b16 v110, v21 offset:3584
	s_waitcnt lgkmcnt(0)
	s_barrier
	buffer_gl0_inv
	v_pk_add_f16 v50, v6, v22
	v_pk_add_f16 v51, v8, v22
	;; [unrolled: 1-line block ×64, first 2 shown]
	v_pk_min_f16 v50, 0x7c00, v50 op_sel_hi:[0,1]
	v_pk_add_f16 v81, v9, v23
	v_pk_add_f16 v82, v3, v23
	;; [unrolled: 1-line block ×3, first 2 shown]
	v_pk_min_f16 v22, 0x7c00, v22 op_sel_hi:[0,1]
	v_pk_add_f16 v2, v4, v12
	v_pk_add_f16 v4, v7, v25
	v_pk_min_f16 v12, 0x7c00, v53 op_sel_hi:[0,1]
	v_pk_min_f16 v51, 0x7c00, v51 op_sel_hi:[0,1]
	;; [unrolled: 1-line block ×3, first 2 shown]
	v_pk_min_f16 v120, v50, v80
	v_pk_min_f16 v118, v22, v23
	v_pk_add_f16 v22, v9, v25
	v_pk_min_f16 v23, 0x7c00, v54 op_sel_hi:[0,1]
	v_pk_add_f16 v50, v3, v25
	v_pk_add_f16 v25, v5, v25
	v_pk_min_f16 v24, 0x7c00, v24 op_sel_hi:[0,1]
	v_pk_min_f16 v116, v12, v4
	v_pk_add_f16 v4, v9, v27
	v_pk_min_f16 v12, 0x7c00, v57 op_sel_hi:[0,1]
	v_pk_min_f16 v119, v51, v81
	v_pk_min_f16 v117, v52, v82
	v_pk_min_f16 v51, 0x7c00, v55 op_sel_hi:[0,1]
	v_pk_add_f16 v52, v7, v27
	v_pk_min_f16 v115, v23, v22
	v_pk_min_f16 v113, v24, v25
	v_pk_add_f16 v22, v3, v27
	v_pk_min_f16 v23, 0x7c00, v58 op_sel_hi:[0,1]
	v_pk_add_f16 v24, v5, v27
	v_pk_min_f16 v25, 0x7c00, v26 op_sel_hi:[0,1]
	;; [unrolled: 2-line block ×3, first 2 shown]
	v_pk_min_f16 v111, v12, v4
	v_pk_add_f16 v4, v3, v29
	v_pk_min_f16 v12, 0x7c00, v61 op_sel_hi:[0,1]
	v_pk_min_f16 v114, v51, v50
	v_pk_add_f16 v50, v9, v29
	v_pk_min_f16 v109, v23, v22
	v_pk_min_f16 v108, v25, v24
	v_pk_min_f16 v107, v27, v26
	v_pk_add_f16 v22, v5, v29
	v_pk_min_f16 v23, 0x7c00, v28 op_sel_hi:[0,1]
	v_pk_add_f16 v24, v7, v31
	v_pk_min_f16 v25, 0x7c00, v62 op_sel_hi:[0,1]
	v_pk_add_f16 v26, v9, v31
	v_pk_min_f16 v27, 0x7c00, v63 op_sel_hi:[0,1]
	v_pk_add_f16 v28, v3, v31
	v_pk_min_f16 v29, 0x7c00, v64 op_sel_hi:[0,1]
	v_pk_min_f16 v103, v12, v4
	v_pk_add_f16 v4, v5, v31
	v_pk_min_f16 v12, 0x7c00, v30 op_sel_hi:[0,1]
	v_pk_min_f16 v101, v23, v22
	v_pk_min_f16 v100, v25, v24
	v_pk_min_f16 v99, v27, v26
	v_pk_min_f16 v98, v29, v28
	v_pk_add_f16 v22, v7, v33
	v_pk_min_f16 v23, 0x7c00, v65 op_sel_hi:[0,1]
	v_pk_add_f16 v24, v9, v33
	v_pk_min_f16 v25, 0x7c00, v66 op_sel_hi:[0,1]
	v_pk_add_f16 v26, v3, v33
	v_pk_min_f16 v27, 0x7c00, v67 op_sel_hi:[0,1]
	v_pk_add_f16 v28, v5, v33
	v_pk_min_f16 v29, 0x7c00, v32 op_sel_hi:[0,1]
	v_pk_min_f16 v97, v12, v4
	v_pk_add_f16 v4, v7, v35
	v_pk_min_f16 v12, 0x7c00, v68 op_sel_hi:[0,1]
	v_pk_min_f16 v96, v23, v22
	;; [unrolled: 15-line block ×7, first 2 shown]
	v_pk_min_f16 v70, v25, v24
	v_pk_min_f16 v69, v27, v26
	;; [unrolled: 1-line block ×3, first 2 shown]
	v_pk_add_f16 v22, v3, v47
	v_pk_min_f16 v23, 0x7c00, v129 op_sel_hi:[0,1]
	v_pk_add_f16 v24, v5, v47
	v_pk_min_f16 v25, 0x7c00, v46 op_sel_hi:[0,1]
	;; [unrolled: 2-line block ×4, first 2 shown]
	v_pk_min_f16 v67, v12, v4
	v_pk_add_f16 v4, v3, v49
	v_pk_min_f16 v12, 0x7c00, v132 op_sel_hi:[0,1]
	v_pk_min_f16 v53, 0x7c00, v56 op_sel_hi:[0,1]
	;; [unrolled: 1-line block ×3, first 2 shown]
	v_pk_min_f16 v66, v23, v22
	v_pk_min_f16 v65, v25, v24
	;; [unrolled: 1-line block ×4, first 2 shown]
	v_pk_add_f16 v22, v5, v49
	v_pk_min_f16 v23, 0x7c00, v48 op_sel_hi:[0,1]
	v_pk_add_f16 v24, v7, v11
	v_pk_min_f16 v25, 0x7c00, v133 op_sel_hi:[0,1]
	;; [unrolled: 2-line block ×4, first 2 shown]
	v_pk_min_f16 v62, v12, v4
	v_pk_add_f16 v4, v5, v11
	v_pk_min_f16 v10, 0x7c00, v10 op_sel_hi:[0,1]
	v_pk_add_f16 v7, v7, v13
	v_pk_min_f16 v6, 0x7c00, v6 op_sel_hi:[0,1]
	;; [unrolled: 2-line block ×5, first 2 shown]
	v_pk_min_f16 v112, v53, v52
	v_pk_min_f16 v106, v51, v50
	;; [unrolled: 1-line block ×11, first 2 shown]
	s_cbranch_scc1 .LBB269_42
; %bb.24:
	v_mad_i64_i32 v[2:3], null, v14, s26, 0
	v_mad_i64_i32 v[4:5], null, v15, s26, 0
	;; [unrolled: 1-line block ×4, first 2 shown]
	v_lshlrev_b64 v[45:46], 1, v[2:3]
	v_add_nc_u32_e32 v121, 0x800, v110
	v_lshlrev_b64 v[47:48], 1, v[4:5]
	v_or_b32_e32 v122, 0x800, v105
	v_lshlrev_b64 v[49:50], 1, v[6:7]
	v_add_nc_u32_e32 v123, 0x400, v110
	v_lshlrev_b64 v[51:52], 1, v[8:9]
	v_add_nc_u32_e32 v124, 0xc00, v110
	v_lshl_add_u32 v125, v0, 3, 0x400
	v_lshl_add_u32 v126, v1, 3, 0xc00
	s_add_i32 s26, s10, -8
	s_mov_b32 s27, 0
	s_branch .LBB269_26
.LBB269_25:                             ;   in Loop: Header=BB269_26 Depth=1
	s_or_b32 exec_lo, exec_lo, s6
	v_pk_add_f16 v6, v9, v41
	v_pk_max_f16 v7, v120, v120
	v_pk_add_f16 v8, v11, v41
	v_pk_add_f16 v120, v13, v41
	;; [unrolled: 1-line block ×3, first 2 shown]
	v_pk_max_f16 v116, v116, v116
	v_pk_min_f16 v6, v7, v6
	v_pk_max_f16 v7, v117, v117
	v_pk_max_f16 v117, v118, v118
	v_pk_add_f16 v118, v9, v43
	v_pk_max_f16 v119, v119, v119
	v_pk_add_f16 v131, v11, v43
	v_pk_max_f16 v114, v114, v114
	v_pk_min_f16 v41, v117, v41
	v_pk_min_f16 v116, v116, v118
	v_pk_add_f16 v117, v13, v43
	v_pk_add_f16 v43, v15, v43
	v_pk_max_f16 v113, v113, v113
	v_pk_add_f16 v118, v9, v37
	v_pk_max_f16 v112, v112, v112
	v_pk_min_f16 v8, v119, v8
	v_pk_min_f16 v7, v7, v120
	v_pk_add_f16 v119, v11, v37
	v_pk_add_f16 v120, v13, v37
	v_pk_min_f16 v114, v114, v117
	v_pk_min_f16 v43, v113, v43
	;; [unrolled: 1-line block ×3, first 2 shown]
	v_pk_add_f16 v37, v15, v37
	v_pk_max_f16 v108, v108, v108
	v_pk_add_f16 v113, v9, v39
	v_pk_max_f16 v107, v107, v107
	v_pk_add_f16 v117, v11, v39
	v_pk_add_f16 v118, v13, v39
	;; [unrolled: 1-line block ×3, first 2 shown]
	v_pk_max_f16 v101, v101, v101
	v_pk_max_f16 v106, v106, v106
	v_pk_min_f16 v37, v108, v37
	v_pk_min_f16 v107, v107, v113
	v_pk_max_f16 v100, v100, v100
	v_pk_min_f16 v39, v101, v39
	v_pk_add_f16 v101, v9, v33
	v_pk_add_f16 v108, v11, v33
	;; [unrolled: 1-line block ×4, first 2 shown]
	v_pk_max_f16 v97, v97, v97
	v_pk_min_f16 v106, v106, v117
	v_pk_max_f16 v99, v99, v99
	v_pk_max_f16 v98, v98, v98
	v_pk_add_f16 v117, v9, v35
	v_pk_min_f16 v100, v100, v101
	v_pk_min_f16 v33, v97, v33
	v_pk_add_f16 v97, v11, v35
	v_pk_max_f16 v95, v95, v95
	v_pk_add_f16 v101, v13, v35
	v_pk_add_f16 v35, v15, v35
	v_pk_max_f16 v93, v93, v93
	v_pk_min_f16 v99, v99, v108
	v_pk_min_f16 v98, v98, v113
	v_pk_max_f16 v94, v94, v94
	v_pk_add_f16 v108, v9, v29
	v_pk_max_f16 v92, v92, v92
	v_pk_add_f16 v113, v11, v29
	v_pk_min_f16 v95, v95, v97
	v_pk_min_f16 v35, v93, v35
	v_pk_add_f16 v93, v13, v29
	v_pk_max_f16 v90, v90, v90
	v_pk_add_f16 v29, v15, v29
	v_pk_max_f16 v89, v89, v89
	;; [unrolled: 2-line block ×3, first 2 shown]
	v_pk_min_f16 v94, v94, v101
	v_pk_min_f16 v92, v92, v108
	v_pk_add_f16 v101, v11, v31
	v_pk_add_f16 v108, v13, v31
	v_pk_min_f16 v90, v90, v93
	v_pk_min_f16 v29, v89, v29
	;; [unrolled: 1-line block ×3, first 2 shown]
	v_pk_add_f16 v31, v15, v31
	v_pk_max_f16 v85, v85, v85
	v_pk_add_f16 v89, v9, v25
	v_pk_max_f16 v84, v84, v84
	v_pk_add_f16 v93, v11, v25
	v_pk_add_f16 v97, v13, v25
	;; [unrolled: 1-line block ×3, first 2 shown]
	v_pk_max_f16 v81, v81, v81
	v_pk_max_f16 v83, v83, v83
	v_pk_min_f16 v31, v85, v31
	v_pk_min_f16 v84, v84, v89
	v_pk_max_f16 v80, v80, v80
	v_pk_min_f16 v25, v81, v25
	v_pk_add_f16 v81, v9, v27
	v_pk_add_f16 v85, v11, v27
	;; [unrolled: 1-line block ×4, first 2 shown]
	v_pk_max_f16 v77, v77, v77
	v_pk_min_f16 v83, v83, v93
	v_pk_max_f16 v79, v79, v79
	v_pk_max_f16 v78, v78, v78
	v_pk_add_f16 v93, v9, v21
	v_pk_min_f16 v80, v80, v81
	v_pk_min_f16 v27, v77, v27
	v_pk_add_f16 v77, v11, v21
	v_pk_max_f16 v75, v75, v75
	v_pk_add_f16 v81, v13, v21
	v_pk_add_f16 v21, v15, v21
	v_pk_max_f16 v73, v73, v73
	v_pk_min_f16 v79, v79, v85
	v_pk_min_f16 v78, v78, v89
	v_pk_add_f16 v85, v9, v23
	v_pk_add_f16 v89, v11, v23
	v_pk_min_f16 v75, v75, v77
	v_pk_min_f16 v21, v73, v21
	v_pk_add_f16 v73, v13, v23
	v_pk_max_f16 v70, v70, v70
	v_pk_add_f16 v23, v15, v23
	v_pk_max_f16 v69, v69, v69
	;; [unrolled: 2-line block ×3, first 2 shown]
	v_pk_max_f16 v74, v74, v74
	v_pk_max_f16 v72, v72, v72
	v_pk_min_f16 v70, v70, v73
	v_pk_min_f16 v23, v69, v23
	;; [unrolled: 1-line block ×3, first 2 shown]
	v_pk_add_f16 v69, v9, v4
	v_pk_add_f16 v73, v11, v4
	;; [unrolled: 1-line block ×4, first 2 shown]
	v_pk_max_f16 v61, v61, v61
	v_pk_min_f16 v74, v74, v81
	v_pk_min_f16 v72, v72, v85
	v_pk_add_f16 v81, v11, v2
	v_pk_add_f16 v85, v13, v2
	;; [unrolled: 1-line block ×3, first 2 shown]
	v_pk_max_f16 v65, v65, v65
	v_pk_max_f16 v64, v64, v64
	;; [unrolled: 1-line block ×3, first 2 shown]
	v_pk_min_f16 v61, v61, v4
	v_pk_add_f16 v4, v9, v17
	v_pk_max_f16 v59, v59, v59
	v_pk_add_f16 v9, v9, v19
	v_pk_max_f16 v57, v57, v57
	v_pk_max_f16 v66, v66, v66
	;; [unrolled: 1-line block ×3, first 2 shown]
	v_pk_min_f16 v2, v65, v2
	v_pk_min_f16 v64, v64, v69
	;; [unrolled: 1-line block ×3, first 2 shown]
	v_pk_add_f16 v65, v11, v17
	v_pk_add_f16 v69, v13, v17
	;; [unrolled: 1-line block ×3, first 2 shown]
	v_pk_min_f16 v59, v59, v4
	v_pk_min_f16 v73, v57, v9
	v_pk_add_f16 v4, v11, v19
	v_pk_max_f16 v9, v55, v55
	v_pk_add_f16 v11, v13, v19
	v_pk_add_f16 v15, v15, v19
	;; [unrolled: 1-line block ×3, first 2 shown]
	v_pk_max_f16 v76, v76, v76
	v_pk_max_f16 v71, v71, v71
	v_pk_min_f16 v66, v66, v85
	v_pk_min_f16 v62, v62, v77
	;; [unrolled: 1-line block ×3, first 2 shown]
	v_pk_add_f16 v4, v12, v42
	v_pk_min_f16 v85, v6, v19
	v_pk_add_f16 v6, v14, v42
	v_pk_max_f16 v82, v82, v82
	v_pk_min_f16 v76, v76, v93
	v_pk_min_f16 v71, v71, v89
	;; [unrolled: 1-line block ×3, first 2 shown]
	v_pk_add_f16 v4, v16, v42
	v_pk_min_f16 v93, v7, v6
	v_pk_add_f16 v6, v14, v44
	v_pk_min_f16 v82, v82, v97
	v_pk_add_f16 v8, v10, v44
	v_pk_add_f16 v9, v12, v44
	v_pk_min_f16 v97, v41, v4
	v_pk_add_f16 v4, v16, v44
	v_pk_min_f16 v44, v114, v6
	v_pk_add_f16 v6, v10, v38
	v_pk_max_f16 v111, v111, v111
	v_pk_max_f16 v109, v109, v109
	v_pk_min_f16 v43, v43, v4
	v_pk_add_f16 v4, v16, v38
	v_pk_min_f16 v112, v112, v6
	v_pk_add_f16 v6, v10, v40
	v_pk_max_f16 v87, v87, v87
	v_pk_min_f16 v111, v111, v119
	v_pk_min_f16 v135, v37, v4
	v_pk_add_f16 v4, v12, v40
	v_pk_min_f16 v107, v107, v6
	v_pk_add_f16 v6, v10, v34
	v_pk_min_f16 v109, v109, v120
	v_pk_max_f16 v103, v103, v103
	v_pk_min_f16 v106, v106, v4
	v_pk_add_f16 v4, v12, v34
	v_pk_min_f16 v100, v100, v6
	v_pk_add_f16 v6, v14, v34
	v_pk_min_f16 v87, v87, v101
	v_pk_min_f16 v101, v116, v8
	v_pk_add_f16 v7, v12, v38
	v_pk_add_f16 v8, v14, v38
	v_pk_min_f16 v99, v99, v4
	v_pk_add_f16 v4, v12, v36
	v_pk_min_f16 v98, v98, v6
	v_pk_add_f16 v6, v14, v36
	v_pk_min_f16 v103, v103, v118
	v_pk_max_f16 v96, v96, v96
	v_pk_min_f16 v111, v111, v7
	v_pk_min_f16 v109, v109, v8
	v_pk_add_f16 v7, v14, v40
	v_pk_add_f16 v8, v16, v40
	v_pk_min_f16 v95, v95, v4
	v_pk_add_f16 v4, v16, v36
	v_pk_min_f16 v94, v94, v6
	v_pk_add_f16 v6, v14, v30
	v_pk_min_f16 v96, v96, v117
	v_pk_max_f16 v91, v91, v91
	;; [unrolled: 10-line block ×3, first 2 shown]
	v_pk_min_f16 v137, v33, v7
	v_pk_min_f16 v96, v96, v8
	v_pk_add_f16 v7, v10, v30
	v_pk_add_f16 v8, v12, v30
	v_pk_min_f16 v139, v29, v4
	v_pk_add_f16 v4, v16, v32
	v_pk_min_f16 v88, v88, v6
	;; [unrolled: 2-line block ×3, first 2 shown]
	v_pk_min_f16 v92, v92, v7
	v_pk_min_f16 v91, v91, v8
	v_pk_add_f16 v7, v12, v32
	v_pk_add_f16 v8, v14, v32
	v_pk_min_f16 v140, v31, v4
	v_pk_add_f16 v4, v12, v26
	v_pk_min_f16 v84, v84, v6
	v_pk_add_f16 v6, v10, v28
	v_pk_min_f16 v87, v87, v7
	v_pk_min_f16 v86, v86, v8
	v_pk_add_f16 v7, v14, v26
	v_pk_add_f16 v8, v16, v26
	v_pk_min_f16 v83, v83, v4
	v_pk_add_f16 v4, v12, v28
	v_pk_min_f16 v38, v80, v6
	v_pk_add_f16 v6, v14, v28
	;; [unrolled: 8-line block ×3, first 2 shown]
	v_pk_max_f16 v58, v58, v58
	v_pk_max_f16 v56, v56, v56
	;; [unrolled: 1-line block ×3, first 2 shown]
	v_pk_min_f16 v37, v27, v7
	v_pk_min_f16 v35, v76, v8
	;; [unrolled: 1-line block ×3, first 2 shown]
	v_pk_add_f16 v4, v16, v22
	v_pk_add_f16 v7, v10, v24
	;; [unrolled: 1-line block ×3, first 2 shown]
	v_pk_min_f16 v36, v74, v6
	v_pk_add_f16 v6, v14, v24
	v_pk_max_f16 v115, v115, v115
	v_pk_max_f16 v67, v67, v67
	v_pk_min_f16 v58, v58, v65
	v_pk_min_f16 v65, v56, v69
	;; [unrolled: 1-line block ×3, first 2 shown]
	v_pk_max_f16 v13, v54, v54
	v_pk_max_f16 v17, v53, v53
	v_pk_min_f16 v33, v21, v4
	v_pk_min_f16 v32, v72, v7
	;; [unrolled: 1-line block ×3, first 2 shown]
	v_pk_add_f16 v4, v16, v24
	v_pk_min_f16 v30, v70, v6
	v_pk_add_f16 v6, v10, v3
	v_pk_add_f16 v7, v12, v3
	;; [unrolled: 1-line block ×4, first 2 shown]
	v_pk_min_f16 v115, v115, v131
	v_pk_min_f16 v67, v67, v81
	;; [unrolled: 1-line block ×6, first 2 shown]
	v_pk_add_f16 v4, v10, v5
	v_pk_min_f16 v21, v2, v3
	v_pk_add_f16 v2, v12, v5
	v_pk_add_f16 v3, v14, v5
	;; [unrolled: 1-line block ×6, first 2 shown]
	v_pk_min_f16 v108, v115, v9
	v_pk_min_f16 v27, v67, v7
	;; [unrolled: 1-line block ×6, first 2 shown]
	ds_read2_b64 v[2:5], v104 offset1:32
	ds_read2_b64 v[53:56], v122 offset1:8
	v_pk_min_f16 v26, v61, v6
	ds_read2_b64 v[6:9], v104 offset0:64 offset1:96
	v_pk_min_f16 v24, v59, v13
	v_pk_min_f16 v23, v58, v17
	;; [unrolled: 1-line block ×3, first 2 shown]
	ds_read2_b64 v[57:60], v122 offset0:16 offset1:24
	v_pk_add_f16 v13, v16, v18
	v_pk_add_f16 v10, v10, v20
	;; [unrolled: 1-line block ×5, first 2 shown]
	v_pk_min_f16 v14, v69, v13
	v_pk_min_f16 v13, v73, v10
	;; [unrolled: 1-line block ×5, first 2 shown]
	ds_read2_b64 v[61:64], v122 offset0:32 offset1:40
	ds_read2_b64 v[65:68], v122 offset0:48 offset1:56
	;; [unrolled: 1-line block ×3, first 2 shown]
	v_pk_max_f16 v44, v44, v44
	s_waitcnt lgkmcnt(5)
	v_pk_add_f16 v16, v2, v53
	v_pk_add_f16 v18, v4, v53
	;; [unrolled: 1-line block ×4, first 2 shown]
	s_waitcnt lgkmcnt(4)
	v_pk_add_f16 v75, v6, v55
	v_pk_add_f16 v76, v8, v55
	s_waitcnt lgkmcnt(3)
	v_pk_add_f16 v77, v2, v57
	v_pk_add_f16 v78, v4, v57
	;; [unrolled: 1-line block ×4, first 2 shown]
	v_pk_max_f16 v55, v85, v85
	v_pk_max_f16 v57, v89, v89
	v_pk_add_f16 v20, v6, v53
	v_pk_max_f16 v85, v93, v93
	v_pk_add_f16 v81, v2, v59
	v_pk_min_f16 v16, v55, v16
	v_pk_add_f16 v55, v5, v54
	v_pk_min_f16 v18, v57, v18
	v_pk_add_f16 v82, v4, v59
	v_pk_add_f16 v141, v6, v59
	;; [unrolled: 1-line block ×4, first 2 shown]
	v_pk_min_f16 v119, v18, v55
	v_pk_max_f16 v18, v101, v101
	v_pk_min_f16 v20, v85, v20
	v_pk_add_f16 v85, v3, v56
	v_pk_add_f16 v53, v8, v53
	;; [unrolled: 1-line block ×3, first 2 shown]
	v_pk_min_f16 v18, v18, v73
	v_pk_min_f16 v120, v16, v59
	v_pk_max_f16 v16, v97, v97
	v_pk_add_f16 v101, v3, v58
	v_pk_min_f16 v117, v20, v57
	v_pk_min_f16 v116, v18, v85
	v_pk_max_f16 v18, v112, v112
	v_pk_add_f16 v20, v9, v54
	v_pk_min_f16 v16, v16, v53
	v_pk_max_f16 v57, v108, v108
	v_pk_add_f16 v89, v5, v56
	v_pk_min_f16 v18, v18, v77
	v_pk_add_f16 v97, v9, v56
	v_pk_min_f16 v118, v16, v20
	v_pk_min_f16 v16, v57, v74
	v_pk_max_f16 v20, v43, v43
	v_pk_min_f16 v112, v18, v101
	v_pk_max_f16 v18, v109, v109
	v_pk_add_f16 v149, v7, v58
	v_pk_min_f16 v115, v16, v89
	v_pk_min_f16 v16, v20, v76
	v_pk_add_f16 v151, v3, v60
	v_pk_min_f16 v18, v18, v79
	v_pk_add_f16 v153, v7, v60
	s_waitcnt lgkmcnt(0)
	v_pk_add_f16 v76, v2, v69
	v_pk_min_f16 v113, v16, v97
	v_pk_max_f16 v16, v111, v111
	v_pk_min_f16 v109, v18, v149
	v_pk_max_f16 v18, v107, v107
	v_pk_add_f16 v77, v4, v69
	v_pk_add_f16 v79, v6, v69
	v_pk_min_f16 v16, v16, v78
	v_pk_max_f16 v78, v103, v103
	v_pk_min_f16 v18, v18, v81
	v_pk_add_f16 v143, v2, v61
	v_pk_max_f16 v73, v135, v135
	v_pk_add_f16 v108, v5, v58
	v_pk_add_f16 v150, v9, v58
	v_pk_min_f16 v107, v18, v151
	v_pk_add_f16 v18, v8, v69
	v_pk_min_f16 v69, v78, v141
	v_pk_add_f16 v155, v3, v62
	v_pk_min_f16 v73, v73, v80
	v_pk_add_f16 v145, v6, v61
	v_pk_min_f16 v111, v16, v108
	v_pk_min_f16 v103, v69, v153
	v_pk_max_f16 v69, v100, v100
	v_pk_min_f16 v108, v73, v150
	v_pk_max_f16 v73, v106, v106
	v_pk_add_f16 v144, v4, v61
	v_pk_add_f16 v146, v2, v63
	v_pk_min_f16 v69, v69, v143
	v_pk_add_f16 v157, v7, v62
	v_pk_min_f16 v73, v73, v82
	v_pk_max_f16 v82, v99, v99
	v_pk_max_f16 v85, v96, v96
	v_pk_min_f16 v100, v69, v155
	v_pk_max_f16 v69, v98, v98
	v_pk_add_f16 v156, v5, v62
	v_pk_add_f16 v158, v3, v64
	v_pk_min_f16 v82, v82, v144
	v_pk_add_f16 v61, v8, v61
	v_pk_min_f16 v69, v69, v145
	v_pk_add_f16 v148, v6, v63
	v_pk_add_f16 v147, v4, v63
	v_pk_min_f16 v99, v82, v156
	v_pk_max_f16 v82, v137, v137
	v_pk_min_f16 v98, v69, v157
	v_pk_min_f16 v69, v85, v146
	v_pk_add_f16 v63, v8, v63
	v_pk_add_f16 v160, v7, v64
	v_pk_min_f16 v61, v82, v61
	v_pk_max_f16 v82, v138, v138
	v_pk_min_f16 v96, v69, v158
	v_pk_max_f16 v69, v94, v94
	v_pk_add_f16 v93, v7, v56
	v_pk_add_f16 v159, v5, v64
	;; [unrolled: 1-line block ×3, first 2 shown]
	v_pk_min_f16 v43, v44, v75
	v_pk_min_f16 v69, v69, v148
	v_pk_add_f16 v20, v2, v65
	v_pk_min_f16 v63, v82, v63
	v_pk_add_f16 v44, v6, v65
	v_pk_min_f16 v114, v43, v93
	v_pk_min_f16 v94, v69, v160
	v_pk_max_f16 v69, v92, v92
	v_pk_add_f16 v43, v4, v65
	v_pk_min_f16 v93, v63, v64
	v_pk_max_f16 v63, v91, v91
	v_pk_max_f16 v64, v90, v90
	v_pk_min_f16 v20, v69, v20
	v_pk_add_f16 v69, v3, v66
	v_pk_add_f16 v65, v8, v65
	v_pk_min_f16 v43, v63, v43
	v_pk_add_f16 v63, v5, v66
	v_pk_min_f16 v44, v64, v44
	;; [unrolled: 2-line block ×3, first 2 shown]
	v_pk_max_f16 v69, v139, v139
	v_pk_add_f16 v74, v2, v67
	v_pk_add_f16 v16, v4, v67
	v_pk_min_f16 v91, v43, v63
	v_pk_min_f16 v90, v44, v64
	v_pk_max_f16 v63, v88, v88
	v_pk_min_f16 v64, v69, v65
	v_pk_max_f16 v65, v87, v87
	v_pk_add_f16 v75, v6, v67
	v_pk_add_f16 v67, v8, v67
	v_pk_min_f16 v63, v63, v74
	v_pk_add_f16 v74, v5, v68
	v_pk_min_f16 v16, v65, v16
	v_pk_add_f16 v65, v3, v68
	ds_read2_b64 v[53:56], v122 offset0:80 offset1:88
	v_pk_add_f16 v66, v9, v66
	v_pk_max_f16 v42, v42, v42
	v_pk_min_f16 v87, v16, v74
	v_pk_max_f16 v16, v140, v140
	v_pk_min_f16 v88, v63, v65
	v_pk_add_f16 v63, v9, v68
	v_pk_add_f16 v152, v5, v60
	;; [unrolled: 1-line block ×3, first 2 shown]
	v_pk_min_f16 v16, v16, v67
	v_pk_add_f16 v81, v6, v71
	v_pk_min_f16 v89, v64, v66
	v_pk_add_f16 v64, v7, v68
	v_pk_add_f16 v68, v7, v70
	v_pk_min_f16 v85, v16, v63
	v_pk_max_f16 v16, v41, v41
	v_pk_min_f16 v42, v42, v79
	v_pk_add_f16 v41, v9, v70
	v_pk_max_f16 v39, v39, v39
	v_pk_add_f16 v78, v2, v71
	v_pk_min_f16 v16, v16, v18
	v_pk_max_f16 v18, v40, v40
	v_pk_min_f16 v106, v73, v152
	v_pk_max_f16 v73, v136, v136
	v_pk_add_f16 v71, v8, v71
	v_pk_min_f16 v82, v42, v68
	v_pk_add_f16 v42, v5, v72
	v_pk_min_f16 v18, v18, v80
	v_pk_min_f16 v39, v39, v81
	;; [unrolled: 1-line block ×3, first 2 shown]
	v_pk_max_f16 v16, v37, v37
	v_pk_add_f16 v154, v9, v60
	v_pk_min_f16 v73, v73, v142
	v_pk_max_f16 v65, v83, v83
	v_pk_min_f16 v79, v18, v42
	v_pk_add_f16 v18, v9, v72
	v_pk_min_f16 v16, v16, v71
	ds_read2_b64 v[57:60], v122 offset0:96 offset1:104
	s_waitcnt lgkmcnt(1)
	v_pk_add_f16 v135, v2, v53
	v_pk_min_f16 v101, v73, v154
	v_pk_add_f16 v73, v4, v53
	v_pk_add_f16 v136, v6, v53
	;; [unrolled: 1-line block ×3, first 2 shown]
	v_pk_min_f16 v65, v65, v77
	v_pk_min_f16 v77, v16, v18
	v_pk_max_f16 v16, v33, v33
	v_pk_max_f16 v69, v86, v86
	v_pk_max_f16 v38, v38, v38
	v_pk_max_f16 v34, v34, v34
	v_pk_add_f16 v18, v9, v54
	v_pk_min_f16 v16, v16, v53
	v_pk_add_f16 v62, v9, v62
	v_pk_add_f16 v137, v2, v55
	;; [unrolled: 1-line block ×5, first 2 shown]
	v_pk_min_f16 v69, v69, v75
	v_pk_add_f16 v40, v3, v72
	v_pk_min_f16 v38, v38, v78
	v_pk_max_f16 v35, v35, v35
	v_pk_min_f16 v34, v34, v73
	v_pk_min_f16 v73, v16, v18
	v_pk_max_f16 v16, v29, v29
	ds_read2_b64 v[131:134], v122 offset0:112 offset1:120
	v_pk_min_f16 v97, v61, v62
	v_pk_max_f16 v61, v95, v95
	v_pk_min_f16 v86, v69, v64
	v_pk_max_f16 v64, v84, v84
	v_pk_min_f16 v80, v38, v40
	v_pk_add_f16 v37, v3, v54
	v_pk_min_f16 v35, v35, v135
	v_pk_add_f16 v38, v5, v54
	v_pk_max_f16 v31, v31, v31
	v_pk_max_f16 v30, v30, v30
	v_pk_add_f16 v18, v9, v56
	v_pk_min_f16 v16, v16, v55
	s_waitcnt lgkmcnt(1)
	v_pk_add_f16 v143, v2, v57
	v_pk_add_f16 v62, v4, v57
	;; [unrolled: 1-line block ×3, first 2 shown]
	v_pk_min_f16 v61, v61, v147
	v_pk_add_f16 v57, v8, v57
	v_pk_min_f16 v64, v64, v76
	v_pk_min_f16 v76, v35, v37
	;; [unrolled: 1-line block ×3, first 2 shown]
	v_pk_add_f16 v34, v5, v56
	v_pk_min_f16 v31, v31, v141
	v_pk_add_f16 v35, v7, v56
	v_pk_min_f16 v30, v30, v142
	v_pk_max_f16 v27, v27, v27
	v_pk_max_f16 v25, v25, v25
	v_pk_min_f16 v69, v16, v18
	v_pk_max_f16 v16, v21, v21
	v_pk_min_f16 v95, v61, v159
	v_pk_add_f16 v61, v4, v59
	v_pk_add_f16 v145, v6, v59
	v_pk_add_f16 v66, v3, v70
	v_pk_add_f16 v67, v5, v70
	v_pk_min_f16 v71, v31, v34
	v_pk_min_f16 v70, v30, v35
	v_pk_add_f16 v30, v5, v58
	v_pk_min_f16 v27, v27, v62
	v_pk_add_f16 v31, v7, v58
	;; [unrolled: 2-line block ×3, first 2 shown]
	v_pk_min_f16 v16, v16, v57
	v_pk_max_f16 v19, v19, v19
	v_pk_max_f16 v15, v15, v15
	v_pk_add_f16 v138, v2, v59
	v_pk_add_f16 v59, v8, v59
	v_pk_min_f16 v84, v64, v66
	v_pk_min_f16 v83, v65, v67
	v_pk_add_f16 v63, v7, v72
	v_pk_min_f16 v67, v27, v30
	v_pk_min_f16 v66, v25, v31
	v_pk_max_f16 v21, v22, v22
	v_pk_add_f16 v25, v5, v60
	v_pk_min_f16 v19, v19, v61
	v_pk_add_f16 v27, v7, v60
	v_pk_min_f16 v15, v15, v145
	v_pk_min_f16 v65, v16, v18
	v_pk_max_f16 v16, v26, v26
	s_waitcnt lgkmcnt(0)
	v_pk_add_f16 v146, v2, v131
	v_pk_add_f16 v20, v4, v131
	;; [unrolled: 1-line block ×8, first 2 shown]
	v_pk_min_f16 v78, v39, v63
	v_pk_max_f16 v36, v36, v36
	v_pk_max_f16 v32, v32, v32
	;; [unrolled: 1-line block ×3, first 2 shown]
	v_pk_add_f16 v22, v3, v60
	v_pk_min_f16 v21, v21, v138
	v_pk_min_f16 v63, v19, v25
	;; [unrolled: 1-line block ×3, first 2 shown]
	v_pk_add_f16 v15, v9, v60
	v_pk_max_f16 v18, v24, v24
	v_pk_min_f16 v16, v16, v59
	v_pk_max_f16 v19, v23, v23
	v_pk_max_f16 v17, v17, v17
	;; [unrolled: 1-line block ×7, first 2 shown]
	v_pk_add_f16 v39, v7, v54
	v_pk_min_f16 v36, v36, v136
	v_pk_add_f16 v33, v3, v56
	v_pk_min_f16 v32, v32, v137
	;; [unrolled: 2-line block ×3, first 2 shown]
	v_pk_min_f16 v64, v21, v22
	v_pk_add_f16 v21, v3, v132
	v_pk_min_f16 v18, v18, v146
	v_pk_add_f16 v22, v5, v132
	;; [unrolled: 2-line block ×3, first 2 shown]
	v_pk_min_f16 v17, v17, v43
	v_pk_min_f16 v61, v16, v15
	v_pk_add_f16 v15, v9, v132
	v_pk_min_f16 v14, v14, v44
	v_pk_add_f16 v3, v3, v134
	;; [unrolled: 2-line block ×5, first 2 shown]
	v_pk_min_f16 v8, v11, v8
	v_pk_min_f16 v74, v36, v39
	;; [unrolled: 1-line block ×12, first 2 shown]
	s_add_i32 s27, s27, 8
	ds_write_b16 v123, v127
	ds_write_b16 v123, v128 offset:512
	ds_write_b16 v124, v129
	ds_write_b16 v124, v130 offset:512
	s_cmp_ge_i32 s27, s26
	s_waitcnt lgkmcnt(0)
	s_barrier
	buffer_gl0_inv
	s_cbranch_scc1 .LBB269_42
.LBB269_26:                             ; =>This Inner Loop Header: Depth=1
	v_add_nc_u32_e32 v4, s27, v102
	v_add_nc_u32_e32 v5, 8, v4
	v_min_i32_e32 v2, s24, v5
	v_cmp_le_i32_e64 s3, s10, v5
	v_ashrrev_i32_e32 v3, 31, v2
	v_lshlrev_b64 v[2:3], 1, v[2:3]
	v_add_co_u32 v5, s6, s18, v2
	v_add_co_ci_u32_e64 v7, null, s19, v3, s6
	s_or_b32 s6, vcc_lo, s3
	v_cndmask_b32_e64 v6, 0, 0x7c00, s6
	s_nor_b32 s6, s25, s6
	s_and_saveexec_b32 s28, s6
	s_cbranch_execz .LBB269_28
; %bb.27:                               ;   in Loop: Header=BB269_26 Depth=1
	v_add_co_u32 v8, s6, v5, v45
	v_add_co_ci_u32_e64 v9, null, v7, v46, s6
	global_load_ushort v6, v[8:9], off
	s_waitcnt vmcnt(0)
	v_mul_f16_e32 v6, s11, v6
.LBB269_28:                             ;   in Loop: Header=BB269_26 Depth=1
	s_or_b32 exec_lo, exec_lo, s28
	s_or_b32 s6, s0, s3
	v_cndmask_b32_e64 v8, 0, 0x7c00, s6
	s_nor_b32 s6, s25, s6
	s_and_saveexec_b32 s28, s6
	s_cbranch_execz .LBB269_30
; %bb.29:                               ;   in Loop: Header=BB269_26 Depth=1
	v_add_co_u32 v8, s6, v5, v47
	v_add_co_ci_u32_e64 v9, null, v7, v48, s6
	global_load_ushort v5, v[8:9], off
	s_waitcnt vmcnt(0)
	v_mul_f16_e32 v8, s11, v5
.LBB269_30:                             ;   in Loop: Header=BB269_26 Depth=1
	s_or_b32 exec_lo, exec_lo, s28
	v_add_co_u32 v2, s6, s20, v2
	v_add_co_ci_u32_e64 v3, null, s21, v3, s6
	s_or_b32 s6, s1, s3
	v_cndmask_b32_e64 v127, 0, 0x7c00, s6
	s_nor_b32 s6, s25, s6
	s_and_saveexec_b32 s28, s6
	s_cbranch_execz .LBB269_32
; %bb.31:                               ;   in Loop: Header=BB269_26 Depth=1
	v_add_co_u32 v9, s6, v2, v49
	v_add_co_ci_u32_e64 v10, null, v3, v50, s6
	global_load_ushort v5, v[9:10], off
	s_waitcnt vmcnt(0)
	v_mul_f16_e32 v127, s11, v5
.LBB269_32:                             ;   in Loop: Header=BB269_26 Depth=1
	s_or_b32 exec_lo, exec_lo, s28
	s_or_b32 s3, s2, s3
	v_cndmask_b32_e64 v128, 0, 0x7c00, s3
	s_nor_b32 s3, s25, s3
	s_and_saveexec_b32 s6, s3
	s_cbranch_execz .LBB269_34
; %bb.33:                               ;   in Loop: Header=BB269_26 Depth=1
	v_add_co_u32 v2, s3, v2, v51
	v_add_co_ci_u32_e64 v3, null, v3, v52, s3
	global_load_ushort v2, v[2:3], off
	s_waitcnt vmcnt(0)
	v_mul_f16_e32 v128, s11, v2
.LBB269_34:                             ;   in Loop: Header=BB269_26 Depth=1
	s_or_b32 exec_lo, exec_lo, s6
	v_add_nc_u32_e32 v131, 12, v4
	ds_read2_b64 v[9:12], v125 offset1:32
	ds_read2_b64 v[13:16], v125 offset0:64 offset1:96
	ds_read2_b64 v[41:44], v126 offset1:8
	ds_read2_b64 v[37:40], v126 offset0:16 offset1:24
	ds_read2_b64 v[33:36], v126 offset0:32 offset1:40
	;; [unrolled: 1-line block ×7, first 2 shown]
	ds_write_b16 v110, v6
	v_min_i32_e32 v129, s24, v131
	v_cmp_le_i32_e64 s3, s10, v131
	ds_write_b16 v110, v8 offset:512
	ds_write_b16 v121, v127
	ds_write_b16 v121, v128 offset:512
	s_waitcnt lgkmcnt(0)
	s_barrier
	v_ashrrev_i32_e32 v130, 31, v129
	buffer_gl0_inv
	v_lshlrev_b64 v[6:7], 1, v[129:130]
	v_add_co_u32 v8, s6, s18, v6
	v_add_co_ci_u32_e64 v129, null, s19, v7, s6
	s_or_b32 s6, vcc_lo, s3
	v_cndmask_b32_e64 v127, 0, 0x7c00, s6
	s_nor_b32 s6, s25, s6
	s_and_saveexec_b32 s28, s6
	s_cbranch_execz .LBB269_36
; %bb.35:                               ;   in Loop: Header=BB269_26 Depth=1
	v_add_co_u32 v127, s6, v8, v45
	v_add_co_ci_u32_e64 v128, null, v129, v46, s6
	global_load_ushort v127, v[127:128], off
	s_waitcnt vmcnt(0)
	v_mul_f16_e32 v127, s11, v127
.LBB269_36:                             ;   in Loop: Header=BB269_26 Depth=1
	s_or_b32 exec_lo, exec_lo, s28
	s_or_b32 s6, s0, s3
	v_cndmask_b32_e64 v128, 0, 0x7c00, s6
	s_nor_b32 s6, s25, s6
	s_and_saveexec_b32 s28, s6
	s_cbranch_execz .LBB269_38
; %bb.37:                               ;   in Loop: Header=BB269_26 Depth=1
	v_add_co_u32 v128, s6, v8, v47
	v_add_co_ci_u32_e64 v129, null, v129, v48, s6
	global_load_ushort v8, v[128:129], off
	s_waitcnt vmcnt(0)
	v_mul_f16_e32 v128, s11, v8
.LBB269_38:                             ;   in Loop: Header=BB269_26 Depth=1
	s_or_b32 exec_lo, exec_lo, s28
	v_add_co_u32 v6, s6, s20, v6
	v_add_co_ci_u32_e64 v7, null, s21, v7, s6
	s_or_b32 s6, s1, s3
	v_cndmask_b32_e64 v129, 0, 0x7c00, s6
	s_nor_b32 s6, s25, s6
	s_and_saveexec_b32 s28, s6
	s_cbranch_execz .LBB269_40
; %bb.39:                               ;   in Loop: Header=BB269_26 Depth=1
	v_add_co_u32 v129, s6, v6, v49
	v_add_co_ci_u32_e64 v130, null, v7, v50, s6
	global_load_ushort v8, v[129:130], off
	s_waitcnt vmcnt(0)
	v_mul_f16_e32 v129, s11, v8
.LBB269_40:                             ;   in Loop: Header=BB269_26 Depth=1
	s_or_b32 exec_lo, exec_lo, s28
	s_or_b32 s3, s2, s3
	v_cndmask_b32_e64 v130, 0, 0x7c00, s3
	s_nor_b32 s3, s25, s3
	s_and_saveexec_b32 s6, s3
	s_cbranch_execz .LBB269_25
; %bb.41:                               ;   in Loop: Header=BB269_26 Depth=1
	v_add_co_u32 v6, s3, v6, v51
	v_add_co_ci_u32_e64 v7, null, v7, v52, s3
	global_load_ushort v6, v[6:7], off
	s_waitcnt vmcnt(0)
	v_mul_f16_e32 v130, s11, v6
	s_branch .LBB269_25
.LBB269_42:
	s_clause 0x2
	s_load_dwordx2 s[2:3], s[4:5], 0x70
	s_load_dword s6, s[4:5], 0x50
	s_load_dword s5, s[4:5], 0x68
	v_add_nc_u32_e32 v6, 0x800, v105
	v_add_nc_u32_e32 v49, s13, v1
	ds_read2_b64 v[10:13], v104 offset0:128 offset1:160
	ds_read2_b64 v[2:5], v104 offset0:192 offset1:224
	v_add_nc_u32_e32 v0, s12, v0
	ds_read2_b64 v[38:41], v6 offset0:128 offset1:136
	ds_read2_b64 v[34:37], v6 offset0:144 offset1:152
	;; [unrolled: 1-line block ×8, first 2 shown]
	v_cmp_gt_i32_e64 s4, s9, v49
	v_cndmask_b32_e64 v48, 0, 1, s23
	v_cmp_gt_i32_e64 s0, s8, v0
	v_ashrrev_i32_e32 v1, 31, v0
	s_waitcnt lgkmcnt(0)
	s_mul_i32 s1, s3, s7
	v_mad_i64_i32 v[42:43], null, v49, s6, 0
	v_mad_i64_i32 v[44:45], null, v49, s5, 0
	s_mul_hi_u32 s3, s2, s7
	s_mul_i32 s2, s2, s7
	s_add_i32 s3, s3, s1
	s_lshl_b64 s[2:3], s[2:3], 1
	v_lshlrev_b64 v[42:43], 1, v[42:43]
	v_lshlrev_b64 v[44:45], 1, v[44:45]
	s_add_u32 s7, s14, s2
	s_addc_u32 s10, s15, s3
	s_and_b32 s2, s0, s4
	v_add_co_u32 v52, vcc_lo, s16, v42
	v_add_co_ci_u32_e64 v102, null, s17, v43, vcc_lo
	v_add_co_u32 v50, vcc_lo, s7, v44
	v_add_co_ci_u32_e64 v51, null, s10, v45, vcc_lo
	s_and_saveexec_b32 s1, s2
	s_cbranch_execz .LBB269_48
; %bb.43:
	s_andn2_b32 vcc_lo, exec_lo, s23
	s_cbranch_vccnz .LBB269_46
; %bb.44:
	v_lshlrev_b64 v[42:43], 1, v[0:1]
	v_add_co_u32 v42, vcc_lo, v52, v42
	v_add_co_ci_u32_e64 v43, null, v102, v43, vcc_lo
	global_load_ushort v42, v[42:43], off
	s_waitcnt vmcnt(0)
	v_mul_f16_e32 v42, s22, v42
	v_cvt_f32_f16_e32 v42, v42
	s_branch .LBB269_47
.LBB269_45:
	s_mov_b64 s[18:19], 0
	s_andn2_b32 vcc_lo, exec_lo, s12
	s_mov_b32 s0, -1
	s_cbranch_vccz .LBB269_2
	s_branch .LBB269_3
.LBB269_46:
	v_mov_b32_e32 v42, 0
.LBB269_47:
	v_pk_add_f16 v43, v10, v38
	v_pk_add_f16 v44, v11, v39
	v_max_f16_e32 v45, v120, v120
	v_lshrrev_b32_e32 v46, 16, v120
	v_max_f32_e32 v42, v42, v42
	v_lshrrev_b32_e32 v47, 16, v43
	v_lshrrev_b32_e32 v104, 16, v44
	v_min_f16_e32 v43, v45, v43
	v_min3_f16 v45, v46, v47, v104
	v_min3_f16 v43, v43, v44, v45
	v_cvt_f32_f16_e32 v43, v43
	v_min_f32_e32 v44, v42, v43
	v_lshlrev_b64 v[42:43], 1, v[0:1]
	v_cvt_f16_f32_e32 v44, v44
	v_add_co_u32 v42, vcc_lo, v50, v42
	v_add_co_ci_u32_e64 v43, null, v51, v43, vcc_lo
	global_store_short v[42:43], v44, off
.LBB269_48:
	s_or_b32 exec_lo, exec_lo, s1
	v_add_nc_u32_e32 v42, 32, v0
	v_cmp_gt_i32_e64 s1, s8, v42
	v_ashrrev_i32_e32 v43, 31, v42
	s_and_b32 s3, s1, s4
	s_and_saveexec_b32 s2, s3
	s_cbranch_execz .LBB269_53
; %bb.49:
	v_cmp_ne_u32_e32 vcc_lo, 1, v48
	s_cbranch_vccnz .LBB269_51
; %bb.50:
	v_lshlrev_b64 v[44:45], 1, v[42:43]
	v_add_co_u32 v44, vcc_lo, v52, v44
	v_add_co_ci_u32_e64 v45, null, v102, v45, vcc_lo
	global_load_ushort v44, v[44:45], off
	s_waitcnt vmcnt(0)
	v_mul_f16_e32 v44, s22, v44
	v_cvt_f32_f16_e32 v44, v44
	s_branch .LBB269_52
.LBB269_51:
	v_mov_b32_e32 v44, 0
.LBB269_52:
	v_pk_add_f16 v45, v12, v38
	v_pk_add_f16 v46, v13, v39
	v_max_f16_e32 v47, v119, v119
	v_lshrrev_b32_e32 v104, 16, v119
	v_max_f32_e32 v44, v44, v44
	v_lshrrev_b32_e32 v105, 16, v45
	v_lshrrev_b32_e32 v110, 16, v46
	v_min_f16_e32 v45, v47, v45
	v_min3_f16 v47, v104, v105, v110
	v_min3_f16 v45, v45, v46, v47
	v_cvt_f32_f16_e32 v45, v45
	v_min_f32_e32 v46, v44, v45
	v_lshlrev_b64 v[44:45], 1, v[42:43]
	v_cvt_f16_f32_e32 v46, v46
	v_add_co_u32 v44, vcc_lo, v50, v44
	v_add_co_ci_u32_e64 v45, null, v51, v45, vcc_lo
	global_store_short v[44:45], v46, off
.LBB269_53:
	s_or_b32 exec_lo, exec_lo, s2
	v_add_nc_u32_e32 v44, 64, v0
	v_cmp_gt_i32_e64 s2, s8, v44
	v_ashrrev_i32_e32 v45, 31, v44
	s_and_b32 s11, s2, s4
	s_and_saveexec_b32 s3, s11
	s_cbranch_execz .LBB269_58
; %bb.54:
	v_cmp_ne_u32_e32 vcc_lo, 1, v48
	s_cbranch_vccnz .LBB269_56
; %bb.55:
	v_lshlrev_b64 v[46:47], 1, v[44:45]
	v_add_co_u32 v46, vcc_lo, v52, v46
	v_add_co_ci_u32_e64 v47, null, v102, v47, vcc_lo
	global_load_ushort v46, v[46:47], off
	s_waitcnt vmcnt(0)
	v_mul_f16_e32 v46, s22, v46
	v_cvt_f32_f16_e32 v46, v46
	s_branch .LBB269_57
.LBB269_56:
	v_mov_b32_e32 v46, 0
.LBB269_57:
	v_pk_add_f16 v47, v2, v38
	v_pk_add_f16 v104, v3, v39
	v_max_f16_e32 v105, v117, v117
	v_lshrrev_b32_e32 v110, 16, v117
	v_max_f32_e32 v46, v46, v46
	v_lshrrev_b32_e32 v117, 16, v47
	v_lshrrev_b32_e32 v119, 16, v104
	v_min_f16_e32 v47, v105, v47
	v_min3_f16 v105, v110, v117, v119
	v_min3_f16 v47, v47, v104, v105
	v_cvt_f32_f16_e32 v47, v47
	v_min_f32_e32 v104, v46, v47
	v_lshlrev_b64 v[46:47], 1, v[44:45]
	v_cvt_f16_f32_e32 v104, v104
	v_add_co_u32 v46, vcc_lo, v50, v46
	v_add_co_ci_u32_e64 v47, null, v51, v47, vcc_lo
	global_store_short v[46:47], v104, off
.LBB269_58:
	s_or_b32 exec_lo, exec_lo, s3
	v_add_nc_u32_e32 v46, 0x60, v0
	v_cmp_gt_i32_e64 s3, s8, v46
	v_ashrrev_i32_e32 v47, 31, v46
	s_and_b32 s8, s3, s4
	s_and_saveexec_b32 s4, s8
	s_cbranch_execz .LBB269_63
; %bb.59:
	v_cmp_ne_u32_e32 vcc_lo, 1, v48
	s_cbranch_vccnz .LBB269_61
; %bb.60:
	v_lshlrev_b64 v[104:105], 1, v[46:47]
	v_add_co_u32 v104, vcc_lo, v52, v104
	v_add_co_ci_u32_e64 v105, null, v102, v105, vcc_lo
	global_load_ushort v52, v[104:105], off
	s_waitcnt vmcnt(0)
	v_mul_f16_e32 v52, s22, v52
	v_cvt_f32_f16_e32 v52, v52
	s_branch .LBB269_62
.LBB269_61:
	v_mov_b32_e32 v52, 0
.LBB269_62:
	v_pk_add_f16 v38, v4, v38
	v_pk_add_f16 v39, v5, v39
	v_max_f16_e32 v102, v118, v118
	v_lshrrev_b32_e32 v104, 16, v118
	v_lshrrev_b32_e32 v105, 16, v38
	;; [unrolled: 1-line block ×3, first 2 shown]
	v_min_f16_e32 v38, v102, v38
	v_min3_f16 v102, v104, v105, v110
	v_min3_f16 v38, v38, v39, v102
	v_max_f32_e32 v39, v52, v52
	v_cvt_f32_f16_e32 v38, v38
	v_min_f32_e32 v52, v39, v38
	v_lshlrev_b64 v[38:39], 1, v[46:47]
	v_cvt_f16_f32_e32 v52, v52
	v_add_co_u32 v38, vcc_lo, v50, v38
	v_add_co_ci_u32_e64 v39, null, v51, v39, vcc_lo
	global_store_short v[38:39], v52, off
.LBB269_63:
	s_or_b32 exec_lo, exec_lo, s4
	v_add_nc_u32_e32 v52, 8, v49
	v_mad_i64_i32 v[38:39], null, v52, s6, 0
	v_mad_i64_i32 v[50:51], null, v52, s5, 0
	v_cmp_gt_i32_e64 s4, s9, v52
	v_lshlrev_b64 v[38:39], 1, v[38:39]
	s_and_b32 s11, s0, s4
	v_lshlrev_b64 v[104:105], 1, v[50:51]
	v_add_co_u32 v50, vcc_lo, s16, v38
	v_add_co_ci_u32_e64 v51, null, s17, v39, vcc_lo
	v_add_co_u32 v38, vcc_lo, s7, v104
	v_add_co_ci_u32_e64 v39, null, s10, v105, vcc_lo
	s_and_saveexec_b32 s8, s11
	s_cbranch_execnz .LBB269_67
; %bb.64:
	s_or_b32 exec_lo, exec_lo, s8
	s_and_b32 s11, s1, s4
	s_and_saveexec_b32 s8, s11
	s_cbranch_execnz .LBB269_71
.LBB269_65:
	s_or_b32 exec_lo, exec_lo, s8
	s_and_b32 s11, s2, s4
	s_and_saveexec_b32 s8, s11
	s_cbranch_execnz .LBB269_75
.LBB269_66:
	s_or_b32 exec_lo, exec_lo, s8
	s_and_b32 s8, s3, s4
	s_and_saveexec_b32 s4, s8
	s_cbranch_execnz .LBB269_79
	s_branch .LBB269_83
.LBB269_67:
	v_cmp_ne_u32_e32 vcc_lo, 1, v48
	s_cbranch_vccnz .LBB269_69
; %bb.68:
	v_lshlrev_b64 v[104:105], 1, v[0:1]
	v_add_co_u32 v104, vcc_lo, v50, v104
	v_add_co_ci_u32_e64 v105, null, v51, v105, vcc_lo
	global_load_ushort v52, v[104:105], off
	s_waitcnt vmcnt(0)
	v_mul_f16_e32 v52, s22, v52
	v_cvt_f32_f16_e32 v52, v52
	s_branch .LBB269_70
.LBB269_69:
	v_mov_b32_e32 v52, 0
.LBB269_70:
	v_pk_add_f16 v102, v10, v40
	v_pk_add_f16 v104, v11, v41
	v_max_f16_e32 v105, v116, v116
	v_lshrrev_b32_e32 v110, 16, v116
	v_max_f32_e32 v52, v52, v52
	v_lshrrev_b32_e32 v116, 16, v102
	v_lshrrev_b32_e32 v117, 16, v104
	v_min_f16_e32 v102, v105, v102
	v_min3_f16 v105, v110, v116, v117
	v_min3_f16 v102, v102, v104, v105
	v_lshlrev_b64 v[104:105], 1, v[0:1]
	v_cvt_f32_f16_e32 v102, v102
	v_add_co_u32 v104, vcc_lo, v38, v104
	v_add_co_ci_u32_e64 v105, null, v39, v105, vcc_lo
	v_min_f32_e32 v52, v52, v102
	v_cvt_f16_f32_e32 v52, v52
	global_store_short v[104:105], v52, off
	s_or_b32 exec_lo, exec_lo, s8
	s_and_b32 s11, s1, s4
	s_and_saveexec_b32 s8, s11
	s_cbranch_execz .LBB269_65
.LBB269_71:
	v_cmp_ne_u32_e32 vcc_lo, 1, v48
	s_cbranch_vccnz .LBB269_73
; %bb.72:
	v_lshlrev_b64 v[104:105], 1, v[42:43]
	v_add_co_u32 v104, vcc_lo, v50, v104
	v_add_co_ci_u32_e64 v105, null, v51, v105, vcc_lo
	global_load_ushort v52, v[104:105], off
	s_waitcnt vmcnt(0)
	v_mul_f16_e32 v52, s22, v52
	v_cvt_f32_f16_e32 v52, v52
	s_branch .LBB269_74
.LBB269_73:
	v_mov_b32_e32 v52, 0
.LBB269_74:
	v_pk_add_f16 v102, v12, v40
	v_pk_add_f16 v104, v13, v41
	v_max_f16_e32 v105, v115, v115
	v_lshrrev_b32_e32 v110, 16, v115
	v_max_f32_e32 v52, v52, v52
	v_lshrrev_b32_e32 v115, 16, v102
	v_lshrrev_b32_e32 v116, 16, v104
	v_min_f16_e32 v102, v105, v102
	v_min3_f16 v105, v110, v115, v116
	v_min3_f16 v102, v102, v104, v105
	v_lshlrev_b64 v[104:105], 1, v[42:43]
	v_cvt_f32_f16_e32 v102, v102
	v_add_co_u32 v104, vcc_lo, v38, v104
	v_add_co_ci_u32_e64 v105, null, v39, v105, vcc_lo
	v_min_f32_e32 v52, v52, v102
	v_cvt_f16_f32_e32 v52, v52
	global_store_short v[104:105], v52, off
	s_or_b32 exec_lo, exec_lo, s8
	s_and_b32 s11, s2, s4
	s_and_saveexec_b32 s8, s11
	s_cbranch_execz .LBB269_66
.LBB269_75:
	v_cmp_ne_u32_e32 vcc_lo, 1, v48
	s_cbranch_vccnz .LBB269_77
; %bb.76:
	v_lshlrev_b64 v[104:105], 1, v[44:45]
	v_add_co_u32 v104, vcc_lo, v50, v104
	v_add_co_ci_u32_e64 v105, null, v51, v105, vcc_lo
	global_load_ushort v52, v[104:105], off
	s_waitcnt vmcnt(0)
	v_mul_f16_e32 v52, s22, v52
	v_cvt_f32_f16_e32 v52, v52
	s_branch .LBB269_78
.LBB269_77:
	v_mov_b32_e32 v52, 0
.LBB269_78:
	v_pk_add_f16 v102, v2, v40
	v_pk_add_f16 v104, v3, v41
	v_max_f16_e32 v105, v114, v114
	v_lshrrev_b32_e32 v110, 16, v114
	v_max_f32_e32 v52, v52, v52
	v_lshrrev_b32_e32 v114, 16, v102
	v_lshrrev_b32_e32 v115, 16, v104
	v_min_f16_e32 v102, v105, v102
	v_min3_f16 v105, v110, v114, v115
	v_min3_f16 v102, v102, v104, v105
	v_lshlrev_b64 v[104:105], 1, v[44:45]
	v_cvt_f32_f16_e32 v102, v102
	v_add_co_u32 v104, vcc_lo, v38, v104
	v_add_co_ci_u32_e64 v105, null, v39, v105, vcc_lo
	v_min_f32_e32 v52, v52, v102
	v_cvt_f16_f32_e32 v52, v52
	global_store_short v[104:105], v52, off
	s_or_b32 exec_lo, exec_lo, s8
	s_and_b32 s8, s3, s4
	s_and_saveexec_b32 s4, s8
	s_cbranch_execz .LBB269_83
.LBB269_79:
	v_cmp_ne_u32_e32 vcc_lo, 1, v48
	s_cbranch_vccnz .LBB269_81
; %bb.80:
	v_lshlrev_b64 v[104:105], 1, v[46:47]
	v_add_co_u32 v50, vcc_lo, v50, v104
	v_add_co_ci_u32_e64 v51, null, v51, v105, vcc_lo
	global_load_ushort v50, v[50:51], off
	s_waitcnt vmcnt(0)
	v_mul_f16_e32 v50, s22, v50
	v_cvt_f32_f16_e32 v50, v50
	s_branch .LBB269_82
.LBB269_81:
	v_mov_b32_e32 v50, 0
.LBB269_82:
	v_pk_add_f16 v40, v4, v40
	v_pk_add_f16 v41, v5, v41
	v_max_f16_e32 v51, v113, v113
	v_lshrrev_b32_e32 v52, 16, v113
	v_lshrrev_b32_e32 v102, 16, v40
	v_lshrrev_b32_e32 v104, 16, v41
	v_min_f16_e32 v40, v51, v40
	v_min3_f16 v51, v52, v102, v104
	v_min3_f16 v40, v40, v41, v51
	v_max_f32_e32 v41, v50, v50
	v_cvt_f32_f16_e32 v40, v40
	v_min_f32_e32 v50, v41, v40
	v_lshlrev_b64 v[40:41], 1, v[46:47]
	v_cvt_f16_f32_e32 v50, v50
	v_add_co_u32 v38, vcc_lo, v38, v40
	v_add_co_ci_u32_e64 v39, null, v39, v41, vcc_lo
	global_store_short v[38:39], v50, off
.LBB269_83:
	s_or_b32 exec_lo, exec_lo, s4
	v_add_nc_u32_e32 v50, 16, v49
	v_mad_i64_i32 v[38:39], null, v50, s6, 0
	v_mad_i64_i32 v[40:41], null, v50, s5, 0
	v_cmp_gt_i32_e64 s4, s9, v50
	v_lshlrev_b64 v[38:39], 1, v[38:39]
	s_and_b32 s11, s0, s4
	v_lshlrev_b64 v[50:51], 1, v[40:41]
	v_add_co_u32 v40, vcc_lo, s16, v38
	v_add_co_ci_u32_e64 v41, null, s17, v39, vcc_lo
	v_add_co_u32 v38, vcc_lo, s7, v50
	v_add_co_ci_u32_e64 v39, null, s10, v51, vcc_lo
	s_and_saveexec_b32 s8, s11
	s_cbranch_execnz .LBB269_87
; %bb.84:
	s_or_b32 exec_lo, exec_lo, s8
	s_and_b32 s11, s1, s4
	s_and_saveexec_b32 s8, s11
	s_cbranch_execnz .LBB269_91
.LBB269_85:
	s_or_b32 exec_lo, exec_lo, s8
	s_and_b32 s11, s2, s4
	s_and_saveexec_b32 s8, s11
	s_cbranch_execnz .LBB269_95
.LBB269_86:
	s_or_b32 exec_lo, exec_lo, s8
	s_and_b32 s8, s3, s4
	s_and_saveexec_b32 s4, s8
	s_cbranch_execnz .LBB269_99
	s_branch .LBB269_103
.LBB269_87:
	v_cmp_ne_u32_e32 vcc_lo, 1, v48
	s_cbranch_vccnz .LBB269_89
; %bb.88:
	v_lshlrev_b64 v[50:51], 1, v[0:1]
	v_add_co_u32 v50, vcc_lo, v40, v50
	v_add_co_ci_u32_e64 v51, null, v41, v51, vcc_lo
	global_load_ushort v50, v[50:51], off
	s_waitcnt vmcnt(0)
	v_mul_f16_e32 v50, s22, v50
	v_cvt_f32_f16_e32 v50, v50
	s_branch .LBB269_90
.LBB269_89:
	v_mov_b32_e32 v50, 0
.LBB269_90:
	v_pk_add_f16 v51, v10, v34
	v_pk_add_f16 v52, v11, v35
	v_max_f16_e32 v102, v112, v112
	v_lshrrev_b32_e32 v104, 16, v112
	v_max_f32_e32 v50, v50, v50
	v_lshrrev_b32_e32 v105, 16, v51
	v_lshrrev_b32_e32 v110, 16, v52
	v_min_f16_e32 v51, v102, v51
	v_min3_f16 v102, v104, v105, v110
	v_min3_f16 v51, v51, v52, v102
	v_cvt_f32_f16_e32 v51, v51
	v_min_f32_e32 v52, v50, v51
	v_lshlrev_b64 v[50:51], 1, v[0:1]
	v_cvt_f16_f32_e32 v52, v52
	v_add_co_u32 v50, vcc_lo, v38, v50
	v_add_co_ci_u32_e64 v51, null, v39, v51, vcc_lo
	global_store_short v[50:51], v52, off
	s_or_b32 exec_lo, exec_lo, s8
	s_and_b32 s11, s1, s4
	s_and_saveexec_b32 s8, s11
	s_cbranch_execz .LBB269_85
.LBB269_91:
	v_cmp_ne_u32_e32 vcc_lo, 1, v48
	s_cbranch_vccnz .LBB269_93
; %bb.92:
	v_lshlrev_b64 v[50:51], 1, v[42:43]
	v_add_co_u32 v50, vcc_lo, v40, v50
	v_add_co_ci_u32_e64 v51, null, v41, v51, vcc_lo
	global_load_ushort v50, v[50:51], off
	s_waitcnt vmcnt(0)
	v_mul_f16_e32 v50, s22, v50
	v_cvt_f32_f16_e32 v50, v50
	s_branch .LBB269_94
.LBB269_93:
	v_mov_b32_e32 v50, 0
.LBB269_94:
	v_pk_add_f16 v51, v12, v34
	v_pk_add_f16 v52, v13, v35
	v_max_f16_e32 v102, v111, v111
	v_lshrrev_b32_e32 v104, 16, v111
	v_max_f32_e32 v50, v50, v50
	v_lshrrev_b32_e32 v105, 16, v51
	v_lshrrev_b32_e32 v110, 16, v52
	v_min_f16_e32 v51, v102, v51
	v_min3_f16 v102, v104, v105, v110
	v_min3_f16 v51, v51, v52, v102
	v_cvt_f32_f16_e32 v51, v51
	v_min_f32_e32 v52, v50, v51
	v_lshlrev_b64 v[50:51], 1, v[42:43]
	v_cvt_f16_f32_e32 v52, v52
	v_add_co_u32 v50, vcc_lo, v38, v50
	v_add_co_ci_u32_e64 v51, null, v39, v51, vcc_lo
	global_store_short v[50:51], v52, off
	s_or_b32 exec_lo, exec_lo, s8
	s_and_b32 s11, s2, s4
	s_and_saveexec_b32 s8, s11
	s_cbranch_execz .LBB269_86
.LBB269_95:
	v_cmp_ne_u32_e32 vcc_lo, 1, v48
	s_cbranch_vccnz .LBB269_97
; %bb.96:
	v_lshlrev_b64 v[50:51], 1, v[44:45]
	v_add_co_u32 v50, vcc_lo, v40, v50
	v_add_co_ci_u32_e64 v51, null, v41, v51, vcc_lo
	global_load_ushort v50, v[50:51], off
	s_waitcnt vmcnt(0)
	v_mul_f16_e32 v50, s22, v50
	v_cvt_f32_f16_e32 v50, v50
	s_branch .LBB269_98
.LBB269_97:
	v_mov_b32_e32 v50, 0
.LBB269_98:
	v_pk_add_f16 v51, v2, v34
	v_pk_add_f16 v52, v3, v35
	v_max_f16_e32 v102, v109, v109
	v_lshrrev_b32_e32 v104, 16, v109
	v_max_f32_e32 v50, v50, v50
	v_lshrrev_b32_e32 v105, 16, v51
	v_lshrrev_b32_e32 v109, 16, v52
	v_min_f16_e32 v51, v102, v51
	v_min3_f16 v102, v104, v105, v109
	v_min3_f16 v51, v51, v52, v102
	v_cvt_f32_f16_e32 v51, v51
	v_min_f32_e32 v52, v50, v51
	v_lshlrev_b64 v[50:51], 1, v[44:45]
	v_cvt_f16_f32_e32 v52, v52
	v_add_co_u32 v50, vcc_lo, v38, v50
	v_add_co_ci_u32_e64 v51, null, v39, v51, vcc_lo
	global_store_short v[50:51], v52, off
	s_or_b32 exec_lo, exec_lo, s8
	s_and_b32 s8, s3, s4
	s_and_saveexec_b32 s4, s8
	s_cbranch_execz .LBB269_103
.LBB269_99:
	v_cmp_ne_u32_e32 vcc_lo, 1, v48
	s_cbranch_vccnz .LBB269_101
; %bb.100:
	v_lshlrev_b64 v[50:51], 1, v[46:47]
	v_add_co_u32 v40, vcc_lo, v40, v50
	v_add_co_ci_u32_e64 v41, null, v41, v51, vcc_lo
	global_load_ushort v40, v[40:41], off
	s_waitcnt vmcnt(0)
	v_mul_f16_e32 v40, s22, v40
	v_cvt_f32_f16_e32 v40, v40
	s_branch .LBB269_102
.LBB269_101:
	v_mov_b32_e32 v40, 0
.LBB269_102:
	v_pk_add_f16 v34, v4, v34
	v_pk_add_f16 v35, v5, v35
	v_max_f16_e32 v41, v108, v108
	v_lshrrev_b32_e32 v50, 16, v108
	v_lshrrev_b32_e32 v51, 16, v34
	;; [unrolled: 1-line block ×3, first 2 shown]
	v_min_f16_e32 v34, v41, v34
	v_min3_f16 v41, v50, v51, v52
	v_min3_f16 v34, v34, v35, v41
	v_max_f32_e32 v35, v40, v40
	v_cvt_f32_f16_e32 v34, v34
	v_min_f32_e32 v40, v35, v34
	v_lshlrev_b64 v[34:35], 1, v[46:47]
	v_cvt_f16_f32_e32 v40, v40
	v_add_co_u32 v34, vcc_lo, v38, v34
	v_add_co_ci_u32_e64 v35, null, v39, v35, vcc_lo
	global_store_short v[34:35], v40, off
.LBB269_103:
	s_or_b32 exec_lo, exec_lo, s4
	v_add_nc_u32_e32 v40, 24, v49
	v_mad_i64_i32 v[34:35], null, v40, s6, 0
	v_mad_i64_i32 v[38:39], null, v40, s5, 0
	v_cmp_gt_i32_e64 s4, s9, v40
	v_lshlrev_b64 v[34:35], 1, v[34:35]
	s_and_b32 s11, s0, s4
	v_lshlrev_b64 v[40:41], 1, v[38:39]
	v_add_co_u32 v38, vcc_lo, s16, v34
	v_add_co_ci_u32_e64 v39, null, s17, v35, vcc_lo
	v_add_co_u32 v34, vcc_lo, s7, v40
	v_add_co_ci_u32_e64 v35, null, s10, v41, vcc_lo
	s_and_saveexec_b32 s8, s11
	s_cbranch_execnz .LBB269_107
; %bb.104:
	s_or_b32 exec_lo, exec_lo, s8
	s_and_b32 s11, s1, s4
	s_and_saveexec_b32 s8, s11
	s_cbranch_execnz .LBB269_111
.LBB269_105:
	s_or_b32 exec_lo, exec_lo, s8
	s_and_b32 s11, s2, s4
	s_and_saveexec_b32 s8, s11
	s_cbranch_execnz .LBB269_115
.LBB269_106:
	s_or_b32 exec_lo, exec_lo, s8
	s_and_b32 s8, s3, s4
	s_and_saveexec_b32 s4, s8
	s_cbranch_execnz .LBB269_119
	s_branch .LBB269_123
.LBB269_107:
	v_cmp_ne_u32_e32 vcc_lo, 1, v48
	s_cbranch_vccnz .LBB269_109
; %bb.108:
	v_lshlrev_b64 v[40:41], 1, v[0:1]
	v_add_co_u32 v40, vcc_lo, v38, v40
	v_add_co_ci_u32_e64 v41, null, v39, v41, vcc_lo
	global_load_ushort v40, v[40:41], off
	s_waitcnt vmcnt(0)
	v_mul_f16_e32 v40, s22, v40
	v_cvt_f32_f16_e32 v40, v40
	s_branch .LBB269_110
.LBB269_109:
	v_mov_b32_e32 v40, 0
.LBB269_110:
	v_pk_add_f16 v41, v10, v36
	v_pk_add_f16 v50, v11, v37
	v_max_f16_e32 v51, v107, v107
	v_lshrrev_b32_e32 v52, 16, v107
	v_max_f32_e32 v40, v40, v40
	v_lshrrev_b32_e32 v102, 16, v41
	v_lshrrev_b32_e32 v104, 16, v50
	v_min_f16_e32 v41, v51, v41
	v_min3_f16 v51, v52, v102, v104
	v_min3_f16 v41, v41, v50, v51
	v_cvt_f32_f16_e32 v41, v41
	v_min_f32_e32 v50, v40, v41
	v_lshlrev_b64 v[40:41], 1, v[0:1]
	v_cvt_f16_f32_e32 v50, v50
	v_add_co_u32 v40, vcc_lo, v34, v40
	v_add_co_ci_u32_e64 v41, null, v35, v41, vcc_lo
	global_store_short v[40:41], v50, off
	s_or_b32 exec_lo, exec_lo, s8
	s_and_b32 s11, s1, s4
	s_and_saveexec_b32 s8, s11
	s_cbranch_execz .LBB269_105
.LBB269_111:
	v_cmp_ne_u32_e32 vcc_lo, 1, v48
	s_cbranch_vccnz .LBB269_113
; %bb.112:
	v_lshlrev_b64 v[40:41], 1, v[42:43]
	v_add_co_u32 v40, vcc_lo, v38, v40
	v_add_co_ci_u32_e64 v41, null, v39, v41, vcc_lo
	global_load_ushort v40, v[40:41], off
	s_waitcnt vmcnt(0)
	v_mul_f16_e32 v40, s22, v40
	v_cvt_f32_f16_e32 v40, v40
	s_branch .LBB269_114
.LBB269_113:
	v_mov_b32_e32 v40, 0
.LBB269_114:
	v_pk_add_f16 v41, v12, v36
	v_pk_add_f16 v50, v13, v37
	v_max_f16_e32 v51, v106, v106
	v_lshrrev_b32_e32 v52, 16, v106
	v_max_f32_e32 v40, v40, v40
	v_lshrrev_b32_e32 v102, 16, v41
	v_lshrrev_b32_e32 v104, 16, v50
	v_min_f16_e32 v41, v51, v41
	v_min3_f16 v51, v52, v102, v104
	v_min3_f16 v41, v41, v50, v51
	v_cvt_f32_f16_e32 v41, v41
	v_min_f32_e32 v50, v40, v41
	v_lshlrev_b64 v[40:41], 1, v[42:43]
	v_cvt_f16_f32_e32 v50, v50
	v_add_co_u32 v40, vcc_lo, v34, v40
	v_add_co_ci_u32_e64 v41, null, v35, v41, vcc_lo
	global_store_short v[40:41], v50, off
	s_or_b32 exec_lo, exec_lo, s8
	s_and_b32 s11, s2, s4
	s_and_saveexec_b32 s8, s11
	s_cbranch_execz .LBB269_106
.LBB269_115:
	v_cmp_ne_u32_e32 vcc_lo, 1, v48
	s_cbranch_vccnz .LBB269_117
; %bb.116:
	v_lshlrev_b64 v[40:41], 1, v[44:45]
	v_add_co_u32 v40, vcc_lo, v38, v40
	v_add_co_ci_u32_e64 v41, null, v39, v41, vcc_lo
	global_load_ushort v40, v[40:41], off
	s_waitcnt vmcnt(0)
	v_mul_f16_e32 v40, s22, v40
	v_cvt_f32_f16_e32 v40, v40
	s_branch .LBB269_118
.LBB269_117:
	v_mov_b32_e32 v40, 0
.LBB269_118:
	v_pk_add_f16 v41, v2, v36
	v_pk_add_f16 v50, v3, v37
	v_max_f16_e32 v51, v103, v103
	v_lshrrev_b32_e32 v52, 16, v103
	v_max_f32_e32 v40, v40, v40
	v_lshrrev_b32_e32 v102, 16, v41
	v_lshrrev_b32_e32 v103, 16, v50
	v_min_f16_e32 v41, v51, v41
	v_min3_f16 v51, v52, v102, v103
	v_min3_f16 v41, v41, v50, v51
	v_cvt_f32_f16_e32 v41, v41
	v_min_f32_e32 v50, v40, v41
	v_lshlrev_b64 v[40:41], 1, v[44:45]
	v_cvt_f16_f32_e32 v50, v50
	v_add_co_u32 v40, vcc_lo, v34, v40
	v_add_co_ci_u32_e64 v41, null, v35, v41, vcc_lo
	global_store_short v[40:41], v50, off
	s_or_b32 exec_lo, exec_lo, s8
	s_and_b32 s8, s3, s4
	s_and_saveexec_b32 s4, s8
	s_cbranch_execz .LBB269_123
.LBB269_119:
	v_cmp_ne_u32_e32 vcc_lo, 1, v48
	s_cbranch_vccnz .LBB269_121
; %bb.120:
	v_lshlrev_b64 v[40:41], 1, v[46:47]
	v_add_co_u32 v38, vcc_lo, v38, v40
	v_add_co_ci_u32_e64 v39, null, v39, v41, vcc_lo
	global_load_ushort v38, v[38:39], off
	s_waitcnt vmcnt(0)
	v_mul_f16_e32 v38, s22, v38
	v_cvt_f32_f16_e32 v38, v38
	s_branch .LBB269_122
.LBB269_121:
	v_mov_b32_e32 v38, 0
.LBB269_122:
	v_pk_add_f16 v36, v4, v36
	v_pk_add_f16 v37, v5, v37
	v_max_f16_e32 v39, v101, v101
	v_lshrrev_b32_e32 v40, 16, v101
	v_lshrrev_b32_e32 v41, 16, v36
	;; [unrolled: 1-line block ×3, first 2 shown]
	v_min_f16_e32 v36, v39, v36
	v_min3_f16 v39, v40, v41, v50
	v_min3_f16 v36, v36, v37, v39
	v_max_f32_e32 v37, v38, v38
	v_cvt_f32_f16_e32 v36, v36
	v_min_f32_e32 v38, v37, v36
	v_lshlrev_b64 v[36:37], 1, v[46:47]
	v_cvt_f16_f32_e32 v38, v38
	v_add_co_u32 v34, vcc_lo, v34, v36
	v_add_co_ci_u32_e64 v35, null, v35, v37, vcc_lo
	global_store_short v[34:35], v38, off
.LBB269_123:
	s_or_b32 exec_lo, exec_lo, s4
	v_add_nc_u32_e32 v38, 32, v49
	v_mad_i64_i32 v[34:35], null, v38, s6, 0
	v_mad_i64_i32 v[36:37], null, v38, s5, 0
	v_cmp_gt_i32_e64 s4, s9, v38
	v_lshlrev_b64 v[34:35], 1, v[34:35]
	s_and_b32 s11, s0, s4
	v_lshlrev_b64 v[38:39], 1, v[36:37]
	v_add_co_u32 v36, vcc_lo, s16, v34
	v_add_co_ci_u32_e64 v37, null, s17, v35, vcc_lo
	v_add_co_u32 v34, vcc_lo, s7, v38
	v_add_co_ci_u32_e64 v35, null, s10, v39, vcc_lo
	s_and_saveexec_b32 s8, s11
	s_cbranch_execnz .LBB269_127
; %bb.124:
	s_or_b32 exec_lo, exec_lo, s8
	s_and_b32 s11, s1, s4
	s_and_saveexec_b32 s8, s11
	s_cbranch_execnz .LBB269_131
.LBB269_125:
	s_or_b32 exec_lo, exec_lo, s8
	s_and_b32 s11, s2, s4
	s_and_saveexec_b32 s8, s11
	s_cbranch_execnz .LBB269_135
.LBB269_126:
	s_or_b32 exec_lo, exec_lo, s8
	s_and_b32 s8, s3, s4
	s_and_saveexec_b32 s4, s8
	s_cbranch_execnz .LBB269_139
	s_branch .LBB269_143
.LBB269_127:
	v_cmp_ne_u32_e32 vcc_lo, 1, v48
	s_cbranch_vccnz .LBB269_129
; %bb.128:
	v_lshlrev_b64 v[38:39], 1, v[0:1]
	v_add_co_u32 v38, vcc_lo, v36, v38
	v_add_co_ci_u32_e64 v39, null, v37, v39, vcc_lo
	global_load_ushort v38, v[38:39], off
	s_waitcnt vmcnt(0)
	v_mul_f16_e32 v38, s22, v38
	v_cvt_f32_f16_e32 v38, v38
	s_branch .LBB269_130
.LBB269_129:
	v_mov_b32_e32 v38, 0
.LBB269_130:
	v_pk_add_f16 v39, v10, v30
	v_pk_add_f16 v40, v11, v31
	v_max_f16_e32 v41, v100, v100
	v_lshrrev_b32_e32 v50, 16, v100
	v_max_f32_e32 v38, v38, v38
	v_lshrrev_b32_e32 v51, 16, v39
	v_lshrrev_b32_e32 v52, 16, v40
	v_min_f16_e32 v39, v41, v39
	v_min3_f16 v41, v50, v51, v52
	v_min3_f16 v39, v39, v40, v41
	v_cvt_f32_f16_e32 v39, v39
	v_min_f32_e32 v40, v38, v39
	v_lshlrev_b64 v[38:39], 1, v[0:1]
	v_cvt_f16_f32_e32 v40, v40
	v_add_co_u32 v38, vcc_lo, v34, v38
	v_add_co_ci_u32_e64 v39, null, v35, v39, vcc_lo
	global_store_short v[38:39], v40, off
	s_or_b32 exec_lo, exec_lo, s8
	s_and_b32 s11, s1, s4
	s_and_saveexec_b32 s8, s11
	s_cbranch_execz .LBB269_125
.LBB269_131:
	v_cmp_ne_u32_e32 vcc_lo, 1, v48
	s_cbranch_vccnz .LBB269_133
; %bb.132:
	v_lshlrev_b64 v[38:39], 1, v[42:43]
	v_add_co_u32 v38, vcc_lo, v36, v38
	v_add_co_ci_u32_e64 v39, null, v37, v39, vcc_lo
	global_load_ushort v38, v[38:39], off
	s_waitcnt vmcnt(0)
	v_mul_f16_e32 v38, s22, v38
	v_cvt_f32_f16_e32 v38, v38
	s_branch .LBB269_134
.LBB269_133:
	v_mov_b32_e32 v38, 0
.LBB269_134:
	v_pk_add_f16 v39, v12, v30
	v_pk_add_f16 v40, v13, v31
	v_max_f16_e32 v41, v99, v99
	v_lshrrev_b32_e32 v50, 16, v99
	v_max_f32_e32 v38, v38, v38
	v_lshrrev_b32_e32 v51, 16, v39
	v_lshrrev_b32_e32 v52, 16, v40
	v_min_f16_e32 v39, v41, v39
	v_min3_f16 v41, v50, v51, v52
	v_min3_f16 v39, v39, v40, v41
	v_cvt_f32_f16_e32 v39, v39
	v_min_f32_e32 v40, v38, v39
	v_lshlrev_b64 v[38:39], 1, v[42:43]
	v_cvt_f16_f32_e32 v40, v40
	v_add_co_u32 v38, vcc_lo, v34, v38
	v_add_co_ci_u32_e64 v39, null, v35, v39, vcc_lo
	global_store_short v[38:39], v40, off
	s_or_b32 exec_lo, exec_lo, s8
	s_and_b32 s11, s2, s4
	s_and_saveexec_b32 s8, s11
	s_cbranch_execz .LBB269_126
.LBB269_135:
	v_cmp_ne_u32_e32 vcc_lo, 1, v48
	s_cbranch_vccnz .LBB269_137
; %bb.136:
	v_lshlrev_b64 v[38:39], 1, v[44:45]
	v_add_co_u32 v38, vcc_lo, v36, v38
	v_add_co_ci_u32_e64 v39, null, v37, v39, vcc_lo
	global_load_ushort v38, v[38:39], off
	s_waitcnt vmcnt(0)
	v_mul_f16_e32 v38, s22, v38
	v_cvt_f32_f16_e32 v38, v38
	s_branch .LBB269_138
.LBB269_137:
	v_mov_b32_e32 v38, 0
.LBB269_138:
	v_pk_add_f16 v39, v2, v30
	v_pk_add_f16 v40, v3, v31
	v_max_f16_e32 v41, v98, v98
	v_lshrrev_b32_e32 v50, 16, v98
	v_max_f32_e32 v38, v38, v38
	v_lshrrev_b32_e32 v51, 16, v39
	v_lshrrev_b32_e32 v52, 16, v40
	v_min_f16_e32 v39, v41, v39
	v_min3_f16 v41, v50, v51, v52
	v_min3_f16 v39, v39, v40, v41
	v_cvt_f32_f16_e32 v39, v39
	v_min_f32_e32 v40, v38, v39
	v_lshlrev_b64 v[38:39], 1, v[44:45]
	v_cvt_f16_f32_e32 v40, v40
	v_add_co_u32 v38, vcc_lo, v34, v38
	v_add_co_ci_u32_e64 v39, null, v35, v39, vcc_lo
	global_store_short v[38:39], v40, off
	s_or_b32 exec_lo, exec_lo, s8
	s_and_b32 s8, s3, s4
	s_and_saveexec_b32 s4, s8
	s_cbranch_execz .LBB269_143
.LBB269_139:
	v_cmp_ne_u32_e32 vcc_lo, 1, v48
	s_cbranch_vccnz .LBB269_141
; %bb.140:
	v_lshlrev_b64 v[38:39], 1, v[46:47]
	v_add_co_u32 v36, vcc_lo, v36, v38
	v_add_co_ci_u32_e64 v37, null, v37, v39, vcc_lo
	global_load_ushort v36, v[36:37], off
	s_waitcnt vmcnt(0)
	v_mul_f16_e32 v36, s22, v36
	v_cvt_f32_f16_e32 v36, v36
	s_branch .LBB269_142
.LBB269_141:
	v_mov_b32_e32 v36, 0
.LBB269_142:
	v_pk_add_f16 v30, v4, v30
	v_pk_add_f16 v31, v5, v31
	v_max_f16_e32 v37, v97, v97
	v_lshrrev_b32_e32 v38, 16, v97
	v_lshrrev_b32_e32 v39, 16, v30
	;; [unrolled: 1-line block ×3, first 2 shown]
	v_min_f16_e32 v30, v37, v30
	v_min3_f16 v37, v38, v39, v40
	v_min3_f16 v30, v30, v31, v37
	v_max_f32_e32 v31, v36, v36
	v_cvt_f32_f16_e32 v30, v30
	v_min_f32_e32 v36, v31, v30
	v_lshlrev_b64 v[30:31], 1, v[46:47]
	v_cvt_f16_f32_e32 v36, v36
	v_add_co_u32 v30, vcc_lo, v34, v30
	v_add_co_ci_u32_e64 v31, null, v35, v31, vcc_lo
	global_store_short v[30:31], v36, off
.LBB269_143:
	s_or_b32 exec_lo, exec_lo, s4
	v_add_nc_u32_e32 v36, 40, v49
	v_mad_i64_i32 v[30:31], null, v36, s6, 0
	v_mad_i64_i32 v[34:35], null, v36, s5, 0
	v_cmp_gt_i32_e64 s4, s9, v36
	v_lshlrev_b64 v[30:31], 1, v[30:31]
	s_and_b32 s11, s0, s4
	v_lshlrev_b64 v[36:37], 1, v[34:35]
	v_add_co_u32 v34, vcc_lo, s16, v30
	v_add_co_ci_u32_e64 v35, null, s17, v31, vcc_lo
	v_add_co_u32 v30, vcc_lo, s7, v36
	v_add_co_ci_u32_e64 v31, null, s10, v37, vcc_lo
	s_and_saveexec_b32 s8, s11
	s_cbranch_execnz .LBB269_147
; %bb.144:
	s_or_b32 exec_lo, exec_lo, s8
	s_and_b32 s11, s1, s4
	s_and_saveexec_b32 s8, s11
	s_cbranch_execnz .LBB269_151
.LBB269_145:
	s_or_b32 exec_lo, exec_lo, s8
	s_and_b32 s11, s2, s4
	s_and_saveexec_b32 s8, s11
	s_cbranch_execnz .LBB269_155
.LBB269_146:
	s_or_b32 exec_lo, exec_lo, s8
	s_and_b32 s8, s3, s4
	s_and_saveexec_b32 s4, s8
	s_cbranch_execnz .LBB269_159
	s_branch .LBB269_163
.LBB269_147:
	v_cmp_ne_u32_e32 vcc_lo, 1, v48
	s_cbranch_vccnz .LBB269_149
; %bb.148:
	v_lshlrev_b64 v[36:37], 1, v[0:1]
	v_add_co_u32 v36, vcc_lo, v34, v36
	v_add_co_ci_u32_e64 v37, null, v35, v37, vcc_lo
	global_load_ushort v36, v[36:37], off
	s_waitcnt vmcnt(0)
	v_mul_f16_e32 v36, s22, v36
	v_cvt_f32_f16_e32 v36, v36
	s_branch .LBB269_150
.LBB269_149:
	v_mov_b32_e32 v36, 0
.LBB269_150:
	v_pk_add_f16 v37, v10, v32
	v_pk_add_f16 v38, v11, v33
	v_max_f16_e32 v39, v96, v96
	v_lshrrev_b32_e32 v40, 16, v96
	v_max_f32_e32 v36, v36, v36
	v_lshrrev_b32_e32 v41, 16, v37
	v_lshrrev_b32_e32 v50, 16, v38
	v_min_f16_e32 v37, v39, v37
	v_min3_f16 v39, v40, v41, v50
	v_min3_f16 v37, v37, v38, v39
	v_cvt_f32_f16_e32 v37, v37
	v_min_f32_e32 v38, v36, v37
	v_lshlrev_b64 v[36:37], 1, v[0:1]
	v_cvt_f16_f32_e32 v38, v38
	v_add_co_u32 v36, vcc_lo, v30, v36
	v_add_co_ci_u32_e64 v37, null, v31, v37, vcc_lo
	global_store_short v[36:37], v38, off
	s_or_b32 exec_lo, exec_lo, s8
	s_and_b32 s11, s1, s4
	s_and_saveexec_b32 s8, s11
	s_cbranch_execz .LBB269_145
.LBB269_151:
	v_cmp_ne_u32_e32 vcc_lo, 1, v48
	s_cbranch_vccnz .LBB269_153
; %bb.152:
	v_lshlrev_b64 v[36:37], 1, v[42:43]
	v_add_co_u32 v36, vcc_lo, v34, v36
	v_add_co_ci_u32_e64 v37, null, v35, v37, vcc_lo
	global_load_ushort v36, v[36:37], off
	s_waitcnt vmcnt(0)
	v_mul_f16_e32 v36, s22, v36
	v_cvt_f32_f16_e32 v36, v36
	s_branch .LBB269_154
.LBB269_153:
	v_mov_b32_e32 v36, 0
.LBB269_154:
	v_pk_add_f16 v37, v12, v32
	v_pk_add_f16 v38, v13, v33
	v_max_f16_e32 v39, v95, v95
	v_lshrrev_b32_e32 v40, 16, v95
	v_max_f32_e32 v36, v36, v36
	v_lshrrev_b32_e32 v41, 16, v37
	v_lshrrev_b32_e32 v50, 16, v38
	v_min_f16_e32 v37, v39, v37
	v_min3_f16 v39, v40, v41, v50
	v_min3_f16 v37, v37, v38, v39
	v_cvt_f32_f16_e32 v37, v37
	v_min_f32_e32 v38, v36, v37
	v_lshlrev_b64 v[36:37], 1, v[42:43]
	v_cvt_f16_f32_e32 v38, v38
	v_add_co_u32 v36, vcc_lo, v30, v36
	v_add_co_ci_u32_e64 v37, null, v31, v37, vcc_lo
	global_store_short v[36:37], v38, off
	s_or_b32 exec_lo, exec_lo, s8
	s_and_b32 s11, s2, s4
	s_and_saveexec_b32 s8, s11
	s_cbranch_execz .LBB269_146
.LBB269_155:
	v_cmp_ne_u32_e32 vcc_lo, 1, v48
	s_cbranch_vccnz .LBB269_157
; %bb.156:
	v_lshlrev_b64 v[36:37], 1, v[44:45]
	v_add_co_u32 v36, vcc_lo, v34, v36
	v_add_co_ci_u32_e64 v37, null, v35, v37, vcc_lo
	global_load_ushort v36, v[36:37], off
	s_waitcnt vmcnt(0)
	v_mul_f16_e32 v36, s22, v36
	v_cvt_f32_f16_e32 v36, v36
	s_branch .LBB269_158
.LBB269_157:
	v_mov_b32_e32 v36, 0
.LBB269_158:
	v_pk_add_f16 v37, v2, v32
	v_pk_add_f16 v38, v3, v33
	v_max_f16_e32 v39, v94, v94
	v_lshrrev_b32_e32 v40, 16, v94
	v_max_f32_e32 v36, v36, v36
	v_lshrrev_b32_e32 v41, 16, v37
	v_lshrrev_b32_e32 v50, 16, v38
	v_min_f16_e32 v37, v39, v37
	v_min3_f16 v39, v40, v41, v50
	v_min3_f16 v37, v37, v38, v39
	v_cvt_f32_f16_e32 v37, v37
	v_min_f32_e32 v38, v36, v37
	v_lshlrev_b64 v[36:37], 1, v[44:45]
	v_cvt_f16_f32_e32 v38, v38
	v_add_co_u32 v36, vcc_lo, v30, v36
	v_add_co_ci_u32_e64 v37, null, v31, v37, vcc_lo
	global_store_short v[36:37], v38, off
	s_or_b32 exec_lo, exec_lo, s8
	s_and_b32 s8, s3, s4
	s_and_saveexec_b32 s4, s8
	s_cbranch_execz .LBB269_163
.LBB269_159:
	v_cmp_ne_u32_e32 vcc_lo, 1, v48
	s_cbranch_vccnz .LBB269_161
; %bb.160:
	v_lshlrev_b64 v[36:37], 1, v[46:47]
	v_add_co_u32 v34, vcc_lo, v34, v36
	v_add_co_ci_u32_e64 v35, null, v35, v37, vcc_lo
	global_load_ushort v34, v[34:35], off
	s_waitcnt vmcnt(0)
	v_mul_f16_e32 v34, s22, v34
	v_cvt_f32_f16_e32 v34, v34
	s_branch .LBB269_162
.LBB269_161:
	v_mov_b32_e32 v34, 0
.LBB269_162:
	v_pk_add_f16 v32, v4, v32
	v_pk_add_f16 v33, v5, v33
	v_max_f16_e32 v35, v93, v93
	v_lshrrev_b32_e32 v36, 16, v93
	v_lshrrev_b32_e32 v37, 16, v32
	;; [unrolled: 1-line block ×3, first 2 shown]
	v_min_f16_e32 v32, v35, v32
	v_min3_f16 v35, v36, v37, v38
	v_min3_f16 v32, v32, v33, v35
	v_max_f32_e32 v33, v34, v34
	v_cvt_f32_f16_e32 v32, v32
	v_min_f32_e32 v34, v33, v32
	v_lshlrev_b64 v[32:33], 1, v[46:47]
	v_cvt_f16_f32_e32 v34, v34
	v_add_co_u32 v30, vcc_lo, v30, v32
	v_add_co_ci_u32_e64 v31, null, v31, v33, vcc_lo
	global_store_short v[30:31], v34, off
.LBB269_163:
	s_or_b32 exec_lo, exec_lo, s4
	v_add_nc_u32_e32 v34, 48, v49
	v_mad_i64_i32 v[30:31], null, v34, s6, 0
	v_mad_i64_i32 v[32:33], null, v34, s5, 0
	v_cmp_gt_i32_e64 s4, s9, v34
	v_lshlrev_b64 v[30:31], 1, v[30:31]
	s_and_b32 s11, s0, s4
	v_lshlrev_b64 v[34:35], 1, v[32:33]
	v_add_co_u32 v32, vcc_lo, s16, v30
	v_add_co_ci_u32_e64 v33, null, s17, v31, vcc_lo
	v_add_co_u32 v30, vcc_lo, s7, v34
	v_add_co_ci_u32_e64 v31, null, s10, v35, vcc_lo
	s_and_saveexec_b32 s8, s11
	s_cbranch_execnz .LBB269_167
; %bb.164:
	s_or_b32 exec_lo, exec_lo, s8
	s_and_b32 s11, s1, s4
	s_and_saveexec_b32 s8, s11
	s_cbranch_execnz .LBB269_171
.LBB269_165:
	s_or_b32 exec_lo, exec_lo, s8
	s_and_b32 s11, s2, s4
	s_and_saveexec_b32 s8, s11
	s_cbranch_execnz .LBB269_175
.LBB269_166:
	s_or_b32 exec_lo, exec_lo, s8
	s_and_b32 s8, s3, s4
	s_and_saveexec_b32 s4, s8
	s_cbranch_execnz .LBB269_179
	s_branch .LBB269_183
.LBB269_167:
	v_cmp_ne_u32_e32 vcc_lo, 1, v48
	s_cbranch_vccnz .LBB269_169
; %bb.168:
	v_lshlrev_b64 v[34:35], 1, v[0:1]
	v_add_co_u32 v34, vcc_lo, v32, v34
	v_add_co_ci_u32_e64 v35, null, v33, v35, vcc_lo
	global_load_ushort v34, v[34:35], off
	s_waitcnt vmcnt(0)
	v_mul_f16_e32 v34, s22, v34
	v_cvt_f32_f16_e32 v34, v34
	s_branch .LBB269_170
.LBB269_169:
	v_mov_b32_e32 v34, 0
.LBB269_170:
	v_pk_add_f16 v35, v10, v26
	v_pk_add_f16 v36, v11, v27
	v_max_f16_e32 v37, v92, v92
	v_lshrrev_b32_e32 v38, 16, v92
	v_max_f32_e32 v34, v34, v34
	v_lshrrev_b32_e32 v39, 16, v35
	v_lshrrev_b32_e32 v40, 16, v36
	v_min_f16_e32 v35, v37, v35
	v_min3_f16 v37, v38, v39, v40
	v_min3_f16 v35, v35, v36, v37
	v_cvt_f32_f16_e32 v35, v35
	v_min_f32_e32 v36, v34, v35
	v_lshlrev_b64 v[34:35], 1, v[0:1]
	v_cvt_f16_f32_e32 v36, v36
	v_add_co_u32 v34, vcc_lo, v30, v34
	v_add_co_ci_u32_e64 v35, null, v31, v35, vcc_lo
	global_store_short v[34:35], v36, off
	s_or_b32 exec_lo, exec_lo, s8
	s_and_b32 s11, s1, s4
	s_and_saveexec_b32 s8, s11
	s_cbranch_execz .LBB269_165
.LBB269_171:
	v_cmp_ne_u32_e32 vcc_lo, 1, v48
	s_cbranch_vccnz .LBB269_173
; %bb.172:
	v_lshlrev_b64 v[34:35], 1, v[42:43]
	v_add_co_u32 v34, vcc_lo, v32, v34
	v_add_co_ci_u32_e64 v35, null, v33, v35, vcc_lo
	global_load_ushort v34, v[34:35], off
	s_waitcnt vmcnt(0)
	v_mul_f16_e32 v34, s22, v34
	v_cvt_f32_f16_e32 v34, v34
	s_branch .LBB269_174
.LBB269_173:
	v_mov_b32_e32 v34, 0
.LBB269_174:
	v_pk_add_f16 v35, v12, v26
	v_pk_add_f16 v36, v13, v27
	v_max_f16_e32 v37, v91, v91
	v_lshrrev_b32_e32 v38, 16, v91
	v_max_f32_e32 v34, v34, v34
	v_lshrrev_b32_e32 v39, 16, v35
	v_lshrrev_b32_e32 v40, 16, v36
	v_min_f16_e32 v35, v37, v35
	v_min3_f16 v37, v38, v39, v40
	v_min3_f16 v35, v35, v36, v37
	v_cvt_f32_f16_e32 v35, v35
	v_min_f32_e32 v36, v34, v35
	v_lshlrev_b64 v[34:35], 1, v[42:43]
	v_cvt_f16_f32_e32 v36, v36
	v_add_co_u32 v34, vcc_lo, v30, v34
	v_add_co_ci_u32_e64 v35, null, v31, v35, vcc_lo
	global_store_short v[34:35], v36, off
	s_or_b32 exec_lo, exec_lo, s8
	s_and_b32 s11, s2, s4
	s_and_saveexec_b32 s8, s11
	s_cbranch_execz .LBB269_166
.LBB269_175:
	v_cmp_ne_u32_e32 vcc_lo, 1, v48
	s_cbranch_vccnz .LBB269_177
; %bb.176:
	v_lshlrev_b64 v[34:35], 1, v[44:45]
	v_add_co_u32 v34, vcc_lo, v32, v34
	v_add_co_ci_u32_e64 v35, null, v33, v35, vcc_lo
	global_load_ushort v34, v[34:35], off
	s_waitcnt vmcnt(0)
	v_mul_f16_e32 v34, s22, v34
	v_cvt_f32_f16_e32 v34, v34
	s_branch .LBB269_178
.LBB269_177:
	v_mov_b32_e32 v34, 0
.LBB269_178:
	v_pk_add_f16 v35, v2, v26
	v_pk_add_f16 v36, v3, v27
	v_max_f16_e32 v37, v90, v90
	v_lshrrev_b32_e32 v38, 16, v90
	v_max_f32_e32 v34, v34, v34
	v_lshrrev_b32_e32 v39, 16, v35
	v_lshrrev_b32_e32 v40, 16, v36
	v_min_f16_e32 v35, v37, v35
	v_min3_f16 v37, v38, v39, v40
	v_min3_f16 v35, v35, v36, v37
	v_cvt_f32_f16_e32 v35, v35
	v_min_f32_e32 v36, v34, v35
	v_lshlrev_b64 v[34:35], 1, v[44:45]
	v_cvt_f16_f32_e32 v36, v36
	v_add_co_u32 v34, vcc_lo, v30, v34
	v_add_co_ci_u32_e64 v35, null, v31, v35, vcc_lo
	global_store_short v[34:35], v36, off
	s_or_b32 exec_lo, exec_lo, s8
	s_and_b32 s8, s3, s4
	s_and_saveexec_b32 s4, s8
	s_cbranch_execz .LBB269_183
.LBB269_179:
	v_cmp_ne_u32_e32 vcc_lo, 1, v48
	s_cbranch_vccnz .LBB269_181
; %bb.180:
	v_lshlrev_b64 v[34:35], 1, v[46:47]
	v_add_co_u32 v32, vcc_lo, v32, v34
	v_add_co_ci_u32_e64 v33, null, v33, v35, vcc_lo
	global_load_ushort v32, v[32:33], off
	s_waitcnt vmcnt(0)
	v_mul_f16_e32 v32, s22, v32
	v_cvt_f32_f16_e32 v32, v32
	s_branch .LBB269_182
.LBB269_181:
	v_mov_b32_e32 v32, 0
.LBB269_182:
	v_pk_add_f16 v26, v4, v26
	v_pk_add_f16 v27, v5, v27
	v_max_f16_e32 v33, v89, v89
	v_lshrrev_b32_e32 v34, 16, v89
	v_lshrrev_b32_e32 v35, 16, v26
	;; [unrolled: 1-line block ×3, first 2 shown]
	v_min_f16_e32 v26, v33, v26
	v_min3_f16 v33, v34, v35, v36
	v_min3_f16 v26, v26, v27, v33
	v_max_f32_e32 v27, v32, v32
	v_cvt_f32_f16_e32 v26, v26
	v_min_f32_e32 v32, v27, v26
	v_lshlrev_b64 v[26:27], 1, v[46:47]
	v_cvt_f16_f32_e32 v32, v32
	v_add_co_u32 v26, vcc_lo, v30, v26
	v_add_co_ci_u32_e64 v27, null, v31, v27, vcc_lo
	global_store_short v[26:27], v32, off
.LBB269_183:
	s_or_b32 exec_lo, exec_lo, s4
	v_add_nc_u32_e32 v32, 56, v49
	v_mad_i64_i32 v[26:27], null, v32, s6, 0
	v_mad_i64_i32 v[30:31], null, v32, s5, 0
	v_cmp_gt_i32_e64 s4, s9, v32
	v_lshlrev_b64 v[26:27], 1, v[26:27]
	s_and_b32 s11, s0, s4
	v_lshlrev_b64 v[32:33], 1, v[30:31]
	v_add_co_u32 v30, vcc_lo, s16, v26
	v_add_co_ci_u32_e64 v31, null, s17, v27, vcc_lo
	v_add_co_u32 v26, vcc_lo, s7, v32
	v_add_co_ci_u32_e64 v27, null, s10, v33, vcc_lo
	s_and_saveexec_b32 s8, s11
	s_cbranch_execnz .LBB269_187
; %bb.184:
	s_or_b32 exec_lo, exec_lo, s8
	s_and_b32 s11, s1, s4
	s_and_saveexec_b32 s8, s11
	s_cbranch_execnz .LBB269_191
.LBB269_185:
	s_or_b32 exec_lo, exec_lo, s8
	s_and_b32 s11, s2, s4
	s_and_saveexec_b32 s8, s11
	s_cbranch_execnz .LBB269_195
.LBB269_186:
	s_or_b32 exec_lo, exec_lo, s8
	s_and_b32 s8, s3, s4
	s_and_saveexec_b32 s4, s8
	s_cbranch_execnz .LBB269_199
	s_branch .LBB269_203
.LBB269_187:
	v_cmp_ne_u32_e32 vcc_lo, 1, v48
	s_cbranch_vccnz .LBB269_189
; %bb.188:
	v_lshlrev_b64 v[32:33], 1, v[0:1]
	v_add_co_u32 v32, vcc_lo, v30, v32
	v_add_co_ci_u32_e64 v33, null, v31, v33, vcc_lo
	global_load_ushort v32, v[32:33], off
	s_waitcnt vmcnt(0)
	v_mul_f16_e32 v32, s22, v32
	v_cvt_f32_f16_e32 v32, v32
	s_branch .LBB269_190
.LBB269_189:
	v_mov_b32_e32 v32, 0
.LBB269_190:
	v_pk_add_f16 v33, v10, v28
	v_pk_add_f16 v34, v11, v29
	v_max_f16_e32 v35, v88, v88
	v_lshrrev_b32_e32 v36, 16, v88
	v_max_f32_e32 v32, v32, v32
	v_lshrrev_b32_e32 v37, 16, v33
	v_lshrrev_b32_e32 v38, 16, v34
	v_min_f16_e32 v33, v35, v33
	v_min3_f16 v35, v36, v37, v38
	v_min3_f16 v33, v33, v34, v35
	v_cvt_f32_f16_e32 v33, v33
	v_min_f32_e32 v34, v32, v33
	v_lshlrev_b64 v[32:33], 1, v[0:1]
	v_cvt_f16_f32_e32 v34, v34
	v_add_co_u32 v32, vcc_lo, v26, v32
	v_add_co_ci_u32_e64 v33, null, v27, v33, vcc_lo
	global_store_short v[32:33], v34, off
	s_or_b32 exec_lo, exec_lo, s8
	s_and_b32 s11, s1, s4
	s_and_saveexec_b32 s8, s11
	s_cbranch_execz .LBB269_185
.LBB269_191:
	v_cmp_ne_u32_e32 vcc_lo, 1, v48
	s_cbranch_vccnz .LBB269_193
; %bb.192:
	v_lshlrev_b64 v[32:33], 1, v[42:43]
	v_add_co_u32 v32, vcc_lo, v30, v32
	v_add_co_ci_u32_e64 v33, null, v31, v33, vcc_lo
	global_load_ushort v32, v[32:33], off
	s_waitcnt vmcnt(0)
	v_mul_f16_e32 v32, s22, v32
	v_cvt_f32_f16_e32 v32, v32
	s_branch .LBB269_194
.LBB269_193:
	v_mov_b32_e32 v32, 0
.LBB269_194:
	v_pk_add_f16 v33, v12, v28
	v_pk_add_f16 v34, v13, v29
	v_max_f16_e32 v35, v87, v87
	v_lshrrev_b32_e32 v36, 16, v87
	v_max_f32_e32 v32, v32, v32
	v_lshrrev_b32_e32 v37, 16, v33
	v_lshrrev_b32_e32 v38, 16, v34
	v_min_f16_e32 v33, v35, v33
	v_min3_f16 v35, v36, v37, v38
	v_min3_f16 v33, v33, v34, v35
	v_cvt_f32_f16_e32 v33, v33
	v_min_f32_e32 v34, v32, v33
	v_lshlrev_b64 v[32:33], 1, v[42:43]
	v_cvt_f16_f32_e32 v34, v34
	v_add_co_u32 v32, vcc_lo, v26, v32
	v_add_co_ci_u32_e64 v33, null, v27, v33, vcc_lo
	global_store_short v[32:33], v34, off
	s_or_b32 exec_lo, exec_lo, s8
	s_and_b32 s11, s2, s4
	s_and_saveexec_b32 s8, s11
	s_cbranch_execz .LBB269_186
.LBB269_195:
	v_cmp_ne_u32_e32 vcc_lo, 1, v48
	s_cbranch_vccnz .LBB269_197
; %bb.196:
	v_lshlrev_b64 v[32:33], 1, v[44:45]
	v_add_co_u32 v32, vcc_lo, v30, v32
	v_add_co_ci_u32_e64 v33, null, v31, v33, vcc_lo
	global_load_ushort v32, v[32:33], off
	s_waitcnt vmcnt(0)
	v_mul_f16_e32 v32, s22, v32
	v_cvt_f32_f16_e32 v32, v32
	s_branch .LBB269_198
.LBB269_197:
	v_mov_b32_e32 v32, 0
.LBB269_198:
	v_pk_add_f16 v33, v2, v28
	v_pk_add_f16 v34, v3, v29
	v_max_f16_e32 v35, v86, v86
	v_lshrrev_b32_e32 v36, 16, v86
	v_max_f32_e32 v32, v32, v32
	v_lshrrev_b32_e32 v37, 16, v33
	v_lshrrev_b32_e32 v38, 16, v34
	v_min_f16_e32 v33, v35, v33
	v_min3_f16 v35, v36, v37, v38
	v_min3_f16 v33, v33, v34, v35
	v_cvt_f32_f16_e32 v33, v33
	v_min_f32_e32 v34, v32, v33
	v_lshlrev_b64 v[32:33], 1, v[44:45]
	v_cvt_f16_f32_e32 v34, v34
	v_add_co_u32 v32, vcc_lo, v26, v32
	v_add_co_ci_u32_e64 v33, null, v27, v33, vcc_lo
	global_store_short v[32:33], v34, off
	s_or_b32 exec_lo, exec_lo, s8
	s_and_b32 s8, s3, s4
	s_and_saveexec_b32 s4, s8
	s_cbranch_execz .LBB269_203
.LBB269_199:
	v_cmp_ne_u32_e32 vcc_lo, 1, v48
	s_cbranch_vccnz .LBB269_201
; %bb.200:
	v_lshlrev_b64 v[32:33], 1, v[46:47]
	v_add_co_u32 v30, vcc_lo, v30, v32
	v_add_co_ci_u32_e64 v31, null, v31, v33, vcc_lo
	global_load_ushort v30, v[30:31], off
	s_waitcnt vmcnt(0)
	v_mul_f16_e32 v30, s22, v30
	v_cvt_f32_f16_e32 v30, v30
	s_branch .LBB269_202
.LBB269_201:
	v_mov_b32_e32 v30, 0
.LBB269_202:
	v_pk_add_f16 v28, v4, v28
	v_pk_add_f16 v29, v5, v29
	v_max_f16_e32 v31, v85, v85
	v_lshrrev_b32_e32 v32, 16, v85
	v_lshrrev_b32_e32 v33, 16, v28
	;; [unrolled: 1-line block ×3, first 2 shown]
	v_min_f16_e32 v28, v31, v28
	v_min3_f16 v31, v32, v33, v34
	v_min3_f16 v28, v28, v29, v31
	v_max_f32_e32 v29, v30, v30
	v_cvt_f32_f16_e32 v28, v28
	v_min_f32_e32 v30, v29, v28
	v_lshlrev_b64 v[28:29], 1, v[46:47]
	v_cvt_f16_f32_e32 v30, v30
	v_add_co_u32 v26, vcc_lo, v26, v28
	v_add_co_ci_u32_e64 v27, null, v27, v29, vcc_lo
	global_store_short v[26:27], v30, off
.LBB269_203:
	s_or_b32 exec_lo, exec_lo, s4
	v_add_nc_u32_e32 v30, 64, v49
	v_mad_i64_i32 v[26:27], null, v30, s6, 0
	v_mad_i64_i32 v[28:29], null, v30, s5, 0
	v_cmp_gt_i32_e64 s4, s9, v30
	v_lshlrev_b64 v[26:27], 1, v[26:27]
	s_and_b32 s11, s0, s4
	v_lshlrev_b64 v[30:31], 1, v[28:29]
	v_add_co_u32 v28, vcc_lo, s16, v26
	v_add_co_ci_u32_e64 v29, null, s17, v27, vcc_lo
	v_add_co_u32 v26, vcc_lo, s7, v30
	v_add_co_ci_u32_e64 v27, null, s10, v31, vcc_lo
	s_and_saveexec_b32 s8, s11
	s_cbranch_execnz .LBB269_207
; %bb.204:
	s_or_b32 exec_lo, exec_lo, s8
	s_and_b32 s11, s1, s4
	s_and_saveexec_b32 s8, s11
	s_cbranch_execnz .LBB269_211
.LBB269_205:
	s_or_b32 exec_lo, exec_lo, s8
	s_and_b32 s11, s2, s4
	s_and_saveexec_b32 s8, s11
	s_cbranch_execnz .LBB269_215
.LBB269_206:
	s_or_b32 exec_lo, exec_lo, s8
	s_and_b32 s8, s3, s4
	s_and_saveexec_b32 s4, s8
	s_cbranch_execnz .LBB269_219
	s_branch .LBB269_223
.LBB269_207:
	v_cmp_ne_u32_e32 vcc_lo, 1, v48
	s_cbranch_vccnz .LBB269_209
; %bb.208:
	v_lshlrev_b64 v[30:31], 1, v[0:1]
	v_add_co_u32 v30, vcc_lo, v28, v30
	v_add_co_ci_u32_e64 v31, null, v29, v31, vcc_lo
	global_load_ushort v30, v[30:31], off
	s_waitcnt vmcnt(0)
	v_mul_f16_e32 v30, s22, v30
	v_cvt_f32_f16_e32 v30, v30
	s_branch .LBB269_210
.LBB269_209:
	v_mov_b32_e32 v30, 0
.LBB269_210:
	v_pk_add_f16 v31, v10, v22
	v_pk_add_f16 v32, v11, v23
	v_max_f16_e32 v33, v84, v84
	v_lshrrev_b32_e32 v34, 16, v84
	v_max_f32_e32 v30, v30, v30
	v_lshrrev_b32_e32 v35, 16, v31
	v_lshrrev_b32_e32 v36, 16, v32
	v_min_f16_e32 v31, v33, v31
	v_min3_f16 v33, v34, v35, v36
	v_min3_f16 v31, v31, v32, v33
	v_cvt_f32_f16_e32 v31, v31
	v_min_f32_e32 v32, v30, v31
	v_lshlrev_b64 v[30:31], 1, v[0:1]
	v_cvt_f16_f32_e32 v32, v32
	v_add_co_u32 v30, vcc_lo, v26, v30
	v_add_co_ci_u32_e64 v31, null, v27, v31, vcc_lo
	global_store_short v[30:31], v32, off
	s_or_b32 exec_lo, exec_lo, s8
	s_and_b32 s11, s1, s4
	s_and_saveexec_b32 s8, s11
	s_cbranch_execz .LBB269_205
.LBB269_211:
	v_cmp_ne_u32_e32 vcc_lo, 1, v48
	s_cbranch_vccnz .LBB269_213
; %bb.212:
	v_lshlrev_b64 v[30:31], 1, v[42:43]
	v_add_co_u32 v30, vcc_lo, v28, v30
	v_add_co_ci_u32_e64 v31, null, v29, v31, vcc_lo
	global_load_ushort v30, v[30:31], off
	s_waitcnt vmcnt(0)
	v_mul_f16_e32 v30, s22, v30
	v_cvt_f32_f16_e32 v30, v30
	s_branch .LBB269_214
.LBB269_213:
	v_mov_b32_e32 v30, 0
.LBB269_214:
	v_pk_add_f16 v31, v12, v22
	v_pk_add_f16 v32, v13, v23
	v_max_f16_e32 v33, v83, v83
	v_lshrrev_b32_e32 v34, 16, v83
	v_max_f32_e32 v30, v30, v30
	v_lshrrev_b32_e32 v35, 16, v31
	v_lshrrev_b32_e32 v36, 16, v32
	v_min_f16_e32 v31, v33, v31
	v_min3_f16 v33, v34, v35, v36
	v_min3_f16 v31, v31, v32, v33
	v_cvt_f32_f16_e32 v31, v31
	v_min_f32_e32 v32, v30, v31
	v_lshlrev_b64 v[30:31], 1, v[42:43]
	v_cvt_f16_f32_e32 v32, v32
	v_add_co_u32 v30, vcc_lo, v26, v30
	v_add_co_ci_u32_e64 v31, null, v27, v31, vcc_lo
	global_store_short v[30:31], v32, off
	s_or_b32 exec_lo, exec_lo, s8
	s_and_b32 s11, s2, s4
	s_and_saveexec_b32 s8, s11
	s_cbranch_execz .LBB269_206
.LBB269_215:
	v_cmp_ne_u32_e32 vcc_lo, 1, v48
	s_cbranch_vccnz .LBB269_217
; %bb.216:
	v_lshlrev_b64 v[30:31], 1, v[44:45]
	v_add_co_u32 v30, vcc_lo, v28, v30
	v_add_co_ci_u32_e64 v31, null, v29, v31, vcc_lo
	global_load_ushort v30, v[30:31], off
	s_waitcnt vmcnt(0)
	v_mul_f16_e32 v30, s22, v30
	v_cvt_f32_f16_e32 v30, v30
	s_branch .LBB269_218
.LBB269_217:
	v_mov_b32_e32 v30, 0
.LBB269_218:
	v_pk_add_f16 v31, v2, v22
	v_pk_add_f16 v32, v3, v23
	v_max_f16_e32 v33, v82, v82
	v_lshrrev_b32_e32 v34, 16, v82
	v_max_f32_e32 v30, v30, v30
	v_lshrrev_b32_e32 v35, 16, v31
	v_lshrrev_b32_e32 v36, 16, v32
	v_min_f16_e32 v31, v33, v31
	v_min3_f16 v33, v34, v35, v36
	v_min3_f16 v31, v31, v32, v33
	v_cvt_f32_f16_e32 v31, v31
	v_min_f32_e32 v32, v30, v31
	v_lshlrev_b64 v[30:31], 1, v[44:45]
	v_cvt_f16_f32_e32 v32, v32
	v_add_co_u32 v30, vcc_lo, v26, v30
	v_add_co_ci_u32_e64 v31, null, v27, v31, vcc_lo
	global_store_short v[30:31], v32, off
	s_or_b32 exec_lo, exec_lo, s8
	s_and_b32 s8, s3, s4
	s_and_saveexec_b32 s4, s8
	s_cbranch_execz .LBB269_223
.LBB269_219:
	v_cmp_ne_u32_e32 vcc_lo, 1, v48
	s_cbranch_vccnz .LBB269_221
; %bb.220:
	v_lshlrev_b64 v[30:31], 1, v[46:47]
	v_add_co_u32 v28, vcc_lo, v28, v30
	v_add_co_ci_u32_e64 v29, null, v29, v31, vcc_lo
	global_load_ushort v28, v[28:29], off
	s_waitcnt vmcnt(0)
	v_mul_f16_e32 v28, s22, v28
	v_cvt_f32_f16_e32 v28, v28
	s_branch .LBB269_222
.LBB269_221:
	v_mov_b32_e32 v28, 0
.LBB269_222:
	v_pk_add_f16 v22, v4, v22
	v_pk_add_f16 v23, v5, v23
	v_max_f16_e32 v29, v81, v81
	v_lshrrev_b32_e32 v30, 16, v81
	v_lshrrev_b32_e32 v31, 16, v22
	;; [unrolled: 1-line block ×3, first 2 shown]
	v_min_f16_e32 v22, v29, v22
	v_min3_f16 v29, v30, v31, v32
	v_min3_f16 v22, v22, v23, v29
	v_max_f32_e32 v23, v28, v28
	v_cvt_f32_f16_e32 v22, v22
	v_min_f32_e32 v28, v23, v22
	v_lshlrev_b64 v[22:23], 1, v[46:47]
	v_cvt_f16_f32_e32 v28, v28
	v_add_co_u32 v22, vcc_lo, v26, v22
	v_add_co_ci_u32_e64 v23, null, v27, v23, vcc_lo
	global_store_short v[22:23], v28, off
.LBB269_223:
	s_or_b32 exec_lo, exec_lo, s4
	v_add_nc_u32_e32 v28, 0x48, v49
	v_mad_i64_i32 v[22:23], null, v28, s6, 0
	v_mad_i64_i32 v[26:27], null, v28, s5, 0
	v_cmp_gt_i32_e64 s4, s9, v28
	v_lshlrev_b64 v[22:23], 1, v[22:23]
	s_and_b32 s11, s0, s4
	v_lshlrev_b64 v[28:29], 1, v[26:27]
	v_add_co_u32 v26, vcc_lo, s16, v22
	v_add_co_ci_u32_e64 v27, null, s17, v23, vcc_lo
	v_add_co_u32 v22, vcc_lo, s7, v28
	v_add_co_ci_u32_e64 v23, null, s10, v29, vcc_lo
	s_and_saveexec_b32 s8, s11
	s_cbranch_execnz .LBB269_227
; %bb.224:
	s_or_b32 exec_lo, exec_lo, s8
	s_and_b32 s11, s1, s4
	s_and_saveexec_b32 s8, s11
	s_cbranch_execnz .LBB269_231
.LBB269_225:
	s_or_b32 exec_lo, exec_lo, s8
	s_and_b32 s11, s2, s4
	s_and_saveexec_b32 s8, s11
	s_cbranch_execnz .LBB269_235
.LBB269_226:
	s_or_b32 exec_lo, exec_lo, s8
	s_and_b32 s8, s3, s4
	s_and_saveexec_b32 s4, s8
	s_cbranch_execnz .LBB269_239
	s_branch .LBB269_243
.LBB269_227:
	v_cmp_ne_u32_e32 vcc_lo, 1, v48
	s_cbranch_vccnz .LBB269_229
; %bb.228:
	v_lshlrev_b64 v[28:29], 1, v[0:1]
	v_add_co_u32 v28, vcc_lo, v26, v28
	v_add_co_ci_u32_e64 v29, null, v27, v29, vcc_lo
	global_load_ushort v28, v[28:29], off
	s_waitcnt vmcnt(0)
	v_mul_f16_e32 v28, s22, v28
	v_cvt_f32_f16_e32 v28, v28
	s_branch .LBB269_230
.LBB269_229:
	v_mov_b32_e32 v28, 0
.LBB269_230:
	v_pk_add_f16 v29, v10, v24
	v_pk_add_f16 v30, v11, v25
	v_max_f16_e32 v31, v80, v80
	v_lshrrev_b32_e32 v32, 16, v80
	v_max_f32_e32 v28, v28, v28
	v_lshrrev_b32_e32 v33, 16, v29
	v_lshrrev_b32_e32 v34, 16, v30
	v_min_f16_e32 v29, v31, v29
	v_min3_f16 v31, v32, v33, v34
	v_min3_f16 v29, v29, v30, v31
	v_cvt_f32_f16_e32 v29, v29
	v_min_f32_e32 v30, v28, v29
	v_lshlrev_b64 v[28:29], 1, v[0:1]
	v_cvt_f16_f32_e32 v30, v30
	v_add_co_u32 v28, vcc_lo, v22, v28
	v_add_co_ci_u32_e64 v29, null, v23, v29, vcc_lo
	global_store_short v[28:29], v30, off
	s_or_b32 exec_lo, exec_lo, s8
	s_and_b32 s11, s1, s4
	s_and_saveexec_b32 s8, s11
	s_cbranch_execz .LBB269_225
.LBB269_231:
	v_cmp_ne_u32_e32 vcc_lo, 1, v48
	s_cbranch_vccnz .LBB269_233
; %bb.232:
	v_lshlrev_b64 v[28:29], 1, v[42:43]
	v_add_co_u32 v28, vcc_lo, v26, v28
	v_add_co_ci_u32_e64 v29, null, v27, v29, vcc_lo
	global_load_ushort v28, v[28:29], off
	s_waitcnt vmcnt(0)
	v_mul_f16_e32 v28, s22, v28
	v_cvt_f32_f16_e32 v28, v28
	s_branch .LBB269_234
.LBB269_233:
	v_mov_b32_e32 v28, 0
.LBB269_234:
	v_pk_add_f16 v29, v12, v24
	v_pk_add_f16 v30, v13, v25
	v_max_f16_e32 v31, v79, v79
	v_lshrrev_b32_e32 v32, 16, v79
	v_max_f32_e32 v28, v28, v28
	v_lshrrev_b32_e32 v33, 16, v29
	v_lshrrev_b32_e32 v34, 16, v30
	v_min_f16_e32 v29, v31, v29
	v_min3_f16 v31, v32, v33, v34
	v_min3_f16 v29, v29, v30, v31
	v_cvt_f32_f16_e32 v29, v29
	v_min_f32_e32 v30, v28, v29
	v_lshlrev_b64 v[28:29], 1, v[42:43]
	v_cvt_f16_f32_e32 v30, v30
	v_add_co_u32 v28, vcc_lo, v22, v28
	v_add_co_ci_u32_e64 v29, null, v23, v29, vcc_lo
	global_store_short v[28:29], v30, off
	s_or_b32 exec_lo, exec_lo, s8
	s_and_b32 s11, s2, s4
	s_and_saveexec_b32 s8, s11
	s_cbranch_execz .LBB269_226
.LBB269_235:
	v_cmp_ne_u32_e32 vcc_lo, 1, v48
	s_cbranch_vccnz .LBB269_237
; %bb.236:
	v_lshlrev_b64 v[28:29], 1, v[44:45]
	v_add_co_u32 v28, vcc_lo, v26, v28
	v_add_co_ci_u32_e64 v29, null, v27, v29, vcc_lo
	global_load_ushort v28, v[28:29], off
	s_waitcnt vmcnt(0)
	v_mul_f16_e32 v28, s22, v28
	v_cvt_f32_f16_e32 v28, v28
	s_branch .LBB269_238
.LBB269_237:
	v_mov_b32_e32 v28, 0
.LBB269_238:
	v_pk_add_f16 v29, v2, v24
	v_pk_add_f16 v30, v3, v25
	v_max_f16_e32 v31, v78, v78
	v_lshrrev_b32_e32 v32, 16, v78
	v_max_f32_e32 v28, v28, v28
	v_lshrrev_b32_e32 v33, 16, v29
	v_lshrrev_b32_e32 v34, 16, v30
	v_min_f16_e32 v29, v31, v29
	v_min3_f16 v31, v32, v33, v34
	v_min3_f16 v29, v29, v30, v31
	v_cvt_f32_f16_e32 v29, v29
	v_min_f32_e32 v30, v28, v29
	v_lshlrev_b64 v[28:29], 1, v[44:45]
	v_cvt_f16_f32_e32 v30, v30
	v_add_co_u32 v28, vcc_lo, v22, v28
	v_add_co_ci_u32_e64 v29, null, v23, v29, vcc_lo
	global_store_short v[28:29], v30, off
	s_or_b32 exec_lo, exec_lo, s8
	s_and_b32 s8, s3, s4
	s_and_saveexec_b32 s4, s8
	s_cbranch_execz .LBB269_243
.LBB269_239:
	v_cmp_ne_u32_e32 vcc_lo, 1, v48
	s_cbranch_vccnz .LBB269_241
; %bb.240:
	v_lshlrev_b64 v[28:29], 1, v[46:47]
	v_add_co_u32 v26, vcc_lo, v26, v28
	v_add_co_ci_u32_e64 v27, null, v27, v29, vcc_lo
	global_load_ushort v26, v[26:27], off
	s_waitcnt vmcnt(0)
	v_mul_f16_e32 v26, s22, v26
	v_cvt_f32_f16_e32 v26, v26
	s_branch .LBB269_242
.LBB269_241:
	v_mov_b32_e32 v26, 0
.LBB269_242:
	v_pk_add_f16 v24, v4, v24
	v_pk_add_f16 v25, v5, v25
	v_max_f16_e32 v27, v77, v77
	v_lshrrev_b32_e32 v28, 16, v77
	v_lshrrev_b32_e32 v29, 16, v24
	;; [unrolled: 1-line block ×3, first 2 shown]
	v_min_f16_e32 v24, v27, v24
	v_min3_f16 v27, v28, v29, v30
	v_min3_f16 v24, v24, v25, v27
	v_max_f32_e32 v25, v26, v26
	v_cvt_f32_f16_e32 v24, v24
	v_min_f32_e32 v26, v25, v24
	v_lshlrev_b64 v[24:25], 1, v[46:47]
	v_cvt_f16_f32_e32 v26, v26
	v_add_co_u32 v22, vcc_lo, v22, v24
	v_add_co_ci_u32_e64 v23, null, v23, v25, vcc_lo
	global_store_short v[22:23], v26, off
.LBB269_243:
	s_or_b32 exec_lo, exec_lo, s4
	v_add_nc_u32_e32 v26, 0x50, v49
	v_mad_i64_i32 v[22:23], null, v26, s6, 0
	v_mad_i64_i32 v[24:25], null, v26, s5, 0
	v_cmp_gt_i32_e64 s4, s9, v26
	v_lshlrev_b64 v[22:23], 1, v[22:23]
	s_and_b32 s11, s0, s4
	v_lshlrev_b64 v[26:27], 1, v[24:25]
	v_add_co_u32 v24, vcc_lo, s16, v22
	v_add_co_ci_u32_e64 v25, null, s17, v23, vcc_lo
	v_add_co_u32 v22, vcc_lo, s7, v26
	v_add_co_ci_u32_e64 v23, null, s10, v27, vcc_lo
	s_and_saveexec_b32 s8, s11
	s_cbranch_execnz .LBB269_247
; %bb.244:
	s_or_b32 exec_lo, exec_lo, s8
	s_and_b32 s11, s1, s4
	s_and_saveexec_b32 s8, s11
	s_cbranch_execnz .LBB269_251
.LBB269_245:
	s_or_b32 exec_lo, exec_lo, s8
	s_and_b32 s11, s2, s4
	s_and_saveexec_b32 s8, s11
	s_cbranch_execnz .LBB269_255
.LBB269_246:
	s_or_b32 exec_lo, exec_lo, s8
	s_and_b32 s8, s3, s4
	s_and_saveexec_b32 s4, s8
	s_cbranch_execnz .LBB269_259
	s_branch .LBB269_263
.LBB269_247:
	v_cmp_ne_u32_e32 vcc_lo, 1, v48
	s_cbranch_vccnz .LBB269_249
; %bb.248:
	v_lshlrev_b64 v[26:27], 1, v[0:1]
	v_add_co_u32 v26, vcc_lo, v24, v26
	v_add_co_ci_u32_e64 v27, null, v25, v27, vcc_lo
	global_load_ushort v26, v[26:27], off
	s_waitcnt vmcnt(0)
	v_mul_f16_e32 v26, s22, v26
	v_cvt_f32_f16_e32 v26, v26
	s_branch .LBB269_250
.LBB269_249:
	v_mov_b32_e32 v26, 0
.LBB269_250:
	v_pk_add_f16 v27, v10, v18
	v_pk_add_f16 v28, v11, v19
	v_max_f16_e32 v29, v76, v76
	v_lshrrev_b32_e32 v30, 16, v76
	v_max_f32_e32 v26, v26, v26
	v_lshrrev_b32_e32 v31, 16, v27
	v_lshrrev_b32_e32 v32, 16, v28
	v_min_f16_e32 v27, v29, v27
	v_min3_f16 v29, v30, v31, v32
	v_min3_f16 v27, v27, v28, v29
	v_cvt_f32_f16_e32 v27, v27
	v_min_f32_e32 v28, v26, v27
	v_lshlrev_b64 v[26:27], 1, v[0:1]
	v_cvt_f16_f32_e32 v28, v28
	v_add_co_u32 v26, vcc_lo, v22, v26
	v_add_co_ci_u32_e64 v27, null, v23, v27, vcc_lo
	global_store_short v[26:27], v28, off
	s_or_b32 exec_lo, exec_lo, s8
	s_and_b32 s11, s1, s4
	s_and_saveexec_b32 s8, s11
	s_cbranch_execz .LBB269_245
.LBB269_251:
	v_cmp_ne_u32_e32 vcc_lo, 1, v48
	s_cbranch_vccnz .LBB269_253
; %bb.252:
	v_lshlrev_b64 v[26:27], 1, v[42:43]
	v_add_co_u32 v26, vcc_lo, v24, v26
	v_add_co_ci_u32_e64 v27, null, v25, v27, vcc_lo
	global_load_ushort v26, v[26:27], off
	s_waitcnt vmcnt(0)
	v_mul_f16_e32 v26, s22, v26
	v_cvt_f32_f16_e32 v26, v26
	s_branch .LBB269_254
.LBB269_253:
	v_mov_b32_e32 v26, 0
.LBB269_254:
	v_pk_add_f16 v27, v12, v18
	v_pk_add_f16 v28, v13, v19
	v_max_f16_e32 v29, v75, v75
	v_lshrrev_b32_e32 v30, 16, v75
	v_max_f32_e32 v26, v26, v26
	v_lshrrev_b32_e32 v31, 16, v27
	v_lshrrev_b32_e32 v32, 16, v28
	v_min_f16_e32 v27, v29, v27
	v_min3_f16 v29, v30, v31, v32
	v_min3_f16 v27, v27, v28, v29
	v_cvt_f32_f16_e32 v27, v27
	v_min_f32_e32 v28, v26, v27
	v_lshlrev_b64 v[26:27], 1, v[42:43]
	v_cvt_f16_f32_e32 v28, v28
	v_add_co_u32 v26, vcc_lo, v22, v26
	v_add_co_ci_u32_e64 v27, null, v23, v27, vcc_lo
	global_store_short v[26:27], v28, off
	s_or_b32 exec_lo, exec_lo, s8
	s_and_b32 s11, s2, s4
	s_and_saveexec_b32 s8, s11
	s_cbranch_execz .LBB269_246
.LBB269_255:
	v_cmp_ne_u32_e32 vcc_lo, 1, v48
	s_cbranch_vccnz .LBB269_257
; %bb.256:
	v_lshlrev_b64 v[26:27], 1, v[44:45]
	v_add_co_u32 v26, vcc_lo, v24, v26
	v_add_co_ci_u32_e64 v27, null, v25, v27, vcc_lo
	global_load_ushort v26, v[26:27], off
	s_waitcnt vmcnt(0)
	v_mul_f16_e32 v26, s22, v26
	v_cvt_f32_f16_e32 v26, v26
	s_branch .LBB269_258
.LBB269_257:
	v_mov_b32_e32 v26, 0
.LBB269_258:
	v_pk_add_f16 v27, v2, v18
	v_pk_add_f16 v28, v3, v19
	v_max_f16_e32 v29, v74, v74
	v_lshrrev_b32_e32 v30, 16, v74
	v_max_f32_e32 v26, v26, v26
	v_lshrrev_b32_e32 v31, 16, v27
	v_lshrrev_b32_e32 v32, 16, v28
	v_min_f16_e32 v27, v29, v27
	v_min3_f16 v29, v30, v31, v32
	v_min3_f16 v27, v27, v28, v29
	v_cvt_f32_f16_e32 v27, v27
	v_min_f32_e32 v28, v26, v27
	v_lshlrev_b64 v[26:27], 1, v[44:45]
	v_cvt_f16_f32_e32 v28, v28
	v_add_co_u32 v26, vcc_lo, v22, v26
	v_add_co_ci_u32_e64 v27, null, v23, v27, vcc_lo
	global_store_short v[26:27], v28, off
	s_or_b32 exec_lo, exec_lo, s8
	s_and_b32 s8, s3, s4
	s_and_saveexec_b32 s4, s8
	s_cbranch_execz .LBB269_263
.LBB269_259:
	v_cmp_ne_u32_e32 vcc_lo, 1, v48
	s_cbranch_vccnz .LBB269_261
; %bb.260:
	v_lshlrev_b64 v[26:27], 1, v[46:47]
	v_add_co_u32 v24, vcc_lo, v24, v26
	v_add_co_ci_u32_e64 v25, null, v25, v27, vcc_lo
	global_load_ushort v24, v[24:25], off
	s_waitcnt vmcnt(0)
	v_mul_f16_e32 v24, s22, v24
	v_cvt_f32_f16_e32 v24, v24
	s_branch .LBB269_262
.LBB269_261:
	v_mov_b32_e32 v24, 0
.LBB269_262:
	v_pk_add_f16 v18, v4, v18
	v_pk_add_f16 v19, v5, v19
	v_max_f16_e32 v25, v73, v73
	v_lshrrev_b32_e32 v26, 16, v73
	v_lshrrev_b32_e32 v27, 16, v18
	;; [unrolled: 1-line block ×3, first 2 shown]
	v_min_f16_e32 v18, v25, v18
	v_min3_f16 v25, v26, v27, v28
	v_min3_f16 v18, v18, v19, v25
	v_max_f32_e32 v19, v24, v24
	v_cvt_f32_f16_e32 v18, v18
	v_min_f32_e32 v24, v19, v18
	v_lshlrev_b64 v[18:19], 1, v[46:47]
	v_cvt_f16_f32_e32 v24, v24
	v_add_co_u32 v18, vcc_lo, v22, v18
	v_add_co_ci_u32_e64 v19, null, v23, v19, vcc_lo
	global_store_short v[18:19], v24, off
.LBB269_263:
	s_or_b32 exec_lo, exec_lo, s4
	v_add_nc_u32_e32 v24, 0x58, v49
	v_mad_i64_i32 v[18:19], null, v24, s6, 0
	v_mad_i64_i32 v[22:23], null, v24, s5, 0
	v_cmp_gt_i32_e64 s4, s9, v24
	v_lshlrev_b64 v[18:19], 1, v[18:19]
	s_and_b32 s11, s0, s4
	v_lshlrev_b64 v[24:25], 1, v[22:23]
	v_add_co_u32 v22, vcc_lo, s16, v18
	v_add_co_ci_u32_e64 v23, null, s17, v19, vcc_lo
	v_add_co_u32 v18, vcc_lo, s7, v24
	v_add_co_ci_u32_e64 v19, null, s10, v25, vcc_lo
	s_and_saveexec_b32 s8, s11
	s_cbranch_execnz .LBB269_267
; %bb.264:
	s_or_b32 exec_lo, exec_lo, s8
	s_and_b32 s11, s1, s4
	s_and_saveexec_b32 s8, s11
	s_cbranch_execnz .LBB269_271
.LBB269_265:
	s_or_b32 exec_lo, exec_lo, s8
	s_and_b32 s11, s2, s4
	s_and_saveexec_b32 s8, s11
	s_cbranch_execnz .LBB269_275
.LBB269_266:
	s_or_b32 exec_lo, exec_lo, s8
	s_and_b32 s8, s3, s4
	s_and_saveexec_b32 s4, s8
	s_cbranch_execnz .LBB269_279
	s_branch .LBB269_283
.LBB269_267:
	v_cmp_ne_u32_e32 vcc_lo, 1, v48
	s_cbranch_vccnz .LBB269_269
; %bb.268:
	v_lshlrev_b64 v[24:25], 1, v[0:1]
	v_add_co_u32 v24, vcc_lo, v22, v24
	v_add_co_ci_u32_e64 v25, null, v23, v25, vcc_lo
	global_load_ushort v24, v[24:25], off
	s_waitcnt vmcnt(0)
	v_mul_f16_e32 v24, s22, v24
	v_cvt_f32_f16_e32 v24, v24
	s_branch .LBB269_270
.LBB269_269:
	v_mov_b32_e32 v24, 0
.LBB269_270:
	v_pk_add_f16 v25, v10, v20
	v_pk_add_f16 v26, v11, v21
	v_max_f16_e32 v27, v72, v72
	v_lshrrev_b32_e32 v28, 16, v72
	v_max_f32_e32 v24, v24, v24
	v_lshrrev_b32_e32 v29, 16, v25
	v_lshrrev_b32_e32 v30, 16, v26
	v_min_f16_e32 v25, v27, v25
	v_min3_f16 v27, v28, v29, v30
	v_min3_f16 v25, v25, v26, v27
	v_cvt_f32_f16_e32 v25, v25
	v_min_f32_e32 v26, v24, v25
	v_lshlrev_b64 v[24:25], 1, v[0:1]
	v_cvt_f16_f32_e32 v26, v26
	v_add_co_u32 v24, vcc_lo, v18, v24
	v_add_co_ci_u32_e64 v25, null, v19, v25, vcc_lo
	global_store_short v[24:25], v26, off
	s_or_b32 exec_lo, exec_lo, s8
	s_and_b32 s11, s1, s4
	s_and_saveexec_b32 s8, s11
	s_cbranch_execz .LBB269_265
.LBB269_271:
	v_cmp_ne_u32_e32 vcc_lo, 1, v48
	s_cbranch_vccnz .LBB269_273
; %bb.272:
	v_lshlrev_b64 v[24:25], 1, v[42:43]
	v_add_co_u32 v24, vcc_lo, v22, v24
	v_add_co_ci_u32_e64 v25, null, v23, v25, vcc_lo
	global_load_ushort v24, v[24:25], off
	s_waitcnt vmcnt(0)
	v_mul_f16_e32 v24, s22, v24
	v_cvt_f32_f16_e32 v24, v24
	s_branch .LBB269_274
.LBB269_273:
	v_mov_b32_e32 v24, 0
.LBB269_274:
	v_pk_add_f16 v25, v12, v20
	v_pk_add_f16 v26, v13, v21
	v_max_f16_e32 v27, v71, v71
	v_lshrrev_b32_e32 v28, 16, v71
	v_max_f32_e32 v24, v24, v24
	v_lshrrev_b32_e32 v29, 16, v25
	v_lshrrev_b32_e32 v30, 16, v26
	v_min_f16_e32 v25, v27, v25
	v_min3_f16 v27, v28, v29, v30
	v_min3_f16 v25, v25, v26, v27
	v_cvt_f32_f16_e32 v25, v25
	v_min_f32_e32 v26, v24, v25
	v_lshlrev_b64 v[24:25], 1, v[42:43]
	v_cvt_f16_f32_e32 v26, v26
	v_add_co_u32 v24, vcc_lo, v18, v24
	v_add_co_ci_u32_e64 v25, null, v19, v25, vcc_lo
	global_store_short v[24:25], v26, off
	s_or_b32 exec_lo, exec_lo, s8
	s_and_b32 s11, s2, s4
	s_and_saveexec_b32 s8, s11
	s_cbranch_execz .LBB269_266
.LBB269_275:
	v_cmp_ne_u32_e32 vcc_lo, 1, v48
	s_cbranch_vccnz .LBB269_277
; %bb.276:
	v_lshlrev_b64 v[24:25], 1, v[44:45]
	v_add_co_u32 v24, vcc_lo, v22, v24
	v_add_co_ci_u32_e64 v25, null, v23, v25, vcc_lo
	global_load_ushort v24, v[24:25], off
	s_waitcnt vmcnt(0)
	v_mul_f16_e32 v24, s22, v24
	v_cvt_f32_f16_e32 v24, v24
	s_branch .LBB269_278
.LBB269_277:
	v_mov_b32_e32 v24, 0
.LBB269_278:
	v_pk_add_f16 v25, v2, v20
	v_pk_add_f16 v26, v3, v21
	v_max_f16_e32 v27, v70, v70
	v_lshrrev_b32_e32 v28, 16, v70
	v_max_f32_e32 v24, v24, v24
	v_lshrrev_b32_e32 v29, 16, v25
	v_lshrrev_b32_e32 v30, 16, v26
	v_min_f16_e32 v25, v27, v25
	v_min3_f16 v27, v28, v29, v30
	v_min3_f16 v25, v25, v26, v27
	v_cvt_f32_f16_e32 v25, v25
	v_min_f32_e32 v26, v24, v25
	v_lshlrev_b64 v[24:25], 1, v[44:45]
	v_cvt_f16_f32_e32 v26, v26
	v_add_co_u32 v24, vcc_lo, v18, v24
	v_add_co_ci_u32_e64 v25, null, v19, v25, vcc_lo
	global_store_short v[24:25], v26, off
	s_or_b32 exec_lo, exec_lo, s8
	s_and_b32 s8, s3, s4
	s_and_saveexec_b32 s4, s8
	s_cbranch_execz .LBB269_283
.LBB269_279:
	v_cmp_ne_u32_e32 vcc_lo, 1, v48
	s_cbranch_vccnz .LBB269_281
; %bb.280:
	v_lshlrev_b64 v[24:25], 1, v[46:47]
	v_add_co_u32 v22, vcc_lo, v22, v24
	v_add_co_ci_u32_e64 v23, null, v23, v25, vcc_lo
	global_load_ushort v22, v[22:23], off
	s_waitcnt vmcnt(0)
	v_mul_f16_e32 v22, s22, v22
	v_cvt_f32_f16_e32 v22, v22
	s_branch .LBB269_282
.LBB269_281:
	v_mov_b32_e32 v22, 0
.LBB269_282:
	v_pk_add_f16 v20, v4, v20
	v_pk_add_f16 v21, v5, v21
	v_max_f16_e32 v23, v69, v69
	v_lshrrev_b32_e32 v24, 16, v69
	v_lshrrev_b32_e32 v25, 16, v20
	;; [unrolled: 1-line block ×3, first 2 shown]
	v_min_f16_e32 v20, v23, v20
	v_min3_f16 v23, v24, v25, v26
	v_min3_f16 v20, v20, v21, v23
	v_max_f32_e32 v21, v22, v22
	v_cvt_f32_f16_e32 v20, v20
	v_min_f32_e32 v22, v21, v20
	v_lshlrev_b64 v[20:21], 1, v[46:47]
	v_cvt_f16_f32_e32 v22, v22
	v_add_co_u32 v18, vcc_lo, v18, v20
	v_add_co_ci_u32_e64 v19, null, v19, v21, vcc_lo
	global_store_short v[18:19], v22, off
.LBB269_283:
	s_or_b32 exec_lo, exec_lo, s4
	v_add_nc_u32_e32 v22, 0x60, v49
	v_mad_i64_i32 v[18:19], null, v22, s6, 0
	v_mad_i64_i32 v[20:21], null, v22, s5, 0
	v_cmp_gt_i32_e64 s4, s9, v22
	v_lshlrev_b64 v[18:19], 1, v[18:19]
	s_and_b32 s11, s0, s4
	v_lshlrev_b64 v[22:23], 1, v[20:21]
	v_add_co_u32 v20, vcc_lo, s16, v18
	v_add_co_ci_u32_e64 v21, null, s17, v19, vcc_lo
	v_add_co_u32 v18, vcc_lo, s7, v22
	v_add_co_ci_u32_e64 v19, null, s10, v23, vcc_lo
	s_and_saveexec_b32 s8, s11
	s_cbranch_execnz .LBB269_287
; %bb.284:
	s_or_b32 exec_lo, exec_lo, s8
	s_and_b32 s11, s1, s4
	s_and_saveexec_b32 s8, s11
	s_cbranch_execnz .LBB269_291
.LBB269_285:
	s_or_b32 exec_lo, exec_lo, s8
	s_and_b32 s11, s2, s4
	s_and_saveexec_b32 s8, s11
	s_cbranch_execnz .LBB269_295
.LBB269_286:
	s_or_b32 exec_lo, exec_lo, s8
	s_and_b32 s8, s3, s4
	s_and_saveexec_b32 s4, s8
	s_cbranch_execnz .LBB269_299
	s_branch .LBB269_303
.LBB269_287:
	v_cmp_ne_u32_e32 vcc_lo, 1, v48
	s_cbranch_vccnz .LBB269_289
; %bb.288:
	v_lshlrev_b64 v[22:23], 1, v[0:1]
	v_add_co_u32 v22, vcc_lo, v20, v22
	v_add_co_ci_u32_e64 v23, null, v21, v23, vcc_lo
	global_load_ushort v22, v[22:23], off
	s_waitcnt vmcnt(0)
	v_mul_f16_e32 v22, s22, v22
	v_cvt_f32_f16_e32 v22, v22
	s_branch .LBB269_290
.LBB269_289:
	v_mov_b32_e32 v22, 0
.LBB269_290:
	v_pk_add_f16 v23, v10, v14
	v_pk_add_f16 v24, v11, v15
	v_max_f16_e32 v25, v68, v68
	v_lshrrev_b32_e32 v26, 16, v68
	v_max_f32_e32 v22, v22, v22
	v_lshrrev_b32_e32 v27, 16, v23
	v_lshrrev_b32_e32 v28, 16, v24
	v_min_f16_e32 v23, v25, v23
	v_min3_f16 v25, v26, v27, v28
	v_min3_f16 v23, v23, v24, v25
	v_cvt_f32_f16_e32 v23, v23
	v_min_f32_e32 v24, v22, v23
	v_lshlrev_b64 v[22:23], 1, v[0:1]
	v_cvt_f16_f32_e32 v24, v24
	v_add_co_u32 v22, vcc_lo, v18, v22
	v_add_co_ci_u32_e64 v23, null, v19, v23, vcc_lo
	global_store_short v[22:23], v24, off
	s_or_b32 exec_lo, exec_lo, s8
	s_and_b32 s11, s1, s4
	s_and_saveexec_b32 s8, s11
	s_cbranch_execz .LBB269_285
.LBB269_291:
	v_cmp_ne_u32_e32 vcc_lo, 1, v48
	s_cbranch_vccnz .LBB269_293
; %bb.292:
	v_lshlrev_b64 v[22:23], 1, v[42:43]
	v_add_co_u32 v22, vcc_lo, v20, v22
	v_add_co_ci_u32_e64 v23, null, v21, v23, vcc_lo
	global_load_ushort v22, v[22:23], off
	s_waitcnt vmcnt(0)
	v_mul_f16_e32 v22, s22, v22
	v_cvt_f32_f16_e32 v22, v22
	s_branch .LBB269_294
.LBB269_293:
	v_mov_b32_e32 v22, 0
.LBB269_294:
	v_pk_add_f16 v23, v12, v14
	v_pk_add_f16 v24, v13, v15
	v_max_f16_e32 v25, v67, v67
	v_lshrrev_b32_e32 v26, 16, v67
	v_max_f32_e32 v22, v22, v22
	v_lshrrev_b32_e32 v27, 16, v23
	v_lshrrev_b32_e32 v28, 16, v24
	v_min_f16_e32 v23, v25, v23
	v_min3_f16 v25, v26, v27, v28
	v_min3_f16 v23, v23, v24, v25
	v_cvt_f32_f16_e32 v23, v23
	v_min_f32_e32 v24, v22, v23
	v_lshlrev_b64 v[22:23], 1, v[42:43]
	v_cvt_f16_f32_e32 v24, v24
	v_add_co_u32 v22, vcc_lo, v18, v22
	v_add_co_ci_u32_e64 v23, null, v19, v23, vcc_lo
	global_store_short v[22:23], v24, off
	s_or_b32 exec_lo, exec_lo, s8
	s_and_b32 s11, s2, s4
	s_and_saveexec_b32 s8, s11
	s_cbranch_execz .LBB269_286
.LBB269_295:
	v_cmp_ne_u32_e32 vcc_lo, 1, v48
	s_cbranch_vccnz .LBB269_297
; %bb.296:
	v_lshlrev_b64 v[22:23], 1, v[44:45]
	v_add_co_u32 v22, vcc_lo, v20, v22
	v_add_co_ci_u32_e64 v23, null, v21, v23, vcc_lo
	global_load_ushort v22, v[22:23], off
	s_waitcnt vmcnt(0)
	v_mul_f16_e32 v22, s22, v22
	v_cvt_f32_f16_e32 v22, v22
	s_branch .LBB269_298
.LBB269_297:
	v_mov_b32_e32 v22, 0
.LBB269_298:
	v_pk_add_f16 v23, v2, v14
	v_pk_add_f16 v24, v3, v15
	v_max_f16_e32 v25, v66, v66
	v_lshrrev_b32_e32 v26, 16, v66
	v_max_f32_e32 v22, v22, v22
	v_lshrrev_b32_e32 v27, 16, v23
	v_lshrrev_b32_e32 v28, 16, v24
	v_min_f16_e32 v23, v25, v23
	v_min3_f16 v25, v26, v27, v28
	v_min3_f16 v23, v23, v24, v25
	v_cvt_f32_f16_e32 v23, v23
	v_min_f32_e32 v24, v22, v23
	v_lshlrev_b64 v[22:23], 1, v[44:45]
	v_cvt_f16_f32_e32 v24, v24
	v_add_co_u32 v22, vcc_lo, v18, v22
	v_add_co_ci_u32_e64 v23, null, v19, v23, vcc_lo
	global_store_short v[22:23], v24, off
	s_or_b32 exec_lo, exec_lo, s8
	s_and_b32 s8, s3, s4
	s_and_saveexec_b32 s4, s8
	s_cbranch_execz .LBB269_303
.LBB269_299:
	v_cmp_ne_u32_e32 vcc_lo, 1, v48
	s_cbranch_vccnz .LBB269_301
; %bb.300:
	v_lshlrev_b64 v[22:23], 1, v[46:47]
	v_add_co_u32 v20, vcc_lo, v20, v22
	v_add_co_ci_u32_e64 v21, null, v21, v23, vcc_lo
	global_load_ushort v20, v[20:21], off
	s_waitcnt vmcnt(0)
	v_mul_f16_e32 v20, s22, v20
	v_cvt_f32_f16_e32 v20, v20
	s_branch .LBB269_302
.LBB269_301:
	v_mov_b32_e32 v20, 0
.LBB269_302:
	v_pk_add_f16 v14, v4, v14
	v_pk_add_f16 v15, v5, v15
	v_max_f16_e32 v21, v65, v65
	v_lshrrev_b32_e32 v22, 16, v65
	v_lshrrev_b32_e32 v23, 16, v14
	;; [unrolled: 1-line block ×3, first 2 shown]
	v_min_f16_e32 v14, v21, v14
	v_min3_f16 v21, v22, v23, v24
	v_min3_f16 v14, v14, v15, v21
	v_max_f32_e32 v15, v20, v20
	v_cvt_f32_f16_e32 v14, v14
	v_min_f32_e32 v20, v15, v14
	v_lshlrev_b64 v[14:15], 1, v[46:47]
	v_cvt_f16_f32_e32 v20, v20
	v_add_co_u32 v14, vcc_lo, v18, v14
	v_add_co_ci_u32_e64 v15, null, v19, v15, vcc_lo
	global_store_short v[14:15], v20, off
.LBB269_303:
	s_or_b32 exec_lo, exec_lo, s4
	v_add_nc_u32_e32 v20, 0x68, v49
	v_mad_i64_i32 v[14:15], null, v20, s6, 0
	v_mad_i64_i32 v[18:19], null, v20, s5, 0
	v_cmp_gt_i32_e64 s4, s9, v20
	v_lshlrev_b64 v[14:15], 1, v[14:15]
	s_and_b32 s11, s0, s4
	v_lshlrev_b64 v[20:21], 1, v[18:19]
	v_add_co_u32 v18, vcc_lo, s16, v14
	v_add_co_ci_u32_e64 v19, null, s17, v15, vcc_lo
	v_add_co_u32 v14, vcc_lo, s7, v20
	v_add_co_ci_u32_e64 v15, null, s10, v21, vcc_lo
	s_and_saveexec_b32 s8, s11
	s_cbranch_execnz .LBB269_307
; %bb.304:
	s_or_b32 exec_lo, exec_lo, s8
	s_and_b32 s11, s1, s4
	s_and_saveexec_b32 s8, s11
	s_cbranch_execnz .LBB269_311
.LBB269_305:
	s_or_b32 exec_lo, exec_lo, s8
	s_and_b32 s11, s2, s4
	s_and_saveexec_b32 s8, s11
	s_cbranch_execnz .LBB269_315
.LBB269_306:
	s_or_b32 exec_lo, exec_lo, s8
	s_and_b32 s8, s3, s4
	s_and_saveexec_b32 s4, s8
	s_cbranch_execnz .LBB269_319
	s_branch .LBB269_323
.LBB269_307:
	v_cmp_ne_u32_e32 vcc_lo, 1, v48
	s_cbranch_vccnz .LBB269_309
; %bb.308:
	v_lshlrev_b64 v[20:21], 1, v[0:1]
	v_add_co_u32 v20, vcc_lo, v18, v20
	v_add_co_ci_u32_e64 v21, null, v19, v21, vcc_lo
	global_load_ushort v20, v[20:21], off
	s_waitcnt vmcnt(0)
	v_mul_f16_e32 v20, s22, v20
	v_cvt_f32_f16_e32 v20, v20
	s_branch .LBB269_310
.LBB269_309:
	v_mov_b32_e32 v20, 0
.LBB269_310:
	v_pk_add_f16 v21, v10, v16
	v_pk_add_f16 v22, v11, v17
	v_max_f16_e32 v23, v64, v64
	v_lshrrev_b32_e32 v24, 16, v64
	v_max_f32_e32 v20, v20, v20
	v_lshrrev_b32_e32 v25, 16, v21
	v_lshrrev_b32_e32 v26, 16, v22
	v_min_f16_e32 v21, v23, v21
	v_min3_f16 v23, v24, v25, v26
	v_min3_f16 v21, v21, v22, v23
	v_cvt_f32_f16_e32 v21, v21
	v_min_f32_e32 v22, v20, v21
	v_lshlrev_b64 v[20:21], 1, v[0:1]
	v_cvt_f16_f32_e32 v22, v22
	v_add_co_u32 v20, vcc_lo, v14, v20
	v_add_co_ci_u32_e64 v21, null, v15, v21, vcc_lo
	global_store_short v[20:21], v22, off
	s_or_b32 exec_lo, exec_lo, s8
	s_and_b32 s11, s1, s4
	s_and_saveexec_b32 s8, s11
	s_cbranch_execz .LBB269_305
.LBB269_311:
	v_cmp_ne_u32_e32 vcc_lo, 1, v48
	s_cbranch_vccnz .LBB269_313
; %bb.312:
	v_lshlrev_b64 v[20:21], 1, v[42:43]
	v_add_co_u32 v20, vcc_lo, v18, v20
	v_add_co_ci_u32_e64 v21, null, v19, v21, vcc_lo
	global_load_ushort v20, v[20:21], off
	s_waitcnt vmcnt(0)
	v_mul_f16_e32 v20, s22, v20
	v_cvt_f32_f16_e32 v20, v20
	s_branch .LBB269_314
.LBB269_313:
	v_mov_b32_e32 v20, 0
.LBB269_314:
	v_pk_add_f16 v21, v12, v16
	v_pk_add_f16 v22, v13, v17
	v_max_f16_e32 v23, v63, v63
	v_lshrrev_b32_e32 v24, 16, v63
	v_max_f32_e32 v20, v20, v20
	v_lshrrev_b32_e32 v25, 16, v21
	v_lshrrev_b32_e32 v26, 16, v22
	v_min_f16_e32 v21, v23, v21
	v_min3_f16 v23, v24, v25, v26
	v_min3_f16 v21, v21, v22, v23
	v_cvt_f32_f16_e32 v21, v21
	v_min_f32_e32 v22, v20, v21
	v_lshlrev_b64 v[20:21], 1, v[42:43]
	v_cvt_f16_f32_e32 v22, v22
	v_add_co_u32 v20, vcc_lo, v14, v20
	v_add_co_ci_u32_e64 v21, null, v15, v21, vcc_lo
	global_store_short v[20:21], v22, off
	s_or_b32 exec_lo, exec_lo, s8
	s_and_b32 s11, s2, s4
	s_and_saveexec_b32 s8, s11
	s_cbranch_execz .LBB269_306
.LBB269_315:
	v_cmp_ne_u32_e32 vcc_lo, 1, v48
	s_cbranch_vccnz .LBB269_317
; %bb.316:
	v_lshlrev_b64 v[20:21], 1, v[44:45]
	v_add_co_u32 v20, vcc_lo, v18, v20
	v_add_co_ci_u32_e64 v21, null, v19, v21, vcc_lo
	global_load_ushort v20, v[20:21], off
	s_waitcnt vmcnt(0)
	v_mul_f16_e32 v20, s22, v20
	v_cvt_f32_f16_e32 v20, v20
	s_branch .LBB269_318
.LBB269_317:
	v_mov_b32_e32 v20, 0
.LBB269_318:
	v_pk_add_f16 v21, v2, v16
	v_pk_add_f16 v22, v3, v17
	v_max_f16_e32 v23, v62, v62
	v_lshrrev_b32_e32 v24, 16, v62
	v_max_f32_e32 v20, v20, v20
	v_lshrrev_b32_e32 v25, 16, v21
	v_lshrrev_b32_e32 v26, 16, v22
	v_min_f16_e32 v21, v23, v21
	v_min3_f16 v23, v24, v25, v26
	v_min3_f16 v21, v21, v22, v23
	v_cvt_f32_f16_e32 v21, v21
	v_min_f32_e32 v22, v20, v21
	v_lshlrev_b64 v[20:21], 1, v[44:45]
	v_cvt_f16_f32_e32 v22, v22
	v_add_co_u32 v20, vcc_lo, v14, v20
	v_add_co_ci_u32_e64 v21, null, v15, v21, vcc_lo
	global_store_short v[20:21], v22, off
	s_or_b32 exec_lo, exec_lo, s8
	s_and_b32 s8, s3, s4
	s_and_saveexec_b32 s4, s8
	s_cbranch_execz .LBB269_323
.LBB269_319:
	v_cmp_ne_u32_e32 vcc_lo, 1, v48
	s_cbranch_vccnz .LBB269_321
; %bb.320:
	v_lshlrev_b64 v[20:21], 1, v[46:47]
	v_add_co_u32 v18, vcc_lo, v18, v20
	v_add_co_ci_u32_e64 v19, null, v19, v21, vcc_lo
	global_load_ushort v18, v[18:19], off
	s_waitcnt vmcnt(0)
	v_mul_f16_e32 v18, s22, v18
	v_cvt_f32_f16_e32 v18, v18
	s_branch .LBB269_322
.LBB269_321:
	v_mov_b32_e32 v18, 0
.LBB269_322:
	v_pk_add_f16 v16, v4, v16
	v_pk_add_f16 v17, v5, v17
	v_max_f16_e32 v19, v61, v61
	v_lshrrev_b32_e32 v20, 16, v61
	v_lshrrev_b32_e32 v21, 16, v16
	;; [unrolled: 1-line block ×3, first 2 shown]
	v_min_f16_e32 v16, v19, v16
	v_min3_f16 v19, v20, v21, v22
	v_min3_f16 v16, v16, v17, v19
	v_max_f32_e32 v17, v18, v18
	v_cvt_f32_f16_e32 v16, v16
	v_min_f32_e32 v18, v17, v16
	v_lshlrev_b64 v[16:17], 1, v[46:47]
	v_cvt_f16_f32_e32 v18, v18
	v_add_co_u32 v14, vcc_lo, v14, v16
	v_add_co_ci_u32_e64 v15, null, v15, v17, vcc_lo
	global_store_short v[14:15], v18, off
.LBB269_323:
	s_or_b32 exec_lo, exec_lo, s4
	v_add_nc_u32_e32 v18, 0x70, v49
	v_mad_i64_i32 v[14:15], null, v18, s6, 0
	v_mad_i64_i32 v[16:17], null, v18, s5, 0
	v_cmp_gt_i32_e64 s4, s9, v18
	v_lshlrev_b64 v[14:15], 1, v[14:15]
	s_and_b32 s11, s0, s4
	v_lshlrev_b64 v[18:19], 1, v[16:17]
	v_add_co_u32 v16, vcc_lo, s16, v14
	v_add_co_ci_u32_e64 v17, null, s17, v15, vcc_lo
	v_add_co_u32 v14, vcc_lo, s7, v18
	v_add_co_ci_u32_e64 v15, null, s10, v19, vcc_lo
	s_and_saveexec_b32 s8, s11
	s_cbranch_execnz .LBB269_327
; %bb.324:
	s_or_b32 exec_lo, exec_lo, s8
	s_and_b32 s11, s1, s4
	s_and_saveexec_b32 s8, s11
	s_cbranch_execnz .LBB269_331
.LBB269_325:
	s_or_b32 exec_lo, exec_lo, s8
	s_and_b32 s11, s2, s4
	s_and_saveexec_b32 s8, s11
	s_cbranch_execnz .LBB269_335
.LBB269_326:
	s_or_b32 exec_lo, exec_lo, s8
	s_and_b32 s8, s3, s4
	s_and_saveexec_b32 s4, s8
	s_cbranch_execnz .LBB269_339
	s_branch .LBB269_343
.LBB269_327:
	v_cmp_ne_u32_e32 vcc_lo, 1, v48
	s_cbranch_vccnz .LBB269_329
; %bb.328:
	v_lshlrev_b64 v[18:19], 1, v[0:1]
	v_add_co_u32 v18, vcc_lo, v16, v18
	v_add_co_ci_u32_e64 v19, null, v17, v19, vcc_lo
	global_load_ushort v18, v[18:19], off
	s_waitcnt vmcnt(0)
	v_mul_f16_e32 v18, s22, v18
	v_cvt_f32_f16_e32 v18, v18
	s_branch .LBB269_330
.LBB269_329:
	v_mov_b32_e32 v18, 0
.LBB269_330:
	v_pk_add_f16 v19, v10, v6
	v_pk_add_f16 v20, v11, v7
	v_max_f16_e32 v21, v59, v59
	v_lshrrev_b32_e32 v22, 16, v59
	v_max_f32_e32 v18, v18, v18
	v_lshrrev_b32_e32 v23, 16, v19
	v_lshrrev_b32_e32 v24, 16, v20
	v_min_f16_e32 v19, v21, v19
	v_min3_f16 v21, v22, v23, v24
	v_min3_f16 v19, v19, v20, v21
	v_cvt_f32_f16_e32 v19, v19
	v_min_f32_e32 v20, v18, v19
	v_lshlrev_b64 v[18:19], 1, v[0:1]
	v_cvt_f16_f32_e32 v20, v20
	v_add_co_u32 v18, vcc_lo, v14, v18
	v_add_co_ci_u32_e64 v19, null, v15, v19, vcc_lo
	global_store_short v[18:19], v20, off
	s_or_b32 exec_lo, exec_lo, s8
	s_and_b32 s11, s1, s4
	s_and_saveexec_b32 s8, s11
	s_cbranch_execz .LBB269_325
.LBB269_331:
	v_cmp_ne_u32_e32 vcc_lo, 1, v48
	s_cbranch_vccnz .LBB269_333
; %bb.332:
	v_lshlrev_b64 v[18:19], 1, v[42:43]
	v_add_co_u32 v18, vcc_lo, v16, v18
	v_add_co_ci_u32_e64 v19, null, v17, v19, vcc_lo
	global_load_ushort v18, v[18:19], off
	s_waitcnt vmcnt(0)
	v_mul_f16_e32 v18, s22, v18
	v_cvt_f32_f16_e32 v18, v18
	s_branch .LBB269_334
.LBB269_333:
	v_mov_b32_e32 v18, 0
.LBB269_334:
	v_pk_add_f16 v19, v12, v6
	v_pk_add_f16 v20, v13, v7
	v_max_f16_e32 v21, v58, v58
	v_lshrrev_b32_e32 v22, 16, v58
	v_max_f32_e32 v18, v18, v18
	v_lshrrev_b32_e32 v23, 16, v19
	v_lshrrev_b32_e32 v24, 16, v20
	v_min_f16_e32 v19, v21, v19
	v_min3_f16 v21, v22, v23, v24
	v_min3_f16 v19, v19, v20, v21
	v_cvt_f32_f16_e32 v19, v19
	v_min_f32_e32 v20, v18, v19
	v_lshlrev_b64 v[18:19], 1, v[42:43]
	v_cvt_f16_f32_e32 v20, v20
	v_add_co_u32 v18, vcc_lo, v14, v18
	v_add_co_ci_u32_e64 v19, null, v15, v19, vcc_lo
	global_store_short v[18:19], v20, off
	s_or_b32 exec_lo, exec_lo, s8
	s_and_b32 s11, s2, s4
	s_and_saveexec_b32 s8, s11
	s_cbranch_execz .LBB269_326
.LBB269_335:
	v_cmp_ne_u32_e32 vcc_lo, 1, v48
	s_cbranch_vccnz .LBB269_337
; %bb.336:
	v_lshlrev_b64 v[18:19], 1, v[44:45]
	v_add_co_u32 v18, vcc_lo, v16, v18
	v_add_co_ci_u32_e64 v19, null, v17, v19, vcc_lo
	global_load_ushort v18, v[18:19], off
	s_waitcnt vmcnt(0)
	v_mul_f16_e32 v18, s22, v18
	v_cvt_f32_f16_e32 v18, v18
	s_branch .LBB269_338
.LBB269_337:
	v_mov_b32_e32 v18, 0
.LBB269_338:
	v_pk_add_f16 v19, v2, v6
	v_pk_add_f16 v20, v3, v7
	v_max_f16_e32 v21, v56, v56
	v_lshrrev_b32_e32 v22, 16, v56
	v_max_f32_e32 v18, v18, v18
	v_lshrrev_b32_e32 v23, 16, v19
	v_lshrrev_b32_e32 v24, 16, v20
	v_min_f16_e32 v19, v21, v19
	v_min3_f16 v21, v22, v23, v24
	v_min3_f16 v19, v19, v20, v21
	v_cvt_f32_f16_e32 v19, v19
	v_min_f32_e32 v20, v18, v19
	v_lshlrev_b64 v[18:19], 1, v[44:45]
	v_cvt_f16_f32_e32 v20, v20
	v_add_co_u32 v18, vcc_lo, v14, v18
	v_add_co_ci_u32_e64 v19, null, v15, v19, vcc_lo
	global_store_short v[18:19], v20, off
	s_or_b32 exec_lo, exec_lo, s8
	s_and_b32 s8, s3, s4
	s_and_saveexec_b32 s4, s8
	s_cbranch_execz .LBB269_343
.LBB269_339:
	v_cmp_ne_u32_e32 vcc_lo, 1, v48
	s_cbranch_vccnz .LBB269_341
; %bb.340:
	v_lshlrev_b64 v[18:19], 1, v[46:47]
	v_add_co_u32 v16, vcc_lo, v16, v18
	v_add_co_ci_u32_e64 v17, null, v17, v19, vcc_lo
	global_load_ushort v16, v[16:17], off
	s_waitcnt vmcnt(0)
	v_mul_f16_e32 v16, s22, v16
	v_cvt_f32_f16_e32 v16, v16
	s_branch .LBB269_342
.LBB269_341:
	v_mov_b32_e32 v16, 0
.LBB269_342:
	v_pk_add_f16 v6, v4, v6
	v_pk_add_f16 v7, v5, v7
	v_max_f16_e32 v17, v60, v60
	v_lshrrev_b32_e32 v18, 16, v60
	v_lshrrev_b32_e32 v19, 16, v6
	;; [unrolled: 1-line block ×3, first 2 shown]
	v_min_f16_e32 v6, v17, v6
	v_min3_f16 v17, v18, v19, v20
	v_min3_f16 v6, v6, v7, v17
	v_max_f32_e32 v7, v16, v16
	v_cvt_f32_f16_e32 v6, v6
	v_min_f32_e32 v16, v7, v6
	v_lshlrev_b64 v[6:7], 1, v[46:47]
	v_cvt_f16_f32_e32 v16, v16
	v_add_co_u32 v6, vcc_lo, v14, v6
	v_add_co_ci_u32_e64 v7, null, v15, v7, vcc_lo
	global_store_short v[6:7], v16, off
.LBB269_343:
	s_or_b32 exec_lo, exec_lo, s4
	v_add_nc_u32_e32 v16, 0x78, v49
	v_mad_i64_i32 v[6:7], null, v16, s6, 0
	v_mad_i64_i32 v[14:15], null, v16, s5, 0
	v_cmp_gt_i32_e64 s4, s9, v16
	v_lshlrev_b64 v[6:7], 1, v[6:7]
	s_and_b32 s5, s0, s4
	v_lshlrev_b64 v[16:17], 1, v[14:15]
	v_add_co_u32 v14, vcc_lo, s16, v6
	v_add_co_ci_u32_e64 v15, null, s17, v7, vcc_lo
	v_add_co_u32 v6, vcc_lo, s7, v16
	v_add_co_ci_u32_e64 v7, null, s10, v17, vcc_lo
	s_and_saveexec_b32 s0, s5
	s_cbranch_execnz .LBB269_348
; %bb.344:
	s_or_b32 exec_lo, exec_lo, s0
	s_and_b32 s1, s1, s4
	s_and_saveexec_b32 s0, s1
	s_cbranch_execnz .LBB269_352
.LBB269_345:
	s_or_b32 exec_lo, exec_lo, s0
	s_and_b32 s1, s2, s4
	s_and_saveexec_b32 s0, s1
	s_cbranch_execnz .LBB269_356
.LBB269_346:
	s_or_b32 exec_lo, exec_lo, s0
	s_and_b32 s0, s3, s4
	s_and_saveexec_b32 s1, s0
	s_cbranch_execnz .LBB269_360
.LBB269_347:
	s_endpgm
.LBB269_348:
	v_cmp_ne_u32_e32 vcc_lo, 1, v48
	v_lshlrev_b64 v[0:1], 1, v[0:1]
	s_cbranch_vccnz .LBB269_350
; %bb.349:
	v_add_co_u32 v16, vcc_lo, v14, v0
	v_add_co_ci_u32_e64 v17, null, v15, v1, vcc_lo
	global_load_ushort v16, v[16:17], off
	s_waitcnt vmcnt(0)
	v_mul_f16_e32 v16, s22, v16
	v_cvt_f32_f16_e32 v16, v16
	s_branch .LBB269_351
.LBB269_350:
	v_mov_b32_e32 v16, 0
.LBB269_351:
	v_pk_add_f16 v10, v10, v8
	v_pk_add_f16 v11, v11, v9
	v_max_f16_e32 v17, v57, v57
	v_lshrrev_b32_e32 v18, 16, v57
	v_add_co_u32 v0, vcc_lo, v6, v0
	v_lshrrev_b32_e32 v19, 16, v10
	v_lshrrev_b32_e32 v20, 16, v11
	v_min_f16_e32 v10, v17, v10
	v_add_co_ci_u32_e64 v1, null, v7, v1, vcc_lo
	v_min3_f16 v17, v18, v19, v20
	v_min3_f16 v10, v10, v11, v17
	v_max_f32_e32 v11, v16, v16
	v_cvt_f32_f16_e32 v10, v10
	v_min_f32_e32 v10, v11, v10
	v_cvt_f16_f32_e32 v10, v10
	global_store_short v[0:1], v10, off
	s_or_b32 exec_lo, exec_lo, s0
	s_and_b32 s1, s1, s4
	s_and_saveexec_b32 s0, s1
	s_cbranch_execz .LBB269_345
.LBB269_352:
	v_cmp_ne_u32_e32 vcc_lo, 1, v48
	v_lshlrev_b64 v[0:1], 1, v[42:43]
	s_cbranch_vccnz .LBB269_354
; %bb.353:
	v_add_co_u32 v10, vcc_lo, v14, v0
	v_add_co_ci_u32_e64 v11, null, v15, v1, vcc_lo
	global_load_ushort v10, v[10:11], off
	s_waitcnt vmcnt(0)
	v_mul_f16_e32 v10, s22, v10
	v_cvt_f32_f16_e32 v10, v10
	s_branch .LBB269_355
.LBB269_354:
	v_mov_b32_e32 v10, 0
.LBB269_355:
	v_pk_add_f16 v11, v12, v8
	v_pk_add_f16 v12, v13, v9
	v_max_f16_e32 v13, v55, v55
	v_lshrrev_b32_e32 v16, 16, v55
	v_max_f32_e32 v10, v10, v10
	v_lshrrev_b32_e32 v17, 16, v11
	v_lshrrev_b32_e32 v18, 16, v12
	v_min_f16_e32 v11, v13, v11
	v_add_co_u32 v0, vcc_lo, v6, v0
	v_add_co_ci_u32_e64 v1, null, v7, v1, vcc_lo
	v_min3_f16 v13, v16, v17, v18
	v_min3_f16 v11, v11, v12, v13
	v_cvt_f32_f16_e32 v11, v11
	v_min_f32_e32 v10, v10, v11
	v_cvt_f16_f32_e32 v10, v10
	global_store_short v[0:1], v10, off
	s_or_b32 exec_lo, exec_lo, s0
	s_and_b32 s1, s2, s4
	s_and_saveexec_b32 s0, s1
	s_cbranch_execz .LBB269_346
.LBB269_356:
	v_cmp_ne_u32_e32 vcc_lo, 1, v48
	v_lshlrev_b64 v[0:1], 1, v[44:45]
	s_cbranch_vccnz .LBB269_358
; %bb.357:
	v_add_co_u32 v10, vcc_lo, v14, v0
	v_add_co_ci_u32_e64 v11, null, v15, v1, vcc_lo
	global_load_ushort v10, v[10:11], off
	s_waitcnt vmcnt(0)
	v_mul_f16_e32 v10, s22, v10
	v_cvt_f32_f16_e32 v10, v10
	s_branch .LBB269_359
.LBB269_358:
	v_mov_b32_e32 v10, 0
.LBB269_359:
	v_pk_add_f16 v2, v2, v8
	v_pk_add_f16 v3, v3, v9
	v_max_f16_e32 v11, v54, v54
	v_lshrrev_b32_e32 v12, 16, v54
	v_add_co_u32 v0, vcc_lo, v6, v0
	v_lshrrev_b32_e32 v13, 16, v2
	v_lshrrev_b32_e32 v16, 16, v3
	v_min_f16_e32 v2, v11, v2
	v_add_co_ci_u32_e64 v1, null, v7, v1, vcc_lo
	v_min3_f16 v11, v12, v13, v16
	v_min3_f16 v2, v2, v3, v11
	v_max_f32_e32 v3, v10, v10
	v_cvt_f32_f16_e32 v2, v2
	v_min_f32_e32 v2, v3, v2
	v_cvt_f16_f32_e32 v2, v2
	global_store_short v[0:1], v2, off
	s_or_b32 exec_lo, exec_lo, s0
	s_and_b32 s0, s3, s4
	s_and_saveexec_b32 s1, s0
	s_cbranch_execz .LBB269_347
.LBB269_360:
	v_cmp_ne_u32_e32 vcc_lo, 1, v48
	v_lshlrev_b64 v[0:1], 1, v[46:47]
	s_cbranch_vccnz .LBB269_362
; %bb.361:
	v_add_co_u32 v2, vcc_lo, v14, v0
	v_add_co_ci_u32_e64 v3, null, v15, v1, vcc_lo
	global_load_ushort v2, v[2:3], off
	s_waitcnt vmcnt(0)
	v_mul_f16_e32 v2, s22, v2
	v_cvt_f32_f16_e32 v2, v2
	s_branch .LBB269_363
.LBB269_362:
	v_mov_b32_e32 v2, 0
.LBB269_363:
	v_pk_add_f16 v3, v4, v8
	v_pk_add_f16 v4, v5, v9
	v_max_f16_e32 v5, v53, v53
	v_lshrrev_b32_e32 v8, 16, v53
	v_max_f32_e32 v2, v2, v2
	v_lshrrev_b32_e32 v9, 16, v3
	v_lshrrev_b32_e32 v10, 16, v4
	v_min_f16_e32 v3, v5, v3
	v_add_co_u32 v0, vcc_lo, v6, v0
	v_add_co_ci_u32_e64 v1, null, v7, v1, vcc_lo
	v_min3_f16 v5, v8, v9, v10
	v_min3_f16 v3, v3, v4, v5
	v_cvt_f32_f16_e32 v3, v3
	v_min_f32_e32 v2, v2, v3
	v_cvt_f16_f32_e32 v2, v2
	global_store_short v[0:1], v2, off
	s_endpgm
	.section	.rodata,"a",@progbits
	.p2align	6, 0x0
	.amdhsa_kernel _ZN12_GLOBAL__N_120geam_min_plus_kernelIDF16_Dv2_DF16_S1_Li32ELi8ELi128ELi128ELi4ELi4ELi64ELi4ELi64ELc84ELc78ELb0ELb1ELb1EDF16_KDF16_DF16_EEviiiT16_PT17_ilS5_ilS3_S5_ilPT18_ili26rocblas_geam_ex_operation_
		.amdhsa_group_segment_fixed_size 4096
		.amdhsa_private_segment_fixed_size 0
		.amdhsa_kernarg_size 128
		.amdhsa_user_sgpr_count 6
		.amdhsa_user_sgpr_private_segment_buffer 1
		.amdhsa_user_sgpr_dispatch_ptr 0
		.amdhsa_user_sgpr_queue_ptr 0
		.amdhsa_user_sgpr_kernarg_segment_ptr 1
		.amdhsa_user_sgpr_dispatch_id 0
		.amdhsa_user_sgpr_flat_scratch_init 0
		.amdhsa_user_sgpr_private_segment_size 0
		.amdhsa_wavefront_size32 1
		.amdhsa_uses_dynamic_stack 0
		.amdhsa_system_sgpr_private_segment_wavefront_offset 0
		.amdhsa_system_sgpr_workgroup_id_x 1
		.amdhsa_system_sgpr_workgroup_id_y 0
		.amdhsa_system_sgpr_workgroup_id_z 1
		.amdhsa_system_sgpr_workgroup_info 0
		.amdhsa_system_vgpr_workitem_id 1
		.amdhsa_next_free_vgpr 161
		.amdhsa_next_free_sgpr 29
		.amdhsa_reserve_vcc 1
		.amdhsa_reserve_flat_scratch 0
		.amdhsa_float_round_mode_32 0
		.amdhsa_float_round_mode_16_64 0
		.amdhsa_float_denorm_mode_32 3
		.amdhsa_float_denorm_mode_16_64 3
		.amdhsa_dx10_clamp 1
		.amdhsa_ieee_mode 1
		.amdhsa_fp16_overflow 0
		.amdhsa_workgroup_processor_mode 1
		.amdhsa_memory_ordered 1
		.amdhsa_forward_progress 1
		.amdhsa_shared_vgpr_count 0
		.amdhsa_exception_fp_ieee_invalid_op 0
		.amdhsa_exception_fp_denorm_src 0
		.amdhsa_exception_fp_ieee_div_zero 0
		.amdhsa_exception_fp_ieee_overflow 0
		.amdhsa_exception_fp_ieee_underflow 0
		.amdhsa_exception_fp_ieee_inexact 0
		.amdhsa_exception_int_div_zero 0
	.end_amdhsa_kernel
	.section	.text._ZN12_GLOBAL__N_120geam_min_plus_kernelIDF16_Dv2_DF16_S1_Li32ELi8ELi128ELi128ELi4ELi4ELi64ELi4ELi64ELc84ELc78ELb0ELb1ELb1EDF16_KDF16_DF16_EEviiiT16_PT17_ilS5_ilS3_S5_ilPT18_ili26rocblas_geam_ex_operation_,"axG",@progbits,_ZN12_GLOBAL__N_120geam_min_plus_kernelIDF16_Dv2_DF16_S1_Li32ELi8ELi128ELi128ELi4ELi4ELi64ELi4ELi64ELc84ELc78ELb0ELb1ELb1EDF16_KDF16_DF16_EEviiiT16_PT17_ilS5_ilS3_S5_ilPT18_ili26rocblas_geam_ex_operation_,comdat
.Lfunc_end269:
	.size	_ZN12_GLOBAL__N_120geam_min_plus_kernelIDF16_Dv2_DF16_S1_Li32ELi8ELi128ELi128ELi4ELi4ELi64ELi4ELi64ELc84ELc78ELb0ELb1ELb1EDF16_KDF16_DF16_EEviiiT16_PT17_ilS5_ilS3_S5_ilPT18_ili26rocblas_geam_ex_operation_, .Lfunc_end269-_ZN12_GLOBAL__N_120geam_min_plus_kernelIDF16_Dv2_DF16_S1_Li32ELi8ELi128ELi128ELi4ELi4ELi64ELi4ELi64ELc84ELc78ELb0ELb1ELb1EDF16_KDF16_DF16_EEviiiT16_PT17_ilS5_ilS3_S5_ilPT18_ili26rocblas_geam_ex_operation_
                                        ; -- End function
	.set _ZN12_GLOBAL__N_120geam_min_plus_kernelIDF16_Dv2_DF16_S1_Li32ELi8ELi128ELi128ELi4ELi4ELi64ELi4ELi64ELc84ELc78ELb0ELb1ELb1EDF16_KDF16_DF16_EEviiiT16_PT17_ilS5_ilS3_S5_ilPT18_ili26rocblas_geam_ex_operation_.num_vgpr, 161
	.set _ZN12_GLOBAL__N_120geam_min_plus_kernelIDF16_Dv2_DF16_S1_Li32ELi8ELi128ELi128ELi4ELi4ELi64ELi4ELi64ELc84ELc78ELb0ELb1ELb1EDF16_KDF16_DF16_EEviiiT16_PT17_ilS5_ilS3_S5_ilPT18_ili26rocblas_geam_ex_operation_.num_agpr, 0
	.set _ZN12_GLOBAL__N_120geam_min_plus_kernelIDF16_Dv2_DF16_S1_Li32ELi8ELi128ELi128ELi4ELi4ELi64ELi4ELi64ELc84ELc78ELb0ELb1ELb1EDF16_KDF16_DF16_EEviiiT16_PT17_ilS5_ilS3_S5_ilPT18_ili26rocblas_geam_ex_operation_.numbered_sgpr, 29
	.set _ZN12_GLOBAL__N_120geam_min_plus_kernelIDF16_Dv2_DF16_S1_Li32ELi8ELi128ELi128ELi4ELi4ELi64ELi4ELi64ELc84ELc78ELb0ELb1ELb1EDF16_KDF16_DF16_EEviiiT16_PT17_ilS5_ilS3_S5_ilPT18_ili26rocblas_geam_ex_operation_.num_named_barrier, 0
	.set _ZN12_GLOBAL__N_120geam_min_plus_kernelIDF16_Dv2_DF16_S1_Li32ELi8ELi128ELi128ELi4ELi4ELi64ELi4ELi64ELc84ELc78ELb0ELb1ELb1EDF16_KDF16_DF16_EEviiiT16_PT17_ilS5_ilS3_S5_ilPT18_ili26rocblas_geam_ex_operation_.private_seg_size, 0
	.set _ZN12_GLOBAL__N_120geam_min_plus_kernelIDF16_Dv2_DF16_S1_Li32ELi8ELi128ELi128ELi4ELi4ELi64ELi4ELi64ELc84ELc78ELb0ELb1ELb1EDF16_KDF16_DF16_EEviiiT16_PT17_ilS5_ilS3_S5_ilPT18_ili26rocblas_geam_ex_operation_.uses_vcc, 1
	.set _ZN12_GLOBAL__N_120geam_min_plus_kernelIDF16_Dv2_DF16_S1_Li32ELi8ELi128ELi128ELi4ELi4ELi64ELi4ELi64ELc84ELc78ELb0ELb1ELb1EDF16_KDF16_DF16_EEviiiT16_PT17_ilS5_ilS3_S5_ilPT18_ili26rocblas_geam_ex_operation_.uses_flat_scratch, 0
	.set _ZN12_GLOBAL__N_120geam_min_plus_kernelIDF16_Dv2_DF16_S1_Li32ELi8ELi128ELi128ELi4ELi4ELi64ELi4ELi64ELc84ELc78ELb0ELb1ELb1EDF16_KDF16_DF16_EEviiiT16_PT17_ilS5_ilS3_S5_ilPT18_ili26rocblas_geam_ex_operation_.has_dyn_sized_stack, 0
	.set _ZN12_GLOBAL__N_120geam_min_plus_kernelIDF16_Dv2_DF16_S1_Li32ELi8ELi128ELi128ELi4ELi4ELi64ELi4ELi64ELc84ELc78ELb0ELb1ELb1EDF16_KDF16_DF16_EEviiiT16_PT17_ilS5_ilS3_S5_ilPT18_ili26rocblas_geam_ex_operation_.has_recursion, 0
	.set _ZN12_GLOBAL__N_120geam_min_plus_kernelIDF16_Dv2_DF16_S1_Li32ELi8ELi128ELi128ELi4ELi4ELi64ELi4ELi64ELc84ELc78ELb0ELb1ELb1EDF16_KDF16_DF16_EEviiiT16_PT17_ilS5_ilS3_S5_ilPT18_ili26rocblas_geam_ex_operation_.has_indirect_call, 0
	.section	.AMDGPU.csdata,"",@progbits
; Kernel info:
; codeLenInByte = 23444
; TotalNumSgprs: 31
; NumVgprs: 161
; ScratchSize: 0
; MemoryBound: 0
; FloatMode: 240
; IeeeMode: 1
; LDSByteSize: 4096 bytes/workgroup (compile time only)
; SGPRBlocks: 0
; VGPRBlocks: 20
; NumSGPRsForWavesPerEU: 31
; NumVGPRsForWavesPerEU: 161
; Occupancy: 5
; WaveLimiterHint : 0
; COMPUTE_PGM_RSRC2:SCRATCH_EN: 0
; COMPUTE_PGM_RSRC2:USER_SGPR: 6
; COMPUTE_PGM_RSRC2:TRAP_HANDLER: 0
; COMPUTE_PGM_RSRC2:TGID_X_EN: 1
; COMPUTE_PGM_RSRC2:TGID_Y_EN: 0
; COMPUTE_PGM_RSRC2:TGID_Z_EN: 1
; COMPUTE_PGM_RSRC2:TIDIG_COMP_CNT: 1
	.section	.text._ZN12_GLOBAL__N_120geam_min_plus_kernelIDF16_Dv2_DF16_S1_Li8ELi32ELi64ELi256ELi4ELi64ELi4ELi64ELi4ELc78ELc84ELb0ELb0ELb1EPKDF16_S2_DF16_EEviiiT16_PT17_ilS6_ilS4_S6_ilPT18_ili26rocblas_geam_ex_operation_,"axG",@progbits,_ZN12_GLOBAL__N_120geam_min_plus_kernelIDF16_Dv2_DF16_S1_Li8ELi32ELi64ELi256ELi4ELi64ELi4ELi64ELi4ELc78ELc84ELb0ELb0ELb1EPKDF16_S2_DF16_EEviiiT16_PT17_ilS6_ilS4_S6_ilPT18_ili26rocblas_geam_ex_operation_,comdat
	.globl	_ZN12_GLOBAL__N_120geam_min_plus_kernelIDF16_Dv2_DF16_S1_Li8ELi32ELi64ELi256ELi4ELi64ELi4ELi64ELi4ELc78ELc84ELb0ELb0ELb1EPKDF16_S2_DF16_EEviiiT16_PT17_ilS6_ilS4_S6_ilPT18_ili26rocblas_geam_ex_operation_ ; -- Begin function _ZN12_GLOBAL__N_120geam_min_plus_kernelIDF16_Dv2_DF16_S1_Li8ELi32ELi64ELi256ELi4ELi64ELi4ELi64ELi4ELc78ELc84ELb0ELb0ELb1EPKDF16_S2_DF16_EEviiiT16_PT17_ilS6_ilS4_S6_ilPT18_ili26rocblas_geam_ex_operation_
	.p2align	8
	.type	_ZN12_GLOBAL__N_120geam_min_plus_kernelIDF16_Dv2_DF16_S1_Li8ELi32ELi64ELi256ELi4ELi64ELi4ELi64ELi4ELc78ELc84ELb0ELb0ELb1EPKDF16_S2_DF16_EEviiiT16_PT17_ilS6_ilS4_S6_ilPT18_ili26rocblas_geam_ex_operation_,@function
_ZN12_GLOBAL__N_120geam_min_plus_kernelIDF16_Dv2_DF16_S1_Li8ELi32ELi64ELi256ELi4ELi64ELi4ELi64ELi4ELc78ELc84ELb0ELb0ELb1EPKDF16_S2_DF16_EEviiiT16_PT17_ilS6_ilS4_S6_ilPT18_ili26rocblas_geam_ex_operation_: ; @_ZN12_GLOBAL__N_120geam_min_plus_kernelIDF16_Dv2_DF16_S1_Li8ELi32ELi64ELi256ELi4ELi64ELi4ELi64ELi4ELc78ELc84ELb0ELb0ELb1EPKDF16_S2_DF16_EEviiiT16_PT17_ilS6_ilS4_S6_ilPT18_ili26rocblas_geam_ex_operation_
; %bb.0:
	s_clause 0x1
	s_load_dwordx4 s[0:3], s[4:5], 0x10
	s_load_dwordx4 s[8:11], s[4:5], 0x28
	s_mov_b32 s16, s7
	s_mov_b32 s17, 0
	v_mov_b32_e32 v2, 0
	s_lshl_b64 s[18:19], s[16:17], 1
	s_waitcnt lgkmcnt(0)
	s_add_u32 s0, s0, s18
	s_addc_u32 s1, s1, s19
	global_load_ushort v83, v2, s[0:1]
	s_clause 0x1
	s_load_dwordx4 s[12:15], s[4:5], 0x40
	s_load_dwordx2 s[20:21], s[4:5], 0x50
	s_waitcnt lgkmcnt(0)
	s_add_u32 s22, s14, s18
	s_addc_u32 s23, s15, s19
	s_mov_b64 s[14:15], 0
	s_mov_b64 s[18:19], 0
	s_waitcnt vmcnt(0)
	v_cmp_eq_f16_e32 vcc_lo, 0, v83
	v_cmp_neq_f16_e64 s0, 0, v83
	s_and_b32 s1, exec_lo, vcc_lo
	s_mov_b32 vcc_lo, s1
	s_cbranch_vccnz .LBB270_2
; %bb.1:
	s_mul_i32 s7, s9, s16
	s_mul_hi_u32 s9, s8, s16
	s_mul_i32 s8, s8, s16
	s_add_i32 s9, s9, s7
	s_lshl_b64 s[8:9], s[8:9], 1
	s_add_u32 s18, s2, s8
	s_addc_u32 s19, s3, s9
.LBB270_2:
	global_load_ushort v48, v2, s[22:23]
	v_cndmask_b32_e64 v2, 0, 1, s0
	s_andn2_b32 vcc_lo, exec_lo, s0
	v_cmp_ne_u32_e64 s2, 1, v2
	s_cbranch_vccnz .LBB270_4
; %bb.3:
	s_mul_i32 s0, s13, s16
	s_mul_hi_u32 s3, s12, s16
	s_mul_i32 s8, s12, s16
	s_add_i32 s9, s3, s0
	s_lshl_b64 s[8:9], s[8:9], 1
	s_add_u32 s14, s10, s8
	s_addc_u32 s15, s11, s9
.LBB270_4:
	s_load_dwordx4 s[8:11], s[4:5], 0x60
	s_waitcnt vmcnt(0)
	v_cmp_eq_f16_e32 vcc_lo, 0, v48
	s_and_b32 s0, exec_lo, vcc_lo
	s_mov_b32 vcc_lo, s0
	s_cbranch_vccnz .LBB270_6
; %bb.5:
	s_waitcnt lgkmcnt(0)
	s_mul_i32 s3, s9, s16
	s_mul_hi_u32 s7, s8, s16
	s_mul_i32 s8, s8, s16
	s_add_i32 s9, s7, s3
	s_lshl_b64 s[8:9], s[8:9], 1
	s_add_u32 s8, s20, s8
	s_addc_u32 s9, s21, s9
	s_branch .LBB270_7
.LBB270_6:
	s_waitcnt lgkmcnt(0)
	s_mov_b64 s[8:9], 0
.LBB270_7:
	s_clause 0x1
	s_load_dword s3, s[4:5], 0x0
	s_load_dword s12, s[4:5], 0x20
	v_mov_b32_e32 v10, 0
	v_mov_b32_e32 v12, 0
	s_waitcnt lgkmcnt(0)
	s_add_i32 s3, s3, -1
	s_ashr_i32 s7, s3, 31
	s_lshr_b32 s7, s7, 26
	s_add_i32 s3, s3, s7
	s_ashr_i32 s3, s3, 6
	s_add_i32 s7, s3, 1
	s_not_b32 s3, s3
	v_cvt_f32_u32_e32 v2, s7
	v_rcp_iflag_f32_e32 v2, v2
	v_mul_f32_e32 v2, 0x4f7ffffe, v2
	v_cvt_u32_f32_e32 v2, v2
	v_readfirstlane_b32 s13, v2
	v_lshl_add_u32 v2, v1, 3, v0
	s_mul_i32 s3, s3, s13
	v_and_b32_e32 v9, 63, v2
	s_mul_hi_u32 s3, s13, s3
	v_lshrrev_b32_e32 v8, 6, v2
	s_add_i32 s13, s13, s3
	s_mul_hi_u32 s3, s6, s13
	s_ashr_i32 s13, s12, 31
	s_mul_i32 s17, s3, s7
	s_add_i32 s20, s3, 1
	s_sub_i32 s17, s6, s17
	s_sub_i32 s21, s17, s7
	s_cmp_ge_u32 s17, s7
	s_cselect_b32 s3, s20, s3
	s_cselect_b32 s17, s21, s17
	s_add_i32 s20, s3, 1
	s_cmp_ge_u32 s17, s7
	s_cselect_b32 s17, s20, s3
	s_and_b32 vcc_lo, exec_lo, s2
	s_mul_i32 s7, s17, s7
	s_sub_i32 s3, s6, s7
	s_lshl_b32 s3, s3, 6
	v_or_b32_e32 v4, s3, v9
	v_ashrrev_i32_e32 v5, 31, v4
	s_cbranch_vccnz .LBB270_9
; %bb.8:
	v_mad_i64_i32 v[2:3], null, s12, v8, 0
	v_lshlrev_b64 v[6:7], 1, v[4:5]
	v_lshlrev_b64 v[2:3], 1, v[2:3]
	v_add_co_u32 v2, vcc_lo, s18, v2
	v_add_co_ci_u32_e64 v3, null, s19, v3, vcc_lo
	v_add_co_u32 v2, vcc_lo, v2, v6
	v_add_co_ci_u32_e64 v3, null, v3, v7, vcc_lo
	global_load_ushort v2, v[2:3], off
	s_waitcnt vmcnt(0)
	v_mul_f16_e32 v12, v83, v2
.LBB270_9:
	s_load_dword s20, s[4:5], 0x38
	s_lshl_b32 s17, s17, 8
	s_waitcnt lgkmcnt(0)
	v_mad_i64_i32 v[2:3], null, v8, s20, 0
	v_lshlrev_b64 v[6:7], 1, v[2:3]
	v_or_b32_e32 v2, s17, v9
	v_ashrrev_i32_e32 v3, 31, v2
	v_add_co_u32 v6, vcc_lo, s14, v6
	v_add_co_ci_u32_e64 v7, null, s15, v7, vcc_lo
	s_and_b32 vcc_lo, exec_lo, s2
	s_cbranch_vccnz .LBB270_11
; %bb.10:
	v_lshlrev_b64 v[10:11], 1, v[2:3]
	v_add_co_u32 v10, vcc_lo, v6, v10
	v_add_co_ci_u32_e64 v11, null, v7, v11, vcc_lo
	s_clause 0x1
	global_load_ushort v13, v[10:11], off
	global_load_ushort v10, v[10:11], off offset:128
	s_waitcnt vmcnt(1)
	v_mul_f16_e32 v11, v83, v13
	s_waitcnt vmcnt(0)
	v_mul_f16_e32 v10, v83, v10
	v_pack_b32_f16 v11, v11, 0
	s_branch .LBB270_12
.LBB270_11:
	v_mov_b32_e32 v11, 0
.LBB270_12:
	v_mov_b32_e32 v13, 0
	v_perm_b32 v38, v10, v11, 0x5040100
	s_ashr_i32 s21, s20, 31
	s_mov_b32 vcc_lo, s1
	s_cbranch_vccz .LBB270_14
; %bb.13:
	v_and_b32_e32 v39, 0xffff0000, v13
	v_mov_b32_e32 v11, 0
	v_mov_b32_e32 v10, 0
	s_cbranch_execz .LBB270_15
	s_branch .LBB270_16
.LBB270_14:
	v_mov_b32_e32 v11, 0
	v_mov_b32_e32 v10, 0
.LBB270_15:
	v_lshlrev_b64 v[14:15], 1, v[2:3]
	v_add_co_u32 v6, vcc_lo, v6, v14
	v_add_co_ci_u32_e64 v7, null, v7, v15, vcc_lo
	s_clause 0x1
	global_load_ushort v10, v[6:7], off offset:256
	global_load_ushort v6, v[6:7], off offset:384
	s_waitcnt vmcnt(1)
	v_mul_f16_e32 v7, v83, v10
	s_waitcnt vmcnt(0)
	v_mul_f16_e32 v10, v83, v6
	v_bfi_b32 v39, 0xffff, v7, v13
.LBB270_16:
	v_add_nc_u32_e32 v6, 4, v8
	s_and_b32 vcc_lo, exec_lo, s2
	s_cbranch_vccnz .LBB270_18
; %bb.17:
	v_mad_i64_i32 v[13:14], null, s12, v6, 0
	v_lshlrev_b64 v[4:5], 1, v[4:5]
	v_lshlrev_b64 v[13:14], 1, v[13:14]
	v_add_co_u32 v7, vcc_lo, s18, v13
	v_add_co_ci_u32_e64 v11, null, s19, v14, vcc_lo
	v_add_co_u32 v4, vcc_lo, v7, v4
	v_add_co_ci_u32_e64 v5, null, v11, v5, vcc_lo
	global_load_ushort v4, v[4:5], off
	s_waitcnt vmcnt(0)
	v_mul_f16_e32 v11, v83, v4
.LBB270_18:
	v_mad_i64_i32 v[4:5], null, v6, s20, 0
	v_lshlrev_b64 v[5:6], 1, v[4:5]
	v_add_co_u32 v5, vcc_lo, s14, v5
	v_add_co_ci_u32_e64 v13, null, s15, v6, vcc_lo
	s_and_b32 vcc_lo, exec_lo, s2
	s_cbranch_vccnz .LBB270_21
; %bb.19:
	v_lshlrev_b64 v[6:7], 1, v[2:3]
	v_add_co_u32 v6, vcc_lo, v5, v6
	v_add_co_ci_u32_e64 v7, null, v13, v7, vcc_lo
	s_clause 0x1
	global_load_ushort v4, v[6:7], off
	global_load_ushort v6, v[6:7], off offset:128
	s_waitcnt vmcnt(1)
	v_mul_f16_e32 v7, v83, v4
	s_waitcnt vmcnt(0)
	v_mul_f16_e32 v4, v83, v6
	v_pack_b32_f16 v6, v7, 0
	v_mov_b32_e32 v14, 0
	v_perm_b32 v6, v4, v6, 0x5040100
	s_mov_b32 vcc_lo, s1
	s_cbranch_vccz .LBB270_22
.LBB270_20:
	v_and_b32_e32 v7, 0xffff0000, v14
	v_mov_b32_e32 v4, 0
	s_cbranch_execz .LBB270_23
	s_branch .LBB270_24
.LBB270_21:
	v_mov_b32_e32 v6, 0
	v_mov_b32_e32 v4, 0
	;; [unrolled: 1-line block ×3, first 2 shown]
	v_perm_b32 v6, v4, v6, 0x5040100
	s_mov_b32 vcc_lo, s1
	s_cbranch_vccnz .LBB270_20
.LBB270_22:
	v_mov_b32_e32 v4, 0
.LBB270_23:
	v_lshlrev_b64 v[2:3], 1, v[2:3]
	v_add_co_u32 v2, vcc_lo, v5, v2
	v_add_co_ci_u32_e64 v3, null, v13, v3, vcc_lo
	s_clause 0x1
	global_load_ushort v4, v[2:3], off offset:256
	global_load_ushort v2, v[2:3], off offset:384
	s_waitcnt vmcnt(1)
	v_mul_f16_e32 v3, v83, v4
	s_waitcnt vmcnt(0)
	v_mul_f16_e32 v4, v83, v2
	v_bfi_b32 v7, 0xffff, v3, v14
.LBB270_24:
	v_lshlrev_b32_e32 v2, 3, v9
	v_lshlrev_b32_e32 v89, 3, v0
	;; [unrolled: 1-line block ×3, first 2 shown]
	s_load_dword s22, s[4:5], 0x8
	v_lshl_add_u32 v97, v8, 1, v2
	v_add_nc_u32_e32 v2, 0x1000, v89
	ds_write_b16 v97, v12 offset:4096
	ds_write_b16 v97, v38
	ds_write_b16_d16_hi v97, v38 offset:512
	ds_write_b16 v97, v39 offset:1024
	ds_write_b16 v97, v10 offset:1536
	s_waitcnt lgkmcnt(0)
	s_barrier
	buffer_gl0_inv
	ds_read2_b64 v[12:15], v2 offset1:8
	ds_read2_b64 v[16:19], v86 offset1:32
	ds_read2_b64 v[20:23], v2 offset0:16 offset1:24
	ds_read2_b64 v[24:27], v2 offset0:32 offset1:40
	;; [unrolled: 1-line block ×4, first 2 shown]
	s_cmp_lt_i32 s22, 9
	s_waitcnt lgkmcnt(4)
	v_pk_add_f16 v2, v12, v16
	v_pk_add_f16 v3, v14, v16
	s_waitcnt lgkmcnt(2)
	v_pk_add_f16 v37, v24, v16
	v_pk_add_f16 v52, v13, v17
	;; [unrolled: 1-line block ×3, first 2 shown]
	v_pk_min_f16 v2, 0x7c00, v2 op_sel_hi:[0,1]
	s_waitcnt lgkmcnt(1)
	v_pk_add_f16 v41, v28, v16
	v_pk_add_f16 v53, v15, v17
	;; [unrolled: 1-line block ×3, first 2 shown]
	v_pk_min_f16 v3, 0x7c00, v3 op_sel_hi:[0,1]
	v_pk_min_f16 v128, v2, v52
	v_pk_min_f16 v2, 0x7c00, v37 op_sel_hi:[0,1]
	v_pk_add_f16 v44, v14, v18
	v_pk_add_f16 v45, v20, v18
	;; [unrolled: 1-line block ×4, first 2 shown]
	v_pk_min_f16 v121, v3, v53
	v_pk_min_f16 v3, 0x7c00, v40 op_sel_hi:[0,1]
	v_pk_min_f16 v112, v2, v56
	v_pk_min_f16 v2, 0x7c00, v41 op_sel_hi:[0,1]
	v_pk_add_f16 v46, v22, v18
	v_pk_add_f16 v50, v28, v18
	;; [unrolled: 1-line block ×4, first 2 shown]
	v_pk_min_f16 v111, v3, v57
	v_pk_min_f16 v3, 0x7c00, v44 op_sel_hi:[0,1]
	v_pk_min_f16 v110, v2, v58
	v_pk_min_f16 v2, 0x7c00, v45 op_sel_hi:[0,1]
	v_pk_add_f16 v5, v20, v16
	v_pk_add_f16 v36, v22, v16
	;; [unrolled: 1-line block ×16, first 2 shown]
	s_waitcnt lgkmcnt(0)
	v_pk_add_f16 v68, v12, v32
	v_pk_add_f16 v69, v14, v32
	v_pk_add_f16 v70, v20, v32
	v_pk_add_f16 v71, v22, v32
	v_pk_add_f16 v72, v24, v32
	v_pk_add_f16 v73, v26, v32
	v_pk_add_f16 v74, v28, v32
	v_pk_add_f16 v75, v30, v32
	v_pk_add_f16 v76, v12, v34
	v_pk_add_f16 v77, v14, v34
	v_pk_add_f16 v78, v20, v34
	v_pk_add_f16 v79, v22, v34
	v_pk_add_f16 v80, v24, v34
	ds_read2_b64 v[16:19], v86 offset0:128 offset1:160
	v_pk_add_f16 v81, v26, v34
	v_pk_add_f16 v82, v28, v34
	;; [unrolled: 1-line block ×19, first 2 shown]
	ds_read2_b64 v[32:35], v86 offset0:192 offset1:224
	v_pk_min_f16 v107, v3, v61
	v_pk_min_f16 v3, 0x7c00, v46 op_sel_hi:[0,1]
	v_pk_min_f16 v106, v2, v62
	v_pk_min_f16 v2, 0x7c00, v50 op_sel_hi:[0,1]
	v_pk_min_f16 v5, 0x7c00, v5 op_sel_hi:[0,1]
	s_waitcnt lgkmcnt(1)
	v_pk_add_f16 v126, v12, v16
	v_pk_min_f16 v105, v3, v63
	v_pk_min_f16 v3, 0x7c00, v51 op_sel_hi:[0,1]
	v_pk_min_f16 v102, v2, v66
	v_pk_min_f16 v2, 0x7c00, v68 op_sel_hi:[0,1]
	;; [unrolled: 2-line block ×5, first 2 shown]
	v_pk_add_f16 v127, v14, v16
	v_pk_add_f16 v129, v20, v16
	v_pk_min_f16 v96, v3, v88
	v_pk_min_f16 v3, 0x7c00, v73 op_sel_hi:[0,1]
	v_pk_min_f16 v95, v2, v90
	v_pk_min_f16 v2, 0x7c00, v76 op_sel_hi:[0,1]
	v_pk_add_f16 v130, v22, v16
	v_pk_add_f16 v131, v24, v16
	;; [unrolled: 1-line block ×29, first 2 shown]
	s_waitcnt lgkmcnt(0)
	v_pk_add_f16 v155, v12, v32
	v_pk_add_f16 v156, v14, v32
	;; [unrolled: 1-line block ×32, first 2 shown]
	v_pk_min_f16 v35, 0x7c00, v36 op_sel_hi:[0,1]
	v_pk_min_f16 v109, v5, v59
	v_pk_min_f16 v5, 0x7c00, v47 op_sel_hi:[0,1]
	v_pk_min_f16 v94, v3, v91
	;; [unrolled: 2-line block ×29, first 2 shown]
	v_pk_min_f16 v2, 0x7c00, v159 op_sel_hi:[0,1]
	v_pk_min_f16 v16, 0x7c00, v137 op_sel_hi:[0,1]
	v_pk_min_f16 v65, v5, v19
	v_pk_min_f16 v63, v3, v158
	v_pk_min_f16 v3, 0x7c00, v160 op_sel_hi:[0,1]
	v_pk_min_f16 v5, 0x7c00, v163 op_sel_hi:[0,1]
	v_pk_min_f16 v62, v2, v161
	v_pk_min_f16 v2, 0x7c00, v167 op_sel_hi:[0,1]
	v_pk_min_f16 v85, v35, v122
	;; [unrolled: 2-line block ×4, first 2 shown]
	v_pk_min_f16 v60, v5, v165
	v_pk_min_f16 v3, 0x7c00, v32 op_sel_hi:[0,1]
	v_pk_min_f16 v58, v2, v34
	v_pk_min_f16 v2, 0x7c00, v12 op_sel_hi:[0,1]
	v_pk_min_f16 v5, 0x7c00, v14 op_sel_hi:[0,1]
	;; [unrolled: 1-line block ×3, first 2 shown]
	v_pk_min_f16 v79, v35, v142
	v_pk_min_f16 v35, 0x7c00, v133 op_sel_hi:[0,1]
	v_pk_min_f16 v64, v16, v157
	v_pk_min_f16 v16, 0x7c00, v164 op_sel_hi:[0,1]
	v_pk_min_f16 v57, v3, v33
	v_pk_min_f16 v56, v2, v13
	;; [unrolled: 1-line block ×4, first 2 shown]
	v_pk_min_f16 v2, 0x7c00, v22 op_sel_hi:[0,1]
	v_pk_min_f16 v3, 0x7c00, v24 op_sel_hi:[0,1]
	;; [unrolled: 1-line block ×5, first 2 shown]
	v_pk_min_f16 v74, v35, v147
	v_pk_min_f16 v59, v16, v166
	;; [unrolled: 1-line block ×7, first 2 shown]
	ds_write_b16 v97, v11 offset:4608
	ds_write_b16 v97, v6 offset:2048
	ds_write_b16_d16_hi v97, v6 offset:2560
	ds_write_b16 v97, v7 offset:3072
	ds_write_b16 v97, v4 offset:3584
	s_waitcnt lgkmcnt(0)
	s_barrier
	buffer_gl0_inv
	s_cbranch_scc1 .LBB270_47
; %bb.25:
	v_lshl_or_b32 v11, s6, 6, v9
	v_add_nc_u32_e32 v5, 12, v8
	s_lshl_b32 s6, s7, 6
	v_perm_b32 v39, v10, v39, 0x5040100
	v_add_nc_u32_e32 v8, 8, v8
	v_subrev_nc_u32_e32 v10, s6, v11
	v_mad_i64_i32 v[2:3], null, v5, s12, 0
	v_perm_b32 v7, v4, v7, 0x5040100
	v_mad_i64_i32 v[4:5], null, v5, s20, 0
	v_ashrrev_i32_e32 v11, 31, v10
	v_add_nc_u32_e32 v9, s17, v9
	v_mad_i64_i32 v[13:14], null, v8, s12, 0
	v_lshlrev_b64 v[40:41], 1, v[2:3]
	v_lshlrev_b64 v[2:3], 1, v[10:11]
	v_mad_i64_i32 v[11:12], null, v8, s20, 0
	v_lshlrev_b64 v[4:5], 1, v[4:5]
	v_ashrrev_i32_e32 v10, 31, v9
	v_lshlrev_b64 v[44:45], 1, v[13:14]
	v_add_co_u32 v122, vcc_lo, s18, v2
	v_add_co_ci_u32_e64 v123, null, s19, v3, vcc_lo
	v_lshlrev_b64 v[2:3], 1, v[11:12]
	v_add_co_u32 v124, vcc_lo, s14, v4
	v_add_co_ci_u32_e64 v125, null, s15, v5, vcc_lo
	v_lshlrev_b64 v[42:43], 1, v[9:10]
	v_add_co_u32 v126, vcc_lo, s14, v2
	v_or_b32_e32 v114, 0x1000, v97
	v_or_b32_e32 v115, 0x1000, v89
	v_add_nc_u32_e32 v116, 0x1200, v97
	v_or_b32_e32 v117, 0x800, v97
	v_lshl_add_u32 v119, v0, 3, 0x1200
	v_lshl_or_b32 v120, v1, 3, 0x800
	v_add_co_ci_u32_e64 v127, null, s15, v3, vcc_lo
	s_add_i32 s22, s22, -8
	s_lshl_b64 s[6:7], s[12:13], 4
	s_lshl_b64 s[12:13], s[20:21], 4
	s_mov_b32 s14, 0
	s_and_b32 vcc_lo, exec_lo, s2
	s_cbranch_vccz .LBB270_28
	s_branch .LBB270_27
.LBB270_26:
	v_mov_b32_e32 v6, v46
	s_and_b32 vcc_lo, exec_lo, s2
	s_cbranch_vccz .LBB270_28
.LBB270_27:
	v_mov_b32_e32 v8, 0
	s_mov_b32 s15, -1
	s_mov_b32 vcc_lo, s1
                                        ; implicit-def: $vgpr2_vgpr3
	s_cbranch_vccnz .LBB270_29
	s_branch .LBB270_30
.LBB270_28:
	v_add_co_u32 v2, vcc_lo, v122, v44
	v_add_co_ci_u32_e64 v3, null, v123, v45, vcc_lo
	global_load_ushort v2, v[2:3], off
	s_waitcnt vmcnt(0)
	v_mul_f16_e32 v8, v83, v2
	s_mov_b32 s15, -1
	s_mov_b32 vcc_lo, s1
                                        ; implicit-def: $vgpr2_vgpr3
	s_cbranch_vccz .LBB270_30
.LBB270_29:
	v_and_b32_e32 v2, 0xffff0000, v38
	v_mov_b32_e32 v3, v39
	s_mov_b32 s15, 0
.LBB270_30:
	v_mov_b32_e32 v4, 0
	s_andn2_b32 vcc_lo, exec_lo, s15
	s_cbranch_vccnz .LBB270_38
; %bb.31:
	v_add_co_u32 v2, vcc_lo, v126, v42
	v_add_co_ci_u32_e64 v3, null, v127, v43, vcc_lo
	s_clause 0x1
	global_load_ushort v4, v[2:3], off
	global_load_ushort v2, v[2:3], off offset:128
	s_waitcnt vmcnt(1)
	v_mul_f16_e32 v3, v83, v4
	s_waitcnt vmcnt(0)
	v_mul_f16_e32 v4, v83, v2
	v_bfi_b32 v38, 0xffff, v3, v38
	v_mov_b32_e32 v2, v38
	v_mov_b32_e32 v3, v39
	v_perm_b32 v38, v4, v2, 0x5040100
	s_mov_b32 s15, -1
	s_mov_b32 vcc_lo, s1
	s_cbranch_vccnz .LBB270_39
.LBB270_32:
	v_mov_b32_e32 v129, 0
	v_mov_b32_e32 v132, 0
	s_andn2_b32 vcc_lo, exec_lo, s15
	s_cbranch_vccnz .LBB270_34
.LBB270_33:
	v_add_co_u32 v4, vcc_lo, v126, v42
	v_add_co_ci_u32_e64 v5, null, v127, v43, vcc_lo
	s_clause 0x1
	global_load_ushort v2, v[4:5], off offset:256
	global_load_ushort v4, v[4:5], off offset:384
	s_waitcnt vmcnt(1)
	v_mul_f16_e32 v2, v83, v2
	s_waitcnt vmcnt(0)
	v_mul_f16_e32 v132, v83, v4
	v_bfi_b32 v39, 0xffff, v2, v3
.LBB270_34:
	ds_read2_b64 v[17:20], v119 offset1:8
	ds_read2_b64 v[2:5], v119 offset0:16 offset1:24
	ds_read2_b64 v[9:12], v119 offset0:32 offset1:40
	;; [unrolled: 1-line block ×3, first 2 shown]
	ds_read2_b64 v[34:37], v120 offset1:32
	ds_read2_b64 v[30:33], v120 offset0:64 offset1:96
	ds_read2_b64 v[26:29], v120 offset0:128 offset1:160
	;; [unrolled: 1-line block ×3, first 2 shown]
	s_and_b32 vcc_lo, exec_lo, s2
	ds_write_b16 v114, v8
	ds_write_b16 v97, v38
	ds_write_b16_d16_hi v97, v38 offset:512
	ds_write_b16 v97, v39 offset:1024
	ds_write_b16 v97, v132 offset:1536
	s_waitcnt lgkmcnt(0)
	s_barrier
	buffer_gl0_inv
	s_cbranch_vccnz .LBB270_36
; %bb.35:
	v_add_co_u32 v46, vcc_lo, v122, v40
	v_add_co_ci_u32_e64 v47, null, v123, v41, vcc_lo
	global_load_ushort v8, v[46:47], off
	s_waitcnt vmcnt(0)
	v_mul_f16_e32 v129, v83, v8
.LBB270_36:
	s_mov_b32 s15, -1
	s_mov_b32 vcc_lo, s1
                                        ; implicit-def: $vgpr46_vgpr47
	s_cbranch_vccz .LBB270_40
; %bb.37:
	v_and_b32_e32 v46, 0xffff0000, v6
	v_mov_b32_e32 v47, v7
	v_mov_b32_e32 v8, 0
	s_cbranch_execnz .LBB270_42
	s_branch .LBB270_41
.LBB270_38:
	v_perm_b32 v38, v4, v2, 0x5040100
	s_mov_b32 s15, -1
	s_mov_b32 vcc_lo, s1
	s_cbranch_vccz .LBB270_32
.LBB270_39:
	v_and_b32_e32 v39, 0xffff0000, v3
	v_mov_b32_e32 v129, 0
	v_mov_b32_e32 v132, 0
	s_cbranch_execz .LBB270_33
	s_branch .LBB270_34
.LBB270_40:
	v_mov_b32_e32 v8, 0
	s_andn2_b32 vcc_lo, exec_lo, s15
	s_cbranch_vccnz .LBB270_42
.LBB270_41:
	v_add_co_u32 v46, vcc_lo, v124, v42
	v_add_co_ci_u32_e64 v47, null, v125, v43, vcc_lo
	s_clause 0x1
	global_load_ushort v8, v[46:47], off
	global_load_ushort v21, v[46:47], off offset:128
	s_waitcnt vmcnt(1)
	v_mul_f16_e32 v8, v83, v8
	v_bfi_b32 v6, 0xffff, v8, v6
	v_mov_b32_e32 v47, v7
	s_waitcnt vmcnt(0)
	v_mul_f16_e32 v8, v83, v21
	v_mov_b32_e32 v46, v6
.LBB270_42:
	v_perm_b32 v46, v8, v46, 0x5040100
	s_mov_b32 s15, -1
	s_mov_b32 vcc_lo, s1
                                        ; implicit-def: $vgpr130
	s_cbranch_vccz .LBB270_44
; %bb.43:
	v_and_b32_e32 v130, 0xffff0000, v47
	v_mov_b32_e32 v131, 0
	s_cbranch_execz .LBB270_45
	s_branch .LBB270_46
.LBB270_44:
	v_mov_b32_e32 v131, 0
	s_andn2_b32 vcc_lo, exec_lo, s15
	s_cbranch_vccnz .LBB270_46
.LBB270_45:
	v_add_co_u32 v6, vcc_lo, v124, v42
	v_add_co_ci_u32_e64 v7, null, v125, v43, vcc_lo
	s_clause 0x1
	global_load_ushort v8, v[6:7], off offset:256
	global_load_ushort v6, v[6:7], off offset:384
	s_waitcnt vmcnt(1)
	v_mul_f16_e32 v7, v83, v8
	s_waitcnt vmcnt(0)
	v_mul_f16_e32 v131, v83, v6
	v_bfi_b32 v130, 0xffff, v7, v47
.LBB270_46:
	v_pk_add_f16 v6, v17, v34
	v_pk_max_f16 v7, v128, v128
	v_pk_add_f16 v8, v19, v34
	v_pk_max_f16 v21, v121, v121
	;; [unrolled: 2-line block ×3, first 2 shown]
	v_pk_min_f16 v6, v7, v6
	v_pk_max_f16 v7, v118, v118
	v_pk_add_f16 v118, v4, v34
	v_pk_add_f16 v121, v9, v34
	v_pk_max_f16 v112, v112, v112
	v_pk_add_f16 v128, v11, v34
	v_pk_min_f16 v8, v21, v8
	v_pk_min_f16 v7, v7, v47
	;; [unrolled: 1-line block ×4, first 2 shown]
	v_pk_add_f16 v112, v13, v34
	v_pk_max_f16 v110, v110, v110
	v_pk_add_f16 v34, v15, v34
	v_pk_max_f16 v109, v109, v109
	;; [unrolled: 2-line block ×4, first 2 shown]
	v_pk_add_f16 v121, v2, v36
	v_pk_min_f16 v110, v110, v112
	v_pk_min_f16 v34, v109, v34
	;; [unrolled: 1-line block ×4, first 2 shown]
	v_pk_add_f16 v109, v4, v36
	v_pk_max_f16 v105, v105, v105
	v_pk_add_f16 v112, v9, v36
	v_pk_add_f16 v113, v11, v36
	;; [unrolled: 1-line block ×4, first 2 shown]
	v_pk_max_f16 v101, v101, v101
	v_pk_max_f16 v104, v104, v104
	;; [unrolled: 1-line block ×4, first 2 shown]
	v_pk_min_f16 v105, v105, v109
	v_pk_min_f16 v36, v101, v36
	v_pk_add_f16 v101, v17, v30
	v_pk_max_f16 v100, v100, v100
	v_pk_add_f16 v109, v19, v30
	v_pk_max_f16 v99, v99, v99
	v_pk_min_f16 v104, v104, v112
	v_pk_min_f16 v103, v103, v113
	;; [unrolled: 1-line block ×3, first 2 shown]
	v_pk_add_f16 v112, v2, v30
	v_pk_max_f16 v98, v98, v98
	v_pk_add_f16 v113, v4, v30
	v_pk_max_f16 v96, v96, v96
	v_pk_add_f16 v118, v9, v30
	v_pk_min_f16 v100, v100, v101
	v_pk_min_f16 v99, v99, v109
	v_pk_add_f16 v101, v11, v30
	v_pk_max_f16 v94, v94, v94
	v_pk_add_f16 v109, v13, v30
	v_pk_add_f16 v30, v15, v30
	v_pk_max_f16 v92, v92, v92
	v_pk_min_f16 v98, v98, v112
	v_pk_min_f16 v96, v96, v113
	v_pk_max_f16 v93, v93, v93
	v_pk_add_f16 v112, v17, v32
	v_pk_max_f16 v91, v91, v91
	v_pk_add_f16 v113, v19, v32
	v_pk_max_f16 v90, v90, v90
	v_pk_min_f16 v94, v94, v101
	v_pk_min_f16 v30, v92, v30
	v_pk_add_f16 v92, v2, v32
	v_pk_max_f16 v88, v88, v88
	v_pk_add_f16 v101, v4, v32
	v_pk_max_f16 v87, v87, v87
	v_pk_min_f16 v93, v93, v109
	v_pk_min_f16 v91, v91, v112
	;; [unrolled: 1-line block ×3, first 2 shown]
	v_pk_add_f16 v109, v9, v32
	v_pk_max_f16 v85, v85, v85
	v_pk_add_f16 v112, v11, v32
	v_pk_max_f16 v84, v84, v84
	v_pk_add_f16 v113, v13, v32
	v_pk_min_f16 v88, v88, v92
	v_pk_min_f16 v87, v87, v101
	v_pk_add_f16 v32, v15, v32
	v_pk_max_f16 v81, v81, v81
	v_pk_add_f16 v92, v17, v26
	v_pk_max_f16 v80, v80, v80
	v_pk_add_f16 v101, v19, v26
	v_pk_max_f16 v79, v79, v79
	v_pk_min_f16 v85, v85, v109
	v_pk_min_f16 v84, v84, v112
	v_pk_add_f16 v109, v2, v26
	v_pk_max_f16 v78, v78, v78
	v_pk_add_f16 v112, v4, v26
	v_pk_min_f16 v32, v81, v32
	v_pk_min_f16 v80, v80, v92
	;; [unrolled: 1-line block ×3, first 2 shown]
	v_pk_add_f16 v81, v9, v26
	v_pk_max_f16 v76, v76, v76
	v_pk_add_f16 v92, v11, v26
	v_pk_max_f16 v75, v75, v75
	v_pk_add_f16 v101, v13, v26
	v_pk_add_f16 v26, v15, v26
	v_pk_max_f16 v73, v73, v73
	v_pk_min_f16 v78, v78, v109
	v_pk_max_f16 v74, v74, v74
	v_pk_add_f16 v109, v17, v28
	v_pk_max_f16 v72, v72, v72
	v_pk_min_f16 v76, v76, v81
	v_pk_min_f16 v75, v75, v92
	;; [unrolled: 1-line block ×3, first 2 shown]
	v_pk_add_f16 v73, v19, v28
	v_pk_max_f16 v71, v71, v71
	v_pk_add_f16 v81, v2, v28
	v_pk_max_f16 v70, v70, v70
	;; [unrolled: 2-line block ×3, first 2 shown]
	v_pk_min_f16 v74, v74, v101
	v_pk_min_f16 v72, v72, v109
	v_pk_add_f16 v101, v9, v28
	v_pk_add_f16 v109, v11, v28
	v_pk_min_f16 v71, v71, v73
	v_pk_min_f16 v70, v70, v81
	;; [unrolled: 1-line block ×3, first 2 shown]
	v_pk_add_f16 v73, v13, v28
	v_pk_max_f16 v66, v66, v66
	v_pk_add_f16 v28, v15, v28
	v_pk_max_f16 v65, v65, v65
	v_pk_add_f16 v81, v17, v22
	v_pk_max_f16 v64, v64, v64
	v_pk_add_f16 v92, v19, v22
	v_pk_max_f16 v63, v63, v63
	v_pk_max_f16 v68, v68, v68
	v_pk_min_f16 v66, v66, v73
	v_pk_min_f16 v28, v65, v28
	;; [unrolled: 1-line block ×4, first 2 shown]
	v_pk_add_f16 v65, v4, v22
	v_pk_max_f16 v61, v61, v61
	v_pk_add_f16 v73, v9, v22
	v_pk_max_f16 v60, v60, v60
	v_pk_add_f16 v81, v11, v22
	v_pk_max_f16 v59, v59, v59
	v_pk_add_f16 v92, v13, v22
	v_pk_max_f16 v58, v58, v58
	v_pk_add_f16 v4, v4, v24
	v_pk_max_f16 v53, v53, v53
	v_pk_add_f16 v9, v9, v24
	v_pk_max_f16 v52, v52, v52
	v_pk_max_f16 v67, v67, v67
	v_pk_min_f16 v68, v68, v101
	v_pk_add_f16 v101, v2, v22
	v_pk_max_f16 v62, v62, v62
	v_pk_add_f16 v22, v15, v22
	v_pk_min_f16 v61, v61, v65
	v_pk_min_f16 v60, v60, v73
	v_pk_min_f16 v65, v59, v81
	v_pk_min_f16 v73, v58, v92
	v_pk_add_f16 v17, v17, v24
	v_pk_add_f16 v19, v19, v24
	v_pk_add_f16 v2, v2, v24
	v_pk_min_f16 v81, v53, v4
	v_pk_min_f16 v92, v52, v9
	v_pk_add_f16 v4, v11, v24
	v_pk_max_f16 v9, v51, v51
	v_pk_add_f16 v11, v13, v24
	v_pk_add_f16 v15, v15, v24
	v_pk_max_f16 v24, v49, v49
	v_pk_add_f16 v49, v18, v35
	v_pk_max_f16 v82, v82, v82
	v_pk_max_f16 v77, v77, v77
	v_pk_min_f16 v67, v67, v109
	v_pk_min_f16 v62, v62, v101
	;; [unrolled: 1-line block ×3, first 2 shown]
	v_pk_add_f16 v4, v20, v35
	v_pk_min_f16 v109, v6, v49
	v_pk_add_f16 v6, v3, v35
	v_pk_max_f16 v95, v95, v95
	v_pk_min_f16 v82, v82, v113
	v_pk_min_f16 v77, v77, v112
	;; [unrolled: 1-line block ×3, first 2 shown]
	v_pk_add_f16 v4, v5, v35
	v_pk_min_f16 v113, v7, v6
	v_pk_add_f16 v6, v14, v35
	v_pk_min_f16 v95, v95, v118
	v_pk_max_f16 v106, v106, v106
	v_pk_min_f16 v118, v21, v4
	v_pk_add_f16 v4, v16, v35
	v_pk_min_f16 v110, v110, v6
	v_pk_add_f16 v6, v18, v37
	v_pk_add_f16 v8, v10, v35
	v_pk_min_f16 v106, v106, v121
	v_pk_min_f16 v137, v34, v4
	v_pk_add_f16 v4, v5, v37
	v_pk_min_f16 v108, v108, v6
	v_pk_add_f16 v6, v10, v37
	;; [unrolled: 2-line block ×5, first 2 shown]
	v_pk_add_f16 v7, v20, v37
	v_pk_min_f16 v106, v106, v8
	v_pk_min_f16 v103, v103, v4
	v_pk_add_f16 v4, v20, v31
	v_pk_min_f16 v100, v100, v6
	v_pk_add_f16 v6, v3, v31
	v_pk_add_f16 v8, v16, v37
	v_pk_min_f16 v107, v107, v7
	v_pk_min_f16 v99, v99, v4
	v_pk_add_f16 v4, v12, v31
	v_pk_min_f16 v98, v98, v6
	v_pk_add_f16 v6, v14, v31
	;; [unrolled: 6-line block ×4, first 2 shown]
	v_pk_add_f16 v7, v5, v31
	v_pk_min_f16 v95, v95, v8
	v_pk_add_f16 v8, v20, v33
	v_pk_min_f16 v87, v87, v4
	v_pk_add_f16 v4, v16, v33
	v_pk_min_f16 v85, v85, v6
	v_pk_add_f16 v6, v18, v27
	v_pk_max_f16 v57, v57, v57
	v_pk_min_f16 v96, v96, v7
	v_pk_add_f16 v7, v18, v33
	v_pk_min_f16 v90, v90, v8
	v_pk_add_f16 v8, v14, v33
	;; [unrolled: 2-line block ×4, first 2 shown]
	v_pk_min_f16 v22, v57, v22
	v_pk_min_f16 v91, v91, v7
	v_pk_add_f16 v7, v12, v33
	v_pk_min_f16 v82, v82, v8
	v_pk_add_f16 v8, v5, v27
	;; [unrolled: 2-line block ×4, first 2 shown]
	v_pk_max_f16 v55, v55, v55
	v_pk_max_f16 v54, v54, v54
	v_pk_min_f16 v84, v84, v7
	v_pk_add_f16 v7, v3, v27
	v_pk_min_f16 v77, v77, v8
	v_pk_add_f16 v8, v18, v29
	;; [unrolled: 2-line block ×4, first 2 shown]
	v_pk_max_f16 v56, v56, v56
	v_pk_min_f16 v19, v55, v19
	v_pk_min_f16 v2, v54, v2
	;; [unrolled: 1-line block ×3, first 2 shown]
	v_pk_add_f16 v7, v16, v27
	v_pk_min_f16 v54, v72, v8
	v_pk_min_f16 v53, v71, v4
	v_pk_add_f16 v4, v5, v29
	v_pk_add_f16 v8, v12, v29
	v_pk_min_f16 v55, v70, v6
	v_pk_add_f16 v6, v14, v29
	v_pk_min_f16 v17, v56, v17
	v_pk_max_f16 v13, v50, v50
	v_pk_min_f16 v56, v26, v7
	v_pk_add_f16 v7, v10, v29
	v_pk_min_f16 v52, v69, v4
	v_pk_min_f16 v50, v67, v8
	v_pk_add_f16 v4, v16, v29
	v_pk_min_f16 v49, v66, v6
	v_pk_add_f16 v6, v18, v23
	v_pk_add_f16 v8, v3, v23
	;; [unrolled: 1-line block ×3, first 2 shown]
	v_pk_min_f16 v51, v68, v7
	v_pk_add_f16 v7, v20, v23
	v_pk_min_f16 v47, v28, v4
	v_pk_add_f16 v4, v5, v23
	v_pk_min_f16 v37, v64, v6
	v_pk_min_f16 v35, v62, v8
	v_pk_add_f16 v6, v10, v23
	v_pk_add_f16 v8, v16, v23
	v_pk_min_f16 v11, v13, v11
	v_pk_min_f16 v13, v24, v15
	;; [unrolled: 1-line block ×4, first 2 shown]
	v_pk_add_f16 v4, v12, v23
	v_pk_add_f16 v7, v14, v23
	v_pk_min_f16 v31, v60, v6
	v_pk_min_f16 v26, v22, v8
	ds_read2_b64 v[21:24], v115 offset1:8
	ds_read2_b64 v[60:63], v86 offset1:32
	v_pk_min_f16 v29, v65, v4
	v_pk_add_f16 v4, v20, v25
	v_pk_add_f16 v3, v3, v25
	;; [unrolled: 1-line block ×4, first 2 shown]
	v_pk_max_f16 v111, v111, v111
	v_pk_min_f16 v34, v19, v4
	v_pk_min_f16 v33, v2, v3
	ds_read2_b64 v[2:5], v115 offset0:48 offset1:56
	v_pk_min_f16 v15, v17, v6
	ds_read2_b64 v[17:20], v115 offset0:16 offset1:24
	v_pk_max_f16 v109, v109, v109
	v_pk_max_f16 v112, v112, v112
	v_pk_min_f16 v111, v111, v128
	v_pk_min_f16 v27, v73, v7
	v_pk_add_f16 v12, v12, v25
	v_pk_add_f16 v14, v14, v25
	;; [unrolled: 1-line block ×3, first 2 shown]
	v_pk_min_f16 v111, v111, v9
	s_waitcnt lgkmcnt(2)
	v_pk_add_f16 v68, v21, v60
	v_pk_add_f16 v69, v23, v60
	;; [unrolled: 1-line block ×3, first 2 shown]
	ds_read2_b64 v[6:9], v115 offset0:32 offset1:40
	v_pk_add_f16 v75, v21, v62
	v_pk_min_f16 v68, v109, v68
	v_pk_add_f16 v109, v24, v61
	v_pk_min_f16 v69, v112, v69
	v_pk_max_f16 v112, v118, v118
	s_waitcnt lgkmcnt(2)
	v_pk_add_f16 v74, v2, v60
	v_pk_min_f16 v128, v68, v121
	v_pk_add_f16 v154, v3, v61
	v_pk_min_f16 v121, v69, v109
	v_pk_max_f16 v109, v110, v110
	s_waitcnt lgkmcnt(1)
	v_pk_add_f16 v71, v19, v60
	v_pk_add_f16 v151, v20, v61
	;; [unrolled: 1-line block ×3, first 2 shown]
	v_pk_min_f16 v32, v81, v28
	v_pk_min_f16 v74, v109, v74
	;; [unrolled: 1-line block ×3, first 2 shown]
	v_pk_add_f16 v81, v17, v62
	v_pk_max_f16 v68, v113, v113
	v_pk_add_f16 v10, v10, v25
	v_pk_min_f16 v110, v74, v154
	v_pk_max_f16 v74, v108, v108
	s_waitcnt lgkmcnt(0)
	v_pk_add_f16 v73, v8, v60
	v_pk_min_f16 v113, v71, v151
	v_pk_max_f16 v71, v111, v111
	v_pk_min_f16 v25, v101, v12
	v_pk_min_f16 v74, v74, v75
	;; [unrolled: 1-line block ×4, first 2 shown]
	ds_read2_b64 v[64:67], v86 offset0:64 offset1:96
	v_pk_add_f16 v101, v6, v62
	v_pk_min_f16 v108, v74, v155
	v_pk_max_f16 v74, v106, v106
	v_pk_add_f16 v153, v9, v61
	v_pk_add_f16 v157, v18, v63
	v_pk_min_f16 v71, v71, v73
	v_pk_max_f16 v75, v104, v104
	v_pk_min_f16 v74, v74, v81
	v_pk_add_f16 v70, v17, v60
	v_pk_add_f16 v72, v6, v60
	;; [unrolled: 1-line block ×4, first 2 shown]
	v_pk_min_f16 v111, v71, v153
	v_pk_max_f16 v71, v137, v137
	v_pk_min_f16 v106, v74, v157
	v_pk_min_f16 v74, v75, v101
	v_pk_add_f16 v76, v23, v62
	v_pk_add_f16 v142, v2, v62
	;; [unrolled: 1-line block ×5, first 2 shown]
	v_pk_min_f16 v60, v71, v60
	v_pk_max_f16 v107, v107, v107
	v_pk_min_f16 v104, v74, v159
	v_pk_max_f16 v74, v102, v102
	v_pk_min_f16 v28, v92, v10
	v_pk_add_f16 v92, v19, v62
	v_pk_add_f16 v141, v8, v62
	;; [unrolled: 1-line block ×5, first 2 shown]
	v_pk_min_f16 v109, v60, v61
	v_pk_min_f16 v61, v107, v76
	v_pk_max_f16 v75, v138, v138
	v_pk_min_f16 v74, v74, v142
	v_perm_b32 v39, v132, v39, 0x5040100
	ds_read2_b64 v[132:135], v86 offset0:128 offset1:160
	ds_read2_b64 v[10:13], v86 offset0:192 offset1:224
	s_waitcnt lgkmcnt(2)
	v_pk_add_f16 v143, v21, v64
	v_pk_add_f16 v158, v20, v63
	;; [unrolled: 1-line block ×4, first 2 shown]
	v_pk_min_f16 v107, v61, v156
	v_pk_max_f16 v61, v105, v105
	v_pk_min_f16 v62, v75, v62
	v_pk_min_f16 v102, v74, v161
	v_pk_max_f16 v74, v100, v100
	v_pk_add_f16 v144, v23, v64
	v_pk_add_f16 v145, v17, v64
	v_pk_min_f16 v68, v68, v70
	v_pk_min_f16 v61, v61, v92
	v_pk_min_f16 v101, v62, v63
	v_pk_max_f16 v62, v99, v99
	v_pk_max_f16 v63, v98, v98
	v_pk_min_f16 v74, v74, v143
	v_pk_add_f16 v75, v22, v65
	v_pk_add_f16 v146, v19, v64
	v_pk_min_f16 v118, v68, v150
	v_pk_max_f16 v68, v136, v136
	v_pk_min_f16 v105, v61, v158
	v_pk_max_f16 v61, v103, v103
	v_pk_min_f16 v62, v62, v144
	v_pk_add_f16 v76, v24, v65
	v_pk_min_f16 v63, v63, v145
	v_pk_add_f16 v81, v18, v65
	v_pk_min_f16 v100, v74, v75
	v_pk_max_f16 v74, v96, v96
	v_pk_add_f16 v147, v6, v64
	v_pk_add_f16 v148, v8, v64
	v_pk_min_f16 v68, v68, v72
	v_pk_min_f16 v61, v61, v141
	;; [unrolled: 1-line block ×4, first 2 shown]
	v_pk_max_f16 v62, v95, v95
	v_pk_min_f16 v63, v74, v146
	v_pk_max_f16 v74, v94, v94
	v_pk_add_f16 v149, v2, v64
	v_pk_add_f16 v64, v4, v64
	;; [unrolled: 1-line block ×10, first 2 shown]
	s_waitcnt lgkmcnt(1)
	v_pk_add_f16 v136, v21, v132
	v_pk_add_f16 v72, v23, v132
	v_pk_add_f16 v73, v17, v132
	v_pk_min_f16 v112, v68, v152
	v_pk_add_f16 v68, v19, v132
	v_pk_add_f16 v150, v6, v132
	;; [unrolled: 1-line block ×13, first 2 shown]
	s_waitcnt lgkmcnt(0)
	v_pk_add_f16 v157, v21, v10
	v_pk_add_f16 v158, v23, v10
	;; [unrolled: 1-line block ×5, first 2 shown]
	v_pk_min_f16 v103, v61, v160
	v_pk_add_f16 v61, v8, v10
	v_pk_add_f16 v142, v2, v10
	;; [unrolled: 1-line block ×8, first 2 shown]
	v_pk_min_f16 v62, v62, v147
	v_pk_min_f16 v74, v74, v148
	v_pk_add_f16 v81, v7, v65
	v_pk_add_f16 v92, v9, v65
	;; [unrolled: 1-line block ×5, first 2 shown]
	v_pk_max_f16 v12, v91, v91
	v_pk_min_f16 v95, v62, v81
	v_pk_max_f16 v62, v139, v139
	v_pk_min_f16 v94, v74, v92
	v_pk_add_f16 v74, v22, v67
	v_pk_min_f16 v12, v12, v162
	v_pk_max_f16 v75, v93, v93
	v_pk_min_f16 v62, v62, v64
	v_pk_add_f16 v64, v5, v65
	v_pk_add_f16 v76, v20, v65
	v_pk_min_f16 v91, v12, v74
	v_pk_max_f16 v12, v87, v87
	v_pk_min_f16 v75, v75, v149
	v_pk_min_f16 v92, v62, v64
	v_pk_add_f16 v62, v20, v67
	v_pk_min_f16 v96, v63, v76
	v_pk_min_f16 v12, v12, v165
	v_pk_add_f16 v63, v3, v65
	v_pk_max_f16 v65, v88, v88
	v_pk_add_f16 v76, v18, v67
	v_pk_max_f16 v64, v84, v84
	v_pk_min_f16 v87, v12, v62
	v_pk_max_f16 v12, v140, v140
	v_pk_add_f16 v62, v5, v67
	v_pk_min_f16 v93, v75, v63
	v_pk_max_f16 v63, v90, v90
	v_pk_add_f16 v75, v24, v67
	v_pk_min_f16 v12, v12, v66
	v_pk_min_f16 v65, v65, v164
	v_pk_max_f16 v74, v82, v82
	v_pk_min_f16 v63, v63, v163
	v_pk_max_f16 v66, v78, v78
	;; [unrolled: 2-line block ×3, first 2 shown]
	v_pk_add_f16 v62, v20, v133
	v_pk_min_f16 v90, v63, v75
	v_pk_max_f16 v63, v85, v85
	v_pk_min_f16 v88, v65, v76
	v_pk_min_f16 v12, v12, v68
	v_pk_add_f16 v65, v7, v67
	v_pk_min_f16 v64, v64, v69
	v_pk_min_f16 v63, v63, v70
	v_pk_add_f16 v70, v9, v67
	v_pk_min_f16 v77, v12, v62
	v_pk_max_f16 v12, v56, v56
	v_pk_add_f16 v56, v5, v133
	v_pk_add_f16 v69, v3, v67
	v_pk_min_f16 v74, v74, v166
	v_pk_min_f16 v66, v66, v73
	;; [unrolled: 1-line block ×6, first 2 shown]
	v_pk_max_f16 v63, v80, v80
	v_pk_min_f16 v73, v12, v56
	v_pk_max_f16 v12, v52, v52
	v_pk_max_f16 v64, v79, v79
	v_pk_add_f16 v69, v18, v133
	v_pk_add_f16 v52, v20, v135
	v_pk_add_f16 v65, v22, v133
	v_pk_min_f16 v12, v12, v153
	v_pk_min_f16 v63, v63, v136
	v_pk_add_f16 v67, v24, v133
	v_pk_min_f16 v64, v64, v72
	v_pk_min_f16 v78, v66, v69
	v_pk_max_f16 v57, v57, v57
	v_pk_max_f16 v59, v59, v59
	;; [unrolled: 1-line block ×3, first 2 shown]
	v_pk_min_f16 v69, v12, v52
	v_pk_max_f16 v12, v47, v47
	v_pk_min_f16 v80, v63, v65
	v_pk_min_f16 v79, v64, v67
	v_pk_add_f16 v63, v7, v133
	v_pk_min_f16 v57, v57, v150
	v_pk_add_f16 v64, v9, v133
	;; [unrolled: 2-line block ×3, first 2 shown]
	v_pk_min_f16 v58, v58, v151
	v_pk_max_f16 v54, v54, v54
	v_pk_max_f16 v53, v53, v53
	;; [unrolled: 1-line block ×3, first 2 shown]
	v_pk_add_f16 v47, v5, v135
	v_pk_min_f16 v12, v12, v134
	v_pk_min_f16 v76, v57, v63
	;; [unrolled: 1-line block ×4, first 2 shown]
	v_pk_add_f16 v57, v22, v135
	v_pk_min_f16 v54, v54, v132
	v_pk_add_f16 v58, v24, v135
	v_pk_min_f16 v53, v53, v60
	;; [unrolled: 2-line block ×3, first 2 shown]
	v_pk_max_f16 v51, v51, v51
	v_pk_max_f16 v50, v50, v50
	v_pk_max_f16 v49, v49, v49
	v_pk_min_f16 v65, v12, v47
	v_pk_max_f16 v12, v30, v30
	v_pk_min_f16 v72, v54, v57
	v_pk_min_f16 v71, v53, v58
	v_pk_min_f16 v70, v55, v59
	v_pk_add_f16 v53, v7, v135
	v_pk_min_f16 v51, v51, v154
	v_pk_add_f16 v54, v9, v135
	v_pk_min_f16 v50, v50, v155
	;; [unrolled: 2-line block ×3, first 2 shown]
	v_pk_max_f16 v37, v37, v37
	v_pk_max_f16 v36, v36, v36
	;; [unrolled: 1-line block ×3, first 2 shown]
	v_pk_add_f16 v30, v20, v11
	v_pk_min_f16 v12, v12, v141
	v_pk_max_f16 v29, v29, v29
	v_pk_min_f16 v68, v51, v53
	v_pk_min_f16 v67, v50, v54
	;; [unrolled: 1-line block ×3, first 2 shown]
	v_pk_add_f16 v49, v22, v11
	v_pk_min_f16 v37, v37, v157
	v_pk_add_f16 v50, v24, v11
	v_pk_min_f16 v36, v36, v158
	;; [unrolled: 2-line block ×3, first 2 shown]
	v_pk_min_f16 v29, v29, v61
	v_pk_min_f16 v61, v12, v30
	v_pk_max_f16 v12, v26, v26
	v_pk_min_f16 v64, v37, v49
	v_pk_min_f16 v63, v36, v50
	;; [unrolled: 1-line block ×3, first 2 shown]
	v_pk_add_f16 v35, v7, v11
	v_pk_add_f16 v36, v9, v11
	;; [unrolled: 1-line block ×4, first 2 shown]
	v_pk_max_f16 v15, v15, v15
	v_pk_min_f16 v10, v12, v10
	v_pk_max_f16 v12, v34, v34
	v_pk_add_f16 v22, v22, v13
	v_pk_max_f16 v31, v31, v31
	v_pk_min_f16 v15, v15, v21
	v_pk_min_f16 v57, v10, v11
	v_pk_max_f16 v11, v28, v28
	v_pk_max_f16 v27, v27, v27
	;; [unrolled: 1-line block ×3, first 2 shown]
	v_pk_add_f16 v21, v24, v13
	v_pk_min_f16 v12, v12, v23
	v_pk_min_f16 v56, v15, v22
	v_pk_max_f16 v10, v32, v32
	v_pk_max_f16 v15, v25, v25
	v_pk_min_f16 v6, v11, v6
	v_pk_max_f16 v11, v16, v16
	v_pk_max_f16 v14, v14, v14
	v_add_co_u32 v122, vcc_lo, v122, s6
	v_pk_min_f16 v31, v31, v138
	v_pk_min_f16 v27, v27, v142
	v_pk_add_f16 v18, v18, v13
	v_pk_min_f16 v17, v26, v17
	v_pk_min_f16 v55, v12, v21
	v_pk_add_f16 v12, v20, v13
	v_pk_min_f16 v10, v10, v19
	v_pk_add_f16 v7, v7, v13
	v_pk_add_f16 v9, v9, v13
	v_pk_min_f16 v8, v15, v8
	v_pk_add_f16 v3, v3, v13
	v_pk_min_f16 v2, v11, v2
	v_pk_add_f16 v5, v5, v13
	v_pk_min_f16 v4, v14, v4
	v_add_co_ci_u32_e64 v123, null, s7, v123, vcc_lo
	v_add_co_u32 v124, vcc_lo, v124, s12
	v_add_co_ci_u32_e64 v125, null, s13, v125, vcc_lo
	v_add_co_u32 v126, vcc_lo, v126, s12
	v_pk_min_f16 v60, v31, v35
	v_pk_min_f16 v59, v29, v36
	;; [unrolled: 1-line block ×9, first 2 shown]
	v_perm_b32 v7, v131, v130, 0x5040100
	v_add_co_ci_u32_e64 v127, null, s13, v127, vcc_lo
	s_add_i32 s14, s14, 8
	ds_write_b16 v116, v129
	ds_write_b16 v117, v46
	ds_write_b16_d16_hi v117, v46 offset:512
	ds_write_b16 v117, v130 offset:1024
	ds_write_b16 v117, v131 offset:1536
	s_cmp_ge_i32 s14, s22
	s_waitcnt lgkmcnt(0)
	s_barrier
	buffer_gl0_inv
	s_cbranch_scc0 .LBB270_26
.LBB270_47:
	s_load_dword s6, s[4:5], 0x58
	v_add_nc_u32_e32 v83, s17, v1
	ds_read_b64 v[30:31], v89 offset:4608
	ds_read_b64 v[46:47], v86 offset:2048
	v_add_nc_u32_e32 v44, s3, v0
	v_cmp_neq_f16_e64 s2, 0, v48
	v_mov_b32_e32 v34, 0
	v_mov_b32_e32 v32, 0
	v_ashrrev_i32_e32 v45, 31, v44
	s_and_b32 vcc_lo, exec_lo, s2
	v_lshlrev_b64 v[28:29], 1, v[44:45]
	s_waitcnt lgkmcnt(0)
	v_mad_i64_i32 v[1:2], null, v83, s6, 0
	v_lshlrev_b64 v[0:1], 1, v[1:2]
	v_add_co_u32 v97, s1, s8, v0
	v_add_co_ci_u32_e64 v114, null, s9, v1, s1
	s_cbranch_vccz .LBB270_49
; %bb.48:
	v_add_co_u32 v0, vcc_lo, v97, v28
	v_add_co_ci_u32_e64 v1, null, v114, v29, vcc_lo
	global_load_ushort v0, v[0:1], off
	s_waitcnt vmcnt(0)
	v_mul_f16_e32 v0, v48, v0
	v_cvt_f32_f16_e32 v32, v0
.LBB270_49:
	s_clause 0x1
	s_load_dwordx2 s[12:13], s[4:5], 0x78
	s_load_dword s3, s[4:5], 0x70
	v_pk_add_f16 v13, v30, v46
	v_pk_add_f16 v26, v31, v47
	v_max_f16_e32 v14, v128, v128
	v_lshrrev_b32_e32 v15, 16, v128
	v_add_nc_u32_e32 v0, 0x1000, v89
	v_lshrrev_b32_e32 v27, 16, v13
	v_lshrrev_b32_e32 v33, 16, v26
	v_min_f16_e32 v37, v14, v13
	v_add_nc_u32_e32 v12, 0x800, v86
	ds_read_b64 v[24:25], v89 offset:5056
	ds_read2_b64 v[8:11], v0 offset0:72 offset1:80
	ds_read2_b64 v[4:7], v0 offset0:88 offset1:96
	v_min3_f16 v27, v15, v27, v33
	ds_read2_b64 v[0:3], v0 offset0:104 offset1:112
	ds_read2_b64 v[20:23], v12 offset0:32 offset1:64
	ds_read2_b64 v[16:19], v12 offset0:96 offset1:128
	ds_read2_b64 v[12:15], v12 offset0:160 offset1:192
	v_max_f32_e32 v40, v32, v32
	v_min3_f16 v33, v37, v26, v27
	ds_read_b64 v[26:27], v86 offset:3840
	s_waitcnt lgkmcnt(0)
	s_mul_i32 s1, s13, s16
	v_mad_i64_i32 v[35:36], null, v83, s3, 0
	s_mul_hi_u32 s4, s12, s16
	v_cvt_f32_f16_e32 v39, v33
	s_add_i32 s5, s4, s1
	s_mul_i32 s4, s12, s16
	v_add_nc_u32_e32 v37, 8, v44
	s_lshl_b64 s[4:5], s[4:5], 1
	v_lshlrev_b64 v[32:33], 1, v[35:36]
	s_add_u32 s4, s10, s4
	s_addc_u32 s5, s11, s5
	v_min_f32_e32 v35, v40, v39
	v_ashrrev_i32_e32 v38, 31, v37
	v_cndmask_b32_e64 v36, 0, 1, s2
	v_add_co_u32 v86, vcc_lo, s4, v32
	v_add_co_ci_u32_e64 v89, null, s5, v33, vcc_lo
	v_cvt_f16_f32_e32 v39, v35
	v_add_co_u32 v35, vcc_lo, v86, v28
	v_lshlrev_b64 v[32:33], 1, v[37:38]
	v_cmp_ne_u32_e64 s1, 1, v36
	v_add_co_ci_u32_e64 v36, null, v89, v29, vcc_lo
	s_andn2_b32 vcc_lo, exec_lo, s2
	global_store_short v[35:36], v39, off
	s_cbranch_vccnz .LBB270_51
; %bb.50:
	v_add_co_u32 v34, vcc_lo, v97, v32
	v_add_co_ci_u32_e64 v35, null, v114, v33, vcc_lo
	global_load_ushort v34, v[34:35], off
	s_waitcnt vmcnt(0)
	v_mul_f16_e32 v34, v48, v34
	v_cvt_f32_f16_e32 v34, v34
.LBB270_51:
	v_pk_add_f16 v35, v8, v46
	v_pk_add_f16 v36, v9, v47
	v_max_f16_e32 v37, v121, v121
	v_lshrrev_b32_e32 v38, 16, v121
	v_max_f32_e32 v34, v34, v34
	v_lshrrev_b32_e32 v39, 16, v35
	v_lshrrev_b32_e32 v40, 16, v36
	v_min_f16_e32 v35, v37, v35
	v_min3_f16 v37, v38, v39, v40
	v_add_co_u32 v39, vcc_lo, v86, v32
	v_add_co_ci_u32_e64 v40, null, v89, v33, vcc_lo
	v_min3_f16 v36, v35, v36, v37
	v_add_nc_u32_e32 v35, 16, v44
	v_mov_b32_e32 v38, 0
	s_and_b32 vcc_lo, exec_lo, s1
	v_cvt_f32_f16_e32 v37, v36
	v_ashrrev_i32_e32 v36, 31, v35
	v_min_f32_e32 v34, v34, v37
	v_cvt_f16_f32_e32 v37, v34
	v_lshlrev_b64 v[34:35], 1, v[35:36]
	v_mov_b32_e32 v36, 0
	global_store_short v[39:40], v37, off
	s_cbranch_vccnz .LBB270_53
; %bb.52:
	v_add_co_u32 v36, vcc_lo, v97, v34
	v_add_co_ci_u32_e64 v37, null, v114, v35, vcc_lo
	global_load_ushort v36, v[36:37], off
	s_waitcnt vmcnt(0)
	v_mul_f16_e32 v36, v48, v36
	v_cvt_f32_f16_e32 v36, v36
.LBB270_53:
	v_pk_add_f16 v37, v10, v46
	v_pk_add_f16 v39, v11, v47
	v_max_f16_e32 v40, v118, v118
	v_lshrrev_b32_e32 v41, 16, v118
	v_max_f32_e32 v36, v36, v36
	v_lshrrev_b32_e32 v42, 16, v37
	v_lshrrev_b32_e32 v43, 16, v39
	v_min_f16_e32 v37, v40, v37
	v_min3_f16 v40, v41, v42, v43
	v_add_co_u32 v41, vcc_lo, v86, v34
	v_add_co_ci_u32_e64 v42, null, v89, v35, vcc_lo
	v_min3_f16 v37, v37, v39, v40
	v_add_nc_u32_e32 v39, 24, v44
	s_and_b32 vcc_lo, exec_lo, s1
	v_cvt_f32_f16_e32 v37, v37
	v_ashrrev_i32_e32 v40, 31, v39
	v_min_f32_e32 v36, v36, v37
	v_cvt_f16_f32_e32 v43, v36
	v_lshlrev_b64 v[36:37], 1, v[39:40]
	global_store_short v[41:42], v43, off
	s_cbranch_vccnz .LBB270_55
; %bb.54:
	v_add_co_u32 v38, vcc_lo, v97, v36
	v_add_co_ci_u32_e64 v39, null, v114, v37, vcc_lo
	global_load_ushort v38, v[38:39], off
	s_waitcnt vmcnt(0)
	v_mul_f16_e32 v38, v48, v38
	v_cvt_f32_f16_e32 v38, v38
.LBB270_55:
	v_pk_add_f16 v39, v4, v46
	v_pk_add_f16 v40, v5, v47
	v_max_f16_e32 v41, v113, v113
	v_lshrrev_b32_e32 v42, 16, v113
	v_max_f32_e32 v38, v38, v38
	v_lshrrev_b32_e32 v43, 16, v39
	v_lshrrev_b32_e32 v45, 16, v40
	v_min_f16_e32 v39, v41, v39
	v_add_co_u32 v115, vcc_lo, v86, v36
	v_add_co_ci_u32_e64 v116, null, v89, v37, vcc_lo
	v_min3_f16 v41, v42, v43, v45
	s_and_b32 vcc_lo, exec_lo, s1
	v_min3_f16 v40, v39, v40, v41
	v_add_nc_u32_e32 v39, 32, v44
	v_cvt_f32_f16_e32 v41, v40
	v_ashrrev_i32_e32 v40, 31, v39
	v_min_f32_e32 v41, v38, v41
	v_lshlrev_b64 v[42:43], 1, v[39:40]
	v_mov_b32_e32 v38, 0
	v_mov_b32_e32 v39, 0
	v_cvt_f16_f32_e32 v41, v41
	global_store_short v[115:116], v41, off
	s_cbranch_vccnz .LBB270_57
; %bb.56:
	v_add_co_u32 v39, vcc_lo, v97, v42
	v_add_co_ci_u32_e64 v40, null, v114, v43, vcc_lo
	global_load_ushort v39, v[39:40], off
	s_waitcnt vmcnt(0)
	v_mul_f16_e32 v39, v48, v39
	v_cvt_f32_f16_e32 v39, v39
.LBB270_57:
	v_pk_add_f16 v40, v6, v46
	v_pk_add_f16 v41, v7, v47
	v_max_f16_e32 v45, v112, v112
	v_lshrrev_b32_e32 v112, 16, v112
	v_max_f32_e32 v39, v39, v39
	v_lshrrev_b32_e32 v113, 16, v40
	v_lshrrev_b32_e32 v115, 16, v41
	v_min_f16_e32 v40, v45, v40
	v_min3_f16 v45, v112, v113, v115
	v_add_co_u32 v112, vcc_lo, v86, v42
	v_add_co_ci_u32_e64 v113, null, v89, v43, vcc_lo
	v_min3_f16 v41, v40, v41, v45
	v_add_nc_u32_e32 v40, 40, v44
	s_and_b32 vcc_lo, exec_lo, s1
	v_cvt_f32_f16_e32 v45, v41
	v_ashrrev_i32_e32 v41, 31, v40
	v_min_f32_e32 v39, v39, v45
	v_lshlrev_b64 v[40:41], 1, v[40:41]
	v_cvt_f16_f32_e32 v39, v39
	global_store_short v[112:113], v39, off
	s_cbranch_vccnz .LBB270_59
; %bb.58:
	v_add_co_u32 v38, vcc_lo, v97, v40
	v_add_co_ci_u32_e64 v39, null, v114, v41, vcc_lo
	global_load_ushort v38, v[38:39], off
	s_waitcnt vmcnt(0)
	v_mul_f16_e32 v38, v48, v38
	v_cvt_f32_f16_e32 v38, v38
.LBB270_59:
	v_pk_add_f16 v39, v0, v46
	v_pk_add_f16 v45, v1, v47
	v_max_f16_e32 v112, v111, v111
	v_lshrrev_b32_e32 v111, 16, v111
	v_max_f32_e32 v38, v38, v38
	v_lshrrev_b32_e32 v113, 16, v39
	v_lshrrev_b32_e32 v115, 16, v45
	v_min_f16_e32 v39, v112, v39
	v_add_nc_u32_e32 v112, 48, v44
	v_min3_f16 v111, v111, v113, v115
	v_add_co_u32 v115, vcc_lo, v86, v40
	v_ashrrev_i32_e32 v113, 31, v112
	v_add_co_ci_u32_e64 v116, null, v89, v41, vcc_lo
	v_min3_f16 v39, v39, v45, v111
	v_mov_b32_e32 v111, 0
	v_mov_b32_e32 v45, 0
	s_and_b32 vcc_lo, exec_lo, s1
	v_cvt_f32_f16_e32 v39, v39
	v_min_f32_e32 v38, v38, v39
	v_cvt_f16_f32_e32 v117, v38
	v_lshlrev_b64 v[38:39], 1, v[112:113]
	global_store_short v[115:116], v117, off
	s_cbranch_vccnz .LBB270_61
; %bb.60:
	v_add_co_u32 v112, vcc_lo, v97, v38
	v_add_co_ci_u32_e64 v113, null, v114, v39, vcc_lo
	global_load_ushort v45, v[112:113], off
	s_waitcnt vmcnt(0)
	v_mul_f16_e32 v45, v48, v45
	v_cvt_f32_f16_e32 v45, v45
.LBB270_61:
	v_pk_add_f16 v112, v2, v46
	v_pk_add_f16 v113, v3, v47
	v_max_f16_e32 v115, v110, v110
	v_lshrrev_b32_e32 v110, 16, v110
	v_add_nc_u32_e32 v44, 56, v44
	v_lshrrev_b32_e32 v116, 16, v112
	v_lshrrev_b32_e32 v117, 16, v113
	v_min_f16_e32 v112, v115, v112
	v_min3_f16 v110, v110, v116, v117
	v_min3_f16 v110, v112, v113, v110
	v_max_f32_e32 v112, v45, v45
	v_ashrrev_i32_e32 v45, 31, v44
	v_cvt_f32_f16_e32 v110, v110
	v_lshlrev_b64 v[44:45], 1, v[44:45]
	v_min_f32_e32 v110, v112, v110
	v_add_co_u32 v112, vcc_lo, v86, v38
	v_add_co_ci_u32_e64 v113, null, v89, v39, vcc_lo
	v_cvt_f16_f32_e32 v110, v110
	s_and_b32 vcc_lo, exec_lo, s1
	global_store_short v[112:113], v110, off
	s_cbranch_vccnz .LBB270_63
; %bb.62:
	v_add_co_u32 v110, vcc_lo, v97, v44
	v_add_co_ci_u32_e64 v111, null, v114, v45, vcc_lo
	global_load_ushort v97, v[110:111], off
	s_waitcnt vmcnt(0)
	v_mul_f16_e32 v97, v48, v97
	v_cvt_f32_f16_e32 v111, v97
.LBB270_63:
	v_pk_add_f16 v46, v24, v46
	v_pk_add_f16 v97, v25, v47
	v_max_f16_e32 v47, v109, v109
	v_lshrrev_b32_e32 v110, 16, v109
	v_add_nc_u32_e32 v109, 32, v83
	v_lshrrev_b32_e32 v112, 16, v46
	v_lshrrev_b32_e32 v113, 16, v97
	v_min_f16_e32 v114, v47, v46
	v_mad_i64_i32 v[46:47], null, v109, s6, 0
	v_min3_f16 v110, v110, v112, v113
	v_max_f32_e32 v112, v111, v111
	v_min3_f16 v97, v114, v97, v110
	v_lshlrev_b64 v[46:47], 1, v[46:47]
	v_add_co_u32 v110, vcc_lo, v86, v44
	v_add_co_ci_u32_e64 v111, null, v89, v45, vcc_lo
	v_cvt_f32_f16_e32 v97, v97
	v_add_co_u32 v46, vcc_lo, s8, v46
	v_add_co_ci_u32_e64 v47, null, s9, v47, vcc_lo
	v_min_f32_e32 v86, v112, v97
	v_mov_b32_e32 v97, 0
	s_and_b32 vcc_lo, exec_lo, s1
	v_cvt_f16_f32_e32 v89, v86
	v_mov_b32_e32 v86, 0
	global_store_short v[110:111], v89, off
	s_cbranch_vccnz .LBB270_65
; %bb.64:
	v_add_co_u32 v110, vcc_lo, v46, v28
	v_add_co_ci_u32_e64 v111, null, v47, v29, vcc_lo
	global_load_ushort v86, v[110:111], off
	s_waitcnt vmcnt(0)
	v_mul_f16_e32 v86, v48, v86
	v_cvt_f32_f16_e32 v86, v86
.LBB270_65:
	v_pk_add_f16 v89, v30, v20
	v_pk_add_f16 v110, v31, v21
	v_max_f16_e32 v111, v108, v108
	v_lshrrev_b32_e32 v108, 16, v108
	v_max_f32_e32 v86, v86, v86
	v_lshrrev_b32_e32 v112, 16, v89
	v_lshrrev_b32_e32 v113, 16, v110
	v_min_f16_e32 v89, v111, v89
	v_min3_f16 v111, v108, v112, v113
	v_mad_i64_i32 v[108:109], null, v109, s3, 0
	v_min3_f16 v89, v89, v110, v111
	v_lshlrev_b64 v[108:109], 1, v[108:109]
	v_cvt_f32_f16_e32 v89, v89
	v_min_f32_e32 v110, v86, v89
	v_add_co_u32 v86, vcc_lo, s4, v108
	v_add_co_ci_u32_e64 v89, null, s5, v109, vcc_lo
	v_cvt_f16_f32_e32 v110, v110
	v_add_co_u32 v108, vcc_lo, v86, v28
	v_add_co_ci_u32_e64 v109, null, v89, v29, vcc_lo
	s_and_b32 vcc_lo, exec_lo, s1
	global_store_short v[108:109], v110, off
	s_cbranch_vccnz .LBB270_67
; %bb.66:
	v_add_co_u32 v108, vcc_lo, v46, v32
	v_add_co_ci_u32_e64 v109, null, v47, v33, vcc_lo
	global_load_ushort v97, v[108:109], off
	s_waitcnt vmcnt(0)
	v_mul_f16_e32 v97, v48, v97
	v_cvt_f32_f16_e32 v97, v97
.LBB270_67:
	v_pk_add_f16 v108, v8, v20
	v_pk_add_f16 v109, v9, v21
	v_max_f16_e32 v110, v107, v107
	v_lshrrev_b32_e32 v107, 16, v107
	v_max_f32_e32 v97, v97, v97
	v_lshrrev_b32_e32 v111, 16, v108
	v_lshrrev_b32_e32 v112, 16, v109
	v_min_f16_e32 v108, v110, v108
	v_min3_f16 v107, v107, v111, v112
	v_min3_f16 v107, v108, v109, v107
	v_add_co_u32 v108, vcc_lo, v86, v32
	v_add_co_ci_u32_e64 v109, null, v89, v33, vcc_lo
	v_cvt_f32_f16_e32 v107, v107
	s_and_b32 vcc_lo, exec_lo, s1
	v_min_f32_e32 v97, v97, v107
	v_mov_b32_e32 v107, 0
	v_cvt_f16_f32_e32 v110, v97
	v_mov_b32_e32 v97, 0
	global_store_short v[108:109], v110, off
	s_cbranch_vccnz .LBB270_69
; %bb.68:
	v_add_co_u32 v107, vcc_lo, v46, v34
	v_add_co_ci_u32_e64 v108, null, v47, v35, vcc_lo
	global_load_ushort v107, v[107:108], off
	s_waitcnt vmcnt(0)
	v_mul_f16_e32 v107, v48, v107
	v_cvt_f32_f16_e32 v107, v107
.LBB270_69:
	v_pk_add_f16 v108, v10, v20
	v_pk_add_f16 v109, v11, v21
	v_max_f16_e32 v110, v106, v106
	v_lshrrev_b32_e32 v106, 16, v106
	v_max_f32_e32 v107, v107, v107
	v_lshrrev_b32_e32 v111, 16, v108
	v_lshrrev_b32_e32 v112, 16, v109
	v_min_f16_e32 v108, v110, v108
	v_min3_f16 v106, v106, v111, v112
	v_min3_f16 v106, v108, v109, v106
	v_cvt_f32_f16_e32 v106, v106
	v_min_f32_e32 v106, v107, v106
	v_cvt_f16_f32_e32 v108, v106
	v_add_co_u32 v106, vcc_lo, v86, v34
	v_add_co_ci_u32_e64 v107, null, v89, v35, vcc_lo
	s_and_b32 vcc_lo, exec_lo, s1
	global_store_short v[106:107], v108, off
	s_cbranch_vccnz .LBB270_71
; %bb.70:
	v_add_co_u32 v106, vcc_lo, v46, v36
	v_add_co_ci_u32_e64 v107, null, v47, v37, vcc_lo
	global_load_ushort v97, v[106:107], off
	s_waitcnt vmcnt(0)
	v_mul_f16_e32 v97, v48, v97
	v_cvt_f32_f16_e32 v97, v97
.LBB270_71:
	v_pk_add_f16 v106, v4, v20
	v_pk_add_f16 v107, v5, v21
	v_max_f16_e32 v108, v105, v105
	v_lshrrev_b32_e32 v105, 16, v105
	v_max_f32_e32 v97, v97, v97
	v_lshrrev_b32_e32 v109, 16, v106
	v_lshrrev_b32_e32 v110, 16, v107
	v_min_f16_e32 v106, v108, v106
	v_min3_f16 v105, v105, v109, v110
	v_min3_f16 v105, v106, v107, v105
	v_add_co_u32 v106, vcc_lo, v86, v36
	v_add_co_ci_u32_e64 v107, null, v89, v37, vcc_lo
	v_cvt_f32_f16_e32 v105, v105
	s_and_b32 vcc_lo, exec_lo, s1
	v_min_f32_e32 v97, v97, v105
	v_mov_b32_e32 v105, 0
	v_cvt_f16_f32_e32 v108, v97
	v_mov_b32_e32 v97, 0
	global_store_short v[106:107], v108, off
	s_cbranch_vccnz .LBB270_73
; %bb.72:
	v_add_co_u32 v105, vcc_lo, v46, v42
	v_add_co_ci_u32_e64 v106, null, v47, v43, vcc_lo
	global_load_ushort v105, v[105:106], off
	s_waitcnt vmcnt(0)
	v_mul_f16_e32 v105, v48, v105
	v_cvt_f32_f16_e32 v105, v105
.LBB270_73:
	v_pk_add_f16 v106, v6, v20
	v_pk_add_f16 v107, v7, v21
	v_max_f16_e32 v108, v104, v104
	v_lshrrev_b32_e32 v104, 16, v104
	v_max_f32_e32 v105, v105, v105
	v_lshrrev_b32_e32 v109, 16, v106
	v_lshrrev_b32_e32 v110, 16, v107
	v_min_f16_e32 v106, v108, v106
	v_min3_f16 v104, v104, v109, v110
	v_min3_f16 v104, v106, v107, v104
	v_cvt_f32_f16_e32 v104, v104
	v_min_f32_e32 v104, v105, v104
	;; [unrolled: 54-line block ×3, first 2 shown]
	v_cvt_f16_f32_e32 v104, v102
	v_add_co_u32 v102, vcc_lo, v86, v38
	v_add_co_ci_u32_e64 v103, null, v89, v39, vcc_lo
	s_and_b32 vcc_lo, exec_lo, s1
	global_store_short v[102:103], v104, off
	s_cbranch_vccnz .LBB270_79
; %bb.78:
	v_add_co_u32 v46, vcc_lo, v46, v44
	v_add_co_ci_u32_e64 v47, null, v47, v45, vcc_lo
	global_load_ushort v46, v[46:47], off
	s_waitcnt vmcnt(0)
	v_mul_f16_e32 v46, v48, v46
	v_cvt_f32_f16_e32 v97, v46
.LBB270_79:
	v_pk_add_f16 v20, v24, v20
	v_pk_add_f16 v47, v25, v21
	v_max_f16_e32 v21, v101, v101
	v_lshrrev_b32_e32 v101, 16, v101
	v_add_nc_u32_e32 v46, 64, v83
	v_lshrrev_b32_e32 v102, 16, v20
	v_lshrrev_b32_e32 v103, 16, v47
	v_min_f16_e32 v104, v21, v20
	v_max_f32_e32 v97, v97, v97
	v_mad_i64_i32 v[20:21], null, v46, s6, 0
	v_min3_f16 v101, v101, v102, v103
	v_min3_f16 v47, v104, v47, v101
	v_lshlrev_b64 v[20:21], 1, v[20:21]
	v_add_co_u32 v101, vcc_lo, v86, v44
	v_add_co_ci_u32_e64 v102, null, v89, v45, vcc_lo
	v_cvt_f32_f16_e32 v47, v47
	v_add_co_u32 v20, vcc_lo, s8, v20
	v_add_co_ci_u32_e64 v21, null, s9, v21, vcc_lo
	v_min_f32_e32 v47, v97, v47
	v_mov_b32_e32 v86, 0
	s_and_b32 vcc_lo, exec_lo, s1
	v_cvt_f16_f32_e32 v89, v47
	v_mov_b32_e32 v47, 0
	global_store_short v[101:102], v89, off
	s_cbranch_vccnz .LBB270_81
; %bb.80:
	v_add_co_u32 v101, vcc_lo, v20, v28
	v_add_co_ci_u32_e64 v102, null, v21, v29, vcc_lo
	global_load_ushort v47, v[101:102], off
	s_waitcnt vmcnt(0)
	v_mul_f16_e32 v47, v48, v47
	v_cvt_f32_f16_e32 v47, v47
.LBB270_81:
	v_pk_add_f16 v89, v30, v22
	v_pk_add_f16 v97, v31, v23
	v_max_f16_e32 v101, v100, v100
	v_lshrrev_b32_e32 v100, 16, v100
	v_lshrrev_b32_e32 v102, 16, v89
	;; [unrolled: 1-line block ×3, first 2 shown]
	v_min_f16_e32 v89, v101, v89
	v_min3_f16 v102, v100, v102, v103
	v_mad_i64_i32 v[100:101], null, v46, s3, 0
	v_min3_f16 v46, v89, v97, v102
	v_max_f32_e32 v89, v47, v47
	v_cvt_f32_f16_e32 v97, v46
	v_lshlrev_b64 v[46:47], 1, v[100:101]
	v_min_f32_e32 v89, v89, v97
	v_add_co_u32 v46, vcc_lo, s4, v46
	v_add_co_ci_u32_e64 v47, null, s5, v47, vcc_lo
	v_cvt_f16_f32_e32 v89, v89
	v_add_co_u32 v100, vcc_lo, v46, v28
	v_add_co_ci_u32_e64 v101, null, v47, v29, vcc_lo
	s_and_b32 vcc_lo, exec_lo, s1
	global_store_short v[100:101], v89, off
	s_cbranch_vccnz .LBB270_83
; %bb.82:
	v_add_co_u32 v100, vcc_lo, v20, v32
	v_add_co_ci_u32_e64 v101, null, v21, v33, vcc_lo
	global_load_ushort v86, v[100:101], off
	s_waitcnt vmcnt(0)
	v_mul_f16_e32 v86, v48, v86
	v_cvt_f32_f16_e32 v86, v86
.LBB270_83:
	v_pk_add_f16 v89, v8, v22
	v_pk_add_f16 v97, v9, v23
	v_max_f16_e32 v100, v99, v99
	v_lshrrev_b32_e32 v99, 16, v99
	v_max_f32_e32 v86, v86, v86
	v_lshrrev_b32_e32 v101, 16, v89
	v_lshrrev_b32_e32 v102, 16, v97
	v_min_f16_e32 v89, v100, v89
	v_min3_f16 v99, v99, v101, v102
	v_min3_f16 v89, v89, v97, v99
	v_add_co_u32 v99, vcc_lo, v46, v32
	v_add_co_ci_u32_e64 v100, null, v47, v33, vcc_lo
	v_cvt_f32_f16_e32 v89, v89
	s_and_b32 vcc_lo, exec_lo, s1
	v_min_f32_e32 v86, v86, v89
	v_mov_b32_e32 v89, 0
	v_cvt_f16_f32_e32 v97, v86
	v_mov_b32_e32 v86, 0
	global_store_short v[99:100], v97, off
	s_cbranch_vccnz .LBB270_85
; %bb.84:
	v_add_co_u32 v99, vcc_lo, v20, v34
	v_add_co_ci_u32_e64 v100, null, v21, v35, vcc_lo
	global_load_ushort v89, v[99:100], off
	s_waitcnt vmcnt(0)
	v_mul_f16_e32 v89, v48, v89
	v_cvt_f32_f16_e32 v89, v89
.LBB270_85:
	v_pk_add_f16 v97, v10, v22
	v_pk_add_f16 v99, v11, v23
	v_max_f16_e32 v100, v98, v98
	v_lshrrev_b32_e32 v98, 16, v98
	v_max_f32_e32 v89, v89, v89
	v_lshrrev_b32_e32 v101, 16, v97
	v_lshrrev_b32_e32 v102, 16, v99
	v_min_f16_e32 v97, v100, v97
	v_min3_f16 v98, v98, v101, v102
	v_min3_f16 v97, v97, v99, v98
	v_cvt_f32_f16_e32 v97, v97
	v_min_f32_e32 v89, v89, v97
	v_add_co_u32 v97, vcc_lo, v46, v34
	v_add_co_ci_u32_e64 v98, null, v47, v35, vcc_lo
	v_cvt_f16_f32_e32 v89, v89
	s_and_b32 vcc_lo, exec_lo, s1
	global_store_short v[97:98], v89, off
	s_cbranch_vccnz .LBB270_87
; %bb.86:
	v_add_co_u32 v97, vcc_lo, v20, v36
	v_add_co_ci_u32_e64 v98, null, v21, v37, vcc_lo
	global_load_ushort v86, v[97:98], off
	s_waitcnt vmcnt(0)
	v_mul_f16_e32 v86, v48, v86
	v_cvt_f32_f16_e32 v86, v86
.LBB270_87:
	v_pk_add_f16 v89, v4, v22
	v_pk_add_f16 v97, v5, v23
	v_max_f16_e32 v98, v96, v96
	v_lshrrev_b32_e32 v96, 16, v96
	v_max_f32_e32 v86, v86, v86
	v_lshrrev_b32_e32 v99, 16, v89
	v_lshrrev_b32_e32 v100, 16, v97
	v_min_f16_e32 v89, v98, v89
	v_min3_f16 v96, v96, v99, v100
	v_min3_f16 v89, v89, v97, v96
	v_add_co_u32 v96, vcc_lo, v46, v36
	v_add_co_ci_u32_e64 v97, null, v47, v37, vcc_lo
	v_cvt_f32_f16_e32 v89, v89
	s_and_b32 vcc_lo, exec_lo, s1
	v_min_f32_e32 v86, v86, v89
	v_mov_b32_e32 v89, 0
	v_cvt_f16_f32_e32 v98, v86
	v_mov_b32_e32 v86, 0
	global_store_short v[96:97], v98, off
	s_cbranch_vccnz .LBB270_89
; %bb.88:
	v_add_co_u32 v96, vcc_lo, v20, v42
	v_add_co_ci_u32_e64 v97, null, v21, v43, vcc_lo
	global_load_ushort v89, v[96:97], off
	s_waitcnt vmcnt(0)
	v_mul_f16_e32 v89, v48, v89
	v_cvt_f32_f16_e32 v89, v89
.LBB270_89:
	v_pk_add_f16 v96, v6, v22
	v_pk_add_f16 v97, v7, v23
	v_max_f16_e32 v98, v95, v95
	v_lshrrev_b32_e32 v95, 16, v95
	v_max_f32_e32 v89, v89, v89
	v_lshrrev_b32_e32 v99, 16, v96
	v_lshrrev_b32_e32 v100, 16, v97
	v_min_f16_e32 v96, v98, v96
	v_min3_f16 v95, v95, v99, v100
	v_min3_f16 v95, v96, v97, v95
	v_cvt_f32_f16_e32 v95, v95
	v_min_f32_e32 v89, v89, v95
	v_add_co_u32 v95, vcc_lo, v46, v42
	v_add_co_ci_u32_e64 v96, null, v47, v43, vcc_lo
	v_cvt_f16_f32_e32 v89, v89
	;; [unrolled: 54-line block ×3, first 2 shown]
	s_and_b32 vcc_lo, exec_lo, s1
	global_store_short v[93:94], v89, off
	s_cbranch_vccnz .LBB270_95
; %bb.94:
	v_add_co_u32 v20, vcc_lo, v20, v44
	v_add_co_ci_u32_e64 v21, null, v21, v45, vcc_lo
	global_load_ushort v20, v[20:21], off
	s_waitcnt vmcnt(0)
	v_mul_f16_e32 v20, v48, v20
	v_cvt_f32_f16_e32 v86, v20
.LBB270_95:
	v_pk_add_f16 v20, v24, v22
	v_pk_add_f16 v23, v25, v23
	v_max_f16_e32 v21, v92, v92
	v_lshrrev_b32_e32 v89, 16, v92
	v_add_nc_u32_e32 v22, 0x60, v83
	v_lshrrev_b32_e32 v92, 16, v20
	v_lshrrev_b32_e32 v93, 16, v23
	v_min_f16_e32 v94, v21, v20
	v_max_f32_e32 v86, v86, v86
	v_mad_i64_i32 v[20:21], null, v22, s6, 0
	v_min3_f16 v89, v89, v92, v93
	v_add_co_u32 v92, vcc_lo, v46, v44
	v_add_co_ci_u32_e64 v93, null, v47, v45, vcc_lo
	v_min3_f16 v23, v94, v23, v89
	v_lshlrev_b64 v[20:21], 1, v[20:21]
	v_mov_b32_e32 v46, 0
	v_cvt_f32_f16_e32 v23, v23
	v_add_co_u32 v20, vcc_lo, s8, v20
	v_add_co_ci_u32_e64 v21, null, s9, v21, vcc_lo
	v_min_f32_e32 v23, v86, v23
	s_and_b32 vcc_lo, exec_lo, s1
	v_cvt_f16_f32_e32 v47, v23
	v_mov_b32_e32 v23, 0
	global_store_short v[92:93], v47, off
	s_cbranch_vccnz .LBB270_97
; %bb.96:
	v_add_co_u32 v92, vcc_lo, v20, v28
	v_add_co_ci_u32_e64 v93, null, v21, v29, vcc_lo
	global_load_ushort v23, v[92:93], off
	s_waitcnt vmcnt(0)
	v_mul_f16_e32 v23, v48, v23
	v_cvt_f32_f16_e32 v23, v23
.LBB270_97:
	v_pk_add_f16 v47, v30, v16
	v_pk_add_f16 v86, v31, v17
	v_max_f16_e32 v89, v91, v91
	v_lshrrev_b32_e32 v91, 16, v91
	v_lshrrev_b32_e32 v92, 16, v47
	;; [unrolled: 1-line block ×3, first 2 shown]
	v_min_f16_e32 v47, v89, v47
	v_min3_f16 v89, v91, v92, v93
	v_mad_i64_i32 v[91:92], null, v22, s3, 0
	v_min3_f16 v22, v47, v86, v89
	v_max_f32_e32 v47, v23, v23
	v_cvt_f32_f16_e32 v86, v22
	v_lshlrev_b64 v[22:23], 1, v[91:92]
	v_min_f32_e32 v47, v47, v86
	v_add_co_u32 v22, vcc_lo, s4, v22
	v_add_co_ci_u32_e64 v23, null, s5, v23, vcc_lo
	v_cvt_f16_f32_e32 v47, v47
	v_add_co_u32 v91, vcc_lo, v22, v28
	v_add_co_ci_u32_e64 v92, null, v23, v29, vcc_lo
	s_and_b32 vcc_lo, exec_lo, s1
	global_store_short v[91:92], v47, off
	s_cbranch_vccnz .LBB270_99
; %bb.98:
	v_add_co_u32 v46, vcc_lo, v20, v32
	v_add_co_ci_u32_e64 v47, null, v21, v33, vcc_lo
	global_load_ushort v46, v[46:47], off
	s_waitcnt vmcnt(0)
	v_mul_f16_e32 v46, v48, v46
	v_cvt_f32_f16_e32 v46, v46
.LBB270_99:
	v_pk_add_f16 v47, v8, v16
	v_pk_add_f16 v86, v9, v17
	v_max_f16_e32 v89, v90, v90
	v_lshrrev_b32_e32 v90, 16, v90
	v_max_f32_e32 v46, v46, v46
	v_lshrrev_b32_e32 v91, 16, v47
	v_lshrrev_b32_e32 v92, 16, v86
	v_min_f16_e32 v47, v89, v47
	v_min3_f16 v89, v90, v91, v92
	v_min3_f16 v47, v47, v86, v89
	v_add_co_u32 v89, vcc_lo, v22, v32
	v_add_co_ci_u32_e64 v90, null, v23, v33, vcc_lo
	v_cvt_f32_f16_e32 v47, v47
	s_and_b32 vcc_lo, exec_lo, s1
	v_min_f32_e32 v46, v46, v47
	v_mov_b32_e32 v47, 0
	v_cvt_f16_f32_e32 v86, v46
	v_mov_b32_e32 v46, 0
	global_store_short v[89:90], v86, off
	s_cbranch_vccnz .LBB270_101
; %bb.100:
	v_add_co_u32 v89, vcc_lo, v20, v34
	v_add_co_ci_u32_e64 v90, null, v21, v35, vcc_lo
	global_load_ushort v47, v[89:90], off
	s_waitcnt vmcnt(0)
	v_mul_f16_e32 v47, v48, v47
	v_cvt_f32_f16_e32 v47, v47
.LBB270_101:
	v_pk_add_f16 v86, v10, v16
	v_pk_add_f16 v89, v11, v17
	v_max_f16_e32 v90, v88, v88
	v_lshrrev_b32_e32 v88, 16, v88
	v_max_f32_e32 v47, v47, v47
	v_lshrrev_b32_e32 v91, 16, v86
	v_lshrrev_b32_e32 v92, 16, v89
	v_min_f16_e32 v86, v90, v86
	v_min3_f16 v88, v88, v91, v92
	v_min3_f16 v86, v86, v89, v88
	v_add_co_u32 v88, vcc_lo, v22, v34
	v_add_co_ci_u32_e64 v89, null, v23, v35, vcc_lo
	v_cvt_f32_f16_e32 v86, v86
	s_and_b32 vcc_lo, exec_lo, s1
	v_min_f32_e32 v47, v47, v86
	v_cvt_f16_f32_e32 v47, v47
	global_store_short v[88:89], v47, off
	s_cbranch_vccnz .LBB270_103
; %bb.102:
	v_add_co_u32 v46, vcc_lo, v20, v36
	v_add_co_ci_u32_e64 v47, null, v21, v37, vcc_lo
	global_load_ushort v46, v[46:47], off
	s_waitcnt vmcnt(0)
	v_mul_f16_e32 v46, v48, v46
	v_cvt_f32_f16_e32 v46, v46
.LBB270_103:
	v_pk_add_f16 v47, v4, v16
	v_pk_add_f16 v86, v5, v17
	v_max_f16_e32 v88, v87, v87
	v_lshrrev_b32_e32 v87, 16, v87
	v_max_f32_e32 v46, v46, v46
	v_lshrrev_b32_e32 v89, 16, v47
	v_lshrrev_b32_e32 v90, 16, v86
	v_min_f16_e32 v47, v88, v47
	v_min3_f16 v87, v87, v89, v90
	v_min3_f16 v47, v47, v86, v87
	v_add_co_u32 v86, vcc_lo, v22, v36
	v_add_co_ci_u32_e64 v87, null, v23, v37, vcc_lo
	v_cvt_f32_f16_e32 v47, v47
	s_and_b32 vcc_lo, exec_lo, s1
	v_min_f32_e32 v46, v46, v47
	v_mov_b32_e32 v47, 0
	v_cvt_f16_f32_e32 v88, v46
	v_mov_b32_e32 v46, 0
	global_store_short v[86:87], v88, off
	s_cbranch_vccnz .LBB270_105
; %bb.104:
	v_add_co_u32 v86, vcc_lo, v20, v42
	v_add_co_ci_u32_e64 v87, null, v21, v43, vcc_lo
	global_load_ushort v47, v[86:87], off
	s_waitcnt vmcnt(0)
	v_mul_f16_e32 v47, v48, v47
	v_cvt_f32_f16_e32 v47, v47
.LBB270_105:
	v_pk_add_f16 v86, v6, v16
	v_pk_add_f16 v87, v7, v17
	v_max_f16_e32 v88, v85, v85
	v_lshrrev_b32_e32 v85, 16, v85
	v_max_f32_e32 v47, v47, v47
	v_lshrrev_b32_e32 v89, 16, v86
	v_lshrrev_b32_e32 v90, 16, v87
	v_min_f16_e32 v86, v88, v86
	v_min3_f16 v85, v85, v89, v90
	v_min3_f16 v85, v86, v87, v85
	v_cvt_f32_f16_e32 v85, v85
	v_min_f32_e32 v47, v47, v85
	v_add_co_u32 v85, vcc_lo, v22, v42
	v_add_co_ci_u32_e64 v86, null, v23, v43, vcc_lo
	v_cvt_f16_f32_e32 v47, v47
	s_and_b32 vcc_lo, exec_lo, s1
	global_store_short v[85:86], v47, off
	s_cbranch_vccnz .LBB270_107
; %bb.106:
	v_add_co_u32 v46, vcc_lo, v20, v40
	v_add_co_ci_u32_e64 v47, null, v21, v41, vcc_lo
	global_load_ushort v46, v[46:47], off
	s_waitcnt vmcnt(0)
	v_mul_f16_e32 v46, v48, v46
	v_cvt_f32_f16_e32 v46, v46
.LBB270_107:
	v_pk_add_f16 v47, v0, v16
	v_pk_add_f16 v85, v1, v17
	v_max_f16_e32 v86, v84, v84
	v_lshrrev_b32_e32 v84, 16, v84
	v_max_f32_e32 v46, v46, v46
	v_lshrrev_b32_e32 v87, 16, v47
	v_lshrrev_b32_e32 v88, 16, v85
	v_min_f16_e32 v47, v86, v47
	v_min3_f16 v84, v84, v87, v88
	v_min3_f16 v47, v47, v85, v84
	v_add_co_u32 v84, vcc_lo, v22, v40
	v_add_co_ci_u32_e64 v85, null, v23, v41, vcc_lo
	v_cvt_f32_f16_e32 v47, v47
	s_and_b32 vcc_lo, exec_lo, s1
	v_min_f32_e32 v46, v46, v47
	v_mov_b32_e32 v47, 0
	v_cvt_f16_f32_e32 v86, v46
	v_mov_b32_e32 v46, 0
	global_store_short v[84:85], v86, off
	s_cbranch_vccnz .LBB270_109
; %bb.108:
	v_add_co_u32 v84, vcc_lo, v20, v38
	v_add_co_ci_u32_e64 v85, null, v21, v39, vcc_lo
	global_load_ushort v47, v[84:85], off
	s_waitcnt vmcnt(0)
	v_mul_f16_e32 v47, v48, v47
	v_cvt_f32_f16_e32 v47, v47
.LBB270_109:
	v_pk_add_f16 v84, v2, v16
	v_pk_add_f16 v85, v3, v17
	v_max_f16_e32 v86, v82, v82
	v_lshrrev_b32_e32 v82, 16, v82
	v_max_f32_e32 v47, v47, v47
	v_lshrrev_b32_e32 v87, 16, v84
	v_lshrrev_b32_e32 v88, 16, v85
	v_min_f16_e32 v84, v86, v84
	v_min3_f16 v82, v82, v87, v88
	v_min3_f16 v82, v84, v85, v82
	v_add_co_u32 v84, vcc_lo, v22, v38
	v_add_co_ci_u32_e64 v85, null, v23, v39, vcc_lo
	v_cvt_f32_f16_e32 v82, v82
	s_and_b32 vcc_lo, exec_lo, s1
	v_min_f32_e32 v47, v47, v82
	v_cvt_f16_f32_e32 v47, v47
	global_store_short v[84:85], v47, off
	s_cbranch_vccnz .LBB270_111
; %bb.110:
	v_add_co_u32 v20, vcc_lo, v20, v44
	v_add_co_ci_u32_e64 v21, null, v21, v45, vcc_lo
	global_load_ushort v20, v[20:21], off
	s_waitcnt vmcnt(0)
	v_mul_f16_e32 v20, v48, v20
	v_cvt_f32_f16_e32 v46, v20
.LBB270_111:
	v_pk_add_f16 v16, v24, v16
	v_pk_add_f16 v21, v25, v17
	v_max_f16_e32 v17, v81, v81
	v_lshrrev_b32_e32 v47, 16, v81
	v_add_nc_u32_e32 v20, 0x80, v83
	v_lshrrev_b32_e32 v81, 16, v16
	v_lshrrev_b32_e32 v82, 16, v21
	v_min_f16_e32 v84, v17, v16
	v_mad_i64_i32 v[16:17], null, v20, s6, 0
	v_min3_f16 v47, v47, v81, v82
	v_max_f32_e32 v81, v46, v46
	v_add_co_u32 v46, vcc_lo, v22, v44
	v_mov_b32_e32 v22, 0
	v_min3_f16 v21, v84, v21, v47
	v_lshlrev_b64 v[16:17], 1, v[16:17]
	v_add_co_ci_u32_e64 v47, null, v23, v45, vcc_lo
	v_cvt_f32_f16_e32 v21, v21
	v_add_co_u32 v16, vcc_lo, s8, v16
	v_add_co_ci_u32_e64 v17, null, s9, v17, vcc_lo
	v_min_f32_e32 v21, v81, v21
	s_and_b32 vcc_lo, exec_lo, s1
	v_cvt_f16_f32_e32 v23, v21
	v_mov_b32_e32 v21, 0
	global_store_short v[46:47], v23, off
	s_cbranch_vccnz .LBB270_113
; %bb.112:
	v_add_co_u32 v46, vcc_lo, v16, v28
	v_add_co_ci_u32_e64 v47, null, v17, v29, vcc_lo
	global_load_ushort v21, v[46:47], off
	s_waitcnt vmcnt(0)
	v_mul_f16_e32 v21, v48, v21
	v_cvt_f32_f16_e32 v21, v21
.LBB270_113:
	v_pk_add_f16 v23, v30, v18
	v_pk_add_f16 v81, v31, v19
	v_max_f16_e32 v46, v80, v80
	v_lshrrev_b32_e32 v47, 16, v80
	v_lshrrev_b32_e32 v80, 16, v23
	;; [unrolled: 1-line block ×3, first 2 shown]
	v_min_f16_e32 v23, v46, v23
	v_min3_f16 v80, v47, v80, v82
	v_mad_i64_i32 v[46:47], null, v20, s3, 0
	v_min3_f16 v20, v23, v81, v80
	v_max_f32_e32 v23, v21, v21
	v_cvt_f32_f16_e32 v80, v20
	v_lshlrev_b64 v[20:21], 1, v[46:47]
	v_min_f32_e32 v23, v23, v80
	v_add_co_u32 v20, vcc_lo, s4, v20
	v_add_co_ci_u32_e64 v21, null, s5, v21, vcc_lo
	v_cvt_f16_f32_e32 v23, v23
	v_add_co_u32 v46, vcc_lo, v20, v28
	v_add_co_ci_u32_e64 v47, null, v21, v29, vcc_lo
	s_and_b32 vcc_lo, exec_lo, s1
	global_store_short v[46:47], v23, off
	s_cbranch_vccnz .LBB270_115
; %bb.114:
	v_add_co_u32 v22, vcc_lo, v16, v32
	v_add_co_ci_u32_e64 v23, null, v17, v33, vcc_lo
	global_load_ushort v22, v[22:23], off
	s_waitcnt vmcnt(0)
	v_mul_f16_e32 v22, v48, v22
	v_cvt_f32_f16_e32 v22, v22
.LBB270_115:
	v_pk_add_f16 v23, v8, v18
	v_pk_add_f16 v46, v9, v19
	v_max_f16_e32 v47, v79, v79
	v_lshrrev_b32_e32 v79, 16, v79
	v_max_f32_e32 v22, v22, v22
	v_lshrrev_b32_e32 v80, 16, v23
	v_lshrrev_b32_e32 v81, 16, v46
	v_min_f16_e32 v23, v47, v23
	v_min3_f16 v47, v79, v80, v81
	v_min3_f16 v23, v23, v46, v47
	v_add_co_u32 v46, vcc_lo, v20, v32
	v_add_co_ci_u32_e64 v47, null, v21, v33, vcc_lo
	v_cvt_f32_f16_e32 v23, v23
	s_and_b32 vcc_lo, exec_lo, s1
	v_min_f32_e32 v22, v22, v23
	v_mov_b32_e32 v23, 0
	v_cvt_f16_f32_e32 v79, v22
	v_mov_b32_e32 v22, 0
	global_store_short v[46:47], v79, off
	s_cbranch_vccnz .LBB270_117
; %bb.116:
	v_add_co_u32 v46, vcc_lo, v16, v34
	v_add_co_ci_u32_e64 v47, null, v17, v35, vcc_lo
	global_load_ushort v23, v[46:47], off
	s_waitcnt vmcnt(0)
	v_mul_f16_e32 v23, v48, v23
	v_cvt_f32_f16_e32 v23, v23
.LBB270_117:
	v_pk_add_f16 v46, v10, v18
	v_pk_add_f16 v47, v11, v19
	v_max_f16_e32 v79, v78, v78
	v_lshrrev_b32_e32 v78, 16, v78
	v_max_f32_e32 v23, v23, v23
	v_lshrrev_b32_e32 v80, 16, v46
	v_lshrrev_b32_e32 v81, 16, v47
	v_min_f16_e32 v46, v79, v46
	v_min3_f16 v78, v78, v80, v81
	v_min3_f16 v46, v46, v47, v78
	v_cvt_f32_f16_e32 v46, v46
	v_min_f32_e32 v23, v23, v46
	v_add_co_u32 v46, vcc_lo, v20, v34
	v_add_co_ci_u32_e64 v47, null, v21, v35, vcc_lo
	v_cvt_f16_f32_e32 v23, v23
	s_and_b32 vcc_lo, exec_lo, s1
	global_store_short v[46:47], v23, off
	s_cbranch_vccnz .LBB270_119
; %bb.118:
	v_add_co_u32 v22, vcc_lo, v16, v36
	v_add_co_ci_u32_e64 v23, null, v17, v37, vcc_lo
	global_load_ushort v22, v[22:23], off
	s_waitcnt vmcnt(0)
	v_mul_f16_e32 v22, v48, v22
	v_cvt_f32_f16_e32 v22, v22
.LBB270_119:
	v_pk_add_f16 v23, v4, v18
	v_pk_add_f16 v46, v5, v19
	v_max_f16_e32 v47, v77, v77
	v_lshrrev_b32_e32 v77, 16, v77
	v_max_f32_e32 v22, v22, v22
	v_lshrrev_b32_e32 v78, 16, v23
	v_lshrrev_b32_e32 v79, 16, v46
	v_min_f16_e32 v23, v47, v23
	v_min3_f16 v47, v77, v78, v79
	v_min3_f16 v23, v23, v46, v47
	v_add_co_u32 v46, vcc_lo, v20, v36
	v_add_co_ci_u32_e64 v47, null, v21, v37, vcc_lo
	v_cvt_f32_f16_e32 v23, v23
	s_and_b32 vcc_lo, exec_lo, s1
	v_min_f32_e32 v22, v22, v23
	v_mov_b32_e32 v23, 0
	v_cvt_f16_f32_e32 v77, v22
	v_mov_b32_e32 v22, 0
	global_store_short v[46:47], v77, off
	s_cbranch_vccnz .LBB270_121
; %bb.120:
	v_add_co_u32 v46, vcc_lo, v16, v42
	v_add_co_ci_u32_e64 v47, null, v17, v43, vcc_lo
	global_load_ushort v23, v[46:47], off
	s_waitcnt vmcnt(0)
	v_mul_f16_e32 v23, v48, v23
	v_cvt_f32_f16_e32 v23, v23
.LBB270_121:
	v_pk_add_f16 v46, v6, v18
	v_pk_add_f16 v47, v7, v19
	v_max_f16_e32 v77, v76, v76
	v_lshrrev_b32_e32 v76, 16, v76
	v_max_f32_e32 v23, v23, v23
	v_lshrrev_b32_e32 v78, 16, v46
	v_lshrrev_b32_e32 v79, 16, v47
	v_min_f16_e32 v46, v77, v46
	v_min3_f16 v76, v76, v78, v79
	v_min3_f16 v46, v46, v47, v76
	v_cvt_f32_f16_e32 v46, v46
	v_min_f32_e32 v23, v23, v46
	v_add_co_u32 v46, vcc_lo, v20, v42
	v_add_co_ci_u32_e64 v47, null, v21, v43, vcc_lo
	v_cvt_f16_f32_e32 v23, v23
	;; [unrolled: 54-line block ×3, first 2 shown]
	s_and_b32 vcc_lo, exec_lo, s1
	global_store_short v[46:47], v23, off
	s_cbranch_vccnz .LBB270_127
; %bb.126:
	v_add_co_u32 v16, vcc_lo, v16, v44
	v_add_co_ci_u32_e64 v17, null, v17, v45, vcc_lo
	global_load_ushort v16, v[16:17], off
	s_waitcnt vmcnt(0)
	v_mul_f16_e32 v16, v48, v16
	v_cvt_f32_f16_e32 v22, v16
.LBB270_127:
	v_pk_add_f16 v16, v24, v18
	v_pk_add_f16 v19, v25, v19
	v_max_f16_e32 v17, v73, v73
	v_lshrrev_b32_e32 v23, 16, v73
	v_add_nc_u32_e32 v18, 0xa0, v83
	v_lshrrev_b32_e32 v46, 16, v16
	v_lshrrev_b32_e32 v47, 16, v19
	v_min_f16_e32 v73, v17, v16
	v_mad_i64_i32 v[16:17], null, v18, s6, 0
	v_min3_f16 v23, v23, v46, v47
	v_max_f32_e32 v46, v22, v22
	v_add_co_u32 v22, vcc_lo, v20, v44
	v_mov_b32_e32 v20, 0
	v_min3_f16 v19, v73, v19, v23
	v_lshlrev_b64 v[16:17], 1, v[16:17]
	v_add_co_ci_u32_e64 v23, null, v21, v45, vcc_lo
	v_cvt_f32_f16_e32 v19, v19
	v_add_co_u32 v16, vcc_lo, s8, v16
	v_add_co_ci_u32_e64 v17, null, s9, v17, vcc_lo
	v_min_f32_e32 v19, v46, v19
	s_and_b32 vcc_lo, exec_lo, s1
	v_cvt_f16_f32_e32 v21, v19
	v_mov_b32_e32 v19, 0
	global_store_short v[22:23], v21, off
	s_cbranch_vccnz .LBB270_129
; %bb.128:
	v_add_co_u32 v21, vcc_lo, v16, v28
	v_add_co_ci_u32_e64 v22, null, v17, v29, vcc_lo
	global_load_ushort v19, v[21:22], off
	s_waitcnt vmcnt(0)
	v_mul_f16_e32 v19, v48, v19
	v_cvt_f32_f16_e32 v19, v19
.LBB270_129:
	v_pk_add_f16 v21, v30, v12
	v_pk_add_f16 v23, v31, v13
	v_max_f16_e32 v22, v72, v72
	v_lshrrev_b32_e32 v46, 16, v72
	v_lshrrev_b32_e32 v47, 16, v21
	;; [unrolled: 1-line block ×3, first 2 shown]
	v_min_f16_e32 v73, v22, v21
	v_mad_i64_i32 v[21:22], null, v18, s3, 0
	v_min3_f16 v46, v46, v47, v72
	v_min3_f16 v18, v73, v23, v46
	v_max_f32_e32 v23, v19, v19
	v_cvt_f32_f16_e32 v46, v18
	v_lshlrev_b64 v[18:19], 1, v[21:22]
	v_min_f32_e32 v21, v23, v46
	v_add_co_u32 v18, vcc_lo, s4, v18
	v_add_co_ci_u32_e64 v19, null, s5, v19, vcc_lo
	v_cvt_f16_f32_e32 v23, v21
	v_add_co_u32 v21, vcc_lo, v18, v28
	v_add_co_ci_u32_e64 v22, null, v19, v29, vcc_lo
	s_and_b32 vcc_lo, exec_lo, s1
	global_store_short v[21:22], v23, off
	s_cbranch_vccnz .LBB270_131
; %bb.130:
	v_add_co_u32 v20, vcc_lo, v16, v32
	v_add_co_ci_u32_e64 v21, null, v17, v33, vcc_lo
	global_load_ushort v20, v[20:21], off
	s_waitcnt vmcnt(0)
	v_mul_f16_e32 v20, v48, v20
	v_cvt_f32_f16_e32 v20, v20
.LBB270_131:
	v_pk_add_f16 v21, v8, v12
	v_pk_add_f16 v22, v9, v13
	v_max_f16_e32 v23, v71, v71
	v_lshrrev_b32_e32 v46, 16, v71
	v_max_f32_e32 v20, v20, v20
	v_lshrrev_b32_e32 v47, 16, v21
	v_lshrrev_b32_e32 v71, 16, v22
	v_min_f16_e32 v21, v23, v21
	v_min3_f16 v23, v46, v47, v71
	v_min3_f16 v21, v21, v22, v23
	v_add_co_u32 v22, vcc_lo, v18, v32
	v_add_co_ci_u32_e64 v23, null, v19, v33, vcc_lo
	v_cvt_f32_f16_e32 v21, v21
	s_and_b32 vcc_lo, exec_lo, s1
	v_min_f32_e32 v20, v20, v21
	v_mov_b32_e32 v21, 0
	v_cvt_f16_f32_e32 v46, v20
	v_mov_b32_e32 v20, 0
	global_store_short v[22:23], v46, off
	s_cbranch_vccnz .LBB270_133
; %bb.132:
	v_add_co_u32 v21, vcc_lo, v16, v34
	v_add_co_ci_u32_e64 v22, null, v17, v35, vcc_lo
	global_load_ushort v21, v[21:22], off
	s_waitcnt vmcnt(0)
	v_mul_f16_e32 v21, v48, v21
	v_cvt_f32_f16_e32 v21, v21
.LBB270_133:
	v_pk_add_f16 v22, v10, v12
	v_pk_add_f16 v23, v11, v13
	v_max_f16_e32 v46, v70, v70
	v_lshrrev_b32_e32 v47, 16, v70
	v_max_f32_e32 v21, v21, v21
	v_lshrrev_b32_e32 v70, 16, v22
	v_lshrrev_b32_e32 v71, 16, v23
	v_min_f16_e32 v22, v46, v22
	v_min3_f16 v46, v47, v70, v71
	v_min3_f16 v22, v22, v23, v46
	v_cvt_f32_f16_e32 v22, v22
	v_min_f32_e32 v21, v21, v22
	v_cvt_f16_f32_e32 v23, v21
	v_add_co_u32 v21, vcc_lo, v18, v34
	v_add_co_ci_u32_e64 v22, null, v19, v35, vcc_lo
	s_and_b32 vcc_lo, exec_lo, s1
	global_store_short v[21:22], v23, off
	s_cbranch_vccnz .LBB270_135
; %bb.134:
	v_add_co_u32 v20, vcc_lo, v16, v36
	v_add_co_ci_u32_e64 v21, null, v17, v37, vcc_lo
	global_load_ushort v20, v[20:21], off
	s_waitcnt vmcnt(0)
	v_mul_f16_e32 v20, v48, v20
	v_cvt_f32_f16_e32 v20, v20
.LBB270_135:
	v_pk_add_f16 v21, v4, v12
	v_pk_add_f16 v22, v5, v13
	v_max_f16_e32 v23, v69, v69
	v_lshrrev_b32_e32 v46, 16, v69
	v_max_f32_e32 v20, v20, v20
	v_lshrrev_b32_e32 v47, 16, v21
	v_lshrrev_b32_e32 v69, 16, v22
	v_min_f16_e32 v21, v23, v21
	v_min3_f16 v23, v46, v47, v69
	v_min3_f16 v21, v21, v22, v23
	v_add_co_u32 v22, vcc_lo, v18, v36
	v_add_co_ci_u32_e64 v23, null, v19, v37, vcc_lo
	v_cvt_f32_f16_e32 v21, v21
	s_and_b32 vcc_lo, exec_lo, s1
	v_min_f32_e32 v20, v20, v21
	v_mov_b32_e32 v21, 0
	v_cvt_f16_f32_e32 v46, v20
	v_mov_b32_e32 v20, 0
	global_store_short v[22:23], v46, off
	s_cbranch_vccnz .LBB270_137
; %bb.136:
	v_add_co_u32 v21, vcc_lo, v16, v42
	v_add_co_ci_u32_e64 v22, null, v17, v43, vcc_lo
	global_load_ushort v21, v[21:22], off
	s_waitcnt vmcnt(0)
	v_mul_f16_e32 v21, v48, v21
	v_cvt_f32_f16_e32 v21, v21
.LBB270_137:
	v_pk_add_f16 v22, v6, v12
	v_pk_add_f16 v23, v7, v13
	v_max_f16_e32 v46, v68, v68
	v_lshrrev_b32_e32 v47, 16, v68
	v_max_f32_e32 v21, v21, v21
	v_lshrrev_b32_e32 v68, 16, v22
	v_lshrrev_b32_e32 v69, 16, v23
	v_min_f16_e32 v22, v46, v22
	v_min3_f16 v46, v47, v68, v69
	v_min3_f16 v22, v22, v23, v46
	v_cvt_f32_f16_e32 v22, v22
	v_min_f32_e32 v21, v21, v22
	;; [unrolled: 54-line block ×3, first 2 shown]
	v_cvt_f16_f32_e32 v23, v21
	v_add_co_u32 v21, vcc_lo, v18, v38
	v_add_co_ci_u32_e64 v22, null, v19, v39, vcc_lo
	s_and_b32 vcc_lo, exec_lo, s1
	global_store_short v[21:22], v23, off
	s_cbranch_vccnz .LBB270_143
; %bb.142:
	v_add_co_u32 v16, vcc_lo, v16, v44
	v_add_co_ci_u32_e64 v17, null, v17, v45, vcc_lo
	global_load_ushort v16, v[16:17], off
	s_waitcnt vmcnt(0)
	v_mul_f16_e32 v16, v48, v16
	v_cvt_f32_f16_e32 v20, v16
.LBB270_143:
	v_pk_add_f16 v12, v24, v12
	v_pk_add_f16 v17, v25, v13
	v_max_f16_e32 v13, v65, v65
	v_lshrrev_b32_e32 v21, 16, v65
	v_add_nc_u32_e32 v16, 0xc0, v83
	v_lshrrev_b32_e32 v22, 16, v12
	v_lshrrev_b32_e32 v23, 16, v17
	v_min_f16_e32 v46, v13, v12
	v_mad_i64_i32 v[12:13], null, v16, s6, 0
	v_min3_f16 v21, v21, v22, v23
	v_max_f32_e32 v22, v20, v20
	v_add_co_u32 v20, vcc_lo, v18, v44
	v_mov_b32_e32 v18, 0
	v_min3_f16 v17, v46, v17, v21
	v_lshlrev_b64 v[12:13], 1, v[12:13]
	v_add_co_ci_u32_e64 v21, null, v19, v45, vcc_lo
	v_cvt_f32_f16_e32 v17, v17
	v_add_co_u32 v12, vcc_lo, s8, v12
	v_add_co_ci_u32_e64 v13, null, s9, v13, vcc_lo
	v_min_f32_e32 v17, v22, v17
	s_and_b32 vcc_lo, exec_lo, s1
	v_cvt_f16_f32_e32 v19, v17
	v_mov_b32_e32 v17, 0
	global_store_short v[20:21], v19, off
	s_cbranch_vccnz .LBB270_145
; %bb.144:
	v_add_co_u32 v19, vcc_lo, v12, v28
	v_add_co_ci_u32_e64 v20, null, v13, v29, vcc_lo
	global_load_ushort v17, v[19:20], off
	s_waitcnt vmcnt(0)
	v_mul_f16_e32 v17, v48, v17
	v_cvt_f32_f16_e32 v17, v17
.LBB270_145:
	v_pk_add_f16 v19, v30, v14
	v_pk_add_f16 v21, v31, v15
	v_max_f16_e32 v20, v64, v64
	v_lshrrev_b32_e32 v22, 16, v64
	v_lshrrev_b32_e32 v23, 16, v19
	;; [unrolled: 1-line block ×3, first 2 shown]
	v_min_f16_e32 v47, v20, v19
	v_mad_i64_i32 v[19:20], null, v16, s3, 0
	v_min3_f16 v22, v22, v23, v46
	v_min3_f16 v16, v47, v21, v22
	v_max_f32_e32 v21, v17, v17
	v_cvt_f32_f16_e32 v22, v16
	v_lshlrev_b64 v[16:17], 1, v[19:20]
	v_min_f32_e32 v19, v21, v22
	v_add_co_u32 v16, vcc_lo, s4, v16
	v_add_co_ci_u32_e64 v17, null, s5, v17, vcc_lo
	v_cvt_f16_f32_e32 v21, v19
	v_add_co_u32 v19, vcc_lo, v16, v28
	v_add_co_ci_u32_e64 v20, null, v17, v29, vcc_lo
	s_and_b32 vcc_lo, exec_lo, s1
	global_store_short v[19:20], v21, off
	s_cbranch_vccnz .LBB270_147
; %bb.146:
	v_add_co_u32 v18, vcc_lo, v12, v32
	v_add_co_ci_u32_e64 v19, null, v13, v33, vcc_lo
	global_load_ushort v18, v[18:19], off
	s_waitcnt vmcnt(0)
	v_mul_f16_e32 v18, v48, v18
	v_cvt_f32_f16_e32 v18, v18
.LBB270_147:
	v_pk_add_f16 v19, v8, v14
	v_pk_add_f16 v20, v9, v15
	v_max_f16_e32 v21, v63, v63
	v_lshrrev_b32_e32 v22, 16, v63
	v_max_f32_e32 v18, v18, v18
	v_lshrrev_b32_e32 v23, 16, v19
	v_lshrrev_b32_e32 v46, 16, v20
	v_min_f16_e32 v19, v21, v19
	v_min3_f16 v21, v22, v23, v46
	v_min3_f16 v19, v19, v20, v21
	v_add_co_u32 v20, vcc_lo, v16, v32
	v_add_co_ci_u32_e64 v21, null, v17, v33, vcc_lo
	v_cvt_f32_f16_e32 v19, v19
	s_and_b32 vcc_lo, exec_lo, s1
	v_min_f32_e32 v18, v18, v19
	v_mov_b32_e32 v19, 0
	v_cvt_f16_f32_e32 v22, v18
	v_mov_b32_e32 v18, 0
	global_store_short v[20:21], v22, off
	s_cbranch_vccnz .LBB270_149
; %bb.148:
	v_add_co_u32 v19, vcc_lo, v12, v34
	v_add_co_ci_u32_e64 v20, null, v13, v35, vcc_lo
	global_load_ushort v19, v[19:20], off
	s_waitcnt vmcnt(0)
	v_mul_f16_e32 v19, v48, v19
	v_cvt_f32_f16_e32 v19, v19
.LBB270_149:
	v_pk_add_f16 v20, v10, v14
	v_pk_add_f16 v21, v11, v15
	v_max_f16_e32 v22, v62, v62
	v_lshrrev_b32_e32 v23, 16, v62
	v_max_f32_e32 v19, v19, v19
	v_lshrrev_b32_e32 v46, 16, v20
	v_lshrrev_b32_e32 v47, 16, v21
	v_min_f16_e32 v20, v22, v20
	v_min3_f16 v22, v23, v46, v47
	v_min3_f16 v20, v20, v21, v22
	v_cvt_f32_f16_e32 v20, v20
	v_min_f32_e32 v19, v19, v20
	v_cvt_f16_f32_e32 v21, v19
	v_add_co_u32 v19, vcc_lo, v16, v34
	v_add_co_ci_u32_e64 v20, null, v17, v35, vcc_lo
	s_and_b32 vcc_lo, exec_lo, s1
	global_store_short v[19:20], v21, off
	s_cbranch_vccnz .LBB270_151
; %bb.150:
	v_add_co_u32 v18, vcc_lo, v12, v36
	v_add_co_ci_u32_e64 v19, null, v13, v37, vcc_lo
	global_load_ushort v18, v[18:19], off
	s_waitcnt vmcnt(0)
	v_mul_f16_e32 v18, v48, v18
	v_cvt_f32_f16_e32 v18, v18
.LBB270_151:
	v_pk_add_f16 v19, v4, v14
	v_pk_add_f16 v20, v5, v15
	v_max_f16_e32 v21, v61, v61
	v_lshrrev_b32_e32 v22, 16, v61
	v_max_f32_e32 v18, v18, v18
	v_lshrrev_b32_e32 v23, 16, v19
	v_lshrrev_b32_e32 v46, 16, v20
	v_min_f16_e32 v19, v21, v19
	v_min3_f16 v21, v22, v23, v46
	v_min3_f16 v19, v19, v20, v21
	v_add_co_u32 v20, vcc_lo, v16, v36
	v_add_co_ci_u32_e64 v21, null, v17, v37, vcc_lo
	v_cvt_f32_f16_e32 v19, v19
	s_and_b32 vcc_lo, exec_lo, s1
	v_min_f32_e32 v18, v18, v19
	v_mov_b32_e32 v19, 0
	v_cvt_f16_f32_e32 v22, v18
	v_mov_b32_e32 v18, 0
	global_store_short v[20:21], v22, off
	s_cbranch_vccnz .LBB270_153
; %bb.152:
	v_add_co_u32 v19, vcc_lo, v12, v42
	v_add_co_ci_u32_e64 v20, null, v13, v43, vcc_lo
	global_load_ushort v19, v[19:20], off
	s_waitcnt vmcnt(0)
	v_mul_f16_e32 v19, v48, v19
	v_cvt_f32_f16_e32 v19, v19
.LBB270_153:
	v_pk_add_f16 v20, v6, v14
	v_pk_add_f16 v21, v7, v15
	v_max_f16_e32 v22, v60, v60
	v_lshrrev_b32_e32 v23, 16, v60
	v_max_f32_e32 v19, v19, v19
	v_lshrrev_b32_e32 v46, 16, v20
	v_lshrrev_b32_e32 v47, 16, v21
	v_min_f16_e32 v20, v22, v20
	v_min3_f16 v22, v23, v46, v47
	v_min3_f16 v20, v20, v21, v22
	v_cvt_f32_f16_e32 v20, v20
	v_min_f32_e32 v19, v19, v20
	;; [unrolled: 54-line block ×3, first 2 shown]
	v_cvt_f16_f32_e32 v21, v19
	v_add_co_u32 v19, vcc_lo, v16, v38
	v_add_co_ci_u32_e64 v20, null, v17, v39, vcc_lo
	s_and_b32 vcc_lo, exec_lo, s1
	global_store_short v[19:20], v21, off
	s_cbranch_vccnz .LBB270_159
; %bb.158:
	v_add_co_u32 v12, vcc_lo, v12, v44
	v_add_co_ci_u32_e64 v13, null, v13, v45, vcc_lo
	global_load_ushort v12, v[12:13], off
	s_waitcnt vmcnt(0)
	v_mul_f16_e32 v12, v48, v12
	v_cvt_f32_f16_e32 v18, v12
.LBB270_159:
	v_pk_add_f16 v12, v24, v14
	v_pk_add_f16 v15, v25, v15
	v_max_f16_e32 v13, v57, v57
	v_lshrrev_b32_e32 v19, 16, v57
	v_add_nc_u32_e32 v14, 0xe0, v83
	v_lshrrev_b32_e32 v20, 16, v12
	v_lshrrev_b32_e32 v21, 16, v15
	v_min_f16_e32 v22, v13, v12
	v_mad_i64_i32 v[12:13], null, v14, s6, 0
	v_min3_f16 v19, v19, v20, v21
	v_max_f32_e32 v20, v18, v18
	v_add_co_u32 v18, vcc_lo, v16, v44
	v_mov_b32_e32 v16, 0
	v_min3_f16 v15, v22, v15, v19
	v_lshlrev_b64 v[12:13], 1, v[12:13]
	v_add_co_ci_u32_e64 v19, null, v17, v45, vcc_lo
	v_cvt_f32_f16_e32 v15, v15
	v_add_co_u32 v12, vcc_lo, s8, v12
	v_add_co_ci_u32_e64 v13, null, s9, v13, vcc_lo
	v_min_f32_e32 v15, v20, v15
	s_and_b32 vcc_lo, exec_lo, s1
	v_cvt_f16_f32_e32 v17, v15
	v_mov_b32_e32 v15, 0
	global_store_short v[18:19], v17, off
	s_cbranch_vccnz .LBB270_161
; %bb.160:
	v_add_co_u32 v17, vcc_lo, v12, v28
	v_add_co_ci_u32_e64 v18, null, v13, v29, vcc_lo
	global_load_ushort v15, v[17:18], off
	s_waitcnt vmcnt(0)
	v_mul_f16_e32 v15, v48, v15
	v_cvt_f32_f16_e32 v15, v15
.LBB270_161:
	v_pk_add_f16 v17, v30, v26
	v_pk_add_f16 v19, v31, v27
	v_max_f16_e32 v18, v56, v56
	v_lshrrev_b32_e32 v20, 16, v56
	v_lshrrev_b32_e32 v21, 16, v17
	;; [unrolled: 1-line block ×3, first 2 shown]
	v_min_f16_e32 v23, v18, v17
	v_mad_i64_i32 v[17:18], null, v14, s3, 0
	v_min3_f16 v20, v20, v21, v22
	v_min3_f16 v14, v23, v19, v20
	v_max_f32_e32 v19, v15, v15
	v_cvt_f32_f16_e32 v20, v14
	v_lshlrev_b64 v[14:15], 1, v[17:18]
	v_min_f32_e32 v17, v19, v20
	v_add_co_u32 v14, vcc_lo, s4, v14
	v_add_co_ci_u32_e64 v15, null, s5, v15, vcc_lo
	v_cvt_f16_f32_e32 v19, v17
	v_add_co_u32 v17, vcc_lo, v14, v28
	v_add_co_ci_u32_e64 v18, null, v15, v29, vcc_lo
	s_and_b32 vcc_lo, exec_lo, s1
	global_store_short v[17:18], v19, off
	s_cbranch_vccnz .LBB270_163
; %bb.162:
	v_add_co_u32 v16, vcc_lo, v12, v32
	v_add_co_ci_u32_e64 v17, null, v13, v33, vcc_lo
	global_load_ushort v16, v[16:17], off
	s_waitcnt vmcnt(0)
	v_mul_f16_e32 v16, v48, v16
	v_cvt_f32_f16_e32 v16, v16
.LBB270_163:
	v_pk_add_f16 v8, v8, v26
	v_pk_add_f16 v9, v9, v27
	v_max_f16_e32 v17, v55, v55
	v_lshrrev_b32_e32 v18, 16, v55
	v_lshrrev_b32_e32 v19, 16, v8
	v_lshrrev_b32_e32 v20, 16, v9
	v_min_f16_e32 v8, v17, v8
	v_min3_f16 v17, v18, v19, v20
	v_min3_f16 v8, v8, v9, v17
	v_max_f32_e32 v9, v16, v16
	v_add_co_u32 v16, vcc_lo, v14, v32
	v_add_co_ci_u32_e64 v17, null, v15, v33, vcc_lo
	v_cvt_f32_f16_e32 v8, v8
	s_and_b32 vcc_lo, exec_lo, s1
	v_min_f32_e32 v8, v9, v8
	v_mov_b32_e32 v9, 0
	v_cvt_f16_f32_e32 v18, v8
	v_mov_b32_e32 v8, 0
	global_store_short v[16:17], v18, off
	s_cbranch_vccnz .LBB270_165
; %bb.164:
	v_add_co_u32 v16, vcc_lo, v12, v34
	v_add_co_ci_u32_e64 v17, null, v13, v35, vcc_lo
	global_load_ushort v9, v[16:17], off
	s_waitcnt vmcnt(0)
	v_mul_f16_e32 v9, v48, v9
	v_cvt_f32_f16_e32 v9, v9
.LBB270_165:
	v_pk_add_f16 v10, v10, v26
	v_pk_add_f16 v11, v11, v27
	v_max_f16_e32 v16, v54, v54
	v_lshrrev_b32_e32 v17, 16, v54
	v_max_f32_e32 v9, v9, v9
	v_lshrrev_b32_e32 v18, 16, v10
	v_lshrrev_b32_e32 v19, 16, v11
	v_min_f16_e32 v10, v16, v10
	v_min3_f16 v16, v17, v18, v19
	v_min3_f16 v10, v10, v11, v16
	v_cvt_f32_f16_e32 v10, v10
	v_min_f32_e32 v9, v9, v10
	v_cvt_f16_f32_e32 v11, v9
	v_add_co_u32 v9, vcc_lo, v14, v34
	v_add_co_ci_u32_e64 v10, null, v15, v35, vcc_lo
	s_and_b32 vcc_lo, exec_lo, s1
	global_store_short v[9:10], v11, off
	s_cbranch_vccnz .LBB270_167
; %bb.166:
	v_add_co_u32 v8, vcc_lo, v12, v36
	v_add_co_ci_u32_e64 v9, null, v13, v37, vcc_lo
	global_load_ushort v8, v[8:9], off
	s_waitcnt vmcnt(0)
	v_mul_f16_e32 v8, v48, v8
	v_cvt_f32_f16_e32 v8, v8
.LBB270_167:
	v_pk_add_f16 v4, v4, v26
	v_pk_add_f16 v5, v5, v27
	v_max_f16_e32 v9, v53, v53
	v_lshrrev_b32_e32 v10, 16, v53
	v_lshrrev_b32_e32 v11, 16, v4
	;; [unrolled: 1-line block ×3, first 2 shown]
	v_min_f16_e32 v4, v9, v4
	v_min3_f16 v9, v10, v11, v16
	v_min3_f16 v4, v4, v5, v9
	v_max_f32_e32 v5, v8, v8
	v_add_co_u32 v8, vcc_lo, v14, v36
	v_add_co_ci_u32_e64 v9, null, v15, v37, vcc_lo
	v_cvt_f32_f16_e32 v4, v4
	s_and_b32 vcc_lo, exec_lo, s1
	v_min_f32_e32 v4, v5, v4
	v_mov_b32_e32 v5, 0
	v_cvt_f16_f32_e32 v10, v4
	v_mov_b32_e32 v4, 0
	global_store_short v[8:9], v10, off
	s_cbranch_vccnz .LBB270_169
; %bb.168:
	v_add_co_u32 v8, vcc_lo, v12, v42
	v_add_co_ci_u32_e64 v9, null, v13, v43, vcc_lo
	global_load_ushort v5, v[8:9], off
	s_waitcnt vmcnt(0)
	v_mul_f16_e32 v5, v48, v5
	v_cvt_f32_f16_e32 v5, v5
.LBB270_169:
	v_pk_add_f16 v6, v6, v26
	v_pk_add_f16 v7, v7, v27
	v_max_f16_e32 v8, v52, v52
	v_lshrrev_b32_e32 v9, 16, v52
	v_max_f32_e32 v5, v5, v5
	v_lshrrev_b32_e32 v10, 16, v6
	v_lshrrev_b32_e32 v11, 16, v7
	v_min_f16_e32 v6, v8, v6
	v_min3_f16 v8, v9, v10, v11
	v_min3_f16 v6, v6, v7, v8
	v_cvt_f32_f16_e32 v6, v6
	v_min_f32_e32 v5, v5, v6
	v_cvt_f16_f32_e32 v7, v5
	v_add_co_u32 v5, vcc_lo, v14, v42
	v_add_co_ci_u32_e64 v6, null, v15, v43, vcc_lo
	s_and_b32 vcc_lo, exec_lo, s1
	global_store_short v[5:6], v7, off
	s_cbranch_vccnz .LBB270_171
; %bb.170:
	v_add_co_u32 v4, vcc_lo, v12, v40
	v_add_co_ci_u32_e64 v5, null, v13, v41, vcc_lo
	global_load_ushort v4, v[4:5], off
	s_waitcnt vmcnt(0)
	v_mul_f16_e32 v4, v48, v4
	v_cvt_f32_f16_e32 v4, v4
.LBB270_171:
	v_pk_add_f16 v0, v0, v26
	v_pk_add_f16 v1, v1, v27
	v_max_f16_e32 v5, v51, v51
	v_lshrrev_b32_e32 v6, 16, v51
	v_pk_add_f16 v3, v3, v27
	v_lshrrev_b32_e32 v7, 16, v0
	v_lshrrev_b32_e32 v8, 16, v1
	v_min_f16_e32 v0, v5, v0
	s_mov_b32 s1, -1
	v_min3_f16 v5, v6, v7, v8
	v_lshrrev_b32_e32 v6, 16, v50
	v_lshrrev_b32_e32 v8, 16, v3
	v_min3_f16 v0, v0, v1, v5
	v_pk_add_f16 v5, v2, v26
	v_max_f32_e32 v1, v4, v4
	v_max_f16_e32 v4, v50, v50
	v_cvt_f32_f16_e32 v0, v0
	v_lshrrev_b32_e32 v7, 16, v5
	v_min_f16_e32 v4, v4, v5
	v_min_f32_e32 v0, v1, v0
	v_min3_f16 v5, v6, v7, v8
	v_add_co_u32 v1, vcc_lo, v14, v40
	v_add_co_ci_u32_e64 v2, null, v15, v41, vcc_lo
	v_cvt_f16_f32_e32 v6, v0
	v_min3_f16 v0, v4, v3, v5
	s_mov_b32 vcc_lo, s0
	global_store_short v[1:2], v6, off
	s_cbranch_vccz .LBB270_173
; %bb.172:
	v_cvt_f32_f16_e32 v1, v0
	s_mov_b32 s1, 0
	v_min_f32_e32 v1, 0, v1
	v_cvt_f16_f32_e32 v3, v1
	v_add_co_u32 v1, vcc_lo, v14, v38
	v_add_co_ci_u32_e64 v2, null, v15, v39, vcc_lo
	global_store_short v[1:2], v3, off
.LBB270_173:
	v_mov_b32_e32 v1, 0
	s_andn2_b32 vcc_lo, exec_lo, s1
	s_cbranch_vccnz .LBB270_175
; %bb.174:
	v_add_co_u32 v1, vcc_lo, v12, v38
	v_add_co_ci_u32_e64 v2, null, v13, v39, vcc_lo
	global_load_ushort v1, v[1:2], off
	v_max_f16_e32 v2, v0, v0
	v_add_co_u32 v0, vcc_lo, v14, v38
	s_waitcnt vmcnt(0)
	v_mul_f16_e32 v3, v48, v1
	v_add_co_ci_u32_e64 v1, null, v15, v39, vcc_lo
	v_min_f16_e32 v4, v3, v2
	v_add_co_u32 v2, vcc_lo, v12, v44
	v_add_co_ci_u32_e64 v3, null, v13, v45, vcc_lo
	global_store_short v[0:1], v4, off
	global_load_ushort v0, v[2:3], off
	s_waitcnt vmcnt(0)
	v_mul_f16_e32 v0, v48, v0
	v_cvt_f32_f16_e32 v1, v0
.LBB270_175:
	v_pk_add_f16 v0, v24, v26
	v_pk_add_f16 v2, v25, v27
	v_max_f16_e32 v3, v49, v49
	v_lshrrev_b32_e32 v4, 16, v49
	v_max_f32_e32 v1, v1, v1
	v_lshrrev_b32_e32 v5, 16, v0
	v_lshrrev_b32_e32 v6, 16, v2
	v_min_f16_e32 v0, v3, v0
	v_min3_f16 v3, v4, v5, v6
	v_min3_f16 v0, v0, v2, v3
	v_cvt_f32_f16_e32 v0, v0
	v_min_f32_e32 v0, v1, v0
	v_cvt_f16_f32_e32 v2, v0
	v_add_co_u32 v0, vcc_lo, v14, v44
	v_add_co_ci_u32_e64 v1, null, v15, v45, vcc_lo
	global_store_short v[0:1], v2, off
	s_endpgm
	.section	.rodata,"a",@progbits
	.p2align	6, 0x0
	.amdhsa_kernel _ZN12_GLOBAL__N_120geam_min_plus_kernelIDF16_Dv2_DF16_S1_Li8ELi32ELi64ELi256ELi4ELi64ELi4ELi64ELi4ELc78ELc84ELb0ELb0ELb1EPKDF16_S2_DF16_EEviiiT16_PT17_ilS6_ilS4_S6_ilPT18_ili26rocblas_geam_ex_operation_
		.amdhsa_group_segment_fixed_size 5120
		.amdhsa_private_segment_fixed_size 0
		.amdhsa_kernarg_size 136
		.amdhsa_user_sgpr_count 6
		.amdhsa_user_sgpr_private_segment_buffer 1
		.amdhsa_user_sgpr_dispatch_ptr 0
		.amdhsa_user_sgpr_queue_ptr 0
		.amdhsa_user_sgpr_kernarg_segment_ptr 1
		.amdhsa_user_sgpr_dispatch_id 0
		.amdhsa_user_sgpr_flat_scratch_init 0
		.amdhsa_user_sgpr_private_segment_size 0
		.amdhsa_wavefront_size32 1
		.amdhsa_uses_dynamic_stack 0
		.amdhsa_system_sgpr_private_segment_wavefront_offset 0
		.amdhsa_system_sgpr_workgroup_id_x 1
		.amdhsa_system_sgpr_workgroup_id_y 0
		.amdhsa_system_sgpr_workgroup_id_z 1
		.amdhsa_system_sgpr_workgroup_info 0
		.amdhsa_system_vgpr_workitem_id 1
		.amdhsa_next_free_vgpr 168
		.amdhsa_next_free_sgpr 24
		.amdhsa_reserve_vcc 1
		.amdhsa_reserve_flat_scratch 0
		.amdhsa_float_round_mode_32 0
		.amdhsa_float_round_mode_16_64 0
		.amdhsa_float_denorm_mode_32 3
		.amdhsa_float_denorm_mode_16_64 3
		.amdhsa_dx10_clamp 1
		.amdhsa_ieee_mode 1
		.amdhsa_fp16_overflow 0
		.amdhsa_workgroup_processor_mode 1
		.amdhsa_memory_ordered 1
		.amdhsa_forward_progress 1
		.amdhsa_shared_vgpr_count 0
		.amdhsa_exception_fp_ieee_invalid_op 0
		.amdhsa_exception_fp_denorm_src 0
		.amdhsa_exception_fp_ieee_div_zero 0
		.amdhsa_exception_fp_ieee_overflow 0
		.amdhsa_exception_fp_ieee_underflow 0
		.amdhsa_exception_fp_ieee_inexact 0
		.amdhsa_exception_int_div_zero 0
	.end_amdhsa_kernel
	.section	.text._ZN12_GLOBAL__N_120geam_min_plus_kernelIDF16_Dv2_DF16_S1_Li8ELi32ELi64ELi256ELi4ELi64ELi4ELi64ELi4ELc78ELc84ELb0ELb0ELb1EPKDF16_S2_DF16_EEviiiT16_PT17_ilS6_ilS4_S6_ilPT18_ili26rocblas_geam_ex_operation_,"axG",@progbits,_ZN12_GLOBAL__N_120geam_min_plus_kernelIDF16_Dv2_DF16_S1_Li8ELi32ELi64ELi256ELi4ELi64ELi4ELi64ELi4ELc78ELc84ELb0ELb0ELb1EPKDF16_S2_DF16_EEviiiT16_PT17_ilS6_ilS4_S6_ilPT18_ili26rocblas_geam_ex_operation_,comdat
.Lfunc_end270:
	.size	_ZN12_GLOBAL__N_120geam_min_plus_kernelIDF16_Dv2_DF16_S1_Li8ELi32ELi64ELi256ELi4ELi64ELi4ELi64ELi4ELc78ELc84ELb0ELb0ELb1EPKDF16_S2_DF16_EEviiiT16_PT17_ilS6_ilS4_S6_ilPT18_ili26rocblas_geam_ex_operation_, .Lfunc_end270-_ZN12_GLOBAL__N_120geam_min_plus_kernelIDF16_Dv2_DF16_S1_Li8ELi32ELi64ELi256ELi4ELi64ELi4ELi64ELi4ELc78ELc84ELb0ELb0ELb1EPKDF16_S2_DF16_EEviiiT16_PT17_ilS6_ilS4_S6_ilPT18_ili26rocblas_geam_ex_operation_
                                        ; -- End function
	.set _ZN12_GLOBAL__N_120geam_min_plus_kernelIDF16_Dv2_DF16_S1_Li8ELi32ELi64ELi256ELi4ELi64ELi4ELi64ELi4ELc78ELc84ELb0ELb0ELb1EPKDF16_S2_DF16_EEviiiT16_PT17_ilS6_ilS4_S6_ilPT18_ili26rocblas_geam_ex_operation_.num_vgpr, 168
	.set _ZN12_GLOBAL__N_120geam_min_plus_kernelIDF16_Dv2_DF16_S1_Li8ELi32ELi64ELi256ELi4ELi64ELi4ELi64ELi4ELc78ELc84ELb0ELb0ELb1EPKDF16_S2_DF16_EEviiiT16_PT17_ilS6_ilS4_S6_ilPT18_ili26rocblas_geam_ex_operation_.num_agpr, 0
	.set _ZN12_GLOBAL__N_120geam_min_plus_kernelIDF16_Dv2_DF16_S1_Li8ELi32ELi64ELi256ELi4ELi64ELi4ELi64ELi4ELc78ELc84ELb0ELb0ELb1EPKDF16_S2_DF16_EEviiiT16_PT17_ilS6_ilS4_S6_ilPT18_ili26rocblas_geam_ex_operation_.numbered_sgpr, 24
	.set _ZN12_GLOBAL__N_120geam_min_plus_kernelIDF16_Dv2_DF16_S1_Li8ELi32ELi64ELi256ELi4ELi64ELi4ELi64ELi4ELc78ELc84ELb0ELb0ELb1EPKDF16_S2_DF16_EEviiiT16_PT17_ilS6_ilS4_S6_ilPT18_ili26rocblas_geam_ex_operation_.num_named_barrier, 0
	.set _ZN12_GLOBAL__N_120geam_min_plus_kernelIDF16_Dv2_DF16_S1_Li8ELi32ELi64ELi256ELi4ELi64ELi4ELi64ELi4ELc78ELc84ELb0ELb0ELb1EPKDF16_S2_DF16_EEviiiT16_PT17_ilS6_ilS4_S6_ilPT18_ili26rocblas_geam_ex_operation_.private_seg_size, 0
	.set _ZN12_GLOBAL__N_120geam_min_plus_kernelIDF16_Dv2_DF16_S1_Li8ELi32ELi64ELi256ELi4ELi64ELi4ELi64ELi4ELc78ELc84ELb0ELb0ELb1EPKDF16_S2_DF16_EEviiiT16_PT17_ilS6_ilS4_S6_ilPT18_ili26rocblas_geam_ex_operation_.uses_vcc, 1
	.set _ZN12_GLOBAL__N_120geam_min_plus_kernelIDF16_Dv2_DF16_S1_Li8ELi32ELi64ELi256ELi4ELi64ELi4ELi64ELi4ELc78ELc84ELb0ELb0ELb1EPKDF16_S2_DF16_EEviiiT16_PT17_ilS6_ilS4_S6_ilPT18_ili26rocblas_geam_ex_operation_.uses_flat_scratch, 0
	.set _ZN12_GLOBAL__N_120geam_min_plus_kernelIDF16_Dv2_DF16_S1_Li8ELi32ELi64ELi256ELi4ELi64ELi4ELi64ELi4ELc78ELc84ELb0ELb0ELb1EPKDF16_S2_DF16_EEviiiT16_PT17_ilS6_ilS4_S6_ilPT18_ili26rocblas_geam_ex_operation_.has_dyn_sized_stack, 0
	.set _ZN12_GLOBAL__N_120geam_min_plus_kernelIDF16_Dv2_DF16_S1_Li8ELi32ELi64ELi256ELi4ELi64ELi4ELi64ELi4ELc78ELc84ELb0ELb0ELb1EPKDF16_S2_DF16_EEviiiT16_PT17_ilS6_ilS4_S6_ilPT18_ili26rocblas_geam_ex_operation_.has_recursion, 0
	.set _ZN12_GLOBAL__N_120geam_min_plus_kernelIDF16_Dv2_DF16_S1_Li8ELi32ELi64ELi256ELi4ELi64ELi4ELi64ELi4ELc78ELc84ELb0ELb0ELb1EPKDF16_S2_DF16_EEviiiT16_PT17_ilS6_ilS4_S6_ilPT18_ili26rocblas_geam_ex_operation_.has_indirect_call, 0
	.section	.AMDGPU.csdata,"",@progbits
; Kernel info:
; codeLenInByte = 19928
; TotalNumSgprs: 26
; NumVgprs: 168
; ScratchSize: 0
; MemoryBound: 0
; FloatMode: 240
; IeeeMode: 1
; LDSByteSize: 5120 bytes/workgroup (compile time only)
; SGPRBlocks: 0
; VGPRBlocks: 20
; NumSGPRsForWavesPerEU: 26
; NumVGPRsForWavesPerEU: 168
; Occupancy: 5
; WaveLimiterHint : 1
; COMPUTE_PGM_RSRC2:SCRATCH_EN: 0
; COMPUTE_PGM_RSRC2:USER_SGPR: 6
; COMPUTE_PGM_RSRC2:TRAP_HANDLER: 0
; COMPUTE_PGM_RSRC2:TGID_X_EN: 1
; COMPUTE_PGM_RSRC2:TGID_Y_EN: 0
; COMPUTE_PGM_RSRC2:TGID_Z_EN: 1
; COMPUTE_PGM_RSRC2:TIDIG_COMP_CNT: 1
	.section	.text._ZN12_GLOBAL__N_120geam_min_plus_kernelIDF16_Dv2_DF16_S1_Li8ELi32ELi64ELi256ELi4ELi64ELi4ELi64ELi4ELc78ELc84ELb1ELb0ELb1EDF16_KDF16_DF16_EEviiiT16_PT17_ilS5_ilS3_S5_ilPT18_ili26rocblas_geam_ex_operation_,"axG",@progbits,_ZN12_GLOBAL__N_120geam_min_plus_kernelIDF16_Dv2_DF16_S1_Li8ELi32ELi64ELi256ELi4ELi64ELi4ELi64ELi4ELc78ELc84ELb1ELb0ELb1EDF16_KDF16_DF16_EEviiiT16_PT17_ilS5_ilS3_S5_ilPT18_ili26rocblas_geam_ex_operation_,comdat
	.globl	_ZN12_GLOBAL__N_120geam_min_plus_kernelIDF16_Dv2_DF16_S1_Li8ELi32ELi64ELi256ELi4ELi64ELi4ELi64ELi4ELc78ELc84ELb1ELb0ELb1EDF16_KDF16_DF16_EEviiiT16_PT17_ilS5_ilS3_S5_ilPT18_ili26rocblas_geam_ex_operation_ ; -- Begin function _ZN12_GLOBAL__N_120geam_min_plus_kernelIDF16_Dv2_DF16_S1_Li8ELi32ELi64ELi256ELi4ELi64ELi4ELi64ELi4ELc78ELc84ELb1ELb0ELb1EDF16_KDF16_DF16_EEviiiT16_PT17_ilS5_ilS3_S5_ilPT18_ili26rocblas_geam_ex_operation_
	.p2align	8
	.type	_ZN12_GLOBAL__N_120geam_min_plus_kernelIDF16_Dv2_DF16_S1_Li8ELi32ELi64ELi256ELi4ELi64ELi4ELi64ELi4ELc78ELc84ELb1ELb0ELb1EDF16_KDF16_DF16_EEviiiT16_PT17_ilS5_ilS3_S5_ilPT18_ili26rocblas_geam_ex_operation_,@function
_ZN12_GLOBAL__N_120geam_min_plus_kernelIDF16_Dv2_DF16_S1_Li8ELi32ELi64ELi256ELi4ELi64ELi4ELi64ELi4ELc78ELc84ELb1ELb0ELb1EDF16_KDF16_DF16_EEviiiT16_PT17_ilS5_ilS3_S5_ilPT18_ili26rocblas_geam_ex_operation_: ; @_ZN12_GLOBAL__N_120geam_min_plus_kernelIDF16_Dv2_DF16_S1_Li8ELi32ELi64ELi256ELi4ELi64ELi4ELi64ELi4ELc78ELc84ELb1ELb0ELb1EDF16_KDF16_DF16_EEviiiT16_PT17_ilS5_ilS3_S5_ilPT18_ili26rocblas_geam_ex_operation_
; %bb.0:
	s_mov_b64 s[26:27], s[2:3]
	s_mov_b64 s[24:25], s[0:1]
	s_clause 0x1
	s_load_dwordx2 s[16:17], s[4:5], 0x8
	s_load_dwordx4 s[0:3], s[4:5], 0x20
	s_add_u32 s24, s24, s8
	s_addc_u32 s25, s25, 0
	s_waitcnt lgkmcnt(0)
	v_cmp_eq_f16_e64 s8, s17, 0
	s_and_b32 vcc_lo, exec_lo, s8
	s_cbranch_vccnz .LBB271_140
; %bb.1:
	s_load_dwordx2 s[10:11], s[4:5], 0x10
	s_mul_i32 s1, s1, s7
	s_mul_hi_u32 s9, s0, s7
	s_mul_i32 s0, s0, s7
	s_add_i32 s1, s9, s1
	s_lshl_b64 s[0:1], s[0:1], 1
	s_waitcnt lgkmcnt(0)
	s_add_u32 s14, s10, s0
	s_addc_u32 s15, s11, s1
	s_andn2_b32 vcc_lo, exec_lo, s8
	s_mov_b32 s0, -1
	s_cbranch_vccnz .LBB271_3
.LBB271_2:
	s_mov_b32 s0, 0
.LBB271_3:
	s_mov_b64 s[12:13], 0
	s_andn2_b32 vcc_lo, exec_lo, s0
	s_mov_b64 s[18:19], 0
	s_cbranch_vccnz .LBB271_5
; %bb.4:
	s_load_dwordx2 s[0:1], s[4:5], 0x38
	s_waitcnt lgkmcnt(0)
	s_mul_i32 s1, s1, s7
	s_mul_hi_u32 s8, s0, s7
	s_mul_i32 s0, s0, s7
	s_add_i32 s1, s8, s1
	s_lshl_b64 s[0:1], s[0:1], 1
	s_add_u32 s18, s2, s0
	s_addc_u32 s19, s3, s1
.LBB271_5:
	s_clause 0x1
	s_load_dword s17, s[4:5], 0x40
	s_load_dwordx4 s[8:11], s[4:5], 0x58
	s_waitcnt lgkmcnt(0)
	v_cmp_eq_f16_e64 s0, s17, 0
	s_and_b32 s0, exec_lo, s0
	s_mov_b32 vcc_lo, s0
	s_cbranch_vccnz .LBB271_7
; %bb.6:
	s_load_dwordx2 s[2:3], s[4:5], 0x48
	s_mul_i32 s1, s9, s7
	s_mul_hi_u32 s9, s8, s7
	s_mul_i32 s8, s8, s7
	s_add_i32 s9, s9, s1
	s_lshl_b64 s[8:9], s[8:9], 1
	s_waitcnt lgkmcnt(0)
	s_add_u32 s12, s2, s8
	s_addc_u32 s13, s3, s9
.LBB271_7:
	s_clause 0x2
	s_load_dword s1, s[4:5], 0x0
	s_load_dword s2, s[4:5], 0x18
	;; [unrolled: 1-line block ×3, first 2 shown]
	v_lshlrev_b32_e32 v187, 3, v1
	v_lshlrev_b32_e32 v133, 3, v0
	v_add_nc_u32_e32 v3, v187, v0
	v_add_nc_u32_e32 v20, 0x1000, v133
	v_lshrrev_b32_e32 v34, 6, v3
	v_and_b32_e32 v13, 63, v3
	v_add_nc_u32_e32 v7, 4, v34
	s_waitcnt lgkmcnt(0)
	s_add_i32 s1, s1, -1
	v_mad_i64_i32 v[9:10], null, s2, v34, 0
	s_ashr_i32 s3, s1, 31
	v_mad_i64_i32 v[3:4], null, s8, v34, 0
	s_lshr_b32 s3, s3, 26
	v_mad_i64_i32 v[5:6], null, s2, v7, 0
	s_add_i32 s1, s1, s3
	v_lshlrev_b64 v[14:15], 1, v[9:10]
	s_ashr_i32 s1, s1, 6
	v_lshlrev_b64 v[3:4], 1, v[3:4]
	s_add_i32 s3, s1, 1
	s_not_b32 s1, s1
	v_cvt_f32_u32_e32 v2, s3
	v_add_co_u32 v16, vcc_lo, s14, v14
	v_add_co_ci_u32_e64 v14, null, s15, v15, vcc_lo
	v_rcp_iflag_f32_e32 v2, v2
	v_mad_i64_i32 v[7:8], null, s8, v7, 0
	v_lshlrev_b64 v[5:6], 1, v[5:6]
	v_lshlrev_b64 v[7:8], 1, v[7:8]
	v_mul_f32_e32 v2, 0x4f7ffffe, v2
	v_cvt_u32_f32_e32 v2, v2
	v_readfirstlane_b32 s9, v2
	s_mul_i32 s1, s1, s9
	s_mul_hi_u32 s1, s9, s1
	s_add_i32 s9, s9, s1
	s_mul_hi_u32 s1, s6, s9
	s_mul_i32 s9, s1, s3
	s_add_i32 s20, s1, 1
	s_sub_i32 s9, s6, s9
	s_sub_i32 s21, s9, s3
	s_cmp_ge_u32 s9, s3
	s_cselect_b32 s1, s20, s1
	s_cselect_b32 s9, s21, s9
	s_add_i32 s20, s1, 1
	s_cmp_ge_u32 s9, s3
	s_cselect_b32 s1, s20, s1
	s_mul_i32 s3, s1, s3
	s_lshl_b32 s20, s1, 8
	s_sub_i32 s1, s6, s3
	v_or_b32_e32 v9, s20, v13
	s_lshl_b32 s1, s1, 6
	s_cmp_lt_i32 s16, 9
	v_or_b32_e32 v11, s1, v13
	v_ashrrev_i32_e32 v10, 31, v9
	v_ashrrev_i32_e32 v12, 31, v11
	v_lshlrev_b64 v[136:137], 1, v[9:10]
	v_add_co_u32 v9, vcc_lo, s18, v3
	v_add_co_ci_u32_e64 v4, null, s19, v4, vcc_lo
	v_lshlrev_b64 v[2:3], 1, v[11:12]
	v_add_co_u32 v9, vcc_lo, v9, v136
	v_add_co_ci_u32_e64 v10, null, v4, v137, vcc_lo
	v_add_co_u32 v11, vcc_lo, v16, v2
	v_add_co_ci_u32_e64 v12, null, v14, v3, vcc_lo
	s_clause 0x3
	global_load_ushort v14, v[9:10], off
	global_load_ushort v15, v[9:10], off offset:128
	global_load_ushort v16, v[9:10], off offset:256
	;; [unrolled: 1-line block ×3, first 2 shown]
	global_load_ushort v10, v[11:12], off
	v_add_co_u32 v4, vcc_lo, s14, v5
	v_add_co_ci_u32_e64 v5, null, s15, v6, vcc_lo
	v_add_co_u32 v6, vcc_lo, s18, v7
	v_add_co_ci_u32_e64 v7, null, s19, v8, vcc_lo
	;; [unrolled: 2-line block ×4, first 2 shown]
	global_load_ushort v32, v[4:5], off
	s_clause 0x3
	global_load_ushort v33, v[6:7], off
	global_load_ushort v41, v[6:7], off offset:128
	global_load_ushort v43, v[6:7], off offset:256
	;; [unrolled: 1-line block ×3, first 2 shown]
	v_lshlrev_b32_e32 v4, 3, v13
	v_lshl_add_u32 v162, v34, 1, v4
	s_waitcnt vmcnt(9)
	ds_write_b16 v162, v14
	s_waitcnt vmcnt(8)
	ds_write_b16 v162, v15 offset:512
	s_waitcnt vmcnt(7)
	ds_write_b16 v162, v16 offset:1024
	;; [unrolled: 2-line block ×4, first 2 shown]
	s_waitcnt vmcnt(0) lgkmcnt(0)
	s_barrier
	buffer_gl0_inv
	ds_read2_b64 v[4:7], v20 offset1:8
	ds_read2_b64 v[8:11], v187 offset1:32
	ds_read2_b64 v[12:15], v20 offset0:16 offset1:24
	ds_read2_b64 v[16:19], v20 offset0:32 offset1:40
	;; [unrolled: 1-line block ×6, first 2 shown]
	ds_write_b16 v162, v32 offset:4608
	ds_write_b16 v162, v33 offset:2048
	;; [unrolled: 1-line block ×4, first 2 shown]
	s_waitcnt lgkmcnt(10)
	v_pk_add_f16 v32, v4, v8
	v_pk_add_f16 v33, v6, v8
	s_waitcnt lgkmcnt(9)
	v_pk_add_f16 v41, v12, v8
	v_pk_add_f16 v43, v14, v8
	;; [unrolled: 3-line block ×4, first 2 shown]
	v_pk_add_f16 v47, v4, v10
	v_pk_add_f16 v48, v6, v10
	v_pk_add_f16 v49, v12, v10
	v_pk_add_f16 v50, v14, v10
	v_pk_add_f16 v51, v16, v10
	v_pk_add_f16 v52, v18, v10
	v_pk_add_f16 v53, v20, v10
	v_pk_add_f16 v10, v22, v10
	s_waitcnt lgkmcnt(6)
	v_pk_add_f16 v68, v4, v24
	v_pk_add_f16 v69, v6, v24
	v_pk_add_f16 v70, v12, v24
	v_pk_add_f16 v71, v14, v24
	v_pk_add_f16 v72, v16, v24
	v_pk_add_f16 v73, v18, v24
	v_pk_add_f16 v74, v20, v24
	v_pk_add_f16 v24, v22, v24
	v_pk_add_f16 v75, v4, v26
	v_pk_add_f16 v76, v6, v26
	v_pk_add_f16 v77, v12, v26
	v_pk_add_f16 v138, v14, v26
	v_pk_add_f16 v79, v16, v26
	v_pk_add_f16 v80, v18, v26
	v_pk_add_f16 v81, v20, v26
	v_pk_add_f16 v26, v22, v26
	s_waitcnt lgkmcnt(5)
	v_pk_add_f16 v89, v4, v28
	v_pk_add_f16 v90, v6, v28
	v_pk_add_f16 v91, v12, v28
	v_pk_add_f16 v92, v14, v28
	v_pk_add_f16 v93, v16, v28
	v_pk_add_f16 v94, v18, v28
	v_pk_add_f16 v95, v20, v28
	v_pk_add_f16 v28, v22, v28
	;; [unrolled: 17-line block ×3, first 2 shown]
	v_pk_add_f16 v107, v16, v36
	v_pk_add_f16 v108, v18, v36
	v_pk_add_f16 v16, v16, v38
	v_pk_add_f16 v18, v18, v38
	v_pk_add_f16 v109, v20, v36
	v_pk_add_f16 v36, v22, v36
	v_pk_add_f16 v20, v20, v38
	v_pk_add_f16 v22, v22, v38
	v_pk_add_f16 v54, v5, v9
	v_pk_add_f16 v55, v7, v9
	v_pk_add_f16 v56, v13, v9
	v_pk_add_f16 v57, v15, v9
	v_pk_add_f16 v58, v17, v9
	v_pk_add_f16 v59, v19, v9
	v_pk_add_f16 v60, v21, v9
	v_pk_add_f16 v9, v23, v9
	v_pk_add_f16 v61, v5, v11
	v_pk_add_f16 v62, v7, v11
	v_pk_add_f16 v63, v13, v11
	v_pk_add_f16 v64, v15, v11
	v_pk_add_f16 v65, v17, v11
	v_pk_add_f16 v66, v19, v11
	v_pk_add_f16 v67, v21, v11
	v_pk_add_f16 v11, v23, v11
	v_pk_add_f16 v82, v5, v25
	v_pk_add_f16 v83, v7, v25
	v_pk_add_f16 v84, v13, v25
	v_pk_add_f16 v85, v15, v25
	v_pk_add_f16 v86, v17, v25
	v_pk_add_f16 v87, v19, v25
	v_pk_add_f16 v88, v21, v25
	v_pk_add_f16 v25, v23, v25
	v_pk_add_f16 v111, v5, v27
	v_pk_add_f16 v112, v7, v27
	v_pk_add_f16 v113, v13, v27
	v_pk_add_f16 v114, v15, v27
	v_pk_add_f16 v115, v17, v27
	v_pk_add_f16 v116, v19, v27
	v_pk_add_f16 v117, v21, v27
	v_pk_add_f16 v27, v23, v27
	v_pk_add_f16 v118, v5, v29
	v_pk_add_f16 v119, v7, v29
	v_pk_add_f16 v120, v13, v29
	v_pk_add_f16 v121, v15, v29
	v_pk_add_f16 v99, v17, v29
	v_pk_add_f16 v122, v19, v29
	v_pk_add_f16 v123, v21, v29
	v_pk_add_f16 v29, v23, v29
	v_pk_add_f16 v124, v5, v31
	v_pk_add_f16 v135, v7, v31
	v_pk_add_f16 v159, v13, v31
	v_pk_add_f16 v127, v15, v31
	v_pk_add_f16 v128, v17, v31
	v_pk_add_f16 v40, v19, v31
	v_pk_add_f16 v129, v21, v31
	v_pk_add_f16 v31, v23, v31
	v_pk_add_f16 v130, v5, v37
	v_pk_add_f16 v35, v7, v37
	v_pk_add_f16 v5, v5, v39
	v_pk_add_f16 v7, v7, v39
	v_pk_add_f16 v131, v13, v37
	v_pk_add_f16 v132, v15, v37
	v_pk_add_f16 v13, v13, v39
	v_pk_add_f16 v15, v15, v39
	v_pk_add_f16 v134, v17, v37
	v_pk_add_f16 v42, v19, v37
	v_pk_add_f16 v17, v17, v39
	v_pk_add_f16 v19, v19, v39
	v_pk_add_f16 v38, v21, v37
	v_pk_add_f16 v37, v23, v37
	v_pk_add_f16 v21, v21, v39
	v_pk_add_f16 v23, v23, v39
	v_pk_min_f16 v32, 0x7c00, v32 op_sel_hi:[0,1]
	v_pk_min_f16 v33, 0x7c00, v33 op_sel_hi:[0,1]
	;; [unrolled: 1-line block ×64, first 2 shown]
	v_pk_min_f16 v160, v32, v54
	v_pk_min_f16 v78, v33, v55
	;; [unrolled: 1-line block ×64, first 2 shown]
	ds_write_b16 v162, v110 offset:3584
	s_waitcnt lgkmcnt(0)
	s_barrier
	buffer_gl0_inv
	s_cbranch_scc1 .LBB271_11
; %bb.8:
	v_add_nc_u32_e32 v6, 12, v34
	buffer_store_dword v0, off, s[24:27], 0 offset:164 ; 4-byte Folded Spill
	v_lshl_add_u32 v0, v0, 3, 0x1200
	v_add_nc_u32_e32 v8, 8, v34
	buffer_store_dword v1, off, s[24:27], 0 offset:168 ; 4-byte Folded Spill
	v_mad_i64_i32 v[9:10], null, v6, s2, 0
	v_or_b32_e32 v1, 0x1000, v133
	buffer_store_dword v0, off, s[24:27], 0 offset:140 ; 4-byte Folded Spill
	v_or_b32_e32 v0, 0x800, v187
	v_mad_i64_i32 v[4:5], null, v8, s8, 0
	v_mad_i64_i32 v[6:7], null, v6, s8, 0
	buffer_store_dword v1, off, s[24:27], 0 offset:136 ; 4-byte Folded Spill
	buffer_store_dword v0, off, s[24:27], 0 offset:144 ; 4-byte Folded Spill
	v_lshlrev_b64 v[0:1], 1, v[9:10]
	v_add_co_u32 v46, vcc_lo, s14, v2
	v_add_co_ci_u32_e64 v47, null, s15, v3, vcc_lo
	v_lshlrev_b64 v[2:3], 1, v[4:5]
	buffer_store_dword v133, off, s[24:27], 0 offset:172 ; 4-byte Folded Spill
	v_mad_i64_i32 v[4:5], null, v8, s2, 0
	buffer_store_dword v0, off, s[24:27], 0 offset:148 ; 4-byte Folded Spill
	buffer_store_dword v1, off, s[24:27], 0 offset:152 ; 4-byte Folded Spill
	v_lshlrev_b64 v[0:1], 1, v[6:7]
	v_add_co_u32 v139, vcc_lo, s18, v2
	v_add_co_ci_u32_e64 v114, null, s19, v3, vcc_lo
	v_lshlrev_b64 v[2:3], 1, v[4:5]
	v_add_co_u32 v115, vcc_lo, s18, v0
	v_add_co_ci_u32_e64 v116, null, s19, v1, vcc_lo
	v_mov_b32_e32 v145, v56
	v_mov_b32_e32 v111, v78
	s_ashr_i32 s3, s2, 31
	s_ashr_i32 s9, s8, 31
	s_add_i32 s6, s16, -8
	s_lshl_b64 s[2:3], s[2:3], 4
	s_lshl_b64 s[8:9], s[8:9], 4
	s_mov_b32 s14, 0
	buffer_store_dword v2, off, s[24:27], 0 offset:156 ; 4-byte Folded Spill
	buffer_store_dword v3, off, s[24:27], 0 offset:160 ; 4-byte Folded Spill
.LBB271_9:                              ; =>This Inner Loop Header: Depth=1
	buffer_store_dword v61, off, s[24:27], 0 offset:56 ; 4-byte Folded Spill
	buffer_store_dword v59, off, s[24:27], 0 offset:48 ; 4-byte Folded Spill
	s_clause 0x1
	buffer_load_dword v0, off, s[24:27], 0 offset:156
	buffer_load_dword v1, off, s[24:27], 0 offset:160
	v_mov_b32_e32 v159, v55
	v_mov_b32_e32 v42, v247
	;; [unrolled: 1-line block ×22, first 2 shown]
	s_add_i32 s14, s14, 8
	s_cmp_ge_i32 s14, s6
	s_waitcnt vmcnt(1)
	v_add_co_u32 v0, vcc_lo, v46, v0
	s_waitcnt vmcnt(0)
	v_add_co_ci_u32_e64 v1, null, v47, v1, vcc_lo
	global_load_ushort v26, v[0:1], off
	v_add_co_u32 v0, vcc_lo, v139, v136
	v_add_co_ci_u32_e64 v1, null, v114, v137, vcc_lo
	s_clause 0x3
	global_load_ushort v22, v[0:1], off
	global_load_ushort v23, v[0:1], off offset:128
	global_load_ushort v24, v[0:1], off offset:256
	;; [unrolled: 1-line block ×3, first 2 shown]
	buffer_load_dword v0, off, s[24:27], 0 offset:140 ; 4-byte Folded Reload
	s_waitcnt vmcnt(0)
	ds_read2_b64 v[18:21], v0 offset1:8
	ds_read2_b64 v[14:17], v0 offset0:16 offset1:24
	ds_read2_b64 v[10:13], v0 offset0:32 offset1:40
	;; [unrolled: 1-line block ×3, first 2 shown]
	buffer_load_dword v0, off, s[24:27], 0 offset:144 ; 4-byte Folded Reload
	s_waitcnt vmcnt(0)
	ds_read2_b64 v[27:30], v0 offset1:32
	ds_read2_b64 v[49:52], v0 offset0:64 offset1:96
	ds_read2_b64 v[53:56], v0 offset0:128 offset1:160
	;; [unrolled: 1-line block ×3, first 2 shown]
	s_waitcnt lgkmcnt(3)
	v_pk_add_f16 v247, v2, v27
	s_waitcnt lgkmcnt(1)
	v_pk_add_f16 v1, v16, v55
	v_pk_add_f16 v226, v2, v29
	v_pk_add_f16 v197, v2, v49
	v_pk_add_f16 v177, v2, v51
	v_pk_add_f16 v155, v2, v53
	buffer_store_dword v1, off, s[24:27], 0 offset:132 ; 4-byte Folded Spill
	v_pk_add_f16 v1, v10, v55
	v_pk_add_f16 v170, v18, v53
	v_pk_add_f16 v168, v20, v53
	v_pk_add_f16 v166, v14, v53
	v_pk_add_f16 v163, v16, v53
	buffer_store_dword v1, off, s[24:27], 0 offset:124 ; 4-byte Folded Spill
	;; [unrolled: 6-line block ×4, first 2 shown]
	v_pk_add_f16 v1, v4, v55
	v_pk_add_f16 v171, v3, v56
	s_waitcnt lgkmcnt(0)
	v_pk_add_f16 v141, v3, v7
	v_pk_add_f16 v245, v4, v27
	v_pk_add_f16 v223, v4, v29
	buffer_store_dword v1, off, s[24:27], 0 offset:92 ; 4-byte Folded Spill
	v_pk_add_f16 v1, v18, v6
	v_pk_add_f16 v194, v4, v49
	v_pk_add_f16 v175, v4, v51
	v_pk_add_f16 v37, v18, v27
	v_pk_add_f16 v161, v20, v27
	buffer_store_dword v1, off, s[24:27], 0 offset:88 ; 4-byte Folded Spill
	v_pk_add_f16 v1, v20, v6
	v_pk_add_f16 v0, v14, v27
	;; [unrolled: 6-line block ×15, first 2 shown]
	v_pk_add_f16 v201, v19, v54
	v_pk_add_f16 v198, v21, v54
	v_pk_add_f16 v195, v15, v54
	buffer_store_dword v1, off, s[24:27], 0 offset:24 ; 4-byte Folded Spill
	buffer_store_dword v2, off, s[24:27], 0 offset:128 ; 4-byte Folded Spill
	v_pk_add_f16 v2, v17, v9
	v_pk_add_f16 v1, v4, v8
	;; [unrolled: 1-line block ×5, first 2 shown]
	buffer_store_dword v2, off, s[24:27], 0 offset:120 ; 4-byte Folded Spill
	v_pk_add_f16 v2, v11, v9
	buffer_store_dword v1, off, s[24:27], 0 offset:20 ; 4-byte Folded Spill
	v_pk_add_f16 v1, v11, v30
	v_pk_add_f16 v182, v5, v54
	v_pk_add_f16 v180, v19, v56
	buffer_store_dword v2, off, s[24:27], 0 offset:112 ; 4-byte Folded Spill
	v_pk_add_f16 v2, v13, v9
	v_pk_add_f16 v178, v21, v56
	v_pk_add_f16 v176, v15, v56
	v_pk_add_f16 v174, v17, v56
	v_pk_add_f16 v173, v11, v56
	buffer_store_dword v2, off, s[24:27], 0 offset:96 ; 4-byte Folded Spill
	v_pk_add_f16 v2, v3, v9
	v_pk_add_f16 v172, v13, v56
	;; [unrolled: 6-line block ×3, first 2 shown]
	v_pk_add_f16 v79, v17, v7
	v_pk_add_f16 v80, v11, v7
	;; [unrolled: 1-line block ×3, first 2 shown]
	buffer_store_dword v2, off, s[24:27], 0 offset:100 ; 4-byte Folded Spill
	v_or_b32_e32 v2, 0x1000, v162
	ds_write_b16 v2, v26
	ds_write_b16 v162, v22
	ds_write_b16 v162, v23 offset:512
	ds_write_b16 v162, v24 offset:1024
	;; [unrolled: 1-line block ×3, first 2 shown]
	s_waitcnt lgkmcnt(0)
	s_waitcnt_vscnt null, 0x0
	s_barrier
	buffer_gl0_inv
	s_clause 0x1
	buffer_load_dword v2, off, s[24:27], 0 offset:148
	buffer_load_dword v3, off, s[24:27], 0 offset:152
	v_pk_add_f16 v158, v5, v7
	v_pk_add_f16 v151, v19, v9
	v_pk_add_f16 v149, v21, v9
	s_waitcnt vmcnt(1)
	v_add_co_u32 v2, vcc_lo, v46, v2
	s_waitcnt vmcnt(0)
	v_add_co_ci_u32_e64 v3, null, v47, v3, vcc_lo
	global_load_ushort v2, v[2:3], off
	s_waitcnt vmcnt(0)
	buffer_store_dword v2, off, s[24:27], 0 offset:16 ; 4-byte Folded Spill
	v_add_co_u32 v2, vcc_lo, v115, v136
	v_add_co_ci_u32_e64 v3, null, v116, v137, vcc_lo
	v_add_co_u32 v46, vcc_lo, v46, s2
	v_add_co_ci_u32_e64 v47, null, s3, v47, vcc_lo
	global_load_ushort v4, v[2:3], off
	v_add_co_u32 v139, vcc_lo, v139, s8
	v_add_co_ci_u32_e64 v114, null, s9, v114, vcc_lo
	v_add_co_u32 v115, vcc_lo, v115, s8
	v_add_co_ci_u32_e64 v116, null, s9, v116, vcc_lo
	s_waitcnt vmcnt(0)
	buffer_store_dword v4, off, s[24:27], 0 ; 4-byte Folded Spill
	global_load_ushort v4, v[2:3], off offset:128
	s_waitcnt vmcnt(0)
	buffer_store_dword v4, off, s[24:27], 0 offset:4 ; 4-byte Folded Spill
	s_clause 0x1
	global_load_ushort v4, v[2:3], off offset:256
	global_load_ushort v2, v[2:3], off offset:384
	s_waitcnt vmcnt(1)
	buffer_store_dword v4, off, s[24:27], 0 offset:8 ; 4-byte Folded Spill
	s_waitcnt vmcnt(0)
	buffer_store_dword v2, off, s[24:27], 0 offset:12 ; 4-byte Folded Spill
	buffer_load_dword v2, off, s[24:27], 0 offset:136 ; 4-byte Folded Reload
	s_waitcnt vmcnt(0)
	ds_read2_b64 v[18:21], v2 offset1:8
	ds_read2_b64 v[14:17], v2 offset0:16 offset1:24
	ds_read2_b64 v[6:9], v2 offset0:32 offset1:40
	;; [unrolled: 1-line block ×3, first 2 shown]
	ds_read2_b64 v[30:33], v187 offset1:32
	ds_read2_b64 v[26:29], v187 offset0:64 offset1:96
	ds_read2_b64 v[22:25], v187 offset0:128 offset1:160
	;; [unrolled: 1-line block ×3, first 2 shown]
	s_waitcnt lgkmcnt(3)
	v_pk_add_f16 v67, v18, v30
	v_pk_add_f16 v68, v20, v30
	v_pk_add_f16 v69, v14, v30
	v_pk_add_f16 v70, v16, v30
	v_pk_add_f16 v71, v6, v30
	v_pk_add_f16 v72, v8, v30
	v_pk_add_f16 v73, v2, v30
	v_pk_add_f16 v74, v4, v30
	v_pk_add_f16 v75, v18, v32
	v_pk_add_f16 v121, v20, v32
	v_pk_add_f16 v76, v14, v32
	v_pk_add_f16 v66, v16, v32
	v_pk_add_f16 v65, v6, v32
	v_pk_add_f16 v64, v8, v32
	v_pk_add_f16 v63, v2, v32
	v_pk_add_f16 v62, v4, v32
	s_waitcnt lgkmcnt(2)
	v_pk_add_f16 v60, v18, v26
	v_pk_add_f16 v119, v20, v26
	v_pk_add_f16 v117, v14, v26
	v_pk_add_f16 v58, v16, v26
	v_pk_add_f16 v56, v6, v26
	v_pk_add_f16 v54, v8, v26
	v_pk_add_f16 v52, v2, v26
	v_pk_add_f16 v50, v4, v26
	v_pk_add_f16 v48, v18, v28
	v_pk_add_f16 v38, v20, v28
	v_pk_add_f16 v112, v14, v28
	v_pk_add_f16 v44, v16, v28
	v_pk_add_f16 v41, v6, v28
	v_pk_add_f16 v253, v8, v28
	v_pk_add_f16 v250, v2, v28
	v_pk_add_f16 v246, v4, v28
	;; [unrolled: 17-line block ×4, first 2 shown]
	v_pk_max_f16 v12, v160, v160
	v_pk_add_f16 v4, v19, v31
	v_pk_min_f16 v12, v12, v37
	v_pk_min_f16 v12, v12, v61
	v_pk_min_f16 v12, v12, v67
	v_pk_min_f16 v160, v12, v4
	v_pk_max_f16 v12, v111, v111
	v_pk_add_f16 v4, v21, v31
	v_pk_min_f16 v12, v12, v161
	v_pk_min_f16 v12, v12, v120
	v_pk_min_f16 v12, v12, v68
	v_pk_min_f16 v111, v12, v4
	;; [unrolled: 6-line block ×12, first 2 shown]
	v_pk_max_f16 v4, v135, v135
	v_pk_add_f16 v0, v7, v33
	v_pk_min_f16 v4, v4, v232
	v_pk_min_f16 v1, v4, v1
	buffer_load_dword v4, off, s[24:27], 0 offset:132 ; 4-byte Folded Reload
	v_pk_min_f16 v1, v1, v65
	v_pk_min_f16 v241, v1, v0
	v_pk_max_f16 v1, v134, v134
	v_pk_add_f16 v0, v9, v33
	v_pk_min_f16 v1, v1, v229
	v_pk_min_f16 v1, v1, v254
	v_pk_min_f16 v1, v1, v64
	v_pk_min_f16 v238, v1, v0
	v_pk_max_f16 v1, v133, v133
	v_pk_add_f16 v0, v3, v33
	v_pk_min_f16 v1, v1, v226
	v_pk_min_f16 v1, v1, v251
	;; [unrolled: 6-line block ×30, first 2 shown]
	v_pk_min_f16 v1, v1, v211
	v_pk_min_f16 v96, v1, v0
	v_pk_max_f16 v1, v123, v123
	v_pk_add_f16 v0, v17, v25
	s_waitcnt vmcnt(0)
	v_pk_min_f16 v1, v1, v4
	buffer_load_dword v4, off, s[24:27], 0 offset:124 ; 4-byte Folded Reload
	v_pk_min_f16 v1, v1, v174
	v_pk_min_f16 v1, v1, v208
	v_pk_min_f16 v123, v1, v0
	v_pk_max_f16 v1, v122, v122
	v_pk_add_f16 v0, v7, v25
	s_waitcnt vmcnt(0)
	v_pk_min_f16 v1, v1, v4
	buffer_load_dword v4, off, s[24:27], 0 offset:116 ; 4-byte Folded Reload
	v_pk_min_f16 v1, v1, v173
	v_pk_min_f16 v1, v1, v205
	v_pk_min_f16 v122, v1, v0
	v_pk_max_f16 v1, v95, v95
	v_pk_add_f16 v0, v9, v25
	s_waitcnt vmcnt(0)
	v_pk_min_f16 v1, v1, v4
	buffer_load_dword v4, off, s[24:27], 0 offset:104 ; 4-byte Folded Reload
	v_pk_min_f16 v1, v1, v172
	v_pk_min_f16 v1, v1, v202
	v_pk_min_f16 v95, v1, v0
	v_pk_max_f16 v1, v94, v94
	v_pk_add_f16 v0, v3, v25
	s_waitcnt vmcnt(0)
	v_pk_min_f16 v1, v1, v4
	buffer_load_dword v4, off, s[24:27], 0 offset:92 ; 4-byte Folded Reload
	v_pk_min_f16 v1, v1, v171
	v_pk_min_f16 v1, v1, v199
	v_pk_min_f16 v94, v1, v0
	v_pk_max_f16 v1, v93, v93
	v_pk_add_f16 v0, v5, v25
	s_waitcnt vmcnt(0)
	v_pk_min_f16 v1, v1, v4
	buffer_load_dword v4, off, s[24:27], 0 offset:88 ; 4-byte Folded Reload
	v_pk_min_f16 v1, v1, v169
	v_pk_min_f16 v1, v1, v196
	v_pk_min_f16 v93, v1, v0
	v_pk_max_f16 v1, v92, v92
	v_pk_add_f16 v0, v19, v11
	s_waitcnt vmcnt(0)
	v_pk_min_f16 v1, v1, v4
	buffer_load_dword v4, off, s[24:27], 0 offset:84 ; 4-byte Folded Reload
	v_pk_min_f16 v1, v1, v167
	v_pk_min_f16 v1, v1, v192
	v_pk_min_f16 v92, v1, v0
	v_pk_max_f16 v1, v91, v91
	v_pk_add_f16 v0, v21, v11
	s_waitcnt vmcnt(0)
	v_pk_min_f16 v1, v1, v4
	buffer_load_dword v4, off, s[24:27], 0 offset:80 ; 4-byte Folded Reload
	v_pk_min_f16 v1, v1, v165
	v_pk_min_f16 v1, v1, v189
	v_pk_min_f16 v91, v1, v0
	v_pk_max_f16 v1, v90, v90
	v_pk_add_f16 v0, v15, v11
	s_waitcnt vmcnt(0)
	v_pk_min_f16 v1, v1, v4
	buffer_load_dword v4, off, s[24:27], 0 offset:76 ; 4-byte Folded Reload
	v_pk_min_f16 v1, v1, v164
	v_pk_min_f16 v1, v1, v130
	v_pk_min_f16 v90, v1, v0
	v_pk_max_f16 v1, v89, v89
	v_pk_add_f16 v0, v17, v11
	s_waitcnt vmcnt(0)
	v_pk_min_f16 v1, v1, v4
	buffer_load_dword v4, off, s[24:27], 0 offset:72 ; 4-byte Folded Reload
	v_pk_min_f16 v1, v1, v79
	v_pk_min_f16 v1, v1, v32
	v_pk_min_f16 v71, v1, v0
	v_pk_max_f16 v1, v88, v88
	v_pk_add_f16 v0, v7, v11
	s_waitcnt vmcnt(0)
	v_pk_min_f16 v1, v1, v4
	buffer_load_dword v4, off, s[24:27], 0 offset:68 ; 4-byte Folded Reload
	v_pk_min_f16 v1, v1, v80
	v_pk_min_f16 v1, v1, v30
	v_pk_min_f16 v88, v1, v0
	v_pk_max_f16 v1, v87, v87
	v_pk_add_f16 v0, v9, v11
	s_waitcnt vmcnt(0)
	v_pk_min_f16 v1, v1, v4
	buffer_load_dword v4, off, s[24:27], 0 offset:64 ; 4-byte Folded Reload
	v_pk_min_f16 v1, v1, v140
	v_pk_min_f16 v1, v1, v28
	v_pk_min_f16 v87, v1, v0
	v_pk_max_f16 v1, v86, v86
	v_pk_add_f16 v0, v3, v11
	s_waitcnt vmcnt(0)
	v_pk_min_f16 v1, v1, v4
	buffer_load_dword v4, off, s[24:27], 0 offset:60 ; 4-byte Folded Reload
	v_pk_min_f16 v1, v1, v141
	v_pk_min_f16 v1, v1, v26
	v_pk_min_f16 v86, v1, v0
	v_pk_max_f16 v1, v85, v85
	v_pk_add_f16 v0, v5, v11
	s_waitcnt vmcnt(0)
	v_pk_min_f16 v1, v1, v4
	buffer_load_dword v4, off, s[24:27], 0 offset:52 ; 4-byte Folded Reload
	v_pk_min_f16 v1, v1, v158
	v_pk_min_f16 v1, v1, v24
	v_pk_min_f16 v85, v1, v0
	v_pk_max_f16 v1, v84, v84
	v_pk_add_f16 v0, v19, v13
	s_waitcnt vmcnt(0)
	v_pk_min_f16 v1, v1, v4
	buffer_load_dword v4, off, s[24:27], 0 offset:44 ; 4-byte Folded Reload
	v_pk_min_f16 v1, v1, v151
	v_pk_min_f16 v1, v1, v22
	v_pk_min_f16 v84, v1, v0
	v_pk_max_f16 v1, v83, v83
	v_pk_add_f16 v0, v21, v13
	s_waitcnt vmcnt(0)
	v_pk_min_f16 v1, v1, v4
	buffer_load_dword v4, off, s[24:27], 0 offset:40 ; 4-byte Folded Reload
	v_pk_min_f16 v1, v1, v149
	v_pk_min_f16 v1, v1, v20
	v_pk_min_f16 v83, v1, v0
	v_pk_max_f16 v1, v82, v82
	v_pk_add_f16 v0, v15, v13
	s_waitcnt vmcnt(0)
	v_pk_min_f16 v1, v1, v4
	buffer_load_dword v4, off, s[24:27], 0 offset:128 ; 4-byte Folded Reload
	s_waitcnt vmcnt(0)
	v_pk_min_f16 v1, v1, v4
	buffer_load_dword v4, off, s[24:27], 0 offset:36 ; 4-byte Folded Reload
	v_pk_min_f16 v1, v1, v18
	v_pk_min_f16 v82, v1, v0
	v_pk_max_f16 v1, v81, v81
	v_pk_add_f16 v0, v17, v13
	s_waitcnt vmcnt(0)
	v_pk_min_f16 v1, v1, v4
	buffer_load_dword v4, off, s[24:27], 0 offset:120 ; 4-byte Folded Reload
	s_waitcnt vmcnt(0)
	v_pk_min_f16 v1, v1, v4
	buffer_load_dword v4, off, s[24:27], 0 offset:32 ; 4-byte Folded Reload
	;; [unrolled: 10-line block ×3, first 2 shown]
	v_pk_min_f16 v1, v1, v10
	v_pk_min_f16 v143, v1, v0
	buffer_load_dword v1, off, s[24:27], 0 offset:56 ; 4-byte Folded Reload
	v_pk_add_f16 v0, v9, v13
	s_waitcnt vmcnt(0)
	v_pk_max_f16 v1, v1, v1
	v_pk_min_f16 v1, v1, v4
	buffer_load_dword v4, off, s[24:27], 0 offset:96 ; 4-byte Folded Reload
	s_waitcnt vmcnt(0)
	v_pk_min_f16 v1, v1, v4
	v_pk_min_f16 v1, v1, v8
	;; [unrolled: 1-line block ×3, first 2 shown]
	v_pk_add_f16 v0, v3, v13
	buffer_load_dword v3, off, s[24:27], 0 offset:24 ; 4-byte Folded Reload
	v_pk_max_f16 v1, v147, v147
	s_waitcnt vmcnt(0)
	v_pk_min_f16 v1, v1, v3
	buffer_load_dword v3, off, s[24:27], 0 offset:108 ; 4-byte Folded Reload
	s_waitcnt vmcnt(0)
	v_pk_min_f16 v1, v1, v3
	buffer_load_dword v3, off, s[24:27], 0 offset:20 ; 4-byte Folded Reload
	v_pk_min_f16 v1, v1, v6
	v_pk_min_f16 v147, v1, v0
	buffer_load_dword v1, off, s[24:27], 0 offset:48 ; 4-byte Folded Reload
	v_pk_add_f16 v0, v5, v13
	s_waitcnt vmcnt(0)
	v_pk_max_f16 v1, v1, v1
	v_pk_min_f16 v1, v1, v3
	buffer_load_dword v3, off, s[24:27], 0 offset:100 ; 4-byte Folded Reload
	s_waitcnt vmcnt(0)
	v_pk_min_f16 v1, v1, v3
	v_pk_min_f16 v1, v1, v2
	;; [unrolled: 1-line block ×3, first 2 shown]
	buffer_load_dword v1, off, s[24:27], 0 offset:16 ; 4-byte Folded Reload
	v_add_nc_u32_e32 v0, 0x1200, v162
	s_waitcnt vmcnt(0)
	ds_write_b16 v0, v1
	buffer_load_dword v1, off, s[24:27], 0  ; 4-byte Folded Reload
	v_or_b32_e32 v0, 0x800, v162
	s_waitcnt vmcnt(0)
	ds_write_b16 v0, v1
	buffer_load_dword v1, off, s[24:27], 0 offset:4 ; 4-byte Folded Reload
	s_waitcnt vmcnt(0)
	ds_write_b16 v0, v1 offset:512
	buffer_load_dword v1, off, s[24:27], 0 offset:8 ; 4-byte Folded Reload
	s_waitcnt vmcnt(0)
	ds_write_b16 v0, v1 offset:1024
	buffer_load_dword v1, off, s[24:27], 0 offset:12 ; 4-byte Folded Reload
	s_waitcnt vmcnt(0)
	ds_write_b16 v0, v1 offset:1536
	s_waitcnt lgkmcnt(0)
	s_waitcnt_vscnt null, 0x0
	s_barrier
	buffer_gl0_inv
	s_cbranch_scc0 .LBB271_9
; %bb.10:
	s_clause 0x2
	buffer_load_dword v0, off, s[24:27], 0 offset:164
	buffer_load_dword v1, off, s[24:27], 0 offset:168
	;; [unrolled: 1-line block ×3, first 2 shown]
	v_mov_b32_e32 v56, v145
	v_mov_b32_e32 v78, v111
.LBB271_11:
	s_load_dword s2, s[4:5], 0x50
	s_waitcnt vmcnt(1)
	v_add_nc_u32_e32 v111, s20, v1
	s_waitcnt vmcnt(0)
	ds_read_b64 v[30:31], v133 offset:4608
	ds_read_b64 v[46:47], v187 offset:2048
	v_add_nc_u32_e32 v44, s1, v0
	v_cmp_neq_f16_e64 s6, s17, 0
	v_mov_b32_e32 v77, v33
	v_mov_b32_e32 v34, 0
	;; [unrolled: 1-line block ×3, first 2 shown]
	v_ashrrev_i32_e32 v45, 31, v44
	s_and_b32 vcc_lo, exec_lo, s6
	v_lshlrev_b64 v[28:29], 1, v[44:45]
	s_waitcnt lgkmcnt(0)
	v_mad_i64_i32 v[1:2], null, v111, s2, 0
	v_lshlrev_b64 v[0:1], 1, v[1:2]
	v_add_co_u32 v48, s1, s12, v0
	v_add_co_ci_u32_e64 v49, null, s13, v1, s1
	s_cbranch_vccz .LBB271_13
; %bb.12:
	v_add_co_u32 v0, vcc_lo, v48, v28
	v_add_co_ci_u32_e64 v1, null, v49, v29, vcc_lo
	global_load_ushort v0, v[0:1], off
	s_waitcnt vmcnt(0)
	v_mul_f16_e32 v0, s17, v0
	v_cvt_f32_f16_e32 v32, v0
.LBB271_13:
	s_clause 0x1
	s_load_dwordx2 s[8:9], s[4:5], 0x70
	s_load_dword s3, s[4:5], 0x68
	v_pk_add_f16 v13, v30, v46
	v_pk_add_f16 v26, v31, v47
	v_max_f16_e32 v14, v160, v160
	v_lshrrev_b32_e32 v15, 16, v160
	v_add_nc_u32_e32 v0, 0x1000, v133
	v_lshrrev_b32_e32 v27, 16, v13
	v_lshrrev_b32_e32 v33, 16, v26
	v_min_f16_e32 v37, v14, v13
	v_add_nc_u32_e32 v12, 0x800, v187
	ds_read_b64 v[24:25], v133 offset:5056
	ds_read2_b64 v[8:11], v0 offset0:72 offset1:80
	ds_read2_b64 v[4:7], v0 offset0:88 offset1:96
	v_min3_f16 v27, v15, v27, v33
	ds_read2_b64 v[0:3], v0 offset0:104 offset1:112
	ds_read2_b64 v[20:23], v12 offset0:32 offset1:64
	;; [unrolled: 1-line block ×4, first 2 shown]
	v_max_f32_e32 v40, v32, v32
	v_min3_f16 v33, v37, v26, v27
	ds_read_b64 v[26:27], v187 offset:3840
	s_waitcnt lgkmcnt(0)
	s_mul_i32 s1, s9, s7
	v_mad_i64_i32 v[35:36], null, v111, s3, 0
	s_mul_hi_u32 s4, s8, s7
	v_cvt_f32_f16_e32 v39, v33
	s_add_i32 s5, s4, s1
	s_mul_i32 s4, s8, s7
	v_add_nc_u32_e32 v37, 8, v44
	s_lshl_b64 s[4:5], s[4:5], 1
	v_lshlrev_b64 v[32:33], 1, v[35:36]
	s_add_u32 s4, s10, s4
	s_addc_u32 s5, s11, s5
	v_min_f32_e32 v35, v40, v39
	v_ashrrev_i32_e32 v38, 31, v37
	v_cndmask_b32_e64 v36, 0, 1, s6
	v_add_co_u32 v50, vcc_lo, s4, v32
	v_add_co_ci_u32_e64 v51, null, s5, v33, vcc_lo
	v_cvt_f16_f32_e32 v39, v35
	v_add_co_u32 v35, vcc_lo, v50, v28
	v_lshlrev_b64 v[32:33], 1, v[37:38]
	v_cmp_ne_u32_e64 s1, 1, v36
	v_add_co_ci_u32_e64 v36, null, v51, v29, vcc_lo
	s_andn2_b32 vcc_lo, exec_lo, s6
	global_store_short v[35:36], v39, off
	s_cbranch_vccnz .LBB271_15
; %bb.14:
	v_add_co_u32 v34, vcc_lo, v48, v32
	v_add_co_ci_u32_e64 v35, null, v49, v33, vcc_lo
	global_load_ushort v34, v[34:35], off
	s_waitcnt vmcnt(0)
	v_mul_f16_e32 v34, s17, v34
	v_cvt_f32_f16_e32 v34, v34
.LBB271_15:
	v_pk_add_f16 v35, v8, v46
	v_pk_add_f16 v36, v9, v47
	v_max_f16_e32 v37, v78, v78
	v_lshrrev_b32_e32 v38, 16, v78
	v_max_f32_e32 v34, v34, v34
	v_lshrrev_b32_e32 v39, 16, v35
	v_lshrrev_b32_e32 v40, 16, v36
	v_min_f16_e32 v35, v37, v35
	v_min3_f16 v37, v38, v39, v40
	v_add_co_u32 v39, vcc_lo, v50, v32
	v_add_co_ci_u32_e64 v40, null, v51, v33, vcc_lo
	v_min3_f16 v36, v35, v36, v37
	v_add_nc_u32_e32 v35, 16, v44
	v_mov_b32_e32 v38, 0
	s_and_b32 vcc_lo, exec_lo, s1
	v_cvt_f32_f16_e32 v37, v36
	v_ashrrev_i32_e32 v36, 31, v35
	v_min_f32_e32 v34, v34, v37
	v_cvt_f16_f32_e32 v37, v34
	v_lshlrev_b64 v[34:35], 1, v[35:36]
	v_mov_b32_e32 v36, 0
	global_store_short v[39:40], v37, off
	s_cbranch_vccnz .LBB271_17
; %bb.16:
	v_add_co_u32 v36, vcc_lo, v48, v34
	v_add_co_ci_u32_e64 v37, null, v49, v35, vcc_lo
	global_load_ushort v36, v[36:37], off
	s_waitcnt vmcnt(0)
	v_mul_f16_e32 v36, s17, v36
	v_cvt_f32_f16_e32 v36, v36
.LBB271_17:
	v_pk_add_f16 v37, v10, v46
	v_pk_add_f16 v39, v11, v47
	v_max_f16_e32 v40, v56, v56
	v_lshrrev_b32_e32 v41, 16, v56
	v_max_f32_e32 v36, v36, v36
	v_lshrrev_b32_e32 v42, 16, v37
	v_lshrrev_b32_e32 v45, 16, v39
	v_min_f16_e32 v37, v40, v37
	v_min3_f16 v40, v41, v42, v45
	v_add_co_u32 v41, vcc_lo, v50, v34
	v_add_co_ci_u32_e64 v42, null, v51, v35, vcc_lo
	v_min3_f16 v37, v37, v39, v40
	v_add_nc_u32_e32 v39, 24, v44
	s_and_b32 vcc_lo, exec_lo, s1
	v_cvt_f32_f16_e32 v37, v37
	v_ashrrev_i32_e32 v40, 31, v39
	v_min_f32_e32 v36, v36, v37
	v_cvt_f16_f32_e32 v45, v36
	v_lshlrev_b64 v[36:37], 1, v[39:40]
	global_store_short v[41:42], v45, off
	s_cbranch_vccnz .LBB271_19
; %bb.18:
	v_add_co_u32 v38, vcc_lo, v48, v36
	v_add_co_ci_u32_e64 v39, null, v49, v37, vcc_lo
	global_load_ushort v38, v[38:39], off
	s_waitcnt vmcnt(0)
	v_mul_f16_e32 v38, s17, v38
	v_cvt_f32_f16_e32 v38, v38
.LBB271_19:
	v_pk_add_f16 v39, v4, v46
	v_pk_add_f16 v40, v5, v47
	v_max_f16_e32 v41, v126, v126
	v_lshrrev_b32_e32 v42, 16, v126
	v_max_f32_e32 v38, v38, v38
	v_lshrrev_b32_e32 v43, 16, v39
	v_lshrrev_b32_e32 v45, 16, v40
	v_min_f16_e32 v39, v41, v39
	v_add_co_u32 v52, vcc_lo, v50, v36
	v_add_co_ci_u32_e64 v53, null, v51, v37, vcc_lo
	v_min3_f16 v41, v42, v43, v45
	s_and_b32 vcc_lo, exec_lo, s1
	v_min3_f16 v40, v39, v40, v41
	v_add_nc_u32_e32 v39, 32, v44
	v_cvt_f32_f16_e32 v41, v40
	v_ashrrev_i32_e32 v40, 31, v39
	v_min_f32_e32 v41, v38, v41
	v_lshlrev_b64 v[42:43], 1, v[39:40]
	v_mov_b32_e32 v38, 0
	v_mov_b32_e32 v39, 0
	v_cvt_f16_f32_e32 v41, v41
	global_store_short v[52:53], v41, off
	s_cbranch_vccnz .LBB271_21
; %bb.20:
	v_add_co_u32 v39, vcc_lo, v48, v42
	v_add_co_ci_u32_e64 v40, null, v49, v43, vcc_lo
	global_load_ushort v39, v[39:40], off
	s_waitcnt vmcnt(0)
	v_mul_f16_e32 v39, s17, v39
	v_cvt_f32_f16_e32 v39, v39
.LBB271_21:
	v_pk_add_f16 v40, v6, v46
	v_pk_add_f16 v41, v7, v47
	v_max_f16_e32 v45, v57, v57
	v_lshrrev_b32_e32 v52, 16, v57
	v_max_f32_e32 v39, v39, v39
	v_lshrrev_b32_e32 v53, 16, v40
	v_lshrrev_b32_e32 v54, 16, v41
	v_min_f16_e32 v40, v45, v40
	v_min3_f16 v45, v52, v53, v54
	v_add_co_u32 v52, vcc_lo, v50, v42
	v_add_co_ci_u32_e64 v53, null, v51, v43, vcc_lo
	v_min3_f16 v41, v40, v41, v45
	v_add_nc_u32_e32 v40, 40, v44
	s_and_b32 vcc_lo, exec_lo, s1
	v_cvt_f32_f16_e32 v45, v41
	v_ashrrev_i32_e32 v41, 31, v40
	v_min_f32_e32 v39, v39, v45
	v_lshlrev_b64 v[40:41], 1, v[40:41]
	v_cvt_f16_f32_e32 v39, v39
	global_store_short v[52:53], v39, off
	s_cbranch_vccnz .LBB271_23
; %bb.22:
	v_add_co_u32 v38, vcc_lo, v48, v40
	v_add_co_ci_u32_e64 v39, null, v49, v41, vcc_lo
	global_load_ushort v38, v[38:39], off
	s_waitcnt vmcnt(0)
	v_mul_f16_e32 v38, s17, v38
	v_cvt_f32_f16_e32 v38, v38
.LBB271_23:
	v_pk_add_f16 v39, v0, v46
	v_pk_add_f16 v45, v1, v47
	v_max_f16_e32 v52, v55, v55
	v_lshrrev_b32_e32 v53, 16, v55
	v_max_f32_e32 v38, v38, v38
	v_lshrrev_b32_e32 v54, 16, v39
	v_lshrrev_b32_e32 v55, 16, v45
	v_min_f16_e32 v39, v52, v39
	v_min3_f16 v52, v53, v54, v55
	v_add_nc_u32_e32 v53, 48, v44
	v_add_co_u32 v55, vcc_lo, v50, v40
	v_add_co_ci_u32_e64 v56, null, v51, v41, vcc_lo
	v_min3_f16 v39, v39, v45, v52
	v_ashrrev_i32_e32 v54, 31, v53
	v_mov_b32_e32 v52, 0
	v_mov_b32_e32 v45, 0
	s_and_b32 vcc_lo, exec_lo, s1
	v_cvt_f32_f16_e32 v39, v39
	v_min_f32_e32 v38, v38, v39
	v_cvt_f16_f32_e32 v57, v38
	v_lshlrev_b64 v[38:39], 1, v[53:54]
	global_store_short v[55:56], v57, off
	s_cbranch_vccnz .LBB271_25
; %bb.24:
	v_add_co_u32 v53, vcc_lo, v48, v38
	v_add_co_ci_u32_e64 v54, null, v49, v39, vcc_lo
	global_load_ushort v45, v[53:54], off
	s_waitcnt vmcnt(0)
	v_mul_f16_e32 v45, s17, v45
	v_cvt_f32_f16_e32 v45, v45
.LBB271_25:
	v_pk_add_f16 v53, v2, v46
	v_pk_add_f16 v54, v3, v47
	v_max_f16_e32 v55, v255, v255
	v_lshrrev_b32_e32 v56, 16, v255
	v_add_nc_u32_e32 v44, 56, v44
	v_lshrrev_b32_e32 v57, 16, v53
	v_lshrrev_b32_e32 v58, 16, v54
	v_min_f16_e32 v53, v55, v53
	v_min3_f16 v55, v56, v57, v58
	v_min3_f16 v53, v53, v54, v55
	v_max_f32_e32 v54, v45, v45
	v_ashrrev_i32_e32 v45, 31, v44
	v_cvt_f32_f16_e32 v53, v53
	v_lshlrev_b64 v[44:45], 1, v[44:45]
	v_min_f32_e32 v55, v54, v53
	v_add_co_u32 v53, vcc_lo, v50, v38
	v_add_co_ci_u32_e64 v54, null, v51, v39, vcc_lo
	v_cvt_f16_f32_e32 v55, v55
	s_and_b32 vcc_lo, exec_lo, s1
	global_store_short v[53:54], v55, off
	s_cbranch_vccnz .LBB271_27
; %bb.26:
	v_add_co_u32 v48, vcc_lo, v48, v44
	v_add_co_ci_u32_e64 v49, null, v49, v45, vcc_lo
	global_load_ushort v48, v[48:49], off
	s_waitcnt vmcnt(0)
	v_mul_f16_e32 v48, s17, v48
	v_cvt_f32_f16_e32 v52, v48
.LBB271_27:
	v_pk_add_f16 v46, v24, v46
	v_pk_add_f16 v49, v25, v47
	v_max_f16_e32 v47, v98, v98
	v_lshrrev_b32_e32 v53, 16, v98
	v_add_nc_u32_e32 v48, 32, v111
	v_lshrrev_b32_e32 v54, 16, v46
	v_lshrrev_b32_e32 v55, 16, v49
	v_min_f16_e32 v56, v47, v46
	v_mad_i64_i32 v[46:47], null, v48, s2, 0
	v_min3_f16 v53, v53, v54, v55
	v_max_f32_e32 v54, v52, v52
	v_add_co_u32 v52, vcc_lo, v50, v44
	v_mov_b32_e32 v50, 0
	v_min3_f16 v49, v56, v49, v53
	v_lshlrev_b64 v[46:47], 1, v[46:47]
	v_add_co_ci_u32_e64 v53, null, v51, v45, vcc_lo
	v_cvt_f32_f16_e32 v49, v49
	v_add_co_u32 v46, vcc_lo, s12, v46
	v_add_co_ci_u32_e64 v47, null, s13, v47, vcc_lo
	v_min_f32_e32 v49, v54, v49
	s_and_b32 vcc_lo, exec_lo, s1
	v_cvt_f16_f32_e32 v51, v49
	v_mov_b32_e32 v49, 0
	global_store_short v[52:53], v51, off
	s_cbranch_vccnz .LBB271_29
; %bb.28:
	v_add_co_u32 v51, vcc_lo, v46, v28
	v_add_co_ci_u32_e64 v52, null, v47, v29, vcc_lo
	global_load_ushort v49, v[51:52], off
	s_waitcnt vmcnt(0)
	v_mul_f16_e32 v49, s17, v49
	v_cvt_f32_f16_e32 v49, v49
.LBB271_29:
	v_pk_add_f16 v51, v30, v20
	v_pk_add_f16 v53, v31, v21
	v_max_f16_e32 v52, v249, v249
	v_lshrrev_b32_e32 v54, 16, v249
	v_lshrrev_b32_e32 v55, 16, v51
	v_lshrrev_b32_e32 v56, 16, v53
	v_min_f16_e32 v57, v52, v51
	v_mad_i64_i32 v[51:52], null, v48, s3, 0
	v_min3_f16 v54, v54, v55, v56
	v_min3_f16 v48, v57, v53, v54
	v_max_f32_e32 v53, v49, v49
	v_cvt_f32_f16_e32 v54, v48
	v_lshlrev_b64 v[48:49], 1, v[51:52]
	v_min_f32_e32 v51, v53, v54
	v_add_co_u32 v48, vcc_lo, s4, v48
	v_add_co_ci_u32_e64 v49, null, s5, v49, vcc_lo
	v_cvt_f16_f32_e32 v53, v51
	v_add_co_u32 v51, vcc_lo, v48, v28
	v_add_co_ci_u32_e64 v52, null, v49, v29, vcc_lo
	s_and_b32 vcc_lo, exec_lo, s1
	global_store_short v[51:52], v53, off
	s_cbranch_vccnz .LBB271_31
; %bb.30:
	v_add_co_u32 v50, vcc_lo, v46, v32
	v_add_co_ci_u32_e64 v51, null, v47, v33, vcc_lo
	global_load_ushort v50, v[50:51], off
	s_waitcnt vmcnt(0)
	v_mul_f16_e32 v50, s17, v50
	v_cvt_f32_f16_e32 v50, v50
.LBB271_31:
	v_pk_add_f16 v51, v8, v20
	v_pk_add_f16 v52, v9, v21
	v_max_f16_e32 v53, v247, v247
	v_lshrrev_b32_e32 v54, 16, v247
	v_max_f32_e32 v50, v50, v50
	v_lshrrev_b32_e32 v55, 16, v51
	v_lshrrev_b32_e32 v56, 16, v52
	v_min_f16_e32 v51, v53, v51
	v_min3_f16 v53, v54, v55, v56
	v_min3_f16 v51, v51, v52, v53
	v_add_co_u32 v52, vcc_lo, v48, v32
	v_add_co_ci_u32_e64 v53, null, v49, v33, vcc_lo
	v_cvt_f32_f16_e32 v51, v51
	s_and_b32 vcc_lo, exec_lo, s1
	v_min_f32_e32 v50, v50, v51
	v_mov_b32_e32 v51, 0
	v_cvt_f16_f32_e32 v54, v50
	v_mov_b32_e32 v50, 0
	global_store_short v[52:53], v54, off
	s_cbranch_vccnz .LBB271_33
; %bb.32:
	v_add_co_u32 v51, vcc_lo, v46, v34
	v_add_co_ci_u32_e64 v52, null, v47, v35, vcc_lo
	global_load_ushort v51, v[51:52], off
	s_waitcnt vmcnt(0)
	v_mul_f16_e32 v51, s17, v51
	v_cvt_f32_f16_e32 v51, v51
.LBB271_33:
	v_pk_add_f16 v52, v10, v20
	v_pk_add_f16 v53, v11, v21
	v_max_f16_e32 v54, v245, v245
	v_lshrrev_b32_e32 v55, 16, v245
	v_max_f32_e32 v51, v51, v51
	v_lshrrev_b32_e32 v56, 16, v52
	v_lshrrev_b32_e32 v57, 16, v53
	v_min_f16_e32 v52, v54, v52
	v_min3_f16 v54, v55, v56, v57
	v_min3_f16 v52, v52, v53, v54
	v_cvt_f32_f16_e32 v52, v52
	v_min_f32_e32 v51, v51, v52
	v_cvt_f16_f32_e32 v53, v51
	v_add_co_u32 v51, vcc_lo, v48, v34
	v_add_co_ci_u32_e64 v52, null, v49, v35, vcc_lo
	s_and_b32 vcc_lo, exec_lo, s1
	global_store_short v[51:52], v53, off
	s_cbranch_vccnz .LBB271_35
; %bb.34:
	v_add_co_u32 v50, vcc_lo, v46, v36
	v_add_co_ci_u32_e64 v51, null, v47, v37, vcc_lo
	global_load_ushort v50, v[50:51], off
	s_waitcnt vmcnt(0)
	v_mul_f16_e32 v50, s17, v50
	v_cvt_f32_f16_e32 v50, v50
.LBB271_35:
	v_pk_add_f16 v51, v4, v20
	v_pk_add_f16 v52, v5, v21
	v_max_f16_e32 v53, v125, v125
	v_lshrrev_b32_e32 v54, 16, v125
	v_max_f32_e32 v50, v50, v50
	v_lshrrev_b32_e32 v55, 16, v51
	v_lshrrev_b32_e32 v56, 16, v52
	v_min_f16_e32 v51, v53, v51
	v_min3_f16 v53, v54, v55, v56
	v_min3_f16 v51, v51, v52, v53
	v_add_co_u32 v52, vcc_lo, v48, v36
	v_add_co_ci_u32_e64 v53, null, v49, v37, vcc_lo
	v_cvt_f32_f16_e32 v51, v51
	s_and_b32 vcc_lo, exec_lo, s1
	v_min_f32_e32 v50, v50, v51
	v_mov_b32_e32 v51, 0
	v_cvt_f16_f32_e32 v54, v50
	v_mov_b32_e32 v50, 0
	global_store_short v[52:53], v54, off
	s_cbranch_vccnz .LBB271_37
; %bb.36:
	v_add_co_u32 v51, vcc_lo, v46, v42
	v_add_co_ci_u32_e64 v52, null, v47, v43, vcc_lo
	global_load_ushort v51, v[51:52], off
	s_waitcnt vmcnt(0)
	v_mul_f16_e32 v51, s17, v51
	v_cvt_f32_f16_e32 v51, v51
.LBB271_37:
	v_pk_add_f16 v52, v6, v20
	v_pk_add_f16 v53, v7, v21
	v_max_f16_e32 v54, v241, v241
	v_lshrrev_b32_e32 v55, 16, v241
	v_max_f32_e32 v51, v51, v51
	v_lshrrev_b32_e32 v56, 16, v52
	v_lshrrev_b32_e32 v57, 16, v53
	v_min_f16_e32 v52, v54, v52
	v_min3_f16 v54, v55, v56, v57
	v_min3_f16 v52, v52, v53, v54
	v_cvt_f32_f16_e32 v52, v52
	v_min_f32_e32 v51, v51, v52
	;; [unrolled: 54-line block ×3, first 2 shown]
	v_cvt_f16_f32_e32 v53, v51
	v_add_co_u32 v51, vcc_lo, v48, v38
	v_add_co_ci_u32_e64 v52, null, v49, v39, vcc_lo
	s_and_b32 vcc_lo, exec_lo, s1
	global_store_short v[51:52], v53, off
	s_cbranch_vccnz .LBB271_43
; %bb.42:
	v_add_co_u32 v46, vcc_lo, v46, v44
	v_add_co_ci_u32_e64 v47, null, v47, v45, vcc_lo
	global_load_ushort v46, v[46:47], off
	s_waitcnt vmcnt(0)
	v_mul_f16_e32 v46, s17, v46
	v_cvt_f32_f16_e32 v50, v46
.LBB271_43:
	v_pk_add_f16 v20, v24, v20
	v_pk_add_f16 v47, v25, v21
	v_max_f16_e32 v21, v232, v232
	v_lshrrev_b32_e32 v51, 16, v232
	v_add_nc_u32_e32 v46, 64, v111
	v_lshrrev_b32_e32 v52, 16, v20
	v_lshrrev_b32_e32 v53, 16, v47
	v_min_f16_e32 v54, v21, v20
	v_mad_i64_i32 v[20:21], null, v46, s2, 0
	v_min3_f16 v51, v51, v52, v53
	v_max_f32_e32 v52, v50, v50
	v_add_co_u32 v50, vcc_lo, v48, v44
	v_mov_b32_e32 v48, 0
	v_min3_f16 v47, v54, v47, v51
	v_lshlrev_b64 v[20:21], 1, v[20:21]
	v_add_co_ci_u32_e64 v51, null, v49, v45, vcc_lo
	v_cvt_f32_f16_e32 v47, v47
	v_add_co_u32 v20, vcc_lo, s12, v20
	v_add_co_ci_u32_e64 v21, null, s13, v21, vcc_lo
	v_min_f32_e32 v47, v52, v47
	s_and_b32 vcc_lo, exec_lo, s1
	v_cvt_f16_f32_e32 v49, v47
	v_mov_b32_e32 v47, 0
	global_store_short v[50:51], v49, off
	s_cbranch_vccnz .LBB271_45
; %bb.44:
	v_add_co_u32 v49, vcc_lo, v20, v28
	v_add_co_ci_u32_e64 v50, null, v21, v29, vcc_lo
	global_load_ushort v47, v[49:50], off
	s_waitcnt vmcnt(0)
	v_mul_f16_e32 v47, s17, v47
	v_cvt_f32_f16_e32 v47, v47
.LBB271_45:
	v_pk_add_f16 v49, v30, v22
	v_pk_add_f16 v51, v31, v23
	v_max_f16_e32 v50, v229, v229
	v_lshrrev_b32_e32 v52, 16, v229
	v_lshrrev_b32_e32 v53, 16, v49
	;; [unrolled: 1-line block ×3, first 2 shown]
	v_min_f16_e32 v55, v50, v49
	v_mad_i64_i32 v[49:50], null, v46, s3, 0
	v_min3_f16 v52, v52, v53, v54
	v_min3_f16 v46, v55, v51, v52
	v_max_f32_e32 v51, v47, v47
	v_cvt_f32_f16_e32 v52, v46
	v_lshlrev_b64 v[46:47], 1, v[49:50]
	v_min_f32_e32 v49, v51, v52
	v_add_co_u32 v46, vcc_lo, s4, v46
	v_add_co_ci_u32_e64 v47, null, s5, v47, vcc_lo
	v_cvt_f16_f32_e32 v51, v49
	v_add_co_u32 v49, vcc_lo, v46, v28
	v_add_co_ci_u32_e64 v50, null, v47, v29, vcc_lo
	s_and_b32 vcc_lo, exec_lo, s1
	global_store_short v[49:50], v51, off
	s_cbranch_vccnz .LBB271_47
; %bb.46:
	v_add_co_u32 v48, vcc_lo, v20, v32
	v_add_co_ci_u32_e64 v49, null, v21, v33, vcc_lo
	global_load_ushort v48, v[48:49], off
	s_waitcnt vmcnt(0)
	v_mul_f16_e32 v48, s17, v48
	v_cvt_f32_f16_e32 v48, v48
.LBB271_47:
	v_pk_add_f16 v49, v8, v22
	v_pk_add_f16 v50, v9, v23
	v_max_f16_e32 v51, v226, v226
	v_lshrrev_b32_e32 v52, 16, v226
	v_max_f32_e32 v48, v48, v48
	v_lshrrev_b32_e32 v53, 16, v49
	v_lshrrev_b32_e32 v54, 16, v50
	v_min_f16_e32 v49, v51, v49
	v_min3_f16 v51, v52, v53, v54
	v_min3_f16 v49, v49, v50, v51
	v_add_co_u32 v50, vcc_lo, v46, v32
	v_add_co_ci_u32_e64 v51, null, v47, v33, vcc_lo
	v_cvt_f32_f16_e32 v49, v49
	s_and_b32 vcc_lo, exec_lo, s1
	v_min_f32_e32 v48, v48, v49
	v_mov_b32_e32 v49, 0
	v_cvt_f16_f32_e32 v52, v48
	v_mov_b32_e32 v48, 0
	global_store_short v[50:51], v52, off
	s_cbranch_vccnz .LBB271_49
; %bb.48:
	v_add_co_u32 v49, vcc_lo, v20, v34
	v_add_co_ci_u32_e64 v50, null, v21, v35, vcc_lo
	global_load_ushort v49, v[49:50], off
	s_waitcnt vmcnt(0)
	v_mul_f16_e32 v49, s17, v49
	v_cvt_f32_f16_e32 v49, v49
.LBB271_49:
	v_pk_add_f16 v50, v10, v22
	v_pk_add_f16 v51, v11, v23
	v_max_f16_e32 v52, v223, v223
	v_lshrrev_b32_e32 v53, 16, v223
	v_max_f32_e32 v49, v49, v49
	v_lshrrev_b32_e32 v54, 16, v50
	v_lshrrev_b32_e32 v55, 16, v51
	v_min_f16_e32 v50, v52, v50
	v_min3_f16 v52, v53, v54, v55
	v_min3_f16 v50, v50, v51, v52
	v_cvt_f32_f16_e32 v50, v50
	v_min_f32_e32 v49, v49, v50
	v_cvt_f16_f32_e32 v51, v49
	v_add_co_u32 v49, vcc_lo, v46, v34
	v_add_co_ci_u32_e64 v50, null, v47, v35, vcc_lo
	s_and_b32 vcc_lo, exec_lo, s1
	global_store_short v[49:50], v51, off
	s_cbranch_vccnz .LBB271_51
; %bb.50:
	v_add_co_u32 v48, vcc_lo, v20, v36
	v_add_co_ci_u32_e64 v49, null, v21, v37, vcc_lo
	global_load_ushort v48, v[48:49], off
	s_waitcnt vmcnt(0)
	v_mul_f16_e32 v48, s17, v48
	v_cvt_f32_f16_e32 v48, v48
.LBB271_51:
	v_pk_add_f16 v49, v4, v22
	v_pk_add_f16 v50, v5, v23
	v_max_f16_e32 v51, v109, v109
	v_lshrrev_b32_e32 v52, 16, v109
	v_max_f32_e32 v48, v48, v48
	v_lshrrev_b32_e32 v53, 16, v49
	v_lshrrev_b32_e32 v54, 16, v50
	v_min_f16_e32 v49, v51, v49
	v_min3_f16 v51, v52, v53, v54
	v_min3_f16 v49, v49, v50, v51
	v_add_co_u32 v50, vcc_lo, v46, v36
	v_add_co_ci_u32_e64 v51, null, v47, v37, vcc_lo
	v_cvt_f32_f16_e32 v49, v49
	s_and_b32 vcc_lo, exec_lo, s1
	v_min_f32_e32 v48, v48, v49
	v_mov_b32_e32 v49, 0
	v_cvt_f16_f32_e32 v52, v48
	v_mov_b32_e32 v48, 0
	global_store_short v[50:51], v52, off
	s_cbranch_vccnz .LBB271_53
; %bb.52:
	v_add_co_u32 v49, vcc_lo, v20, v42
	v_add_co_ci_u32_e64 v50, null, v21, v43, vcc_lo
	global_load_ushort v49, v[49:50], off
	s_waitcnt vmcnt(0)
	v_mul_f16_e32 v49, s17, v49
	v_cvt_f32_f16_e32 v49, v49
.LBB271_53:
	v_pk_add_f16 v50, v6, v22
	v_pk_add_f16 v51, v7, v23
	v_max_f16_e32 v52, v108, v108
	v_lshrrev_b32_e32 v53, 16, v108
	v_max_f32_e32 v49, v49, v49
	v_lshrrev_b32_e32 v54, 16, v50
	v_lshrrev_b32_e32 v55, 16, v51
	v_min_f16_e32 v50, v52, v50
	v_min3_f16 v52, v53, v54, v55
	v_min3_f16 v50, v50, v51, v52
	v_cvt_f32_f16_e32 v50, v50
	v_min_f32_e32 v49, v49, v50
	;; [unrolled: 54-line block ×3, first 2 shown]
	v_cvt_f16_f32_e32 v51, v49
	v_add_co_u32 v49, vcc_lo, v46, v38
	v_add_co_ci_u32_e64 v50, null, v47, v39, vcc_lo
	s_and_b32 vcc_lo, exec_lo, s1
	global_store_short v[49:50], v51, off
	s_cbranch_vccnz .LBB271_59
; %bb.58:
	v_add_co_u32 v20, vcc_lo, v20, v44
	v_add_co_ci_u32_e64 v21, null, v21, v45, vcc_lo
	global_load_ushort v20, v[20:21], off
	s_waitcnt vmcnt(0)
	v_mul_f16_e32 v20, s17, v20
	v_cvt_f32_f16_e32 v48, v20
.LBB271_59:
	v_pk_add_f16 v20, v24, v22
	v_pk_add_f16 v23, v25, v23
	v_max_f16_e32 v21, v77, v77
	v_lshrrev_b32_e32 v49, 16, v77
	v_add_nc_u32_e32 v22, 0x60, v111
	v_lshrrev_b32_e32 v50, 16, v20
	v_lshrrev_b32_e32 v51, 16, v23
	v_min_f16_e32 v52, v21, v20
	v_mad_i64_i32 v[20:21], null, v22, s2, 0
	v_min3_f16 v49, v49, v50, v51
	v_max_f32_e32 v50, v48, v48
	v_add_co_u32 v48, vcc_lo, v46, v44
	v_mov_b32_e32 v46, 0
	v_min3_f16 v23, v52, v23, v49
	v_lshlrev_b64 v[20:21], 1, v[20:21]
	v_add_co_ci_u32_e64 v49, null, v47, v45, vcc_lo
	v_cvt_f32_f16_e32 v23, v23
	v_add_co_u32 v20, vcc_lo, s12, v20
	v_add_co_ci_u32_e64 v21, null, s13, v21, vcc_lo
	v_min_f32_e32 v23, v50, v23
	s_and_b32 vcc_lo, exec_lo, s1
	v_cvt_f16_f32_e32 v47, v23
	v_mov_b32_e32 v23, 0
	global_store_short v[48:49], v47, off
	s_cbranch_vccnz .LBB271_61
; %bb.60:
	v_add_co_u32 v47, vcc_lo, v20, v28
	v_add_co_ci_u32_e64 v48, null, v21, v29, vcc_lo
	global_load_ushort v23, v[47:48], off
	s_waitcnt vmcnt(0)
	v_mul_f16_e32 v23, s17, v23
	v_cvt_f32_f16_e32 v23, v23
.LBB271_61:
	v_pk_add_f16 v47, v30, v16
	v_pk_add_f16 v49, v31, v17
	v_max_f16_e32 v48, v203, v203
	v_lshrrev_b32_e32 v50, 16, v203
	v_lshrrev_b32_e32 v51, 16, v47
	;; [unrolled: 1-line block ×3, first 2 shown]
	v_min_f16_e32 v53, v48, v47
	v_mad_i64_i32 v[47:48], null, v22, s3, 0
	v_min3_f16 v50, v50, v51, v52
	v_min3_f16 v22, v53, v49, v50
	v_max_f32_e32 v49, v23, v23
	v_cvt_f32_f16_e32 v50, v22
	v_lshlrev_b64 v[22:23], 1, v[47:48]
	v_min_f32_e32 v47, v49, v50
	v_add_co_u32 v22, vcc_lo, s4, v22
	v_add_co_ci_u32_e64 v23, null, s5, v23, vcc_lo
	v_cvt_f16_f32_e32 v49, v47
	v_add_co_u32 v47, vcc_lo, v22, v28
	v_add_co_ci_u32_e64 v48, null, v23, v29, vcc_lo
	s_and_b32 vcc_lo, exec_lo, s1
	global_store_short v[47:48], v49, off
	s_cbranch_vccnz .LBB271_63
; %bb.62:
	v_add_co_u32 v46, vcc_lo, v20, v32
	v_add_co_ci_u32_e64 v47, null, v21, v33, vcc_lo
	global_load_ushort v46, v[46:47], off
	s_waitcnt vmcnt(0)
	v_mul_f16_e32 v46, s17, v46
	v_cvt_f32_f16_e32 v46, v46
.LBB271_63:
	v_pk_add_f16 v47, v8, v16
	v_pk_add_f16 v48, v9, v17
	v_max_f16_e32 v49, v106, v106
	v_lshrrev_b32_e32 v50, 16, v106
	v_max_f32_e32 v46, v46, v46
	v_lshrrev_b32_e32 v51, 16, v47
	v_lshrrev_b32_e32 v52, 16, v48
	v_min_f16_e32 v47, v49, v47
	v_min3_f16 v49, v50, v51, v52
	v_min3_f16 v47, v47, v48, v49
	v_add_co_u32 v48, vcc_lo, v22, v32
	v_add_co_ci_u32_e64 v49, null, v23, v33, vcc_lo
	v_cvt_f32_f16_e32 v47, v47
	s_and_b32 vcc_lo, exec_lo, s1
	v_min_f32_e32 v46, v46, v47
	v_mov_b32_e32 v47, 0
	v_cvt_f16_f32_e32 v50, v46
	v_mov_b32_e32 v46, 0
	global_store_short v[48:49], v50, off
	s_cbranch_vccnz .LBB271_65
; %bb.64:
	v_add_co_u32 v47, vcc_lo, v20, v34
	v_add_co_ci_u32_e64 v48, null, v21, v35, vcc_lo
	global_load_ushort v47, v[47:48], off
	s_waitcnt vmcnt(0)
	v_mul_f16_e32 v47, s17, v47
	v_cvt_f32_f16_e32 v47, v47
.LBB271_65:
	v_pk_add_f16 v48, v10, v16
	v_pk_add_f16 v49, v11, v17
	v_max_f16_e32 v50, v197, v197
	v_lshrrev_b32_e32 v51, 16, v197
	v_max_f32_e32 v47, v47, v47
	v_lshrrev_b32_e32 v52, 16, v48
	v_lshrrev_b32_e32 v53, 16, v49
	v_min_f16_e32 v48, v50, v48
	v_min3_f16 v50, v51, v52, v53
	v_min3_f16 v48, v48, v49, v50
	v_cvt_f32_f16_e32 v48, v48
	v_min_f32_e32 v47, v47, v48
	v_cvt_f16_f32_e32 v49, v47
	v_add_co_u32 v47, vcc_lo, v22, v34
	v_add_co_ci_u32_e64 v48, null, v23, v35, vcc_lo
	s_and_b32 vcc_lo, exec_lo, s1
	global_store_short v[47:48], v49, off
	s_cbranch_vccnz .LBB271_67
; %bb.66:
	v_add_co_u32 v46, vcc_lo, v20, v36
	v_add_co_ci_u32_e64 v47, null, v21, v37, vcc_lo
	global_load_ushort v46, v[46:47], off
	s_waitcnt vmcnt(0)
	v_mul_f16_e32 v46, s17, v46
	v_cvt_f32_f16_e32 v46, v46
.LBB271_67:
	v_pk_add_f16 v47, v4, v16
	v_pk_add_f16 v48, v5, v17
	v_max_f16_e32 v49, v105, v105
	v_lshrrev_b32_e32 v50, 16, v105
	v_max_f32_e32 v46, v46, v46
	v_lshrrev_b32_e32 v51, 16, v47
	v_lshrrev_b32_e32 v52, 16, v48
	v_min_f16_e32 v47, v49, v47
	v_min3_f16 v49, v50, v51, v52
	v_min3_f16 v47, v47, v48, v49
	v_add_co_u32 v48, vcc_lo, v22, v36
	v_add_co_ci_u32_e64 v49, null, v23, v37, vcc_lo
	v_cvt_f32_f16_e32 v47, v47
	s_and_b32 vcc_lo, exec_lo, s1
	v_min_f32_e32 v46, v46, v47
	v_mov_b32_e32 v47, 0
	v_cvt_f16_f32_e32 v50, v46
	v_mov_b32_e32 v46, 0
	global_store_short v[48:49], v50, off
	s_cbranch_vccnz .LBB271_69
; %bb.68:
	v_add_co_u32 v47, vcc_lo, v20, v42
	v_add_co_ci_u32_e64 v48, null, v21, v43, vcc_lo
	global_load_ushort v47, v[47:48], off
	s_waitcnt vmcnt(0)
	v_mul_f16_e32 v47, s17, v47
	v_cvt_f32_f16_e32 v47, v47
.LBB271_69:
	v_pk_add_f16 v48, v6, v16
	v_pk_add_f16 v49, v7, v17
	v_max_f16_e32 v50, v191, v191
	v_lshrrev_b32_e32 v51, 16, v191
	v_max_f32_e32 v47, v47, v47
	v_lshrrev_b32_e32 v52, 16, v48
	v_lshrrev_b32_e32 v53, 16, v49
	v_min_f16_e32 v48, v50, v48
	v_min3_f16 v50, v51, v52, v53
	v_min3_f16 v48, v48, v49, v50
	v_cvt_f32_f16_e32 v48, v48
	v_min_f32_e32 v47, v47, v48
	;; [unrolled: 54-line block ×3, first 2 shown]
	v_cvt_f16_f32_e32 v49, v47
	v_add_co_u32 v47, vcc_lo, v22, v38
	v_add_co_ci_u32_e64 v48, null, v23, v39, vcc_lo
	s_and_b32 vcc_lo, exec_lo, s1
	global_store_short v[47:48], v49, off
	s_cbranch_vccnz .LBB271_75
; %bb.74:
	v_add_co_u32 v20, vcc_lo, v20, v44
	v_add_co_ci_u32_e64 v21, null, v21, v45, vcc_lo
	global_load_ushort v20, v[20:21], off
	s_waitcnt vmcnt(0)
	v_mul_f16_e32 v20, s17, v20
	v_cvt_f32_f16_e32 v46, v20
.LBB271_75:
	v_pk_add_f16 v16, v24, v16
	v_pk_add_f16 v21, v25, v17
	v_max_f16_e32 v17, v103, v103
	v_lshrrev_b32_e32 v47, 16, v103
	v_add_nc_u32_e32 v20, 0x80, v111
	v_lshrrev_b32_e32 v48, 16, v16
	v_lshrrev_b32_e32 v49, 16, v21
	v_min_f16_e32 v50, v17, v16
	v_mad_i64_i32 v[16:17], null, v20, s2, 0
	v_min3_f16 v47, v47, v48, v49
	v_max_f32_e32 v48, v46, v46
	v_add_co_u32 v46, vcc_lo, v22, v44
	v_mov_b32_e32 v22, 0
	v_min3_f16 v21, v50, v21, v47
	v_lshlrev_b64 v[16:17], 1, v[16:17]
	v_add_co_ci_u32_e64 v47, null, v23, v45, vcc_lo
	v_cvt_f32_f16_e32 v21, v21
	v_add_co_u32 v16, vcc_lo, s12, v16
	v_add_co_ci_u32_e64 v17, null, s13, v17, vcc_lo
	v_min_f32_e32 v21, v48, v21
	s_and_b32 vcc_lo, exec_lo, s1
	v_cvt_f16_f32_e32 v23, v21
	v_mov_b32_e32 v21, 0
	global_store_short v[46:47], v23, off
	s_cbranch_vccnz .LBB271_77
; %bb.76:
	v_add_co_u32 v46, vcc_lo, v16, v28
	v_add_co_ci_u32_e64 v47, null, v17, v29, vcc_lo
	global_load_ushort v21, v[46:47], off
	s_waitcnt vmcnt(0)
	v_mul_f16_e32 v21, s17, v21
	v_cvt_f32_f16_e32 v21, v21
.LBB271_77:
	v_pk_add_f16 v23, v30, v18
	v_pk_add_f16 v48, v31, v19
	v_max_f16_e32 v46, v102, v102
	v_lshrrev_b32_e32 v47, 16, v102
	v_lshrrev_b32_e32 v49, 16, v23
	;; [unrolled: 1-line block ×3, first 2 shown]
	v_min_f16_e32 v23, v46, v23
	v_min3_f16 v49, v47, v49, v50
	v_mad_i64_i32 v[46:47], null, v20, s3, 0
	v_min3_f16 v20, v23, v48, v49
	v_max_f32_e32 v23, v21, v21
	v_cvt_f32_f16_e32 v48, v20
	v_lshlrev_b64 v[20:21], 1, v[46:47]
	v_min_f32_e32 v23, v23, v48
	v_add_co_u32 v20, vcc_lo, s4, v20
	v_add_co_ci_u32_e64 v21, null, s5, v21, vcc_lo
	v_cvt_f16_f32_e32 v23, v23
	v_add_co_u32 v46, vcc_lo, v20, v28
	v_add_co_ci_u32_e64 v47, null, v21, v29, vcc_lo
	s_and_b32 vcc_lo, exec_lo, s1
	global_store_short v[46:47], v23, off
	s_cbranch_vccnz .LBB271_79
; %bb.78:
	v_add_co_u32 v22, vcc_lo, v16, v32
	v_add_co_ci_u32_e64 v23, null, v17, v33, vcc_lo
	global_load_ushort v22, v[22:23], off
	s_waitcnt vmcnt(0)
	v_mul_f16_e32 v22, s17, v22
	v_cvt_f32_f16_e32 v22, v22
.LBB271_79:
	v_pk_add_f16 v23, v8, v18
	v_pk_add_f16 v46, v9, v19
	v_max_f16_e32 v47, v101, v101
	v_lshrrev_b32_e32 v48, 16, v101
	v_max_f32_e32 v22, v22, v22
	v_lshrrev_b32_e32 v49, 16, v23
	v_lshrrev_b32_e32 v50, 16, v46
	v_min_f16_e32 v23, v47, v23
	v_min3_f16 v47, v48, v49, v50
	v_min3_f16 v23, v23, v46, v47
	v_add_co_u32 v46, vcc_lo, v20, v32
	v_add_co_ci_u32_e64 v47, null, v21, v33, vcc_lo
	v_cvt_f32_f16_e32 v23, v23
	s_and_b32 vcc_lo, exec_lo, s1
	v_min_f32_e32 v22, v22, v23
	v_mov_b32_e32 v23, 0
	v_cvt_f16_f32_e32 v48, v22
	v_mov_b32_e32 v22, 0
	global_store_short v[46:47], v48, off
	s_cbranch_vccnz .LBB271_81
; %bb.80:
	v_add_co_u32 v46, vcc_lo, v16, v34
	v_add_co_ci_u32_e64 v47, null, v17, v35, vcc_lo
	global_load_ushort v23, v[46:47], off
	s_waitcnt vmcnt(0)
	v_mul_f16_e32 v23, s17, v23
	v_cvt_f32_f16_e32 v23, v23
.LBB271_81:
	v_pk_add_f16 v46, v10, v18
	v_pk_add_f16 v47, v11, v19
	v_max_f16_e32 v48, v177, v177
	v_lshrrev_b32_e32 v49, 16, v177
	v_max_f32_e32 v23, v23, v23
	v_lshrrev_b32_e32 v50, 16, v46
	v_lshrrev_b32_e32 v51, 16, v47
	v_min_f16_e32 v46, v48, v46
	v_min3_f16 v48, v49, v50, v51
	v_min3_f16 v46, v46, v47, v48
	v_cvt_f32_f16_e32 v46, v46
	v_min_f32_e32 v23, v23, v46
	v_add_co_u32 v46, vcc_lo, v20, v34
	v_add_co_ci_u32_e64 v47, null, v21, v35, vcc_lo
	v_cvt_f16_f32_e32 v23, v23
	s_and_b32 vcc_lo, exec_lo, s1
	global_store_short v[46:47], v23, off
	s_cbranch_vccnz .LBB271_83
; %bb.82:
	v_add_co_u32 v22, vcc_lo, v16, v36
	v_add_co_ci_u32_e64 v23, null, v17, v37, vcc_lo
	global_load_ushort v22, v[22:23], off
	s_waitcnt vmcnt(0)
	v_mul_f16_e32 v22, s17, v22
	v_cvt_f32_f16_e32 v22, v22
.LBB271_83:
	v_pk_add_f16 v23, v4, v18
	v_pk_add_f16 v46, v5, v19
	v_max_f16_e32 v47, v100, v100
	v_lshrrev_b32_e32 v48, 16, v100
	v_max_f32_e32 v22, v22, v22
	v_lshrrev_b32_e32 v49, 16, v23
	v_lshrrev_b32_e32 v50, 16, v46
	v_min_f16_e32 v23, v47, v23
	v_min3_f16 v47, v48, v49, v50
	v_min3_f16 v23, v23, v46, v47
	v_add_co_u32 v46, vcc_lo, v20, v36
	v_add_co_ci_u32_e64 v47, null, v21, v37, vcc_lo
	v_cvt_f32_f16_e32 v23, v23
	s_and_b32 vcc_lo, exec_lo, s1
	v_min_f32_e32 v22, v22, v23
	v_mov_b32_e32 v23, 0
	v_cvt_f16_f32_e32 v48, v22
	v_mov_b32_e32 v22, 0
	global_store_short v[46:47], v48, off
	s_cbranch_vccnz .LBB271_85
; %bb.84:
	v_add_co_u32 v46, vcc_lo, v16, v42
	v_add_co_ci_u32_e64 v47, null, v17, v43, vcc_lo
	global_load_ushort v23, v[46:47], off
	s_waitcnt vmcnt(0)
	v_mul_f16_e32 v23, s17, v23
	v_cvt_f32_f16_e32 v23, v23
.LBB271_85:
	v_pk_add_f16 v46, v6, v18
	v_pk_add_f16 v47, v7, v19
	v_max_f16_e32 v48, v138, v138
	v_lshrrev_b32_e32 v49, 16, v138
	v_max_f32_e32 v23, v23, v23
	v_lshrrev_b32_e32 v50, 16, v46
	v_lshrrev_b32_e32 v51, 16, v47
	v_min_f16_e32 v46, v48, v46
	v_min3_f16 v48, v49, v50, v51
	v_min3_f16 v46, v46, v47, v48
	v_cvt_f32_f16_e32 v46, v46
	v_min_f32_e32 v23, v23, v46
	v_add_co_u32 v46, vcc_lo, v20, v42
	v_add_co_ci_u32_e64 v47, null, v21, v43, vcc_lo
	v_cvt_f16_f32_e32 v23, v23
	;; [unrolled: 54-line block ×3, first 2 shown]
	s_and_b32 vcc_lo, exec_lo, s1
	global_store_short v[46:47], v23, off
	s_cbranch_vccnz .LBB271_91
; %bb.90:
	v_add_co_u32 v16, vcc_lo, v16, v44
	v_add_co_ci_u32_e64 v17, null, v17, v45, vcc_lo
	global_load_ushort v16, v[16:17], off
	s_waitcnt vmcnt(0)
	v_mul_f16_e32 v16, s17, v16
	v_cvt_f32_f16_e32 v22, v16
.LBB271_91:
	v_pk_add_f16 v16, v24, v18
	v_pk_add_f16 v19, v25, v19
	v_max_f16_e32 v17, v163, v163
	v_lshrrev_b32_e32 v23, 16, v163
	v_add_nc_u32_e32 v18, 0xa0, v111
	v_lshrrev_b32_e32 v46, 16, v16
	v_lshrrev_b32_e32 v47, 16, v19
	v_min_f16_e32 v48, v17, v16
	v_mad_i64_i32 v[16:17], null, v18, s2, 0
	v_min3_f16 v23, v23, v46, v47
	v_max_f32_e32 v46, v22, v22
	v_add_co_u32 v22, vcc_lo, v20, v44
	v_mov_b32_e32 v20, 0
	v_min3_f16 v19, v48, v19, v23
	v_lshlrev_b64 v[16:17], 1, v[16:17]
	v_add_co_ci_u32_e64 v23, null, v21, v45, vcc_lo
	v_cvt_f32_f16_e32 v19, v19
	v_add_co_u32 v16, vcc_lo, s12, v16
	v_add_co_ci_u32_e64 v17, null, s13, v17, vcc_lo
	v_min_f32_e32 v19, v46, v19
	s_and_b32 vcc_lo, exec_lo, s1
	v_cvt_f16_f32_e32 v21, v19
	v_mov_b32_e32 v19, 0
	global_store_short v[22:23], v21, off
	s_cbranch_vccnz .LBB271_93
; %bb.92:
	v_add_co_u32 v21, vcc_lo, v16, v28
	v_add_co_ci_u32_e64 v22, null, v17, v29, vcc_lo
	global_load_ushort v19, v[21:22], off
	s_waitcnt vmcnt(0)
	v_mul_f16_e32 v19, s17, v19
	v_cvt_f32_f16_e32 v19, v19
.LBB271_93:
	v_pk_add_f16 v21, v30, v12
	v_pk_add_f16 v23, v31, v13
	v_max_f16_e32 v22, v97, v97
	v_lshrrev_b32_e32 v46, 16, v97
	v_lshrrev_b32_e32 v47, 16, v21
	;; [unrolled: 1-line block ×3, first 2 shown]
	v_min_f16_e32 v49, v22, v21
	v_mad_i64_i32 v[21:22], null, v18, s3, 0
	v_min3_f16 v46, v46, v47, v48
	v_min3_f16 v18, v49, v23, v46
	v_max_f32_e32 v23, v19, v19
	v_cvt_f32_f16_e32 v46, v18
	v_lshlrev_b64 v[18:19], 1, v[21:22]
	v_min_f32_e32 v21, v23, v46
	v_add_co_u32 v18, vcc_lo, s4, v18
	v_add_co_ci_u32_e64 v19, null, s5, v19, vcc_lo
	v_cvt_f16_f32_e32 v23, v21
	v_add_co_u32 v21, vcc_lo, v18, v28
	v_add_co_ci_u32_e64 v22, null, v19, v29, vcc_lo
	s_and_b32 vcc_lo, exec_lo, s1
	global_store_short v[21:22], v23, off
	s_cbranch_vccnz .LBB271_95
; %bb.94:
	v_add_co_u32 v20, vcc_lo, v16, v32
	v_add_co_ci_u32_e64 v21, null, v17, v33, vcc_lo
	global_load_ushort v20, v[20:21], off
	s_waitcnt vmcnt(0)
	v_mul_f16_e32 v20, s17, v20
	v_cvt_f32_f16_e32 v20, v20
.LBB271_95:
	v_pk_add_f16 v21, v8, v12
	v_pk_add_f16 v22, v9, v13
	v_max_f16_e32 v23, v124, v124
	v_lshrrev_b32_e32 v46, 16, v124
	v_max_f32_e32 v20, v20, v20
	v_lshrrev_b32_e32 v47, 16, v21
	v_lshrrev_b32_e32 v48, 16, v22
	v_min_f16_e32 v21, v23, v21
	v_min3_f16 v23, v46, v47, v48
	v_min3_f16 v21, v21, v22, v23
	v_add_co_u32 v22, vcc_lo, v18, v32
	v_add_co_ci_u32_e64 v23, null, v19, v33, vcc_lo
	v_cvt_f32_f16_e32 v21, v21
	s_and_b32 vcc_lo, exec_lo, s1
	v_min_f32_e32 v20, v20, v21
	v_mov_b32_e32 v21, 0
	v_cvt_f16_f32_e32 v46, v20
	v_mov_b32_e32 v20, 0
	global_store_short v[22:23], v46, off
	s_cbranch_vccnz .LBB271_97
; %bb.96:
	v_add_co_u32 v21, vcc_lo, v16, v34
	v_add_co_ci_u32_e64 v22, null, v17, v35, vcc_lo
	global_load_ushort v21, v[21:22], off
	s_waitcnt vmcnt(0)
	v_mul_f16_e32 v21, s17, v21
	v_cvt_f32_f16_e32 v21, v21
.LBB271_97:
	v_pk_add_f16 v22, v10, v12
	v_pk_add_f16 v23, v11, v13
	v_max_f16_e32 v46, v96, v96
	v_lshrrev_b32_e32 v47, 16, v96
	v_max_f32_e32 v21, v21, v21
	v_lshrrev_b32_e32 v48, 16, v22
	v_lshrrev_b32_e32 v49, 16, v23
	v_min_f16_e32 v22, v46, v22
	v_min3_f16 v46, v47, v48, v49
	v_min3_f16 v22, v22, v23, v46
	v_cvt_f32_f16_e32 v22, v22
	v_min_f32_e32 v21, v21, v22
	v_cvt_f16_f32_e32 v23, v21
	v_add_co_u32 v21, vcc_lo, v18, v34
	v_add_co_ci_u32_e64 v22, null, v19, v35, vcc_lo
	s_and_b32 vcc_lo, exec_lo, s1
	global_store_short v[21:22], v23, off
	s_cbranch_vccnz .LBB271_99
; %bb.98:
	v_add_co_u32 v20, vcc_lo, v16, v36
	v_add_co_ci_u32_e64 v21, null, v17, v37, vcc_lo
	global_load_ushort v20, v[20:21], off
	s_waitcnt vmcnt(0)
	v_mul_f16_e32 v20, s17, v20
	v_cvt_f32_f16_e32 v20, v20
.LBB271_99:
	v_pk_add_f16 v21, v4, v12
	v_pk_add_f16 v22, v5, v13
	v_max_f16_e32 v23, v123, v123
	v_lshrrev_b32_e32 v46, 16, v123
	v_max_f32_e32 v20, v20, v20
	v_lshrrev_b32_e32 v47, 16, v21
	v_lshrrev_b32_e32 v48, 16, v22
	v_min_f16_e32 v21, v23, v21
	v_min3_f16 v23, v46, v47, v48
	v_min3_f16 v21, v21, v22, v23
	v_add_co_u32 v22, vcc_lo, v18, v36
	v_add_co_ci_u32_e64 v23, null, v19, v37, vcc_lo
	v_cvt_f32_f16_e32 v21, v21
	s_and_b32 vcc_lo, exec_lo, s1
	v_min_f32_e32 v20, v20, v21
	v_mov_b32_e32 v21, 0
	v_cvt_f16_f32_e32 v46, v20
	v_mov_b32_e32 v20, 0
	global_store_short v[22:23], v46, off
	s_cbranch_vccnz .LBB271_101
; %bb.100:
	v_add_co_u32 v21, vcc_lo, v16, v42
	v_add_co_ci_u32_e64 v22, null, v17, v43, vcc_lo
	global_load_ushort v21, v[21:22], off
	s_waitcnt vmcnt(0)
	v_mul_f16_e32 v21, s17, v21
	v_cvt_f32_f16_e32 v21, v21
.LBB271_101:
	v_pk_add_f16 v22, v6, v12
	v_pk_add_f16 v23, v7, v13
	v_max_f16_e32 v46, v122, v122
	v_lshrrev_b32_e32 v47, 16, v122
	v_max_f32_e32 v21, v21, v21
	v_lshrrev_b32_e32 v48, 16, v22
	v_lshrrev_b32_e32 v49, 16, v23
	v_min_f16_e32 v22, v46, v22
	v_min3_f16 v46, v47, v48, v49
	v_min3_f16 v22, v22, v23, v46
	v_cvt_f32_f16_e32 v22, v22
	v_min_f32_e32 v21, v21, v22
	;; [unrolled: 54-line block ×3, first 2 shown]
	v_cvt_f16_f32_e32 v23, v21
	v_add_co_u32 v21, vcc_lo, v18, v38
	v_add_co_ci_u32_e64 v22, null, v19, v39, vcc_lo
	s_and_b32 vcc_lo, exec_lo, s1
	global_store_short v[21:22], v23, off
	s_cbranch_vccnz .LBB271_107
; %bb.106:
	v_add_co_u32 v16, vcc_lo, v16, v44
	v_add_co_ci_u32_e64 v17, null, v17, v45, vcc_lo
	global_load_ushort v16, v[16:17], off
	s_waitcnt vmcnt(0)
	v_mul_f16_e32 v16, s17, v16
	v_cvt_f32_f16_e32 v20, v16
.LBB271_107:
	v_pk_add_f16 v12, v24, v12
	v_pk_add_f16 v17, v25, v13
	v_max_f16_e32 v13, v93, v93
	v_lshrrev_b32_e32 v21, 16, v93
	v_add_nc_u32_e32 v16, 0xc0, v111
	v_lshrrev_b32_e32 v22, 16, v12
	v_lshrrev_b32_e32 v23, 16, v17
	v_min_f16_e32 v46, v13, v12
	v_mad_i64_i32 v[12:13], null, v16, s2, 0
	v_min3_f16 v21, v21, v22, v23
	v_max_f32_e32 v22, v20, v20
	v_add_co_u32 v20, vcc_lo, v18, v44
	v_mov_b32_e32 v18, 0
	v_min3_f16 v17, v46, v17, v21
	v_lshlrev_b64 v[12:13], 1, v[12:13]
	v_add_co_ci_u32_e64 v21, null, v19, v45, vcc_lo
	v_cvt_f32_f16_e32 v17, v17
	v_add_co_u32 v12, vcc_lo, s12, v12
	v_add_co_ci_u32_e64 v13, null, s13, v13, vcc_lo
	v_min_f32_e32 v17, v22, v17
	s_and_b32 vcc_lo, exec_lo, s1
	v_cvt_f16_f32_e32 v19, v17
	v_mov_b32_e32 v17, 0
	global_store_short v[20:21], v19, off
	s_cbranch_vccnz .LBB271_109
; %bb.108:
	v_add_co_u32 v19, vcc_lo, v12, v28
	v_add_co_ci_u32_e64 v20, null, v13, v29, vcc_lo
	global_load_ushort v17, v[19:20], off
	s_waitcnt vmcnt(0)
	v_mul_f16_e32 v17, s17, v17
	v_cvt_f32_f16_e32 v17, v17
.LBB271_109:
	v_pk_add_f16 v19, v30, v14
	v_pk_add_f16 v21, v31, v15
	v_max_f16_e32 v20, v92, v92
	v_lshrrev_b32_e32 v22, 16, v92
	v_lshrrev_b32_e32 v23, 16, v19
	;; [unrolled: 1-line block ×3, first 2 shown]
	v_min_f16_e32 v47, v20, v19
	v_mad_i64_i32 v[19:20], null, v16, s3, 0
	v_min3_f16 v22, v22, v23, v46
	v_min3_f16 v16, v47, v21, v22
	v_max_f32_e32 v21, v17, v17
	v_cvt_f32_f16_e32 v22, v16
	v_lshlrev_b64 v[16:17], 1, v[19:20]
	v_min_f32_e32 v19, v21, v22
	v_add_co_u32 v16, vcc_lo, s4, v16
	v_add_co_ci_u32_e64 v17, null, s5, v17, vcc_lo
	v_cvt_f16_f32_e32 v21, v19
	v_add_co_u32 v19, vcc_lo, v16, v28
	v_add_co_ci_u32_e64 v20, null, v17, v29, vcc_lo
	s_and_b32 vcc_lo, exec_lo, s1
	global_store_short v[19:20], v21, off
	s_cbranch_vccnz .LBB271_111
; %bb.110:
	v_add_co_u32 v18, vcc_lo, v12, v32
	v_add_co_ci_u32_e64 v19, null, v13, v33, vcc_lo
	global_load_ushort v18, v[18:19], off
	s_waitcnt vmcnt(0)
	v_mul_f16_e32 v18, s17, v18
	v_cvt_f32_f16_e32 v18, v18
.LBB271_111:
	v_pk_add_f16 v19, v8, v14
	v_pk_add_f16 v20, v9, v15
	v_max_f16_e32 v21, v91, v91
	v_lshrrev_b32_e32 v22, 16, v91
	v_max_f32_e32 v18, v18, v18
	v_lshrrev_b32_e32 v23, 16, v19
	v_lshrrev_b32_e32 v46, 16, v20
	v_min_f16_e32 v19, v21, v19
	v_min3_f16 v21, v22, v23, v46
	v_min3_f16 v19, v19, v20, v21
	v_add_co_u32 v20, vcc_lo, v16, v32
	v_add_co_ci_u32_e64 v21, null, v17, v33, vcc_lo
	v_cvt_f32_f16_e32 v19, v19
	s_and_b32 vcc_lo, exec_lo, s1
	v_min_f32_e32 v18, v18, v19
	v_mov_b32_e32 v19, 0
	v_cvt_f16_f32_e32 v22, v18
	v_mov_b32_e32 v18, 0
	global_store_short v[20:21], v22, off
	s_cbranch_vccnz .LBB271_113
; %bb.112:
	v_add_co_u32 v19, vcc_lo, v12, v34
	v_add_co_ci_u32_e64 v20, null, v13, v35, vcc_lo
	global_load_ushort v19, v[19:20], off
	s_waitcnt vmcnt(0)
	v_mul_f16_e32 v19, s17, v19
	v_cvt_f32_f16_e32 v19, v19
.LBB271_113:
	v_pk_add_f16 v20, v10, v14
	v_pk_add_f16 v21, v11, v15
	v_max_f16_e32 v22, v90, v90
	v_lshrrev_b32_e32 v23, 16, v90
	v_max_f32_e32 v19, v19, v19
	v_lshrrev_b32_e32 v46, 16, v20
	v_lshrrev_b32_e32 v47, 16, v21
	v_min_f16_e32 v20, v22, v20
	v_min3_f16 v22, v23, v46, v47
	v_min3_f16 v20, v20, v21, v22
	v_cvt_f32_f16_e32 v20, v20
	v_min_f32_e32 v19, v19, v20
	v_cvt_f16_f32_e32 v21, v19
	v_add_co_u32 v19, vcc_lo, v16, v34
	v_add_co_ci_u32_e64 v20, null, v17, v35, vcc_lo
	s_and_b32 vcc_lo, exec_lo, s1
	global_store_short v[19:20], v21, off
	s_cbranch_vccnz .LBB271_115
; %bb.114:
	v_add_co_u32 v18, vcc_lo, v12, v36
	v_add_co_ci_u32_e64 v19, null, v13, v37, vcc_lo
	global_load_ushort v18, v[18:19], off
	s_waitcnt vmcnt(0)
	v_mul_f16_e32 v18, s17, v18
	v_cvt_f32_f16_e32 v18, v18
.LBB271_115:
	v_pk_add_f16 v19, v4, v14
	v_pk_add_f16 v20, v5, v15
	v_max_f16_e32 v21, v71, v71
	v_lshrrev_b32_e32 v22, 16, v71
	v_max_f32_e32 v18, v18, v18
	v_lshrrev_b32_e32 v23, 16, v19
	v_lshrrev_b32_e32 v46, 16, v20
	v_min_f16_e32 v19, v21, v19
	v_min3_f16 v21, v22, v23, v46
	v_min3_f16 v19, v19, v20, v21
	v_add_co_u32 v20, vcc_lo, v16, v36
	v_add_co_ci_u32_e64 v21, null, v17, v37, vcc_lo
	v_cvt_f32_f16_e32 v19, v19
	s_and_b32 vcc_lo, exec_lo, s1
	v_min_f32_e32 v18, v18, v19
	v_mov_b32_e32 v19, 0
	v_cvt_f16_f32_e32 v22, v18
	v_mov_b32_e32 v18, 0
	global_store_short v[20:21], v22, off
	s_cbranch_vccnz .LBB271_117
; %bb.116:
	v_add_co_u32 v19, vcc_lo, v12, v42
	v_add_co_ci_u32_e64 v20, null, v13, v43, vcc_lo
	global_load_ushort v19, v[19:20], off
	s_waitcnt vmcnt(0)
	v_mul_f16_e32 v19, s17, v19
	v_cvt_f32_f16_e32 v19, v19
.LBB271_117:
	v_pk_add_f16 v20, v6, v14
	v_pk_add_f16 v21, v7, v15
	v_max_f16_e32 v22, v88, v88
	v_lshrrev_b32_e32 v23, 16, v88
	v_max_f32_e32 v19, v19, v19
	v_lshrrev_b32_e32 v46, 16, v20
	v_lshrrev_b32_e32 v47, 16, v21
	v_min_f16_e32 v20, v22, v20
	v_min3_f16 v22, v23, v46, v47
	v_min3_f16 v20, v20, v21, v22
	v_cvt_f32_f16_e32 v20, v20
	v_min_f32_e32 v19, v19, v20
	;; [unrolled: 54-line block ×3, first 2 shown]
	v_cvt_f16_f32_e32 v21, v19
	v_add_co_u32 v19, vcc_lo, v16, v38
	v_add_co_ci_u32_e64 v20, null, v17, v39, vcc_lo
	s_and_b32 vcc_lo, exec_lo, s1
	global_store_short v[19:20], v21, off
	s_cbranch_vccnz .LBB271_123
; %bb.122:
	v_add_co_u32 v12, vcc_lo, v12, v44
	v_add_co_ci_u32_e64 v13, null, v13, v45, vcc_lo
	global_load_ushort v12, v[12:13], off
	s_waitcnt vmcnt(0)
	v_mul_f16_e32 v12, s17, v12
	v_cvt_f32_f16_e32 v18, v12
.LBB271_123:
	v_pk_add_f16 v12, v24, v14
	v_pk_add_f16 v15, v25, v15
	v_max_f16_e32 v13, v85, v85
	v_lshrrev_b32_e32 v19, 16, v85
	v_add_nc_u32_e32 v14, 0xe0, v111
	v_lshrrev_b32_e32 v20, 16, v12
	v_lshrrev_b32_e32 v21, 16, v15
	v_min_f16_e32 v22, v13, v12
	v_mad_i64_i32 v[12:13], null, v14, s2, 0
	v_min3_f16 v19, v19, v20, v21
	v_max_f32_e32 v20, v18, v18
	v_add_co_u32 v18, vcc_lo, v16, v44
	v_mov_b32_e32 v16, 0
	v_min3_f16 v15, v22, v15, v19
	v_lshlrev_b64 v[12:13], 1, v[12:13]
	v_add_co_ci_u32_e64 v19, null, v17, v45, vcc_lo
	v_cvt_f32_f16_e32 v15, v15
	v_add_co_u32 v12, vcc_lo, s12, v12
	v_add_co_ci_u32_e64 v13, null, s13, v13, vcc_lo
	v_min_f32_e32 v15, v20, v15
	s_and_b32 vcc_lo, exec_lo, s1
	v_cvt_f16_f32_e32 v17, v15
	v_mov_b32_e32 v15, 0
	global_store_short v[18:19], v17, off
	s_cbranch_vccnz .LBB271_125
; %bb.124:
	v_add_co_u32 v17, vcc_lo, v12, v28
	v_add_co_ci_u32_e64 v18, null, v13, v29, vcc_lo
	global_load_ushort v15, v[17:18], off
	s_waitcnt vmcnt(0)
	v_mul_f16_e32 v15, s17, v15
	v_cvt_f32_f16_e32 v15, v15
.LBB271_125:
	v_pk_add_f16 v17, v30, v26
	v_pk_add_f16 v19, v31, v27
	v_max_f16_e32 v18, v84, v84
	v_lshrrev_b32_e32 v20, 16, v84
	v_lshrrev_b32_e32 v21, 16, v17
	;; [unrolled: 1-line block ×3, first 2 shown]
	v_min_f16_e32 v23, v18, v17
	v_mad_i64_i32 v[17:18], null, v14, s3, 0
	v_min3_f16 v20, v20, v21, v22
	v_min3_f16 v14, v23, v19, v20
	v_max_f32_e32 v19, v15, v15
	v_cvt_f32_f16_e32 v20, v14
	v_lshlrev_b64 v[14:15], 1, v[17:18]
	v_min_f32_e32 v17, v19, v20
	v_add_co_u32 v14, vcc_lo, s4, v14
	v_add_co_ci_u32_e64 v15, null, s5, v15, vcc_lo
	v_cvt_f16_f32_e32 v19, v17
	v_add_co_u32 v17, vcc_lo, v14, v28
	v_add_co_ci_u32_e64 v18, null, v15, v29, vcc_lo
	s_and_b32 vcc_lo, exec_lo, s1
	global_store_short v[17:18], v19, off
	s_cbranch_vccnz .LBB271_127
; %bb.126:
	v_add_co_u32 v16, vcc_lo, v12, v32
	v_add_co_ci_u32_e64 v17, null, v13, v33, vcc_lo
	global_load_ushort v16, v[16:17], off
	s_waitcnt vmcnt(0)
	v_mul_f16_e32 v16, s17, v16
	v_cvt_f32_f16_e32 v16, v16
.LBB271_127:
	v_pk_add_f16 v8, v8, v26
	v_pk_add_f16 v9, v9, v27
	v_max_f16_e32 v17, v83, v83
	v_lshrrev_b32_e32 v18, 16, v83
	v_lshrrev_b32_e32 v19, 16, v8
	;; [unrolled: 1-line block ×3, first 2 shown]
	v_min_f16_e32 v8, v17, v8
	v_min3_f16 v17, v18, v19, v20
	v_min3_f16 v8, v8, v9, v17
	v_max_f32_e32 v9, v16, v16
	v_add_co_u32 v16, vcc_lo, v14, v32
	v_add_co_ci_u32_e64 v17, null, v15, v33, vcc_lo
	v_cvt_f32_f16_e32 v8, v8
	s_and_b32 vcc_lo, exec_lo, s1
	v_min_f32_e32 v8, v9, v8
	v_mov_b32_e32 v9, 0
	v_cvt_f16_f32_e32 v18, v8
	v_mov_b32_e32 v8, 0
	global_store_short v[16:17], v18, off
	s_cbranch_vccnz .LBB271_129
; %bb.128:
	v_add_co_u32 v16, vcc_lo, v12, v34
	v_add_co_ci_u32_e64 v17, null, v13, v35, vcc_lo
	global_load_ushort v9, v[16:17], off
	s_waitcnt vmcnt(0)
	v_mul_f16_e32 v9, s17, v9
	v_cvt_f32_f16_e32 v9, v9
.LBB271_129:
	v_pk_add_f16 v10, v10, v26
	v_pk_add_f16 v11, v11, v27
	v_max_f16_e32 v16, v82, v82
	v_lshrrev_b32_e32 v17, 16, v82
	v_max_f32_e32 v9, v9, v9
	v_lshrrev_b32_e32 v18, 16, v10
	v_lshrrev_b32_e32 v19, 16, v11
	v_min_f16_e32 v10, v16, v10
	v_min3_f16 v16, v17, v18, v19
	v_min3_f16 v10, v10, v11, v16
	v_cvt_f32_f16_e32 v10, v10
	v_min_f32_e32 v9, v9, v10
	v_cvt_f16_f32_e32 v11, v9
	v_add_co_u32 v9, vcc_lo, v14, v34
	v_add_co_ci_u32_e64 v10, null, v15, v35, vcc_lo
	s_and_b32 vcc_lo, exec_lo, s1
	global_store_short v[9:10], v11, off
	s_cbranch_vccnz .LBB271_131
; %bb.130:
	v_add_co_u32 v8, vcc_lo, v12, v36
	v_add_co_ci_u32_e64 v9, null, v13, v37, vcc_lo
	global_load_ushort v8, v[8:9], off
	s_waitcnt vmcnt(0)
	v_mul_f16_e32 v8, s17, v8
	v_cvt_f32_f16_e32 v8, v8
.LBB271_131:
	v_pk_add_f16 v4, v4, v26
	v_pk_add_f16 v5, v5, v27
	v_max_f16_e32 v9, v81, v81
	v_lshrrev_b32_e32 v10, 16, v81
	v_lshrrev_b32_e32 v11, 16, v4
	;; [unrolled: 1-line block ×3, first 2 shown]
	v_min_f16_e32 v4, v9, v4
	v_min3_f16 v9, v10, v11, v16
	v_min3_f16 v4, v4, v5, v9
	v_max_f32_e32 v5, v8, v8
	v_add_co_u32 v8, vcc_lo, v14, v36
	v_add_co_ci_u32_e64 v9, null, v15, v37, vcc_lo
	v_cvt_f32_f16_e32 v4, v4
	s_and_b32 vcc_lo, exec_lo, s1
	v_min_f32_e32 v4, v5, v4
	v_mov_b32_e32 v5, 0
	v_cvt_f16_f32_e32 v10, v4
	v_mov_b32_e32 v4, 0
	global_store_short v[8:9], v10, off
	s_cbranch_vccnz .LBB271_133
; %bb.132:
	v_add_co_u32 v8, vcc_lo, v12, v42
	v_add_co_ci_u32_e64 v9, null, v13, v43, vcc_lo
	global_load_ushort v5, v[8:9], off
	s_waitcnt vmcnt(0)
	v_mul_f16_e32 v5, s17, v5
	v_cvt_f32_f16_e32 v5, v5
.LBB271_133:
	v_pk_add_f16 v6, v6, v26
	v_pk_add_f16 v7, v7, v27
	v_max_f16_e32 v8, v143, v143
	v_lshrrev_b32_e32 v9, 16, v143
	v_max_f32_e32 v5, v5, v5
	v_lshrrev_b32_e32 v10, 16, v6
	v_lshrrev_b32_e32 v11, 16, v7
	v_min_f16_e32 v6, v8, v6
	v_min3_f16 v8, v9, v10, v11
	v_min3_f16 v6, v6, v7, v8
	v_cvt_f32_f16_e32 v6, v6
	v_min_f32_e32 v5, v5, v6
	v_cvt_f16_f32_e32 v7, v5
	v_add_co_u32 v5, vcc_lo, v14, v42
	v_add_co_ci_u32_e64 v6, null, v15, v43, vcc_lo
	s_and_b32 vcc_lo, exec_lo, s1
	global_store_short v[5:6], v7, off
	s_cbranch_vccnz .LBB271_135
; %bb.134:
	v_add_co_u32 v4, vcc_lo, v12, v40
	v_add_co_ci_u32_e64 v5, null, v13, v41, vcc_lo
	global_load_ushort v4, v[4:5], off
	s_waitcnt vmcnt(0)
	v_mul_f16_e32 v4, s17, v4
	v_cvt_f32_f16_e32 v4, v4
.LBB271_135:
	v_pk_add_f16 v0, v0, v26
	v_pk_add_f16 v1, v1, v27
	v_max_f16_e32 v5, v61, v61
	v_lshrrev_b32_e32 v6, 16, v61
	v_pk_add_f16 v3, v3, v27
	v_lshrrev_b32_e32 v7, 16, v0
	v_lshrrev_b32_e32 v8, 16, v1
	v_min_f16_e32 v0, v5, v0
	s_mov_b32 s1, -1
	v_min3_f16 v5, v6, v7, v8
	v_lshrrev_b32_e32 v6, 16, v147
	v_lshrrev_b32_e32 v8, 16, v3
	v_min3_f16 v0, v0, v1, v5
	v_pk_add_f16 v5, v2, v26
	v_max_f32_e32 v1, v4, v4
	v_max_f16_e32 v4, v147, v147
	v_cvt_f32_f16_e32 v0, v0
	v_lshrrev_b32_e32 v7, 16, v5
	v_min_f16_e32 v4, v4, v5
	v_min_f32_e32 v0, v1, v0
	v_min3_f16 v5, v6, v7, v8
	v_add_co_u32 v1, vcc_lo, v14, v40
	v_add_co_ci_u32_e64 v2, null, v15, v41, vcc_lo
	v_cvt_f16_f32_e32 v6, v0
	v_min3_f16 v0, v4, v3, v5
	s_mov_b32 vcc_lo, s0
	global_store_short v[1:2], v6, off
	s_cbranch_vccz .LBB271_137
; %bb.136:
	v_cvt_f32_f16_e32 v1, v0
	s_mov_b32 s1, 0
	v_min_f32_e32 v1, 0, v1
	v_cvt_f16_f32_e32 v3, v1
	v_add_co_u32 v1, vcc_lo, v14, v38
	v_add_co_ci_u32_e64 v2, null, v15, v39, vcc_lo
	global_store_short v[1:2], v3, off
.LBB271_137:
	v_mov_b32_e32 v1, 0
	s_andn2_b32 vcc_lo, exec_lo, s1
	s_cbranch_vccnz .LBB271_139
; %bb.138:
	v_add_co_u32 v1, vcc_lo, v12, v38
	v_add_co_ci_u32_e64 v2, null, v13, v39, vcc_lo
	global_load_ushort v1, v[1:2], off
	v_max_f16_e32 v2, v0, v0
	v_add_co_u32 v0, vcc_lo, v14, v38
	s_waitcnt vmcnt(0)
	v_mul_f16_e32 v3, s17, v1
	v_add_co_ci_u32_e64 v1, null, v15, v39, vcc_lo
	v_min_f16_e32 v4, v3, v2
	v_add_co_u32 v2, vcc_lo, v12, v44
	v_add_co_ci_u32_e64 v3, null, v13, v45, vcc_lo
	global_store_short v[0:1], v4, off
	global_load_ushort v0, v[2:3], off
	s_waitcnt vmcnt(0)
	v_mul_f16_e32 v0, s17, v0
	v_cvt_f32_f16_e32 v1, v0
.LBB271_139:
	v_pk_add_f16 v0, v24, v26
	v_pk_add_f16 v2, v25, v27
	v_max_f16_e32 v3, v59, v59
	v_lshrrev_b32_e32 v4, 16, v59
	v_max_f32_e32 v1, v1, v1
	v_lshrrev_b32_e32 v5, 16, v0
	v_lshrrev_b32_e32 v6, 16, v2
	v_min_f16_e32 v0, v3, v0
	v_min3_f16 v3, v4, v5, v6
	v_min3_f16 v0, v0, v2, v3
	v_cvt_f32_f16_e32 v0, v0
	v_min_f32_e32 v0, v1, v0
	v_cvt_f16_f32_e32 v2, v0
	v_add_co_u32 v0, vcc_lo, v14, v44
	v_add_co_ci_u32_e64 v1, null, v15, v45, vcc_lo
	global_store_short v[0:1], v2, off
	s_endpgm
.LBB271_140:
	s_mov_b64 s[14:15], 0
	s_andn2_b32 vcc_lo, exec_lo, s8
	s_mov_b32 s0, -1
	s_cbranch_vccz .LBB271_2
	s_branch .LBB271_3
	.section	.rodata,"a",@progbits
	.p2align	6, 0x0
	.amdhsa_kernel _ZN12_GLOBAL__N_120geam_min_plus_kernelIDF16_Dv2_DF16_S1_Li8ELi32ELi64ELi256ELi4ELi64ELi4ELi64ELi4ELc78ELc84ELb1ELb0ELb1EDF16_KDF16_DF16_EEviiiT16_PT17_ilS5_ilS3_S5_ilPT18_ili26rocblas_geam_ex_operation_
		.amdhsa_group_segment_fixed_size 5120
		.amdhsa_private_segment_fixed_size 180
		.amdhsa_kernarg_size 128
		.amdhsa_user_sgpr_count 6
		.amdhsa_user_sgpr_private_segment_buffer 1
		.amdhsa_user_sgpr_dispatch_ptr 0
		.amdhsa_user_sgpr_queue_ptr 0
		.amdhsa_user_sgpr_kernarg_segment_ptr 1
		.amdhsa_user_sgpr_dispatch_id 0
		.amdhsa_user_sgpr_flat_scratch_init 0
		.amdhsa_user_sgpr_private_segment_size 0
		.amdhsa_wavefront_size32 1
		.amdhsa_uses_dynamic_stack 0
		.amdhsa_system_sgpr_private_segment_wavefront_offset 1
		.amdhsa_system_sgpr_workgroup_id_x 1
		.amdhsa_system_sgpr_workgroup_id_y 0
		.amdhsa_system_sgpr_workgroup_id_z 1
		.amdhsa_system_sgpr_workgroup_info 0
		.amdhsa_system_vgpr_workitem_id 1
		.amdhsa_next_free_vgpr 256
		.amdhsa_next_free_sgpr 28
		.amdhsa_reserve_vcc 1
		.amdhsa_reserve_flat_scratch 0
		.amdhsa_float_round_mode_32 0
		.amdhsa_float_round_mode_16_64 0
		.amdhsa_float_denorm_mode_32 3
		.amdhsa_float_denorm_mode_16_64 3
		.amdhsa_dx10_clamp 1
		.amdhsa_ieee_mode 1
		.amdhsa_fp16_overflow 0
		.amdhsa_workgroup_processor_mode 1
		.amdhsa_memory_ordered 1
		.amdhsa_forward_progress 1
		.amdhsa_shared_vgpr_count 0
		.amdhsa_exception_fp_ieee_invalid_op 0
		.amdhsa_exception_fp_denorm_src 0
		.amdhsa_exception_fp_ieee_div_zero 0
		.amdhsa_exception_fp_ieee_overflow 0
		.amdhsa_exception_fp_ieee_underflow 0
		.amdhsa_exception_fp_ieee_inexact 0
		.amdhsa_exception_int_div_zero 0
	.end_amdhsa_kernel
	.section	.text._ZN12_GLOBAL__N_120geam_min_plus_kernelIDF16_Dv2_DF16_S1_Li8ELi32ELi64ELi256ELi4ELi64ELi4ELi64ELi4ELc78ELc84ELb1ELb0ELb1EDF16_KDF16_DF16_EEviiiT16_PT17_ilS5_ilS3_S5_ilPT18_ili26rocblas_geam_ex_operation_,"axG",@progbits,_ZN12_GLOBAL__N_120geam_min_plus_kernelIDF16_Dv2_DF16_S1_Li8ELi32ELi64ELi256ELi4ELi64ELi4ELi64ELi4ELc78ELc84ELb1ELb0ELb1EDF16_KDF16_DF16_EEviiiT16_PT17_ilS5_ilS3_S5_ilPT18_ili26rocblas_geam_ex_operation_,comdat
.Lfunc_end271:
	.size	_ZN12_GLOBAL__N_120geam_min_plus_kernelIDF16_Dv2_DF16_S1_Li8ELi32ELi64ELi256ELi4ELi64ELi4ELi64ELi4ELc78ELc84ELb1ELb0ELb1EDF16_KDF16_DF16_EEviiiT16_PT17_ilS5_ilS3_S5_ilPT18_ili26rocblas_geam_ex_operation_, .Lfunc_end271-_ZN12_GLOBAL__N_120geam_min_plus_kernelIDF16_Dv2_DF16_S1_Li8ELi32ELi64ELi256ELi4ELi64ELi4ELi64ELi4ELc78ELc84ELb1ELb0ELb1EDF16_KDF16_DF16_EEviiiT16_PT17_ilS5_ilS3_S5_ilPT18_ili26rocblas_geam_ex_operation_
                                        ; -- End function
	.set _ZN12_GLOBAL__N_120geam_min_plus_kernelIDF16_Dv2_DF16_S1_Li8ELi32ELi64ELi256ELi4ELi64ELi4ELi64ELi4ELc78ELc84ELb1ELb0ELb1EDF16_KDF16_DF16_EEviiiT16_PT17_ilS5_ilS3_S5_ilPT18_ili26rocblas_geam_ex_operation_.num_vgpr, 256
	.set _ZN12_GLOBAL__N_120geam_min_plus_kernelIDF16_Dv2_DF16_S1_Li8ELi32ELi64ELi256ELi4ELi64ELi4ELi64ELi4ELc78ELc84ELb1ELb0ELb1EDF16_KDF16_DF16_EEviiiT16_PT17_ilS5_ilS3_S5_ilPT18_ili26rocblas_geam_ex_operation_.num_agpr, 0
	.set _ZN12_GLOBAL__N_120geam_min_plus_kernelIDF16_Dv2_DF16_S1_Li8ELi32ELi64ELi256ELi4ELi64ELi4ELi64ELi4ELc78ELc84ELb1ELb0ELb1EDF16_KDF16_DF16_EEviiiT16_PT17_ilS5_ilS3_S5_ilPT18_ili26rocblas_geam_ex_operation_.numbered_sgpr, 28
	.set _ZN12_GLOBAL__N_120geam_min_plus_kernelIDF16_Dv2_DF16_S1_Li8ELi32ELi64ELi256ELi4ELi64ELi4ELi64ELi4ELc78ELc84ELb1ELb0ELb1EDF16_KDF16_DF16_EEviiiT16_PT17_ilS5_ilS3_S5_ilPT18_ili26rocblas_geam_ex_operation_.num_named_barrier, 0
	.set _ZN12_GLOBAL__N_120geam_min_plus_kernelIDF16_Dv2_DF16_S1_Li8ELi32ELi64ELi256ELi4ELi64ELi4ELi64ELi4ELc78ELc84ELb1ELb0ELb1EDF16_KDF16_DF16_EEviiiT16_PT17_ilS5_ilS3_S5_ilPT18_ili26rocblas_geam_ex_operation_.private_seg_size, 180
	.set _ZN12_GLOBAL__N_120geam_min_plus_kernelIDF16_Dv2_DF16_S1_Li8ELi32ELi64ELi256ELi4ELi64ELi4ELi64ELi4ELc78ELc84ELb1ELb0ELb1EDF16_KDF16_DF16_EEviiiT16_PT17_ilS5_ilS3_S5_ilPT18_ili26rocblas_geam_ex_operation_.uses_vcc, 1
	.set _ZN12_GLOBAL__N_120geam_min_plus_kernelIDF16_Dv2_DF16_S1_Li8ELi32ELi64ELi256ELi4ELi64ELi4ELi64ELi4ELc78ELc84ELb1ELb0ELb1EDF16_KDF16_DF16_EEviiiT16_PT17_ilS5_ilS3_S5_ilPT18_ili26rocblas_geam_ex_operation_.uses_flat_scratch, 0
	.set _ZN12_GLOBAL__N_120geam_min_plus_kernelIDF16_Dv2_DF16_S1_Li8ELi32ELi64ELi256ELi4ELi64ELi4ELi64ELi4ELc78ELc84ELb1ELb0ELb1EDF16_KDF16_DF16_EEviiiT16_PT17_ilS5_ilS3_S5_ilPT18_ili26rocblas_geam_ex_operation_.has_dyn_sized_stack, 0
	.set _ZN12_GLOBAL__N_120geam_min_plus_kernelIDF16_Dv2_DF16_S1_Li8ELi32ELi64ELi256ELi4ELi64ELi4ELi64ELi4ELc78ELc84ELb1ELb0ELb1EDF16_KDF16_DF16_EEviiiT16_PT17_ilS5_ilS3_S5_ilPT18_ili26rocblas_geam_ex_operation_.has_recursion, 0
	.set _ZN12_GLOBAL__N_120geam_min_plus_kernelIDF16_Dv2_DF16_S1_Li8ELi32ELi64ELi256ELi4ELi64ELi4ELi64ELi4ELc78ELc84ELb1ELb0ELb1EDF16_KDF16_DF16_EEviiiT16_PT17_ilS5_ilS3_S5_ilPT18_ili26rocblas_geam_ex_operation_.has_indirect_call, 0
	.section	.AMDGPU.csdata,"",@progbits
; Kernel info:
; codeLenInByte = 19488
; TotalNumSgprs: 30
; NumVgprs: 256
; ScratchSize: 180
; MemoryBound: 0
; FloatMode: 240
; IeeeMode: 1
; LDSByteSize: 5120 bytes/workgroup (compile time only)
; SGPRBlocks: 0
; VGPRBlocks: 31
; NumSGPRsForWavesPerEU: 30
; NumVGPRsForWavesPerEU: 256
; Occupancy: 4
; WaveLimiterHint : 1
; COMPUTE_PGM_RSRC2:SCRATCH_EN: 1
; COMPUTE_PGM_RSRC2:USER_SGPR: 6
; COMPUTE_PGM_RSRC2:TRAP_HANDLER: 0
; COMPUTE_PGM_RSRC2:TGID_X_EN: 1
; COMPUTE_PGM_RSRC2:TGID_Y_EN: 0
; COMPUTE_PGM_RSRC2:TGID_Z_EN: 1
; COMPUTE_PGM_RSRC2:TIDIG_COMP_CNT: 1
	.section	.text._ZN12_GLOBAL__N_120geam_min_plus_kernelIDF16_Dv2_DF16_S1_Li8ELi32ELi64ELi256ELi4ELi64ELi4ELi64ELi4ELc78ELc84ELb0ELb0ELb1EDF16_KDF16_DF16_EEviiiT16_PT17_ilS5_ilS3_S5_ilPT18_ili26rocblas_geam_ex_operation_,"axG",@progbits,_ZN12_GLOBAL__N_120geam_min_plus_kernelIDF16_Dv2_DF16_S1_Li8ELi32ELi64ELi256ELi4ELi64ELi4ELi64ELi4ELc78ELc84ELb0ELb0ELb1EDF16_KDF16_DF16_EEviiiT16_PT17_ilS5_ilS3_S5_ilPT18_ili26rocblas_geam_ex_operation_,comdat
	.globl	_ZN12_GLOBAL__N_120geam_min_plus_kernelIDF16_Dv2_DF16_S1_Li8ELi32ELi64ELi256ELi4ELi64ELi4ELi64ELi4ELc78ELc84ELb0ELb0ELb1EDF16_KDF16_DF16_EEviiiT16_PT17_ilS5_ilS3_S5_ilPT18_ili26rocblas_geam_ex_operation_ ; -- Begin function _ZN12_GLOBAL__N_120geam_min_plus_kernelIDF16_Dv2_DF16_S1_Li8ELi32ELi64ELi256ELi4ELi64ELi4ELi64ELi4ELc78ELc84ELb0ELb0ELb1EDF16_KDF16_DF16_EEviiiT16_PT17_ilS5_ilS3_S5_ilPT18_ili26rocblas_geam_ex_operation_
	.p2align	8
	.type	_ZN12_GLOBAL__N_120geam_min_plus_kernelIDF16_Dv2_DF16_S1_Li8ELi32ELi64ELi256ELi4ELi64ELi4ELi64ELi4ELc78ELc84ELb0ELb0ELb1EDF16_KDF16_DF16_EEviiiT16_PT17_ilS5_ilS3_S5_ilPT18_ili26rocblas_geam_ex_operation_,@function
_ZN12_GLOBAL__N_120geam_min_plus_kernelIDF16_Dv2_DF16_S1_Li8ELi32ELi64ELi256ELi4ELi64ELi4ELi64ELi4ELc78ELc84ELb0ELb0ELb1EDF16_KDF16_DF16_EEviiiT16_PT17_ilS5_ilS3_S5_ilPT18_ili26rocblas_geam_ex_operation_: ; @_ZN12_GLOBAL__N_120geam_min_plus_kernelIDF16_Dv2_DF16_S1_Li8ELi32ELi64ELi256ELi4ELi64ELi4ELi64ELi4ELc78ELc84ELb0ELb0ELb1EDF16_KDF16_DF16_EEviiiT16_PT17_ilS5_ilS3_S5_ilPT18_ili26rocblas_geam_ex_operation_
; %bb.0:
	s_clause 0x1
	s_load_dwordx2 s[14:15], s[4:5], 0x8
	s_load_dwordx4 s[8:11], s[4:5], 0x20
	s_waitcnt lgkmcnt(0)
	v_cmp_eq_f16_e64 s0, s15, 0
	s_and_b32 s1, exec_lo, s0
	s_mov_b32 vcc_lo, s1
	s_cbranch_vccnz .LBB272_11
; %bb.1:
	s_load_dwordx2 s[2:3], s[4:5], 0x10
	s_mul_i32 s9, s9, s7
	s_mul_hi_u32 s12, s8, s7
	s_mul_i32 s8, s8, s7
	s_add_i32 s9, s12, s9
	s_lshl_b64 s[8:9], s[8:9], 1
	s_waitcnt lgkmcnt(0)
	s_add_u32 s16, s2, s8
	s_addc_u32 s17, s3, s9
	s_andn2_b32 vcc_lo, exec_lo, s0
	s_mov_b32 s0, -1
	s_cbranch_vccnz .LBB272_3
.LBB272_2:
	s_mov_b32 s0, 0
.LBB272_3:
	s_mov_b64 s[12:13], 0
	s_andn2_b32 vcc_lo, exec_lo, s0
	s_mov_b64 s[18:19], 0
	s_cbranch_vccnz .LBB272_5
; %bb.4:
	s_load_dwordx2 s[2:3], s[4:5], 0x38
	s_waitcnt lgkmcnt(0)
	s_mul_i32 s0, s3, s7
	s_mul_hi_u32 s3, s2, s7
	s_mul_i32 s2, s2, s7
	s_add_i32 s3, s3, s0
	s_lshl_b64 s[2:3], s[2:3], 1
	s_add_u32 s18, s10, s2
	s_addc_u32 s19, s11, s3
.LBB272_5:
	s_clause 0x1
	s_load_dword s3, s[4:5], 0x40
	s_load_dwordx4 s[8:11], s[4:5], 0x58
	v_cmp_neq_f16_e64 s20, s15, 0
	s_waitcnt lgkmcnt(0)
	v_cmp_eq_f16_e64 s0, s3, 0
	s_and_b32 s0, exec_lo, s0
	s_mov_b32 vcc_lo, s0
	s_cbranch_vccnz .LBB272_7
; %bb.6:
	s_load_dwordx2 s[12:13], s[4:5], 0x48
	s_mul_i32 s2, s9, s7
	s_mul_hi_u32 s9, s8, s7
	s_mul_i32 s8, s8, s7
	s_add_i32 s9, s9, s2
	s_lshl_b64 s[8:9], s[8:9], 1
	s_waitcnt lgkmcnt(0)
	s_add_u32 s12, s12, s8
	s_addc_u32 s13, s13, s9
.LBB272_7:
	s_clause 0x1
	s_load_dword s2, s[4:5], 0x0
	s_load_dword s8, s[4:5], 0x18
	v_cndmask_b32_e64 v3, 0, 1, s20
	v_mov_b32_e32 v8, 0
	v_mov_b32_e32 v10, 0
	s_waitcnt lgkmcnt(0)
	s_add_i32 s2, s2, -1
	s_ashr_i32 s9, s2, 31
	s_lshr_b32 s9, s9, 26
	s_add_i32 s2, s2, s9
	s_ashr_i32 s2, s2, 6
	s_add_i32 s22, s2, 1
	s_not_b32 s2, s2
	v_cvt_f32_u32_e32 v2, s22
	v_rcp_iflag_f32_e32 v2, v2
	v_mul_f32_e32 v2, 0x4f7ffffe, v2
	v_cvt_u32_f32_e32 v2, v2
	v_readfirstlane_b32 s9, v2
	v_lshl_add_u32 v2, v1, 3, v0
	s_mul_i32 s2, s2, s9
	v_and_b32_e32 v6, 63, v2
	s_mul_hi_u32 s2, s9, s2
	v_lshrrev_b32_e32 v7, 6, v2
	s_add_i32 s9, s9, s2
	s_mul_hi_u32 s2, s6, s9
	s_ashr_i32 s9, s8, 31
	s_mul_i32 s21, s2, s22
	s_add_i32 s23, s2, 1
	s_sub_i32 s21, s6, s21
	s_sub_i32 s24, s21, s22
	s_cmp_ge_u32 s21, s22
	s_cselect_b32 s2, s23, s2
	s_cselect_b32 s21, s24, s21
	s_add_i32 s23, s2, 1
	s_cmp_ge_u32 s21, s22
	s_cselect_b32 s21, s23, s2
	s_andn2_b32 vcc_lo, exec_lo, s20
	s_mul_i32 s24, s21, s22
	s_sub_i32 s2, s6, s24
	s_lshl_b32 s22, s2, 6
	v_cmp_ne_u32_e64 s2, 1, v3
	v_or_b32_e32 v4, s22, v6
	v_ashrrev_i32_e32 v5, 31, v4
	s_cbranch_vccnz .LBB272_9
; %bb.8:
	v_mad_i64_i32 v[2:3], null, s8, v7, 0
	v_lshlrev_b64 v[9:10], 1, v[4:5]
	v_lshlrev_b64 v[2:3], 1, v[2:3]
	v_add_co_u32 v2, vcc_lo, s16, v2
	v_add_co_ci_u32_e64 v3, null, s17, v3, vcc_lo
	v_add_co_u32 v2, vcc_lo, v2, v9
	v_add_co_ci_u32_e64 v3, null, v3, v10, vcc_lo
	global_load_ushort v2, v[2:3], off
	s_waitcnt vmcnt(0)
	v_mul_f16_e32 v10, s15, v2
.LBB272_9:
	s_load_dword s20, s[4:5], 0x30
	s_lshl_b32 s23, s21, 8
	s_waitcnt lgkmcnt(0)
	v_mad_i64_i32 v[2:3], null, v7, s20, 0
	v_lshlrev_b64 v[11:12], 1, v[2:3]
	v_or_b32_e32 v2, s23, v6
	v_ashrrev_i32_e32 v3, 31, v2
	v_add_co_u32 v11, vcc_lo, s18, v11
	v_add_co_ci_u32_e64 v12, null, s19, v12, vcc_lo
	s_and_b32 vcc_lo, exec_lo, s2
	s_cbranch_vccnz .LBB272_12
; %bb.10:
	v_lshlrev_b64 v[8:9], 1, v[2:3]
	v_add_co_u32 v8, vcc_lo, v11, v8
	v_add_co_ci_u32_e64 v9, null, v12, v9, vcc_lo
	s_clause 0x1
	global_load_ushort v13, v[8:9], off
	global_load_ushort v8, v[8:9], off offset:128
	s_waitcnt vmcnt(1)
	v_mul_f16_e32 v9, s15, v13
	s_waitcnt vmcnt(0)
	v_mul_f16_e32 v8, s15, v8
	v_pack_b32_f16 v9, v9, 0
	s_branch .LBB272_13
.LBB272_11:
	s_mov_b64 s[16:17], 0
	s_andn2_b32 vcc_lo, exec_lo, s0
	s_mov_b32 s0, -1
	s_cbranch_vccz .LBB272_2
	s_branch .LBB272_3
.LBB272_12:
	v_mov_b32_e32 v9, 0
.LBB272_13:
	v_mov_b32_e32 v13, 0
	v_perm_b32 v37, v8, v9, 0x5040100
	s_ashr_i32 s21, s20, 31
	s_mov_b32 vcc_lo, s1
	s_cbranch_vccz .LBB272_15
; %bb.14:
	v_and_b32_e32 v38, 0xffff0000, v13
	v_mov_b32_e32 v9, 0
	v_mov_b32_e32 v8, 0
	s_cbranch_execz .LBB272_16
	s_branch .LBB272_17
.LBB272_15:
	v_mov_b32_e32 v9, 0
	v_mov_b32_e32 v8, 0
.LBB272_16:
	v_lshlrev_b64 v[14:15], 1, v[2:3]
	v_add_co_u32 v11, vcc_lo, v11, v14
	v_add_co_ci_u32_e64 v12, null, v12, v15, vcc_lo
	s_clause 0x1
	global_load_ushort v8, v[11:12], off offset:256
	global_load_ushort v11, v[11:12], off offset:384
	s_waitcnt vmcnt(1)
	v_mul_f16_e32 v8, s15, v8
	v_bfi_b32 v38, 0xffff, v8, v13
	s_waitcnt vmcnt(0)
	v_mul_f16_e32 v8, s15, v11
.LBB272_17:
	v_add_nc_u32_e32 v11, 4, v7
	s_and_b32 vcc_lo, exec_lo, s2
	s_cbranch_vccnz .LBB272_19
; %bb.18:
	v_mad_i64_i32 v[12:13], null, s8, v11, 0
	v_lshlrev_b64 v[4:5], 1, v[4:5]
	v_lshlrev_b64 v[12:13], 1, v[12:13]
	v_add_co_u32 v9, vcc_lo, s16, v12
	v_add_co_ci_u32_e64 v12, null, s17, v13, vcc_lo
	v_add_co_u32 v4, vcc_lo, v9, v4
	v_add_co_ci_u32_e64 v5, null, v12, v5, vcc_lo
	global_load_ushort v4, v[4:5], off
	s_waitcnt vmcnt(0)
	v_mul_f16_e32 v9, s15, v4
.LBB272_19:
	v_mad_i64_i32 v[4:5], null, v11, s20, 0
	v_lshlrev_b64 v[11:12], 1, v[4:5]
	v_add_co_u32 v5, vcc_lo, s18, v11
	v_add_co_ci_u32_e64 v11, null, s19, v12, vcc_lo
	s_and_b32 vcc_lo, exec_lo, s2
	s_cbranch_vccnz .LBB272_22
; %bb.20:
	v_lshlrev_b64 v[12:13], 1, v[2:3]
	v_add_co_u32 v12, vcc_lo, v5, v12
	v_add_co_ci_u32_e64 v13, null, v11, v13, vcc_lo
	s_clause 0x1
	global_load_ushort v4, v[12:13], off
	global_load_ushort v12, v[12:13], off offset:128
	s_waitcnt vmcnt(1)
	v_mul_f16_e32 v13, s15, v4
	s_waitcnt vmcnt(0)
	v_mul_f16_e32 v4, s15, v12
	v_pack_b32_f16 v13, v13, 0
	v_mov_b32_e32 v12, 0
	v_perm_b32 v14, v4, v13, 0x5040100
	s_mov_b32 vcc_lo, s1
	s_cbranch_vccz .LBB272_23
.LBB272_21:
	v_and_b32_e32 v15, 0xffff0000, v12
	v_mov_b32_e32 v4, 0
	s_cbranch_execz .LBB272_24
	s_branch .LBB272_25
.LBB272_22:
	v_mov_b32_e32 v13, 0
	v_mov_b32_e32 v4, 0
	;; [unrolled: 1-line block ×3, first 2 shown]
	v_perm_b32 v14, v4, v13, 0x5040100
	s_mov_b32 vcc_lo, s1
	s_cbranch_vccnz .LBB272_21
.LBB272_23:
	v_mov_b32_e32 v4, 0
.LBB272_24:
	v_lshlrev_b64 v[2:3], 1, v[2:3]
	v_add_co_u32 v2, vcc_lo, v5, v2
	v_add_co_ci_u32_e64 v3, null, v11, v3, vcc_lo
	s_clause 0x1
	global_load_ushort v4, v[2:3], off offset:256
	global_load_ushort v2, v[2:3], off offset:384
	s_waitcnt vmcnt(1)
	v_mul_f16_e32 v3, s15, v4
	s_waitcnt vmcnt(0)
	v_mul_f16_e32 v4, s15, v2
	v_bfi_b32 v15, 0xffff, v3, v12
.LBB272_25:
	v_lshlrev_b32_e32 v2, 3, v6
	v_lshlrev_b32_e32 v50, 3, v0
	;; [unrolled: 1-line block ×3, first 2 shown]
	s_cmp_lt_i32 s14, 9
	v_lshl_add_u32 v47, v7, 1, v2
	v_add_nc_u32_e32 v2, 0x1000, v50
	ds_write_b16 v47, v10 offset:4096
	ds_write_b16 v47, v37
	ds_write_b16_d16_hi v47, v37 offset:512
	ds_write_b16 v47, v38 offset:1024
	ds_write_b16 v47, v8 offset:1536
	s_waitcnt lgkmcnt(0)
	s_barrier
	buffer_gl0_inv
	ds_read2_b64 v[10:13], v2 offset1:8
	ds_read2_b64 v[16:19], v48 offset1:32
	ds_read2_b64 v[20:23], v2 offset0:16 offset1:24
	ds_read2_b64 v[24:27], v2 offset0:32 offset1:40
	;; [unrolled: 1-line block ×4, first 2 shown]
	s_waitcnt lgkmcnt(4)
	v_pk_add_f16 v2, v10, v16
	v_pk_add_f16 v3, v12, v16
	s_waitcnt lgkmcnt(3)
	v_pk_add_f16 v5, v20, v16
	v_pk_add_f16 v36, v22, v16
	;; [unrolled: 3-line block ×4, first 2 shown]
	v_pk_add_f16 v43, v10, v18
	v_pk_add_f16 v44, v12, v18
	;; [unrolled: 1-line block ×24, first 2 shown]
	s_waitcnt lgkmcnt(0)
	v_pk_add_f16 v70, v10, v32
	v_pk_add_f16 v71, v12, v32
	;; [unrolled: 1-line block ×13, first 2 shown]
	ds_read2_b64 v[16:19], v48 offset0:128 offset1:160
	v_pk_add_f16 v83, v26, v34
	v_pk_add_f16 v84, v28, v34
	;; [unrolled: 1-line block ×19, first 2 shown]
	ds_read2_b64 v[32:35], v48 offset0:192 offset1:224
	v_pk_min_f16 v2, 0x7c00, v2 op_sel_hi:[0,1]
	v_pk_min_f16 v3, 0x7c00, v3 op_sel_hi:[0,1]
	v_pk_min_f16 v5, 0x7c00, v5 op_sel_hi:[0,1]
	s_waitcnt lgkmcnt(1)
	v_pk_add_f16 v129, v10, v16
	v_pk_add_f16 v130, v12, v16
	v_pk_min_f16 v128, v2, v54
	v_pk_min_f16 v127, v3, v55
	;; [unrolled: 1-line block ×3, first 2 shown]
	v_pk_min_f16 v2, 0x7c00, v39 op_sel_hi:[0,1]
	v_pk_min_f16 v3, 0x7c00, v40 op_sel_hi:[0,1]
	;; [unrolled: 1-line block ×3, first 2 shown]
	v_pk_add_f16 v131, v20, v16
	v_pk_add_f16 v132, v22, v16
	v_pk_min_f16 v123, v2, v58
	v_pk_min_f16 v121, v3, v59
	;; [unrolled: 1-line block ×3, first 2 shown]
	v_pk_min_f16 v2, 0x7c00, v44 op_sel_hi:[0,1]
	v_pk_min_f16 v3, 0x7c00, v45 op_sel_hi:[0,1]
	;; [unrolled: 1-line block ×3, first 2 shown]
	v_pk_add_f16 v133, v24, v16
	v_pk_add_f16 v134, v26, v16
	;; [unrolled: 1-line block ×28, first 2 shown]
	s_waitcnt lgkmcnt(0)
	v_pk_add_f16 v157, v10, v32
	v_pk_add_f16 v158, v12, v32
	;; [unrolled: 1-line block ×31, first 2 shown]
	v_pk_min_f16 v36, 0x7c00, v36 op_sel_hi:[0,1]
	v_pk_add_f16 v31, v31, v35
	v_pk_min_f16 v35, 0x7c00, v42 op_sel_hi:[0,1]
	v_pk_min_f16 v111, v2, v63
	v_pk_min_f16 v109, v3, v64
	v_pk_min_f16 v105, v5, v65
	v_pk_min_f16 v2, 0x7c00, v52 op_sel_hi:[0,1]
	v_pk_min_f16 v3, 0x7c00, v53 op_sel_hi:[0,1]
	v_pk_min_f16 v5, 0x7c00, v70 op_sel_hi:[0,1]
	v_pk_min_f16 v125, v36, v57
	v_pk_min_f16 v36, 0x7c00, v43 op_sel_hi:[0,1]
	v_pk_min_f16 v117, v35, v61
	v_pk_min_f16 v35, 0x7c00, v49 op_sel_hi:[0,1]
	v_pk_min_f16 v106, v2, v68
	v_pk_min_f16 v120, v3, v69
	v_pk_min_f16 v118, v5, v86
	v_pk_min_f16 v2, 0x7c00, v73 op_sel_hi:[0,1]
	v_pk_min_f16 v3, 0x7c00, v74 op_sel_hi:[0,1]
	v_pk_min_f16 v5, 0x7c00, v75 op_sel_hi:[0,1]
	v_pk_min_f16 v114, v36, v62
	v_pk_min_f16 v36, 0x7c00, v51 op_sel_hi:[0,1]
	v_pk_min_f16 v103, v35, v66
	;; [unrolled: 10-line block ×3, first 2 shown]
	v_pk_min_f16 v35, 0x7c00, v76 op_sel_hi:[0,1]
	v_pk_min_f16 v101, v2, v94
	v_pk_min_f16 v100, v3, v95
	;; [unrolled: 1-line block ×3, first 2 shown]
	v_pk_min_f16 v2, 0x7c00, v83 op_sel_hi:[0,1]
	v_pk_min_f16 v3, 0x7c00, v84 op_sel_hi:[0,1]
	;; [unrolled: 1-line block ×3, first 2 shown]
	v_pk_min_f16 v113, v36, v88
	v_pk_min_f16 v104, v35, v92
	v_pk_min_f16 v35, 0x7c00, v81 op_sel_hi:[0,1]
	v_pk_min_f16 v83, v2, v116
	v_pk_min_f16 v81, v3, v122
	v_pk_min_f16 v88, v5, v124
	v_pk_min_f16 v2, 0x7c00, v131 op_sel_hi:[0,1]
	v_pk_min_f16 v3, 0x7c00, v132 op_sel_hi:[0,1]
	;; [unrolled: 1-line block ×4, first 2 shown]
	v_pk_min_f16 v92, v35, v97
	v_pk_min_f16 v78, v2, v145
	;; [unrolled: 1-line block ×4, first 2 shown]
	v_pk_min_f16 v2, 0x7c00, v16 op_sel_hi:[0,1]
	v_pk_min_f16 v3, 0x7c00, v136 op_sel_hi:[0,1]
	;; [unrolled: 1-line block ×3, first 2 shown]
	v_pk_min_f16 v102, v36, v93
	v_pk_min_f16 v36, 0x7c00, v82 op_sel_hi:[0,1]
	v_pk_min_f16 v75, v2, v17
	v_pk_min_f16 v73, v3, v150
	;; [unrolled: 1-line block ×3, first 2 shown]
	v_pk_min_f16 v2, 0x7c00, v140 op_sel_hi:[0,1]
	v_pk_min_f16 v3, 0x7c00, v141 op_sel_hi:[0,1]
	;; [unrolled: 1-line block ×5, first 2 shown]
	v_pk_min_f16 v69, v2, v154
	v_pk_min_f16 v68, v3, v155
	;; [unrolled: 1-line block ×3, first 2 shown]
	v_pk_min_f16 v2, 0x7c00, v158 op_sel_hi:[0,1]
	v_pk_min_f16 v3, 0x7c00, v161 op_sel_hi:[0,1]
	;; [unrolled: 1-line block ×3, first 2 shown]
	v_pk_min_f16 v90, v36, v98
	v_pk_min_f16 v36, 0x7c00, v130 op_sel_hi:[0,1]
	v_pk_min_f16 v82, v35, v143
	v_pk_min_f16 v35, 0x7c00, v134 op_sel_hi:[0,1]
	;; [unrolled: 2-line block ×3, first 2 shown]
	v_pk_min_f16 v17, 0x7c00, v157 op_sel_hi:[0,1]
	v_pk_min_f16 v61, v2, v160
	v_pk_min_f16 v59, v3, v163
	;; [unrolled: 1-line block ×3, first 2 shown]
	v_pk_min_f16 v2, 0x7c00, v169 op_sel_hi:[0,1]
	v_pk_min_f16 v3, 0x7c00, v32 op_sel_hi:[0,1]
	;; [unrolled: 1-line block ×4, first 2 shown]
	v_pk_min_f16 v80, v36, v144
	v_pk_min_f16 v36, 0x7c00, v135 op_sel_hi:[0,1]
	v_pk_min_f16 v76, v35, v148
	v_pk_min_f16 v35, 0x7c00, v139 op_sel_hi:[0,1]
	v_pk_min_f16 v65, v16, v19
	v_pk_min_f16 v63, v17, v159
	v_pk_min_f16 v16, 0x7c00, v165 op_sel_hi:[0,1]
	v_pk_min_f16 v17, 0x7c00, v166 op_sel_hi:[0,1]
	;; [unrolled: 1-line block ×3, first 2 shown]
	v_pk_min_f16 v53, v2, v34
	v_pk_min_f16 v54, v3, v33
	;; [unrolled: 1-line block ×4, first 2 shown]
	v_pk_min_f16 v2, 0x7c00, v22 op_sel_hi:[0,1]
	v_pk_min_f16 v3, 0x7c00, v24 op_sel_hi:[0,1]
	;; [unrolled: 1-line block ×5, first 2 shown]
	v_pk_min_f16 v74, v36, v149
	v_pk_min_f16 v70, v35, v153
	v_pk_min_f16 v56, v16, v167
	v_pk_min_f16 v55, v17, v168
	v_pk_min_f16 v49, v12, v21
	v_pk_min_f16 v67, v2, v23
	v_pk_min_f16 v64, v3, v25
	v_pk_min_f16 v62, v5, v27
	v_pk_min_f16 v60, v10, v29
	v_pk_min_f16 v57, v11, v31
	ds_write_b16 v47, v9 offset:4608
	ds_write_b16 v47, v14 offset:2048
	ds_write_b16_d16_hi v47, v14 offset:2560
	ds_write_b16 v47, v15 offset:3072
	ds_write_b16 v47, v4 offset:3584
	s_waitcnt lgkmcnt(0)
	s_barrier
	buffer_gl0_inv
	s_cbranch_scc1 .LBB272_48
; %bb.26:
	v_lshl_or_b32 v9, s6, 6, v6
	v_add_nc_u32_e32 v5, 12, v7
	s_lshl_b32 s6, s24, 6
	v_perm_b32 v38, v8, v38, 0x5040100
	v_add_nc_u32_e32 v10, 8, v7
	v_subrev_nc_u32_e32 v8, s6, v9
	v_mad_i64_i32 v[2:3], null, v5, s8, 0
	v_perm_b32 v15, v4, v15, 0x5040100
	v_mad_i64_i32 v[4:5], null, v5, s20, 0
	v_ashrrev_i32_e32 v9, 31, v8
	v_add_nc_u32_e32 v6, s23, v6
	v_or_b32_e32 v84, 0x1000, v47
	v_lshlrev_b64 v[39:40], 1, v[2:3]
	v_or_b32_e32 v85, 0x1000, v50
	v_lshlrev_b64 v[2:3], 1, v[8:9]
	v_mad_i64_i32 v[8:9], null, v10, s20, 0
	v_lshlrev_b64 v[4:5], 1, v[4:5]
	v_mad_i64_i32 v[10:11], null, v10, s8, 0
	v_add_co_u32 v93, vcc_lo, s16, v2
	v_add_co_ci_u32_e64 v94, null, s17, v3, vcc_lo
	v_lshlrev_b64 v[2:3], 1, v[8:9]
	v_ashrrev_i32_e32 v7, 31, v6
	v_add_co_u32 v95, vcc_lo, s18, v4
	v_add_co_ci_u32_e64 v96, null, s19, v5, vcc_lo
	v_add_co_u32 v97, vcc_lo, s18, v2
	v_lshlrev_b64 v[41:42], 1, v[6:7]
	v_lshlrev_b64 v[43:44], 1, v[10:11]
	v_add_nc_u32_e32 v86, 0x1200, v47
	v_or_b32_e32 v87, 0x800, v47
	v_lshl_add_u32 v89, v0, 3, 0x1200
	v_lshl_or_b32 v91, v1, 3, 0x800
	v_add_co_ci_u32_e64 v98, null, s19, v3, vcc_lo
	s_add_i32 s14, s14, -8
	s_lshl_b64 s[8:9], s[8:9], 4
	s_lshl_b64 s[16:17], s[20:21], 4
	s_mov_b32 s6, 0
	s_and_b32 vcc_lo, exec_lo, s2
	s_cbranch_vccz .LBB272_29
	s_branch .LBB272_28
.LBB272_27:
	v_mov_b32_e32 v14, v45
	s_and_b32 vcc_lo, exec_lo, s2
	s_cbranch_vccz .LBB272_29
.LBB272_28:
	v_mov_b32_e32 v16, 0
	s_mov_b32 s18, -1
	s_mov_b32 vcc_lo, s1
                                        ; implicit-def: $vgpr2_vgpr3
	s_cbranch_vccnz .LBB272_30
	s_branch .LBB272_31
.LBB272_29:
	v_add_co_u32 v2, vcc_lo, v93, v43
	v_add_co_ci_u32_e64 v3, null, v94, v44, vcc_lo
	global_load_ushort v2, v[2:3], off
	s_waitcnt vmcnt(0)
	v_mul_f16_e32 v16, s15, v2
	s_mov_b32 s18, -1
	s_mov_b32 vcc_lo, s1
                                        ; implicit-def: $vgpr2_vgpr3
	s_cbranch_vccz .LBB272_31
.LBB272_30:
	v_and_b32_e32 v2, 0xffff0000, v37
	v_mov_b32_e32 v3, v38
	s_mov_b32 s18, 0
.LBB272_31:
	v_mov_b32_e32 v4, 0
	s_andn2_b32 vcc_lo, exec_lo, s18
	s_cbranch_vccnz .LBB272_39
; %bb.32:
	v_add_co_u32 v2, vcc_lo, v97, v41
	v_add_co_ci_u32_e64 v3, null, v98, v42, vcc_lo
	s_clause 0x1
	global_load_ushort v4, v[2:3], off
	global_load_ushort v2, v[2:3], off offset:128
	s_waitcnt vmcnt(1)
	v_mul_f16_e32 v3, s15, v4
	s_waitcnt vmcnt(0)
	v_mul_f16_e32 v4, s15, v2
	v_bfi_b32 v37, 0xffff, v3, v37
	v_mov_b32_e32 v2, v37
	v_mov_b32_e32 v3, v38
	v_perm_b32 v37, v4, v2, 0x5040100
	s_mov_b32 s18, -1
	s_mov_b32 vcc_lo, s1
	s_cbranch_vccnz .LBB272_40
.LBB272_33:
	v_mov_b32_e32 v116, 0
	v_mov_b32_e32 v129, 0
	s_andn2_b32 vcc_lo, exec_lo, s18
	s_cbranch_vccnz .LBB272_35
.LBB272_34:
	v_add_co_u32 v4, vcc_lo, v97, v41
	v_add_co_ci_u32_e64 v5, null, v98, v42, vcc_lo
	s_clause 0x1
	global_load_ushort v2, v[4:5], off offset:256
	global_load_ushort v4, v[4:5], off offset:384
	s_waitcnt vmcnt(1)
	v_mul_f16_e32 v2, s15, v2
	s_waitcnt vmcnt(0)
	v_mul_f16_e32 v129, s15, v4
	v_bfi_b32 v38, 0xffff, v2, v3
.LBB272_35:
	ds_read2_b64 v[6:9], v89 offset1:8
	ds_read2_b64 v[2:5], v89 offset0:16 offset1:24
	ds_read2_b64 v[25:28], v89 offset0:32 offset1:40
	;; [unrolled: 1-line block ×3, first 2 shown]
	ds_read2_b64 v[33:36], v91 offset1:32
	ds_read2_b64 v[29:32], v91 offset0:64 offset1:96
	ds_read2_b64 v[10:13], v91 offset0:128 offset1:160
	ds_read2_b64 v[21:24], v91 offset0:192 offset1:224
	s_and_b32 vcc_lo, exec_lo, s2
	ds_write_b16 v84, v16
	ds_write_b16 v47, v37
	ds_write_b16_d16_hi v47, v37 offset:512
	ds_write_b16 v47, v38 offset:1024
	ds_write_b16 v47, v129 offset:1536
	s_waitcnt lgkmcnt(0)
	s_barrier
	buffer_gl0_inv
	s_cbranch_vccnz .LBB272_37
; %bb.36:
	v_add_co_u32 v45, vcc_lo, v93, v39
	v_add_co_ci_u32_e64 v46, null, v94, v40, vcc_lo
	global_load_ushort v16, v[45:46], off
	s_waitcnt vmcnt(0)
	v_mul_f16_e32 v116, s15, v16
.LBB272_37:
	s_mov_b32 s18, -1
	s_mov_b32 vcc_lo, s1
                                        ; implicit-def: $vgpr45_vgpr46
	s_cbranch_vccz .LBB272_41
; %bb.38:
	v_and_b32_e32 v45, 0xffff0000, v14
	v_mov_b32_e32 v46, v15
	v_mov_b32_e32 v16, 0
	s_cbranch_execnz .LBB272_43
	s_branch .LBB272_42
.LBB272_39:
	v_perm_b32 v37, v4, v2, 0x5040100
	s_mov_b32 s18, -1
	s_mov_b32 vcc_lo, s1
	s_cbranch_vccz .LBB272_33
.LBB272_40:
	v_and_b32_e32 v38, 0xffff0000, v3
	v_mov_b32_e32 v116, 0
	v_mov_b32_e32 v129, 0
	s_cbranch_execz .LBB272_34
	s_branch .LBB272_35
.LBB272_41:
	v_mov_b32_e32 v16, 0
	s_andn2_b32 vcc_lo, exec_lo, s18
	s_cbranch_vccnz .LBB272_43
.LBB272_42:
	v_add_co_u32 v45, vcc_lo, v95, v41
	v_add_co_ci_u32_e64 v46, null, v96, v42, vcc_lo
	s_clause 0x1
	global_load_ushort v16, v[45:46], off
	global_load_ushort v45, v[45:46], off offset:128
	s_waitcnt vmcnt(1)
	v_mul_f16_e32 v16, s15, v16
	v_bfi_b32 v14, 0xffff, v16, v14
	s_waitcnt vmcnt(0)
	v_mul_f16_e32 v16, s15, v45
	v_mov_b32_e32 v46, v15
	v_mov_b32_e32 v45, v14
.LBB272_43:
	v_perm_b32 v45, v16, v45, 0x5040100
	s_mov_b32 s18, -1
	s_mov_b32 vcc_lo, s1
                                        ; implicit-def: $vgpr122
	s_cbranch_vccz .LBB272_45
; %bb.44:
	v_and_b32_e32 v122, 0xffff0000, v46
	v_mov_b32_e32 v124, 0
	s_cbranch_execz .LBB272_46
	s_branch .LBB272_47
.LBB272_45:
	v_mov_b32_e32 v124, 0
	s_andn2_b32 vcc_lo, exec_lo, s18
	s_cbranch_vccnz .LBB272_47
.LBB272_46:
	v_add_co_u32 v14, vcc_lo, v95, v41
	v_add_co_ci_u32_e64 v15, null, v96, v42, vcc_lo
	s_clause 0x1
	global_load_ushort v16, v[14:15], off offset:256
	global_load_ushort v14, v[14:15], off offset:384
	s_waitcnt vmcnt(1)
	v_mul_f16_e32 v15, s15, v16
	s_waitcnt vmcnt(0)
	v_mul_f16_e32 v124, s15, v14
	v_bfi_b32 v122, 0xffff, v15, v46
.LBB272_47:
	v_pk_add_f16 v14, v6, v33
	v_pk_max_f16 v15, v128, v128
	v_pk_add_f16 v16, v8, v33
	v_pk_max_f16 v46, v127, v127
	;; [unrolled: 2-line block ×3, first 2 shown]
	v_pk_min_f16 v137, v15, v14
	v_pk_max_f16 v14, v126, v126
	v_pk_add_f16 v15, v4, v33
	v_pk_add_f16 v126, v25, v33
	v_pk_max_f16 v123, v123, v123
	v_pk_add_f16 v128, v27, v33
	v_pk_max_f16 v130, v121, v121
	v_pk_min_f16 v140, v46, v16
	v_pk_min_f16 v121, v14, v127
	;; [unrolled: 1-line block ×3, first 2 shown]
	v_pk_add_f16 v14, v17, v33
	v_pk_max_f16 v15, v119, v119
	v_pk_add_f16 v16, v19, v33
	v_pk_max_f16 v33, v117, v117
	;; [unrolled: 2-line block ×4, first 2 shown]
	v_pk_min_f16 v136, v123, v126
	v_pk_add_f16 v123, v8, v35
	v_pk_min_f16 v117, v15, v14
	v_pk_min_f16 v114, v33, v16
	;; [unrolled: 1-line block ×4, first 2 shown]
	v_pk_add_f16 v14, v4, v35
	v_pk_max_f16 v15, v105, v105
	v_pk_add_f16 v16, v25, v35
	v_pk_max_f16 v33, v103, v103
	;; [unrolled: 2-line block ×3, first 2 shown]
	v_pk_add_f16 v108, v17, v35
	v_pk_add_f16 v35, v19, v35
	v_pk_max_f16 v109, v120, v120
	v_pk_max_f16 v106, v106, v106
	v_pk_min_f16 v103, v15, v14
	v_pk_min_f16 v120, v33, v16
	v_pk_min_f16 v141, v105, v46
	v_pk_min_f16 v143, v109, v35
	v_pk_add_f16 v14, v6, v29
	v_pk_max_f16 v15, v118, v118
	v_pk_add_f16 v16, v8, v29
	v_pk_max_f16 v33, v115, v115
	;; [unrolled: 2-line block ×3, first 2 shown]
	v_pk_min_f16 v142, v106, v108
	v_pk_add_f16 v105, v4, v29
	v_pk_add_f16 v108, v25, v29
	v_pk_min_f16 v146, v15, v14
	v_pk_min_f16 v132, v33, v16
	v_pk_min_f16 v133, v46, v35
	v_pk_add_f16 v14, v27, v29
	v_pk_max_f16 v15, v107, v107
	v_pk_add_f16 v16, v17, v29
	v_pk_max_f16 v33, v104, v104
	;; [unrolled: 2-line block ×4, first 2 shown]
	v_pk_min_f16 v145, v130, v128
	v_pk_max_f16 v111, v111, v111
	v_pk_min_f16 v144, v15, v14
	v_pk_min_f16 v127, v33, v16
	;; [unrolled: 1-line block ×4, first 2 shown]
	v_pk_add_f16 v14, v2, v31
	v_pk_max_f16 v15, v99, v99
	v_pk_add_f16 v16, v4, v31
	v_pk_max_f16 v29, v92, v92
	;; [unrolled: 2-line block ×4, first 2 shown]
	v_pk_min_f16 v147, v111, v123
	v_pk_max_f16 v109, v110, v110
	v_pk_add_f16 v102, v8, v31
	v_pk_add_f16 v90, v17, v31
	v_pk_min_f16 v139, v15, v14
	v_pk_min_f16 v113, v29, v16
	;; [unrolled: 1-line block ×4, first 2 shown]
	v_pk_add_f16 v14, v19, v31
	v_pk_max_f16 v15, v88, v88
	v_pk_add_f16 v16, v6, v10
	v_pk_max_f16 v29, v82, v82
	;; [unrolled: 2-line block ×4, first 2 shown]
	v_pk_min_f16 v138, v109, v108
	v_pk_add_f16 v78, v4, v10
	v_pk_min_f16 v88, v15, v14
	v_pk_min_f16 v82, v29, v16
	;; [unrolled: 1-line block ×4, first 2 shown]
	v_pk_add_f16 v14, v25, v10
	v_pk_max_f16 v15, v77, v77
	v_pk_add_f16 v16, v27, v10
	v_pk_max_f16 v29, v76, v76
	v_pk_add_f16 v31, v17, v10
	v_pk_add_f16 v10, v19, v10
	v_pk_max_f16 v35, v75, v75
	v_pk_max_f16 v106, v112, v112
	;; [unrolled: 1-line block ×4, first 2 shown]
	v_pk_add_f16 v46, v6, v12
	v_pk_max_f16 v73, v73, v73
	v_pk_min_f16 v112, v15, v14
	v_pk_min_f16 v101, v29, v16
	;; [unrolled: 1-line block ×3, first 2 shown]
	v_pk_add_f16 v10, v8, v12
	v_pk_max_f16 v14, v72, v72
	v_pk_add_f16 v15, v2, v12
	v_pk_max_f16 v16, v71, v71
	v_pk_min_f16 v135, v106, v105
	v_pk_min_f16 v131, v100, v102
	;; [unrolled: 1-line block ×4, first 2 shown]
	v_pk_add_f16 v29, v4, v12
	v_pk_max_f16 v31, v70, v70
	v_pk_add_f16 v46, v25, v12
	v_pk_max_f16 v69, v69, v69
	v_pk_add_f16 v70, v27, v12
	v_pk_min_f16 v111, v14, v10
	v_pk_min_f16 v33, v16, v15
	v_pk_add_f16 v10, v17, v12
	v_pk_max_f16 v14, v66, v66
	v_pk_add_f16 v12, v19, v12
	v_pk_max_f16 v15, v65, v65
	v_pk_min_f16 v35, v31, v29
	v_pk_min_f16 v99, v69, v46
	v_pk_add_f16 v29, v6, v21
	v_pk_max_f16 v31, v63, v63
	v_pk_add_f16 v46, v8, v21
	v_pk_add_f16 v63, v2, v21
	v_pk_min_f16 v107, v14, v10
	v_pk_min_f16 v16, v15, v12
	v_pk_add_f16 v10, v4, v21
	v_pk_max_f16 v12, v58, v58
	v_pk_add_f16 v14, v25, v21
	v_pk_max_f16 v15, v56, v56
	v_pk_add_f16 v56, v27, v21
	v_pk_add_f16 v58, v17, v21
	;; [unrolled: 1-line block ×3, first 2 shown]
	v_pk_max_f16 v54, v54, v54
	v_pk_max_f16 v53, v53, v53
	v_pk_min_f16 v92, v12, v10
	v_pk_min_f16 v10, v15, v14
	v_pk_add_f16 v6, v6, v23
	v_pk_min_f16 v15, v54, v21
	v_pk_max_f16 v21, v52, v52
	v_pk_add_f16 v8, v8, v23
	v_pk_max_f16 v51, v51, v51
	v_pk_min_f16 v14, v53, v58
	v_pk_add_f16 v52, v2, v23
	v_pk_max_f16 v49, v49, v49
	v_pk_add_f16 v53, v4, v23
	v_pk_min_f16 v4, v21, v6
	v_pk_min_f16 v2, v51, v8
	v_pk_add_f16 v6, v27, v23
	v_pk_max_f16 v8, v62, v62
	v_pk_min_f16 v51, v49, v52
	v_pk_add_f16 v17, v17, v23
	v_pk_max_f16 v27, v60, v60
	v_pk_add_f16 v49, v7, v34
	v_pk_add_f16 v52, v9, v34
	v_pk_min_f16 v151, v8, v6
	v_pk_add_f16 v6, v3, v34
	v_pk_add_f16 v8, v5, v34
	v_pk_min_f16 v152, v27, v17
	v_pk_min_f16 v150, v137, v49
	;; [unrolled: 1-line block ×3, first 2 shown]
	v_pk_add_f16 v17, v26, v34
	v_pk_add_f16 v27, v18, v34
	v_pk_min_f16 v140, v121, v6
	v_pk_min_f16 v137, v134, v8
	v_pk_add_f16 v6, v20, v34
	v_pk_add_f16 v8, v7, v36
	v_pk_min_f16 v136, v136, v17
	v_pk_min_f16 v117, v117, v27
	;; [unrolled: 4-line block ×3, first 2 shown]
	v_pk_add_f16 v6, v26, v36
	v_pk_add_f16 v8, v28, v36
	v_pk_max_f16 v81, v81, v81
	v_pk_max_f16 v55, v55, v55
	v_pk_min_f16 v114, v147, v17
	v_pk_min_f16 v103, v103, v27
	v_pk_add_f16 v17, v18, v36
	v_pk_add_f16 v27, v7, v30
	v_pk_min_f16 v120, v120, v6
	v_pk_min_f16 v118, v141, v8
	v_pk_add_f16 v6, v9, v30
	v_pk_add_f16 v8, v3, v30
	v_pk_min_f16 v126, v81, v90
	v_pk_max_f16 v79, v79, v79
	v_pk_min_f16 v12, v55, v56
	v_pk_add_f16 v55, v25, v23
	v_pk_add_f16 v19, v19, v23
	v_pk_max_f16 v23, v57, v57
	v_pk_min_f16 v115, v142, v17
	v_pk_min_f16 v90, v146, v27
	v_pk_add_f16 v17, v5, v30
	v_pk_add_f16 v27, v26, v30
	v_pk_min_f16 v83, v132, v6
	v_pk_min_f16 v81, v133, v8
	v_pk_add_f16 v6, v18, v30
	v_pk_add_f16 v8, v20, v30
	v_pk_min_f16 v110, v79, v78
	v_pk_max_f16 v68, v68, v68
	v_pk_min_f16 v19, v23, v19
	v_pk_add_f16 v23, v28, v34
	v_pk_add_f16 v34, v28, v30
	v_pk_min_f16 v80, v135, v17
	v_pk_min_f16 v79, v138, v27
	v_pk_add_f16 v17, v7, v32
	v_pk_add_f16 v27, v9, v32
	;; [unrolled: 1-line block ×3, first 2 shown]
	v_pk_min_f16 v78, v127, v6
	v_pk_min_f16 v75, v128, v8
	v_pk_add_f16 v6, v5, v32
	v_pk_add_f16 v8, v26, v32
	v_pk_min_f16 v100, v68, v70
	v_pk_min_f16 v74, v130, v17
	;; [unrolled: 1-line block ×4, first 2 shown]
	v_pk_add_f16 v17, v28, v32
	v_pk_add_f16 v27, v18, v32
	;; [unrolled: 1-line block ×3, first 2 shown]
	v_pk_min_f16 v76, v113, v6
	v_pk_min_f16 v73, v123, v8
	v_pk_add_f16 v6, v7, v11
	v_pk_add_f16 v8, v9, v11
	v_pk_max_f16 v61, v61, v61
	v_pk_min_f16 v72, v125, v17
	v_pk_min_f16 v71, v126, v27
	;; [unrolled: 1-line block ×3, first 2 shown]
	v_pk_add_f16 v17, v3, v11
	v_pk_add_f16 v27, v5, v11
	;; [unrolled: 1-line block ×3, first 2 shown]
	v_pk_min_f16 v88, v82, v6
	v_pk_min_f16 v82, v108, v8
	v_pk_add_f16 v6, v28, v11
	v_pk_add_f16 v8, v18, v11
	;; [unrolled: 1-line block ×3, first 2 shown]
	v_pk_max_f16 v59, v59, v59
	v_pk_min_f16 v29, v31, v29
	v_pk_min_f16 v31, v61, v46
	v_pk_max_f16 v54, v67, v67
	v_pk_max_f16 v56, v64, v64
	v_pk_min_f16 v67, v109, v17
	v_pk_min_f16 v65, v110, v27
	v_pk_add_f16 v17, v7, v13
	v_pk_add_f16 v27, v9, v13
	v_pk_min_f16 v66, v101, v6
	v_pk_min_f16 v64, v102, v8
	v_pk_min_f16 v61, v104, v11
	v_pk_add_f16 v6, v3, v13
	v_pk_add_f16 v8, v5, v13
	;; [unrolled: 1-line block ×3, first 2 shown]
	v_pk_min_f16 v46, v59, v63
	v_pk_min_f16 v25, v54, v53
	;; [unrolled: 1-line block ×4, first 2 shown]
	v_pk_add_f16 v23, v3, v36
	v_pk_min_f16 v58, v105, v17
	v_pk_min_f16 v56, v111, v27
	v_pk_add_f16 v17, v28, v13
	v_pk_add_f16 v27, v18, v13
	v_pk_min_f16 v59, v33, v6
	v_pk_min_f16 v55, v35, v8
	;; [unrolled: 1-line block ×3, first 2 shown]
	v_pk_add_f16 v6, v20, v13
	v_pk_add_f16 v8, v7, v22
	v_pk_add_f16 v11, v9, v22
	v_pk_add_f16 v13, v3, v22
	v_pk_min_f16 v106, v148, v23
	v_pk_add_f16 v23, v20, v36
	v_pk_min_f16 v54, v16, v6
	v_pk_min_f16 v35, v29, v8
	;; [unrolled: 1-line block ×4, first 2 shown]
	v_pk_add_f16 v6, v26, v22
	v_pk_add_f16 v8, v28, v22
	;; [unrolled: 1-line block ×4, first 2 shown]
	v_pk_min_f16 v23, v143, v23
	v_pk_min_f16 v77, v144, v34
	;; [unrolled: 1-line block ×3, first 2 shown]
	v_pk_add_f16 v17, v5, v22
	v_pk_min_f16 v49, v10, v6
	v_pk_min_f16 v46, v12, v8
	;; [unrolled: 1-line block ×4, first 2 shown]
	ds_read2_b64 v[10:13], v85 offset1:8
	ds_read2_b64 v[141:144], v48 offset1:32
	v_pk_min_f16 v32, v107, v27
	v_pk_min_f16 v27, v92, v17
	v_pk_add_f16 v7, v7, v24
	ds_read2_b64 v[14:17], v85 offset0:16 offset1:24
	v_pk_min_f16 v63, v112, v30
	v_pk_add_f16 v22, v3, v24
	v_pk_add_f16 v34, v5, v24
	v_pk_min_f16 v30, v4, v7
	v_pk_add_f16 v4, v9, v24
	ds_read2_b64 v[6:9], v85 offset0:32 offset1:40
	v_pk_min_f16 v51, v51, v22
	v_pk_add_f16 v22, v26, v24
	v_pk_add_f16 v26, v28, v24
	v_pk_min_f16 v62, v2, v4
	ds_read2_b64 v[2:5], v85 offset0:48 offset1:56
	v_pk_add_f16 v18, v18, v24
	v_pk_add_f16 v20, v20, v24
	v_pk_min_f16 v60, v21, v22
	v_pk_max_f16 v123, v150, v150
	s_waitcnt lgkmcnt(3)
	v_pk_add_f16 v22, v10, v141
	v_pk_add_f16 v24, v12, v141
	v_pk_max_f16 v125, v149, v149
	v_pk_min_f16 v57, v25, v34
	s_waitcnt lgkmcnt(2)
	v_pk_add_f16 v25, v14, v141
	v_pk_add_f16 v126, v11, v142
	v_pk_min_f16 v22, v123, v22
	v_pk_add_f16 v123, v13, v142
	v_pk_min_f16 v24, v125, v24
	v_pk_max_f16 v125, v140, v140
	v_pk_add_f16 v105, v16, v141
	s_waitcnt lgkmcnt(1)
	v_pk_add_f16 v108, v6, v141
	v_pk_min_f16 v128, v22, v126
	v_pk_min_f16 v127, v24, v123
	v_pk_add_f16 v22, v15, v142
	v_pk_max_f16 v24, v137, v137
	v_pk_min_f16 v25, v125, v25
	v_pk_max_f16 v123, v136, v136
	v_pk_add_f16 v109, v8, v141
	s_waitcnt lgkmcnt(0)
	v_pk_add_f16 v111, v2, v141
	v_pk_add_f16 v125, v17, v142
	v_pk_max_f16 v121, v121, v121
	v_pk_min_f16 v24, v24, v105
	v_pk_add_f16 v105, v7, v142
	v_pk_min_f16 v108, v123, v108
	v_pk_min_f16 v126, v25, v22
	v_pk_max_f16 v22, v117, v117
	v_pk_add_f16 v138, v4, v141
	v_pk_add_f16 v139, v10, v143
	;; [unrolled: 1-line block ×3, first 2 shown]
	v_pk_min_f16 v109, v121, v109
	v_pk_min_f16 v125, v24, v125
	;; [unrolled: 1-line block ×3, first 2 shown]
	v_pk_add_f16 v24, v3, v142
	v_pk_max_f16 v25, v134, v134
	v_pk_min_f16 v22, v22, v111
	v_pk_max_f16 v105, v119, v119
	v_pk_min_f16 v34, v151, v26
	v_pk_min_f16 v28, v152, v18
	ds_read2_b64 v[145:148], v48 offset0:64 offset1:96
	v_pk_add_f16 v141, v12, v143
	v_pk_add_f16 v151, v14, v143
	;; [unrolled: 1-line block ×3, first 2 shown]
	v_pk_min_f16 v121, v109, v136
	v_pk_add_f16 v108, v5, v142
	v_pk_max_f16 v109, v114, v114
	v_pk_min_f16 v25, v25, v138
	v_pk_add_f16 v111, v11, v144
	v_pk_min_f16 v105, v105, v139
	v_pk_min_f16 v119, v22, v24
	v_pk_max_f16 v22, v106, v106
	v_pk_max_f16 v24, v103, v103
	v_pk_add_f16 v134, v13, v144
	v_pk_min_f16 v109, v109, v141
	v_pk_min_f16 v117, v25, v108
	;; [unrolled: 1-line block ×3, first 2 shown]
	v_pk_add_f16 v25, v15, v144
	v_pk_min_f16 v22, v22, v151
	v_pk_add_f16 v105, v17, v144
	v_pk_min_f16 v24, v24, v152
	v_pk_add_f16 v154, v8, v143
	v_pk_add_f16 v155, v2, v143
	v_pk_min_f16 v111, v109, v134
	v_pk_min_f16 v109, v22, v25
	v_pk_max_f16 v22, v118, v118
	v_pk_min_f16 v105, v24, v105
	v_pk_max_f16 v24, v115, v115
	v_pk_min_f16 v26, v19, v20
	ds_read2_b64 v[18:21], v48 offset0:128 offset1:160
	v_pk_min_f16 v108, v22, v154
	v_pk_max_f16 v134, v23, v23
	v_pk_min_f16 v118, v24, v155
	ds_read2_b64 v[22:25], v48 offset0:192 offset1:224
	v_pk_add_f16 v153, v6, v143
	s_waitcnt lgkmcnt(2)
	v_pk_add_f16 v107, v8, v145
	v_pk_add_f16 v99, v14, v147
	v_pk_max_f16 v103, v120, v120
	v_pk_max_f16 v77, v77, v77
	;; [unrolled: 1-line block ×3, first 2 shown]
	v_perm_b32 v38, v129, v38, 0x5040100
	v_pk_add_f16 v143, v4, v143
	v_pk_add_f16 v135, v10, v145
	;; [unrolled: 1-line block ×16, first 2 shown]
	v_pk_min_f16 v103, v103, v153
	v_pk_add_f16 v141, v9, v146
	v_pk_add_f16 v147, v15, v148
	v_pk_max_f16 v90, v90, v90
	v_pk_max_f16 v83, v83, v83
	;; [unrolled: 1-line block ×5, first 2 shown]
	v_pk_min_f16 v77, v77, v107
	v_pk_max_f16 v78, v78, v78
	v_pk_max_f16 v75, v75, v75
	v_pk_max_f16 v74, v74, v74
	v_pk_min_f16 v69, v69, v99
	v_pk_min_f16 v103, v103, v106
	v_pk_add_f16 v106, v9, v144
	v_pk_add_f16 v115, v3, v144
	;; [unrolled: 1-line block ×11, first 2 shown]
	v_pk_min_f16 v134, v134, v143
	v_pk_min_f16 v90, v90, v135
	;; [unrolled: 1-line block ×10, first 2 shown]
	v_pk_max_f16 v70, v70, v70
	v_pk_min_f16 v99, v69, v147
	v_pk_max_f16 v69, v73, v73
	v_pk_add_f16 v146, v13, v148
	v_pk_add_f16 v150, v7, v148
	v_pk_min_f16 v108, v108, v106
	s_waitcnt lgkmcnt(1)
	v_pk_add_f16 v153, v10, v18
	v_pk_add_f16 v143, v12, v18
	v_pk_min_f16 v106, v118, v115
	v_pk_add_f16 v154, v14, v18
	v_pk_min_f16 v120, v134, v120
	v_pk_add_f16 v134, v16, v18
	v_pk_add_f16 v135, v6, v18
	;; [unrolled: 1-line block ×3, first 2 shown]
	v_pk_min_f16 v118, v90, v136
	v_pk_add_f16 v136, v2, v18
	v_pk_add_f16 v18, v4, v18
	v_pk_min_f16 v115, v83, v137
	v_pk_add_f16 v137, v10, v20
	v_pk_min_f16 v113, v81, v138
	v_pk_add_f16 v138, v12, v20
	v_pk_add_f16 v155, v14, v20
	;; [unrolled: 1-line block ×3, first 2 shown]
	v_pk_min_f16 v112, v80, v139
	v_pk_add_f16 v139, v6, v20
	v_pk_add_f16 v157, v8, v20
	v_pk_min_f16 v110, v79, v140
	v_pk_add_f16 v140, v2, v20
	v_pk_add_f16 v20, v4, v20
	s_waitcnt lgkmcnt(0)
	v_pk_add_f16 v141, v10, v22
	v_pk_add_f16 v158, v12, v22
	v_pk_min_f16 v104, v77, v142
	v_pk_add_f16 v142, v14, v22
	v_pk_add_f16 v159, v16, v22
	v_pk_min_f16 v102, v75, v144
	v_pk_add_f16 v144, v6, v22
	v_pk_min_f16 v101, v74, v145
	;; [unrolled: 2-line block ×3, first 2 shown]
	v_pk_add_f16 v160, v2, v22
	v_pk_max_f16 v74, v76, v76
	v_pk_add_f16 v22, v4, v22
	v_pk_min_f16 v69, v69, v129
	v_pk_add_f16 v129, v2, v24
	v_pk_add_f16 v2, v4, v24
	v_pk_max_f16 v4, v88, v88
	v_pk_add_f16 v149, v17, v148
	v_pk_min_f16 v100, v70, v146
	v_pk_min_f16 v70, v74, v92
	;; [unrolled: 1-line block ×3, first 2 shown]
	v_pk_max_f16 v68, v68, v68
	v_pk_add_f16 v69, v11, v19
	v_pk_min_f16 v4, v4, v153
	v_pk_add_f16 v151, v9, v148
	v_pk_add_f16 v152, v3, v148
	;; [unrolled: 1-line block ×6, first 2 shown]
	v_pk_min_f16 v92, v70, v149
	v_pk_max_f16 v70, v72, v72
	v_pk_add_f16 v16, v16, v24
	v_pk_max_f16 v71, v71, v71
	v_pk_add_f16 v6, v6, v24
	v_pk_add_f16 v8, v8, v24
	v_pk_min_f16 v24, v68, v131
	v_pk_max_f16 v68, v82, v82
	v_pk_min_f16 v82, v4, v69
	v_pk_max_f16 v4, v65, v65
	v_pk_min_f16 v70, v70, v130
	v_pk_min_f16 v71, v71, v132
	v_pk_max_f16 v67, v67, v67
	v_pk_min_f16 v88, v24, v148
	v_pk_add_f16 v24, v17, v19
	v_pk_min_f16 v4, v4, v134
	v_pk_min_f16 v83, v70, v151
	;; [unrolled: 1-line block ×3, first 2 shown]
	v_pk_add_f16 v70, v13, v19
	v_pk_min_f16 v68, v68, v143
	v_pk_add_f16 v71, v15, v19
	v_pk_min_f16 v67, v67, v154
	v_pk_min_f16 v79, v4, v24
	v_pk_max_f16 v4, v61, v61
	v_pk_min_f16 v80, v68, v70
	v_pk_max_f16 v65, v66, v66
	v_pk_min_f16 v78, v67, v71
	v_pk_add_f16 v66, v7, v19
	v_pk_add_f16 v67, v9, v19
	;; [unrolled: 1-line block ×4, first 2 shown]
	v_pk_max_f16 v24, v58, v58
	v_pk_min_f16 v4, v4, v18
	v_pk_max_f16 v18, v56, v56
	v_pk_add_f16 v56, v11, v21
	v_pk_max_f16 v58, v59, v59
	v_pk_min_f16 v24, v24, v137
	v_pk_add_f16 v59, v13, v21
	v_pk_min_f16 v18, v18, v138
	v_pk_min_f16 v75, v4, v19
	v_pk_max_f16 v4, v55, v55
	v_pk_max_f16 v19, v53, v53
	v_pk_min_f16 v73, v24, v56
	v_pk_min_f16 v72, v18, v59
	v_pk_add_f16 v18, v17, v21
	v_pk_min_f16 v4, v4, v156
	v_pk_max_f16 v24, v52, v52
	v_pk_add_f16 v52, v7, v21
	v_pk_min_f16 v19, v19, v139
	v_pk_max_f16 v63, v63, v63
	v_pk_max_f16 v64, v64, v64
	v_pk_min_f16 v70, v4, v18
	v_pk_max_f16 v4, v54, v54
	v_pk_min_f16 v69, v19, v52
	;; [unrolled: 2-line block ×3, first 2 shown]
	v_pk_min_f16 v64, v64, v136
	v_pk_add_f16 v61, v15, v21
	v_pk_add_f16 v53, v9, v21
	v_pk_min_f16 v24, v24, v157
	v_pk_add_f16 v55, v3, v21
	v_pk_add_f16 v18, v5, v21
	v_pk_min_f16 v4, v4, v20
	v_pk_max_f16 v20, v33, v33
	v_pk_add_f16 v21, v11, v23
	v_pk_min_f16 v19, v19, v141
	v_pk_min_f16 v65, v65, v133
	;; [unrolled: 1-line block ×6, first 2 shown]
	v_pk_max_f16 v24, v29, v29
	v_pk_add_f16 v29, v13, v23
	v_pk_min_f16 v20, v20, v158
	v_pk_min_f16 v63, v19, v21
	v_pk_max_f16 v19, v49, v49
	v_pk_min_f16 v76, v65, v67
	v_pk_min_f16 v71, v58, v61
	v_pk_max_f16 v32, v32, v32
	v_pk_min_f16 v65, v4, v18
	v_pk_max_f16 v4, v27, v27
	;; [unrolled: 2-line block ×3, first 2 shown]
	v_pk_add_f16 v21, v7, v23
	v_pk_min_f16 v19, v19, v144
	v_pk_min_f16 v32, v32, v140
	v_pk_add_f16 v18, v17, v23
	v_pk_min_f16 v4, v4, v159
	v_pk_add_f16 v27, v9, v23
	v_pk_min_f16 v20, v20, v145
	v_pk_min_f16 v56, v19, v21
	v_pk_max_f16 v19, v30, v30
	v_pk_min_f16 v66, v32, v55
	v_pk_min_f16 v58, v4, v18
	v_pk_max_f16 v4, v31, v31
	v_pk_min_f16 v55, v20, v27
	v_pk_max_f16 v20, v62, v62
	v_pk_add_f16 v11, v11, v25
	v_pk_min_f16 v10, v19, v10
	v_pk_add_f16 v32, v15, v23
	v_pk_min_f16 v24, v24, v142
	;; [unrolled: 2-line block ×4, first 2 shown]
	v_pk_min_f16 v52, v10, v11
	v_pk_max_f16 v10, v60, v60
	v_pk_min_f16 v59, v24, v32
	v_pk_max_f16 v24, v36, v36
	v_pk_max_f16 v21, v51, v51
	v_pk_min_f16 v54, v4, v18
	v_pk_max_f16 v4, v57, v57
	v_pk_min_f16 v51, v12, v13
	;; [unrolled: 2-line block ×3, first 2 shown]
	v_pk_max_f16 v10, v28, v28
	v_pk_max_f16 v13, v26, v26
	v_add_co_u32 v93, vcc_lo, v93, s8
	v_pk_add_f16 v29, v3, v23
	v_pk_min_f16 v24, v24, v160
	v_pk_add_f16 v15, v15, v25
	v_pk_min_f16 v14, v21, v14
	;; [unrolled: 2-line block ×3, first 2 shown]
	v_pk_add_f16 v7, v7, v25
	v_pk_add_f16 v9, v9, v25
	v_pk_min_f16 v8, v12, v8
	v_pk_add_f16 v3, v3, v25
	v_pk_min_f16 v10, v10, v129
	;; [unrolled: 2-line block ×3, first 2 shown]
	v_add_co_ci_u32_e64 v94, null, s9, v94, vcc_lo
	v_add_co_u32 v95, vcc_lo, v95, s16
	v_add_co_ci_u32_e64 v96, null, s17, v96, vcc_lo
	v_add_co_u32 v97, vcc_lo, v97, s16
	v_pk_min_f16 v53, v24, v29
	v_pk_min_f16 v49, v14, v15
	;; [unrolled: 1-line block ×7, first 2 shown]
	v_perm_b32 v15, v124, v122, 0x5040100
	v_add_co_ci_u32_e64 v98, null, s17, v98, vcc_lo
	s_add_i32 s6, s6, 8
	ds_write_b16 v86, v116
	ds_write_b16 v87, v45
	ds_write_b16_d16_hi v87, v45 offset:512
	ds_write_b16 v87, v122 offset:1024
	ds_write_b16 v87, v124 offset:1536
	s_cmp_ge_i32 s6, s14
	s_waitcnt lgkmcnt(0)
	s_barrier
	buffer_gl0_inv
	s_cbranch_scc0 .LBB272_27
.LBB272_48:
	s_load_dword s2, s[4:5], 0x50
	v_add_nc_u32_e32 v84, s23, v1
	ds_read_b64 v[30:31], v50 offset:4608
	ds_read_b64 v[46:47], v48 offset:2048
	v_add_nc_u32_e32 v44, s22, v0
	v_cmp_neq_f16_e64 s8, s3, 0
	v_mov_b32_e32 v34, 0
	v_mov_b32_e32 v32, 0
	v_ashrrev_i32_e32 v45, 31, v44
	s_and_b32 vcc_lo, exec_lo, s8
	v_lshlrev_b64 v[28:29], 1, v[44:45]
	s_waitcnt lgkmcnt(0)
	v_mad_i64_i32 v[1:2], null, v84, s2, 0
	v_lshlrev_b64 v[0:1], 1, v[1:2]
	v_add_co_u32 v85, s1, s12, v0
	v_add_co_ci_u32_e64 v86, null, s13, v1, s1
	s_cbranch_vccz .LBB272_50
; %bb.49:
	v_add_co_u32 v0, vcc_lo, v85, v28
	v_add_co_ci_u32_e64 v1, null, v86, v29, vcc_lo
	global_load_ushort v0, v[0:1], off
	s_waitcnt vmcnt(0)
	v_mul_f16_e32 v0, s3, v0
	v_cvt_f32_f16_e32 v32, v0
.LBB272_50:
	s_clause 0x1
	s_load_dwordx2 s[14:15], s[4:5], 0x70
	s_load_dword s4, s[4:5], 0x68
	v_pk_add_f16 v13, v30, v46
	v_pk_add_f16 v26, v31, v47
	v_max_f16_e32 v14, v128, v128
	v_lshrrev_b32_e32 v15, 16, v128
	v_add_nc_u32_e32 v0, 0x1000, v50
	v_lshrrev_b32_e32 v27, 16, v13
	v_lshrrev_b32_e32 v33, 16, v26
	v_min_f16_e32 v37, v14, v13
	v_add_nc_u32_e32 v12, 0x800, v48
	ds_read_b64 v[24:25], v50 offset:5056
	ds_read2_b64 v[8:11], v0 offset0:72 offset1:80
	ds_read2_b64 v[4:7], v0 offset0:88 offset1:96
	v_min3_f16 v27, v15, v27, v33
	ds_read2_b64 v[0:3], v0 offset0:104 offset1:112
	ds_read2_b64 v[20:23], v12 offset0:32 offset1:64
	;; [unrolled: 1-line block ×4, first 2 shown]
	v_max_f32_e32 v40, v32, v32
	v_min3_f16 v33, v37, v26, v27
	ds_read_b64 v[26:27], v48 offset:3840
	s_waitcnt lgkmcnt(0)
	s_mul_i32 s1, s15, s7
	v_mad_i64_i32 v[35:36], null, v84, s4, 0
	s_mul_hi_u32 s5, s14, s7
	s_mul_i32 s14, s14, s7
	s_add_i32 s15, s5, s1
	v_cvt_f32_f16_e32 v39, v33
	s_lshl_b64 s[6:7], s[14:15], 1
	v_add_nc_u32_e32 v37, 8, v44
	v_lshlrev_b64 v[32:33], 1, v[35:36]
	s_add_u32 s5, s10, s6
	s_addc_u32 s6, s11, s7
	v_min_f32_e32 v35, v40, v39
	v_ashrrev_i32_e32 v38, 31, v37
	v_cndmask_b32_e64 v36, 0, 1, s8
	v_add_co_u32 v48, vcc_lo, s5, v32
	v_add_co_ci_u32_e64 v50, null, s6, v33, vcc_lo
	v_cvt_f16_f32_e32 v39, v35
	v_add_co_u32 v35, vcc_lo, v48, v28
	v_lshlrev_b64 v[32:33], 1, v[37:38]
	v_cmp_ne_u32_e64 s1, 1, v36
	v_add_co_ci_u32_e64 v36, null, v50, v29, vcc_lo
	s_andn2_b32 vcc_lo, exec_lo, s8
	global_store_short v[35:36], v39, off
	s_cbranch_vccnz .LBB272_52
; %bb.51:
	v_add_co_u32 v34, vcc_lo, v85, v32
	v_add_co_ci_u32_e64 v35, null, v86, v33, vcc_lo
	global_load_ushort v34, v[34:35], off
	s_waitcnt vmcnt(0)
	v_mul_f16_e32 v34, s3, v34
	v_cvt_f32_f16_e32 v34, v34
.LBB272_52:
	v_pk_add_f16 v35, v8, v46
	v_pk_add_f16 v36, v9, v47
	v_max_f16_e32 v37, v127, v127
	v_lshrrev_b32_e32 v38, 16, v127
	v_max_f32_e32 v34, v34, v34
	v_lshrrev_b32_e32 v39, 16, v35
	v_lshrrev_b32_e32 v40, 16, v36
	v_min_f16_e32 v35, v37, v35
	v_min3_f16 v37, v38, v39, v40
	v_add_co_u32 v39, vcc_lo, v48, v32
	v_add_co_ci_u32_e64 v40, null, v50, v33, vcc_lo
	v_min3_f16 v36, v35, v36, v37
	v_add_nc_u32_e32 v35, 16, v44
	v_mov_b32_e32 v38, 0
	s_and_b32 vcc_lo, exec_lo, s1
	v_cvt_f32_f16_e32 v37, v36
	v_ashrrev_i32_e32 v36, 31, v35
	v_min_f32_e32 v34, v34, v37
	v_cvt_f16_f32_e32 v37, v34
	v_lshlrev_b64 v[34:35], 1, v[35:36]
	v_mov_b32_e32 v36, 0
	global_store_short v[39:40], v37, off
	s_cbranch_vccnz .LBB272_54
; %bb.53:
	v_add_co_u32 v36, vcc_lo, v85, v34
	v_add_co_ci_u32_e64 v37, null, v86, v35, vcc_lo
	global_load_ushort v36, v[36:37], off
	s_waitcnt vmcnt(0)
	v_mul_f16_e32 v36, s3, v36
	v_cvt_f32_f16_e32 v36, v36
.LBB272_54:
	v_pk_add_f16 v37, v10, v46
	v_pk_add_f16 v39, v11, v47
	v_max_f16_e32 v40, v126, v126
	v_lshrrev_b32_e32 v41, 16, v126
	v_max_f32_e32 v36, v36, v36
	v_lshrrev_b32_e32 v42, 16, v37
	v_lshrrev_b32_e32 v43, 16, v39
	v_min_f16_e32 v37, v40, v37
	v_min3_f16 v40, v41, v42, v43
	v_add_co_u32 v41, vcc_lo, v48, v34
	v_add_co_ci_u32_e64 v42, null, v50, v35, vcc_lo
	v_min3_f16 v37, v37, v39, v40
	v_add_nc_u32_e32 v39, 24, v44
	s_and_b32 vcc_lo, exec_lo, s1
	v_cvt_f32_f16_e32 v37, v37
	v_ashrrev_i32_e32 v40, 31, v39
	v_min_f32_e32 v36, v36, v37
	v_cvt_f16_f32_e32 v43, v36
	v_lshlrev_b64 v[36:37], 1, v[39:40]
	global_store_short v[41:42], v43, off
	s_cbranch_vccnz .LBB272_56
; %bb.55:
	v_add_co_u32 v38, vcc_lo, v85, v36
	v_add_co_ci_u32_e64 v39, null, v86, v37, vcc_lo
	global_load_ushort v38, v[38:39], off
	s_waitcnt vmcnt(0)
	v_mul_f16_e32 v38, s3, v38
	v_cvt_f32_f16_e32 v38, v38
.LBB272_56:
	v_pk_add_f16 v39, v4, v46
	v_pk_add_f16 v40, v5, v47
	v_max_f16_e32 v41, v125, v125
	v_lshrrev_b32_e32 v42, 16, v125
	v_max_f32_e32 v38, v38, v38
	v_lshrrev_b32_e32 v43, 16, v39
	v_lshrrev_b32_e32 v45, 16, v40
	v_min_f16_e32 v39, v41, v39
	v_add_co_u32 v93, vcc_lo, v48, v36
	v_add_co_ci_u32_e64 v94, null, v50, v37, vcc_lo
	v_min3_f16 v41, v42, v43, v45
	s_and_b32 vcc_lo, exec_lo, s1
	v_min3_f16 v40, v39, v40, v41
	v_add_nc_u32_e32 v39, 32, v44
	v_cvt_f32_f16_e32 v41, v40
	v_ashrrev_i32_e32 v40, 31, v39
	v_min_f32_e32 v41, v38, v41
	v_lshlrev_b64 v[42:43], 1, v[39:40]
	v_mov_b32_e32 v38, 0
	v_mov_b32_e32 v39, 0
	v_cvt_f16_f32_e32 v41, v41
	global_store_short v[93:94], v41, off
	s_cbranch_vccnz .LBB272_58
; %bb.57:
	v_add_co_u32 v39, vcc_lo, v85, v42
	v_add_co_ci_u32_e64 v40, null, v86, v43, vcc_lo
	global_load_ushort v39, v[39:40], off
	s_waitcnt vmcnt(0)
	v_mul_f16_e32 v39, s3, v39
	v_cvt_f32_f16_e32 v39, v39
.LBB272_58:
	v_pk_add_f16 v40, v6, v46
	v_pk_add_f16 v41, v7, v47
	v_max_f16_e32 v45, v123, v123
	v_lshrrev_b32_e32 v87, 16, v123
	v_max_f32_e32 v39, v39, v39
	v_lshrrev_b32_e32 v89, 16, v40
	v_lshrrev_b32_e32 v91, 16, v41
	v_min_f16_e32 v40, v45, v40
	v_add_co_u32 v93, vcc_lo, v48, v42
	v_add_co_ci_u32_e64 v94, null, v50, v43, vcc_lo
	v_min3_f16 v45, v87, v89, v91
	s_and_b32 vcc_lo, exec_lo, s1
	v_min3_f16 v41, v40, v41, v45
	v_add_nc_u32_e32 v40, 40, v44
	v_cvt_f32_f16_e32 v45, v41
	v_ashrrev_i32_e32 v41, 31, v40
	v_min_f32_e32 v39, v39, v45
	v_lshlrev_b64 v[40:41], 1, v[40:41]
	v_cvt_f16_f32_e32 v39, v39
	global_store_short v[93:94], v39, off
	s_cbranch_vccnz .LBB272_60
; %bb.59:
	v_add_co_u32 v38, vcc_lo, v85, v40
	v_add_co_ci_u32_e64 v39, null, v86, v41, vcc_lo
	global_load_ushort v38, v[38:39], off
	s_waitcnt vmcnt(0)
	v_mul_f16_e32 v38, s3, v38
	v_cvt_f32_f16_e32 v38, v38
.LBB272_60:
	v_pk_add_f16 v39, v0, v46
	v_pk_add_f16 v45, v1, v47
	v_max_f16_e32 v87, v121, v121
	v_lshrrev_b32_e32 v89, 16, v121
	v_max_f32_e32 v38, v38, v38
	v_lshrrev_b32_e32 v91, 16, v39
	v_lshrrev_b32_e32 v93, 16, v45
	v_min_f16_e32 v39, v87, v39
	v_add_co_u32 v95, vcc_lo, v48, v40
	v_add_co_ci_u32_e64 v96, null, v50, v41, vcc_lo
	v_min3_f16 v87, v89, v91, v93
	v_add_nc_u32_e32 v93, 48, v44
	s_and_b32 vcc_lo, exec_lo, s1
	v_min3_f16 v39, v39, v45, v87
	v_ashrrev_i32_e32 v94, 31, v93
	v_mov_b32_e32 v87, 0
	v_mov_b32_e32 v45, 0
	v_cvt_f32_f16_e32 v39, v39
	v_min_f32_e32 v38, v38, v39
	v_cvt_f16_f32_e32 v89, v38
	v_lshlrev_b64 v[38:39], 1, v[93:94]
	global_store_short v[95:96], v89, off
	s_cbranch_vccnz .LBB272_62
; %bb.61:
	v_add_co_u32 v93, vcc_lo, v85, v38
	v_add_co_ci_u32_e64 v94, null, v86, v39, vcc_lo
	global_load_ushort v45, v[93:94], off
	s_waitcnt vmcnt(0)
	v_mul_f16_e32 v45, s3, v45
	v_cvt_f32_f16_e32 v45, v45
.LBB272_62:
	v_pk_add_f16 v89, v2, v46
	v_pk_add_f16 v91, v3, v47
	v_max_f16_e32 v93, v119, v119
	v_lshrrev_b32_e32 v94, 16, v119
	v_add_nc_u32_e32 v44, 56, v44
	v_lshrrev_b32_e32 v95, 16, v89
	v_lshrrev_b32_e32 v96, 16, v91
	v_min_f16_e32 v89, v93, v89
	v_min3_f16 v93, v94, v95, v96
	v_min3_f16 v89, v89, v91, v93
	v_max_f32_e32 v91, v45, v45
	v_ashrrev_i32_e32 v45, 31, v44
	v_add_co_u32 v93, vcc_lo, v48, v38
	v_cvt_f32_f16_e32 v89, v89
	v_add_co_ci_u32_e64 v94, null, v50, v39, vcc_lo
	v_lshlrev_b64 v[44:45], 1, v[44:45]
	s_and_b32 vcc_lo, exec_lo, s1
	v_min_f32_e32 v89, v91, v89
	v_cvt_f16_f32_e32 v89, v89
	global_store_short v[93:94], v89, off
	s_cbranch_vccnz .LBB272_64
; %bb.63:
	v_add_co_u32 v85, vcc_lo, v85, v44
	v_add_co_ci_u32_e64 v86, null, v86, v45, vcc_lo
	global_load_ushort v85, v[85:86], off
	s_waitcnt vmcnt(0)
	v_mul_f16_e32 v85, s3, v85
	v_cvt_f32_f16_e32 v87, v85
.LBB272_64:
	v_pk_add_f16 v46, v24, v46
	v_pk_add_f16 v85, v25, v47
	v_max_f16_e32 v47, v117, v117
	v_lshrrev_b32_e32 v89, 16, v117
	v_add_nc_u32_e32 v86, 32, v84
	v_lshrrev_b32_e32 v91, 16, v46
	v_lshrrev_b32_e32 v93, 16, v85
	v_min_f16_e32 v94, v47, v46
	v_max_f32_e32 v87, v87, v87
	v_mad_i64_i32 v[46:47], null, v86, s2, 0
	v_min3_f16 v89, v89, v91, v93
	v_add_co_u32 v93, vcc_lo, v48, v44
	v_min3_f16 v85, v94, v85, v89
	v_lshlrev_b64 v[46:47], 1, v[46:47]
	v_add_co_ci_u32_e64 v94, null, v50, v45, vcc_lo
	v_cvt_f32_f16_e32 v85, v85
	v_add_co_u32 v46, vcc_lo, s12, v46
	v_add_co_ci_u32_e64 v47, null, s13, v47, vcc_lo
	v_min_f32_e32 v48, v87, v85
	v_mov_b32_e32 v85, 0
	s_and_b32 vcc_lo, exec_lo, s1
	v_cvt_f16_f32_e32 v50, v48
	v_mov_b32_e32 v48, 0
	global_store_short v[93:94], v50, off
	s_cbranch_vccnz .LBB272_66
; %bb.65:
	v_add_co_u32 v93, vcc_lo, v46, v28
	v_add_co_ci_u32_e64 v94, null, v47, v29, vcc_lo
	global_load_ushort v48, v[93:94], off
	s_waitcnt vmcnt(0)
	v_mul_f16_e32 v48, s3, v48
	v_cvt_f32_f16_e32 v48, v48
.LBB272_66:
	v_pk_add_f16 v50, v30, v20
	v_pk_add_f16 v89, v31, v21
	v_max_f16_e32 v87, v114, v114
	v_lshrrev_b32_e32 v91, 16, v114
	v_max_f32_e32 v48, v48, v48
	v_lshrrev_b32_e32 v93, 16, v50
	v_lshrrev_b32_e32 v94, 16, v89
	v_min_f16_e32 v50, v87, v50
	v_mad_i64_i32 v[86:87], null, v86, s4, 0
	v_min3_f16 v91, v91, v93, v94
	v_lshlrev_b64 v[86:87], 1, v[86:87]
	v_min3_f16 v50, v50, v89, v91
	v_cvt_f32_f16_e32 v50, v50
	v_min_f32_e32 v89, v48, v50
	v_add_co_u32 v48, vcc_lo, s5, v86
	v_add_co_ci_u32_e64 v50, null, s6, v87, vcc_lo
	v_cvt_f16_f32_e32 v89, v89
	v_add_co_u32 v86, vcc_lo, v48, v28
	v_add_co_ci_u32_e64 v87, null, v50, v29, vcc_lo
	s_and_b32 vcc_lo, exec_lo, s1
	global_store_short v[86:87], v89, off
	s_cbranch_vccnz .LBB272_68
; %bb.67:
	v_add_co_u32 v85, vcc_lo, v46, v32
	v_add_co_ci_u32_e64 v86, null, v47, v33, vcc_lo
	global_load_ushort v85, v[85:86], off
	s_waitcnt vmcnt(0)
	v_mul_f16_e32 v85, s3, v85
	v_cvt_f32_f16_e32 v85, v85
.LBB272_68:
	v_pk_add_f16 v86, v8, v20
	v_pk_add_f16 v87, v9, v21
	v_max_f16_e32 v89, v111, v111
	v_lshrrev_b32_e32 v91, 16, v111
	v_max_f32_e32 v85, v85, v85
	v_lshrrev_b32_e32 v93, 16, v86
	v_lshrrev_b32_e32 v94, 16, v87
	v_min_f16_e32 v86, v89, v86
	v_min3_f16 v89, v91, v93, v94
	v_add_co_u32 v93, vcc_lo, v48, v32
	v_add_co_ci_u32_e64 v94, null, v50, v33, vcc_lo
	v_min3_f16 v86, v86, v87, v89
	s_and_b32 vcc_lo, exec_lo, s1
	v_cvt_f32_f16_e32 v86, v86
	v_min_f32_e32 v85, v85, v86
	v_mov_b32_e32 v86, 0
	v_cvt_f16_f32_e32 v87, v85
	v_mov_b32_e32 v85, 0
	global_store_short v[93:94], v87, off
	s_cbranch_vccnz .LBB272_70
; %bb.69:
	v_add_co_u32 v86, vcc_lo, v46, v34
	v_add_co_ci_u32_e64 v87, null, v47, v35, vcc_lo
	global_load_ushort v86, v[86:87], off
	s_waitcnt vmcnt(0)
	v_mul_f16_e32 v86, s3, v86
	v_cvt_f32_f16_e32 v86, v86
.LBB272_70:
	v_pk_add_f16 v87, v10, v20
	v_pk_add_f16 v89, v11, v21
	v_max_f16_e32 v91, v109, v109
	v_lshrrev_b32_e32 v93, 16, v109
	v_max_f32_e32 v86, v86, v86
	v_lshrrev_b32_e32 v94, 16, v87
	v_lshrrev_b32_e32 v95, 16, v89
	v_min_f16_e32 v87, v91, v87
	v_min3_f16 v91, v93, v94, v95
	v_min3_f16 v87, v87, v89, v91
	v_cvt_f32_f16_e32 v87, v87
	v_min_f32_e32 v86, v86, v87
	v_cvt_f16_f32_e32 v89, v86
	v_add_co_u32 v86, vcc_lo, v48, v34
	v_add_co_ci_u32_e64 v87, null, v50, v35, vcc_lo
	s_and_b32 vcc_lo, exec_lo, s1
	global_store_short v[86:87], v89, off
	s_cbranch_vccnz .LBB272_72
; %bb.71:
	v_add_co_u32 v85, vcc_lo, v46, v36
	v_add_co_ci_u32_e64 v86, null, v47, v37, vcc_lo
	global_load_ushort v85, v[85:86], off
	s_waitcnt vmcnt(0)
	v_mul_f16_e32 v85, s3, v85
	v_cvt_f32_f16_e32 v85, v85
.LBB272_72:
	v_pk_add_f16 v86, v4, v20
	v_pk_add_f16 v87, v5, v21
	v_max_f16_e32 v89, v105, v105
	v_lshrrev_b32_e32 v91, 16, v105
	v_max_f32_e32 v85, v85, v85
	v_lshrrev_b32_e32 v93, 16, v86
	v_lshrrev_b32_e32 v94, 16, v87
	v_min_f16_e32 v86, v89, v86
	v_min3_f16 v89, v91, v93, v94
	v_add_co_u32 v93, vcc_lo, v48, v36
	v_add_co_ci_u32_e64 v94, null, v50, v37, vcc_lo
	v_min3_f16 v86, v86, v87, v89
	s_and_b32 vcc_lo, exec_lo, s1
	v_cvt_f32_f16_e32 v86, v86
	v_min_f32_e32 v85, v85, v86
	v_mov_b32_e32 v86, 0
	v_cvt_f16_f32_e32 v87, v85
	v_mov_b32_e32 v85, 0
	global_store_short v[93:94], v87, off
	s_cbranch_vccnz .LBB272_74
; %bb.73:
	v_add_co_u32 v86, vcc_lo, v46, v42
	v_add_co_ci_u32_e64 v87, null, v47, v43, vcc_lo
	global_load_ushort v86, v[86:87], off
	s_waitcnt vmcnt(0)
	v_mul_f16_e32 v86, s3, v86
	v_cvt_f32_f16_e32 v86, v86
.LBB272_74:
	v_pk_add_f16 v87, v6, v20
	v_pk_add_f16 v89, v7, v21
	v_max_f16_e32 v91, v103, v103
	v_lshrrev_b32_e32 v93, 16, v103
	v_max_f32_e32 v86, v86, v86
	v_lshrrev_b32_e32 v94, 16, v87
	v_lshrrev_b32_e32 v95, 16, v89
	v_min_f16_e32 v87, v91, v87
	v_min3_f16 v91, v93, v94, v95
	v_min3_f16 v87, v87, v89, v91
	v_cvt_f32_f16_e32 v87, v87
	v_min_f32_e32 v86, v86, v87
	;; [unrolled: 54-line block ×3, first 2 shown]
	v_cvt_f16_f32_e32 v89, v86
	v_add_co_u32 v86, vcc_lo, v48, v38
	v_add_co_ci_u32_e64 v87, null, v50, v39, vcc_lo
	s_and_b32 vcc_lo, exec_lo, s1
	global_store_short v[86:87], v89, off
	s_cbranch_vccnz .LBB272_80
; %bb.79:
	v_add_co_u32 v46, vcc_lo, v46, v44
	v_add_co_ci_u32_e64 v47, null, v47, v45, vcc_lo
	global_load_ushort v46, v[46:47], off
	s_waitcnt vmcnt(0)
	v_mul_f16_e32 v46, s3, v46
	v_cvt_f32_f16_e32 v85, v46
.LBB272_80:
	v_pk_add_f16 v20, v24, v20
	v_pk_add_f16 v47, v25, v21
	v_max_f16_e32 v21, v120, v120
	v_lshrrev_b32_e32 v86, 16, v120
	v_add_nc_u32_e32 v46, 64, v84
	v_lshrrev_b32_e32 v87, 16, v20
	v_lshrrev_b32_e32 v89, 16, v47
	v_min_f16_e32 v91, v21, v20
	v_mad_i64_i32 v[20:21], null, v46, s2, 0
	v_min3_f16 v86, v86, v87, v89
	v_max_f32_e32 v87, v85, v85
	v_add_co_u32 v85, vcc_lo, v48, v44
	v_mov_b32_e32 v48, 0
	v_min3_f16 v47, v91, v47, v86
	v_lshlrev_b64 v[20:21], 1, v[20:21]
	v_add_co_ci_u32_e64 v86, null, v50, v45, vcc_lo
	v_cvt_f32_f16_e32 v47, v47
	v_add_co_u32 v20, vcc_lo, s12, v20
	v_add_co_ci_u32_e64 v21, null, s13, v21, vcc_lo
	v_min_f32_e32 v47, v87, v47
	s_and_b32 vcc_lo, exec_lo, s1
	v_cvt_f16_f32_e32 v50, v47
	v_mov_b32_e32 v47, 0
	global_store_short v[85:86], v50, off
	s_cbranch_vccnz .LBB272_82
; %bb.81:
	v_add_co_u32 v85, vcc_lo, v20, v28
	v_add_co_ci_u32_e64 v86, null, v21, v29, vcc_lo
	global_load_ushort v47, v[85:86], off
	s_waitcnt vmcnt(0)
	v_mul_f16_e32 v47, s3, v47
	v_cvt_f32_f16_e32 v47, v47
.LBB272_82:
	v_pk_add_f16 v50, v30, v22
	v_pk_add_f16 v87, v31, v23
	v_max_f16_e32 v85, v118, v118
	v_lshrrev_b32_e32 v86, 16, v118
	v_lshrrev_b32_e32 v89, 16, v50
	;; [unrolled: 1-line block ×3, first 2 shown]
	v_min_f16_e32 v50, v85, v50
	v_min3_f16 v89, v86, v89, v91
	v_mad_i64_i32 v[85:86], null, v46, s4, 0
	v_min3_f16 v46, v50, v87, v89
	v_max_f32_e32 v50, v47, v47
	v_cvt_f32_f16_e32 v87, v46
	v_lshlrev_b64 v[46:47], 1, v[85:86]
	v_min_f32_e32 v50, v50, v87
	v_add_co_u32 v46, vcc_lo, s5, v46
	v_add_co_ci_u32_e64 v47, null, s6, v47, vcc_lo
	v_cvt_f16_f32_e32 v50, v50
	v_add_co_u32 v85, vcc_lo, v46, v28
	v_add_co_ci_u32_e64 v86, null, v47, v29, vcc_lo
	s_and_b32 vcc_lo, exec_lo, s1
	global_store_short v[85:86], v50, off
	s_cbranch_vccnz .LBB272_84
; %bb.83:
	v_add_co_u32 v85, vcc_lo, v20, v32
	v_add_co_ci_u32_e64 v86, null, v21, v33, vcc_lo
	global_load_ushort v48, v[85:86], off
	s_waitcnt vmcnt(0)
	v_mul_f16_e32 v48, s3, v48
	v_cvt_f32_f16_e32 v48, v48
.LBB272_84:
	v_pk_add_f16 v50, v8, v22
	v_pk_add_f16 v85, v9, v23
	v_max_f16_e32 v86, v115, v115
	v_lshrrev_b32_e32 v87, 16, v115
	v_max_f32_e32 v48, v48, v48
	v_lshrrev_b32_e32 v89, 16, v50
	v_lshrrev_b32_e32 v91, 16, v85
	v_min_f16_e32 v50, v86, v50
	v_min3_f16 v86, v87, v89, v91
	v_min3_f16 v50, v50, v85, v86
	v_add_co_u32 v85, vcc_lo, v46, v32
	v_add_co_ci_u32_e64 v86, null, v47, v33, vcc_lo
	v_cvt_f32_f16_e32 v50, v50
	s_and_b32 vcc_lo, exec_lo, s1
	v_min_f32_e32 v48, v48, v50
	v_mov_b32_e32 v50, 0
	v_cvt_f16_f32_e32 v87, v48
	v_mov_b32_e32 v48, 0
	global_store_short v[85:86], v87, off
	s_cbranch_vccnz .LBB272_86
; %bb.85:
	v_add_co_u32 v85, vcc_lo, v20, v34
	v_add_co_ci_u32_e64 v86, null, v21, v35, vcc_lo
	global_load_ushort v50, v[85:86], off
	s_waitcnt vmcnt(0)
	v_mul_f16_e32 v50, s3, v50
	v_cvt_f32_f16_e32 v50, v50
.LBB272_86:
	v_pk_add_f16 v85, v10, v22
	v_pk_add_f16 v86, v11, v23
	v_max_f16_e32 v87, v113, v113
	v_lshrrev_b32_e32 v89, 16, v113
	v_max_f32_e32 v50, v50, v50
	v_lshrrev_b32_e32 v91, 16, v85
	v_lshrrev_b32_e32 v93, 16, v86
	v_min_f16_e32 v85, v87, v85
	v_min3_f16 v87, v89, v91, v93
	v_min3_f16 v85, v85, v86, v87
	v_cvt_f32_f16_e32 v85, v85
	v_min_f32_e32 v50, v50, v85
	v_add_co_u32 v85, vcc_lo, v46, v34
	v_add_co_ci_u32_e64 v86, null, v47, v35, vcc_lo
	v_cvt_f16_f32_e32 v50, v50
	s_and_b32 vcc_lo, exec_lo, s1
	global_store_short v[85:86], v50, off
	s_cbranch_vccnz .LBB272_88
; %bb.87:
	v_add_co_u32 v85, vcc_lo, v20, v36
	v_add_co_ci_u32_e64 v86, null, v21, v37, vcc_lo
	global_load_ushort v48, v[85:86], off
	s_waitcnt vmcnt(0)
	v_mul_f16_e32 v48, s3, v48
	v_cvt_f32_f16_e32 v48, v48
.LBB272_88:
	v_pk_add_f16 v50, v4, v22
	v_pk_add_f16 v85, v5, v23
	v_max_f16_e32 v86, v112, v112
	v_lshrrev_b32_e32 v87, 16, v112
	v_max_f32_e32 v48, v48, v48
	v_lshrrev_b32_e32 v89, 16, v50
	v_lshrrev_b32_e32 v91, 16, v85
	v_min_f16_e32 v50, v86, v50
	v_min3_f16 v86, v87, v89, v91
	v_min3_f16 v50, v50, v85, v86
	v_add_co_u32 v85, vcc_lo, v46, v36
	v_add_co_ci_u32_e64 v86, null, v47, v37, vcc_lo
	v_cvt_f32_f16_e32 v50, v50
	s_and_b32 vcc_lo, exec_lo, s1
	v_min_f32_e32 v48, v48, v50
	v_mov_b32_e32 v50, 0
	v_cvt_f16_f32_e32 v87, v48
	v_mov_b32_e32 v48, 0
	global_store_short v[85:86], v87, off
	s_cbranch_vccnz .LBB272_90
; %bb.89:
	v_add_co_u32 v85, vcc_lo, v20, v42
	v_add_co_ci_u32_e64 v86, null, v21, v43, vcc_lo
	global_load_ushort v50, v[85:86], off
	s_waitcnt vmcnt(0)
	v_mul_f16_e32 v50, s3, v50
	v_cvt_f32_f16_e32 v50, v50
.LBB272_90:
	v_pk_add_f16 v85, v6, v22
	v_pk_add_f16 v86, v7, v23
	v_max_f16_e32 v87, v110, v110
	v_lshrrev_b32_e32 v89, 16, v110
	v_max_f32_e32 v50, v50, v50
	v_lshrrev_b32_e32 v91, 16, v85
	v_lshrrev_b32_e32 v93, 16, v86
	v_min_f16_e32 v85, v87, v85
	v_min3_f16 v87, v89, v91, v93
	v_min3_f16 v85, v85, v86, v87
	v_cvt_f32_f16_e32 v85, v85
	v_min_f32_e32 v50, v50, v85
	v_add_co_u32 v85, vcc_lo, v46, v42
	v_add_co_ci_u32_e64 v86, null, v47, v43, vcc_lo
	v_cvt_f16_f32_e32 v50, v50
	;; [unrolled: 54-line block ×3, first 2 shown]
	s_and_b32 vcc_lo, exec_lo, s1
	global_store_short v[85:86], v50, off
	s_cbranch_vccnz .LBB272_96
; %bb.95:
	v_add_co_u32 v20, vcc_lo, v20, v44
	v_add_co_ci_u32_e64 v21, null, v21, v45, vcc_lo
	global_load_ushort v20, v[20:21], off
	s_waitcnt vmcnt(0)
	v_mul_f16_e32 v20, s3, v20
	v_cvt_f32_f16_e32 v48, v20
.LBB272_96:
	v_pk_add_f16 v20, v24, v22
	v_pk_add_f16 v23, v25, v23
	v_max_f16_e32 v21, v102, v102
	v_lshrrev_b32_e32 v50, 16, v102
	v_add_nc_u32_e32 v22, 0x60, v84
	v_lshrrev_b32_e32 v85, 16, v20
	v_lshrrev_b32_e32 v86, 16, v23
	v_min_f16_e32 v87, v21, v20
	v_max_f32_e32 v48, v48, v48
	v_mad_i64_i32 v[20:21], null, v22, s2, 0
	v_min3_f16 v50, v50, v85, v86
	v_add_co_u32 v85, vcc_lo, v46, v44
	v_add_co_ci_u32_e64 v86, null, v47, v45, vcc_lo
	v_min3_f16 v23, v87, v23, v50
	v_lshlrev_b64 v[20:21], 1, v[20:21]
	v_mov_b32_e32 v46, 0
	v_cvt_f32_f16_e32 v23, v23
	v_add_co_u32 v20, vcc_lo, s12, v20
	v_add_co_ci_u32_e64 v21, null, s13, v21, vcc_lo
	v_min_f32_e32 v23, v48, v23
	s_and_b32 vcc_lo, exec_lo, s1
	v_cvt_f16_f32_e32 v47, v23
	v_mov_b32_e32 v23, 0
	global_store_short v[85:86], v47, off
	s_cbranch_vccnz .LBB272_98
; %bb.97:
	v_add_co_u32 v47, vcc_lo, v20, v28
	v_add_co_ci_u32_e64 v48, null, v21, v29, vcc_lo
	global_load_ushort v23, v[47:48], off
	s_waitcnt vmcnt(0)
	v_mul_f16_e32 v23, s3, v23
	v_cvt_f32_f16_e32 v23, v23
.LBB272_98:
	v_pk_add_f16 v47, v30, v16
	v_pk_add_f16 v50, v31, v17
	v_max_f16_e32 v48, v101, v101
	v_lshrrev_b32_e32 v85, 16, v101
	v_lshrrev_b32_e32 v86, 16, v47
	;; [unrolled: 1-line block ×3, first 2 shown]
	v_min_f16_e32 v89, v48, v47
	v_mad_i64_i32 v[47:48], null, v22, s4, 0
	v_min3_f16 v85, v85, v86, v87
	v_min3_f16 v22, v89, v50, v85
	v_max_f32_e32 v50, v23, v23
	v_cvt_f32_f16_e32 v85, v22
	v_lshlrev_b64 v[22:23], 1, v[47:48]
	v_min_f32_e32 v47, v50, v85
	v_add_co_u32 v22, vcc_lo, s5, v22
	v_add_co_ci_u32_e64 v23, null, s6, v23, vcc_lo
	v_cvt_f16_f32_e32 v50, v47
	v_add_co_u32 v47, vcc_lo, v22, v28
	v_add_co_ci_u32_e64 v48, null, v23, v29, vcc_lo
	s_and_b32 vcc_lo, exec_lo, s1
	global_store_short v[47:48], v50, off
	s_cbranch_vccnz .LBB272_100
; %bb.99:
	v_add_co_u32 v46, vcc_lo, v20, v32
	v_add_co_ci_u32_e64 v47, null, v21, v33, vcc_lo
	global_load_ushort v46, v[46:47], off
	s_waitcnt vmcnt(0)
	v_mul_f16_e32 v46, s3, v46
	v_cvt_f32_f16_e32 v46, v46
.LBB272_100:
	v_pk_add_f16 v47, v8, v16
	v_pk_add_f16 v48, v9, v17
	v_max_f16_e32 v50, v100, v100
	v_lshrrev_b32_e32 v85, 16, v100
	v_max_f32_e32 v46, v46, v46
	v_lshrrev_b32_e32 v86, 16, v47
	v_lshrrev_b32_e32 v87, 16, v48
	v_min_f16_e32 v47, v50, v47
	v_min3_f16 v50, v85, v86, v87
	v_add_co_u32 v85, vcc_lo, v22, v32
	v_add_co_ci_u32_e64 v86, null, v23, v33, vcc_lo
	v_min3_f16 v47, v47, v48, v50
	s_and_b32 vcc_lo, exec_lo, s1
	v_cvt_f32_f16_e32 v47, v47
	v_min_f32_e32 v46, v46, v47
	v_mov_b32_e32 v47, 0
	v_cvt_f16_f32_e32 v48, v46
	v_mov_b32_e32 v46, 0
	global_store_short v[85:86], v48, off
	s_cbranch_vccnz .LBB272_102
; %bb.101:
	v_add_co_u32 v47, vcc_lo, v20, v34
	v_add_co_ci_u32_e64 v48, null, v21, v35, vcc_lo
	global_load_ushort v47, v[47:48], off
	s_waitcnt vmcnt(0)
	v_mul_f16_e32 v47, s3, v47
	v_cvt_f32_f16_e32 v47, v47
.LBB272_102:
	v_pk_add_f16 v48, v10, v16
	v_pk_add_f16 v50, v11, v17
	v_max_f16_e32 v85, v99, v99
	v_lshrrev_b32_e32 v86, 16, v99
	v_max_f32_e32 v47, v47, v47
	v_lshrrev_b32_e32 v87, 16, v48
	v_lshrrev_b32_e32 v89, 16, v50
	v_min_f16_e32 v48, v85, v48
	v_min3_f16 v85, v86, v87, v89
	v_min3_f16 v48, v48, v50, v85
	v_cvt_f32_f16_e32 v48, v48
	v_min_f32_e32 v47, v47, v48
	v_cvt_f16_f32_e32 v50, v47
	v_add_co_u32 v47, vcc_lo, v22, v34
	v_add_co_ci_u32_e64 v48, null, v23, v35, vcc_lo
	s_and_b32 vcc_lo, exec_lo, s1
	global_store_short v[47:48], v50, off
	s_cbranch_vccnz .LBB272_104
; %bb.103:
	v_add_co_u32 v46, vcc_lo, v20, v36
	v_add_co_ci_u32_e64 v47, null, v21, v37, vcc_lo
	global_load_ushort v46, v[46:47], off
	s_waitcnt vmcnt(0)
	v_mul_f16_e32 v46, s3, v46
	v_cvt_f32_f16_e32 v46, v46
.LBB272_104:
	v_pk_add_f16 v47, v4, v16
	v_pk_add_f16 v48, v5, v17
	v_max_f16_e32 v50, v92, v92
	v_lshrrev_b32_e32 v85, 16, v92
	v_max_f32_e32 v46, v46, v46
	v_lshrrev_b32_e32 v86, 16, v47
	v_lshrrev_b32_e32 v87, 16, v48
	v_min_f16_e32 v47, v50, v47
	v_min3_f16 v50, v85, v86, v87
	v_add_co_u32 v85, vcc_lo, v22, v36
	v_add_co_ci_u32_e64 v86, null, v23, v37, vcc_lo
	v_min3_f16 v47, v47, v48, v50
	s_and_b32 vcc_lo, exec_lo, s1
	v_cvt_f32_f16_e32 v47, v47
	v_min_f32_e32 v46, v46, v47
	v_mov_b32_e32 v47, 0
	v_cvt_f16_f32_e32 v48, v46
	v_mov_b32_e32 v46, 0
	global_store_short v[85:86], v48, off
	s_cbranch_vccnz .LBB272_106
; %bb.105:
	v_add_co_u32 v47, vcc_lo, v20, v42
	v_add_co_ci_u32_e64 v48, null, v21, v43, vcc_lo
	global_load_ushort v47, v[47:48], off
	s_waitcnt vmcnt(0)
	v_mul_f16_e32 v47, s3, v47
	v_cvt_f32_f16_e32 v47, v47
.LBB272_106:
	v_pk_add_f16 v48, v6, v16
	v_pk_add_f16 v50, v7, v17
	v_max_f16_e32 v85, v90, v90
	v_lshrrev_b32_e32 v86, 16, v90
	v_max_f32_e32 v47, v47, v47
	v_lshrrev_b32_e32 v87, 16, v48
	v_lshrrev_b32_e32 v89, 16, v50
	v_min_f16_e32 v48, v85, v48
	v_min3_f16 v85, v86, v87, v89
	v_min3_f16 v48, v48, v50, v85
	v_cvt_f32_f16_e32 v48, v48
	v_min_f32_e32 v47, v47, v48
	;; [unrolled: 54-line block ×3, first 2 shown]
	v_cvt_f16_f32_e32 v50, v47
	v_add_co_u32 v47, vcc_lo, v22, v38
	v_add_co_ci_u32_e64 v48, null, v23, v39, vcc_lo
	s_and_b32 vcc_lo, exec_lo, s1
	global_store_short v[47:48], v50, off
	s_cbranch_vccnz .LBB272_112
; %bb.111:
	v_add_co_u32 v20, vcc_lo, v20, v44
	v_add_co_ci_u32_e64 v21, null, v21, v45, vcc_lo
	global_load_ushort v20, v[20:21], off
	s_waitcnt vmcnt(0)
	v_mul_f16_e32 v20, s3, v20
	v_cvt_f32_f16_e32 v46, v20
.LBB272_112:
	v_pk_add_f16 v16, v24, v16
	v_pk_add_f16 v21, v25, v17
	v_max_f16_e32 v17, v88, v88
	v_lshrrev_b32_e32 v47, 16, v88
	v_add_nc_u32_e32 v20, 0x80, v84
	v_lshrrev_b32_e32 v48, 16, v16
	v_lshrrev_b32_e32 v50, 16, v21
	v_min_f16_e32 v81, v17, v16
	v_mad_i64_i32 v[16:17], null, v20, s2, 0
	v_min3_f16 v47, v47, v48, v50
	v_max_f32_e32 v48, v46, v46
	v_add_co_u32 v46, vcc_lo, v22, v44
	v_mov_b32_e32 v22, 0
	v_min3_f16 v21, v81, v21, v47
	v_lshlrev_b64 v[16:17], 1, v[16:17]
	v_add_co_ci_u32_e64 v47, null, v23, v45, vcc_lo
	v_cvt_f32_f16_e32 v21, v21
	v_add_co_u32 v16, vcc_lo, s12, v16
	v_add_co_ci_u32_e64 v17, null, s13, v17, vcc_lo
	v_min_f32_e32 v21, v48, v21
	s_and_b32 vcc_lo, exec_lo, s1
	v_cvt_f16_f32_e32 v23, v21
	v_mov_b32_e32 v21, 0
	global_store_short v[46:47], v23, off
	s_cbranch_vccnz .LBB272_114
; %bb.113:
	v_add_co_u32 v46, vcc_lo, v16, v28
	v_add_co_ci_u32_e64 v47, null, v17, v29, vcc_lo
	global_load_ushort v21, v[46:47], off
	s_waitcnt vmcnt(0)
	v_mul_f16_e32 v21, s3, v21
	v_cvt_f32_f16_e32 v21, v21
.LBB272_114:
	v_pk_add_f16 v23, v30, v18
	v_pk_add_f16 v48, v31, v19
	v_max_f16_e32 v46, v82, v82
	v_lshrrev_b32_e32 v47, 16, v82
	v_lshrrev_b32_e32 v50, 16, v23
	;; [unrolled: 1-line block ×3, first 2 shown]
	v_min_f16_e32 v23, v46, v23
	v_min3_f16 v50, v47, v50, v81
	v_mad_i64_i32 v[46:47], null, v20, s4, 0
	v_min3_f16 v20, v23, v48, v50
	v_max_f32_e32 v23, v21, v21
	v_cvt_f32_f16_e32 v48, v20
	v_lshlrev_b64 v[20:21], 1, v[46:47]
	v_min_f32_e32 v23, v23, v48
	v_add_co_u32 v20, vcc_lo, s5, v20
	v_add_co_ci_u32_e64 v21, null, s6, v21, vcc_lo
	v_cvt_f16_f32_e32 v23, v23
	v_add_co_u32 v46, vcc_lo, v20, v28
	v_add_co_ci_u32_e64 v47, null, v21, v29, vcc_lo
	s_and_b32 vcc_lo, exec_lo, s1
	global_store_short v[46:47], v23, off
	s_cbranch_vccnz .LBB272_116
; %bb.115:
	v_add_co_u32 v22, vcc_lo, v16, v32
	v_add_co_ci_u32_e64 v23, null, v17, v33, vcc_lo
	global_load_ushort v22, v[22:23], off
	s_waitcnt vmcnt(0)
	v_mul_f16_e32 v22, s3, v22
	v_cvt_f32_f16_e32 v22, v22
.LBB272_116:
	v_pk_add_f16 v23, v8, v18
	v_pk_add_f16 v46, v9, v19
	v_max_f16_e32 v47, v80, v80
	v_lshrrev_b32_e32 v48, 16, v80
	v_max_f32_e32 v22, v22, v22
	v_lshrrev_b32_e32 v50, 16, v23
	v_lshrrev_b32_e32 v80, 16, v46
	v_min_f16_e32 v23, v47, v23
	v_min3_f16 v47, v48, v50, v80
	v_min3_f16 v23, v23, v46, v47
	v_add_co_u32 v46, vcc_lo, v20, v32
	v_add_co_ci_u32_e64 v47, null, v21, v33, vcc_lo
	v_cvt_f32_f16_e32 v23, v23
	s_and_b32 vcc_lo, exec_lo, s1
	v_min_f32_e32 v22, v22, v23
	v_mov_b32_e32 v23, 0
	v_cvt_f16_f32_e32 v48, v22
	v_mov_b32_e32 v22, 0
	global_store_short v[46:47], v48, off
	s_cbranch_vccnz .LBB272_118
; %bb.117:
	v_add_co_u32 v46, vcc_lo, v16, v34
	v_add_co_ci_u32_e64 v47, null, v17, v35, vcc_lo
	global_load_ushort v23, v[46:47], off
	s_waitcnt vmcnt(0)
	v_mul_f16_e32 v23, s3, v23
	v_cvt_f32_f16_e32 v23, v23
.LBB272_118:
	v_pk_add_f16 v46, v10, v18
	v_pk_add_f16 v47, v11, v19
	v_max_f16_e32 v48, v78, v78
	v_lshrrev_b32_e32 v50, 16, v78
	v_max_f32_e32 v23, v23, v23
	v_lshrrev_b32_e32 v78, 16, v46
	v_lshrrev_b32_e32 v80, 16, v47
	v_min_f16_e32 v46, v48, v46
	v_min3_f16 v48, v50, v78, v80
	v_min3_f16 v46, v46, v47, v48
	v_cvt_f32_f16_e32 v46, v46
	v_min_f32_e32 v23, v23, v46
	v_add_co_u32 v46, vcc_lo, v20, v34
	v_add_co_ci_u32_e64 v47, null, v21, v35, vcc_lo
	v_cvt_f16_f32_e32 v23, v23
	s_and_b32 vcc_lo, exec_lo, s1
	global_store_short v[46:47], v23, off
	s_cbranch_vccnz .LBB272_120
; %bb.119:
	v_add_co_u32 v22, vcc_lo, v16, v36
	v_add_co_ci_u32_e64 v23, null, v17, v37, vcc_lo
	global_load_ushort v22, v[22:23], off
	s_waitcnt vmcnt(0)
	v_mul_f16_e32 v22, s3, v22
	v_cvt_f32_f16_e32 v22, v22
.LBB272_120:
	v_pk_add_f16 v23, v4, v18
	v_pk_add_f16 v46, v5, v19
	v_max_f16_e32 v47, v79, v79
	v_lshrrev_b32_e32 v48, 16, v79
	v_max_f32_e32 v22, v22, v22
	v_lshrrev_b32_e32 v50, 16, v23
	v_lshrrev_b32_e32 v78, 16, v46
	v_min_f16_e32 v23, v47, v23
	v_min3_f16 v47, v48, v50, v78
	v_min3_f16 v23, v23, v46, v47
	v_add_co_u32 v46, vcc_lo, v20, v36
	v_add_co_ci_u32_e64 v47, null, v21, v37, vcc_lo
	v_cvt_f32_f16_e32 v23, v23
	s_and_b32 vcc_lo, exec_lo, s1
	v_min_f32_e32 v22, v22, v23
	v_mov_b32_e32 v23, 0
	v_cvt_f16_f32_e32 v48, v22
	v_mov_b32_e32 v22, 0
	global_store_short v[46:47], v48, off
	s_cbranch_vccnz .LBB272_122
; %bb.121:
	v_add_co_u32 v46, vcc_lo, v16, v42
	v_add_co_ci_u32_e64 v47, null, v17, v43, vcc_lo
	global_load_ushort v23, v[46:47], off
	s_waitcnt vmcnt(0)
	v_mul_f16_e32 v23, s3, v23
	v_cvt_f32_f16_e32 v23, v23
.LBB272_122:
	v_pk_add_f16 v46, v6, v18
	v_pk_add_f16 v47, v7, v19
	v_max_f16_e32 v48, v77, v77
	v_lshrrev_b32_e32 v50, 16, v77
	v_max_f32_e32 v23, v23, v23
	v_lshrrev_b32_e32 v77, 16, v46
	v_lshrrev_b32_e32 v78, 16, v47
	v_min_f16_e32 v46, v48, v46
	v_min3_f16 v48, v50, v77, v78
	v_min3_f16 v46, v46, v47, v48
	v_cvt_f32_f16_e32 v46, v46
	v_min_f32_e32 v23, v23, v46
	v_add_co_u32 v46, vcc_lo, v20, v42
	v_add_co_ci_u32_e64 v47, null, v21, v43, vcc_lo
	v_cvt_f16_f32_e32 v23, v23
	;; [unrolled: 54-line block ×3, first 2 shown]
	s_and_b32 vcc_lo, exec_lo, s1
	global_store_short v[46:47], v23, off
	s_cbranch_vccnz .LBB272_128
; %bb.127:
	v_add_co_u32 v16, vcc_lo, v16, v44
	v_add_co_ci_u32_e64 v17, null, v17, v45, vcc_lo
	global_load_ushort v16, v[16:17], off
	s_waitcnt vmcnt(0)
	v_mul_f16_e32 v16, s3, v16
	v_cvt_f32_f16_e32 v22, v16
.LBB272_128:
	v_pk_add_f16 v16, v24, v18
	v_pk_add_f16 v19, v25, v19
	v_max_f16_e32 v17, v75, v75
	v_lshrrev_b32_e32 v23, 16, v75
	v_add_nc_u32_e32 v18, 0xa0, v84
	v_lshrrev_b32_e32 v46, 16, v16
	v_lshrrev_b32_e32 v47, 16, v19
	v_min_f16_e32 v48, v17, v16
	v_mad_i64_i32 v[16:17], null, v18, s2, 0
	v_min3_f16 v23, v23, v46, v47
	v_max_f32_e32 v46, v22, v22
	v_add_co_u32 v22, vcc_lo, v20, v44
	v_mov_b32_e32 v20, 0
	v_min3_f16 v19, v48, v19, v23
	v_lshlrev_b64 v[16:17], 1, v[16:17]
	v_add_co_ci_u32_e64 v23, null, v21, v45, vcc_lo
	v_cvt_f32_f16_e32 v19, v19
	v_add_co_u32 v16, vcc_lo, s12, v16
	v_add_co_ci_u32_e64 v17, null, s13, v17, vcc_lo
	v_min_f32_e32 v19, v46, v19
	s_and_b32 vcc_lo, exec_lo, s1
	v_cvt_f16_f32_e32 v21, v19
	v_mov_b32_e32 v19, 0
	global_store_short v[22:23], v21, off
	s_cbranch_vccnz .LBB272_130
; %bb.129:
	v_add_co_u32 v21, vcc_lo, v16, v28
	v_add_co_ci_u32_e64 v22, null, v17, v29, vcc_lo
	global_load_ushort v19, v[21:22], off
	s_waitcnt vmcnt(0)
	v_mul_f16_e32 v19, s3, v19
	v_cvt_f32_f16_e32 v19, v19
.LBB272_130:
	v_pk_add_f16 v21, v30, v12
	v_pk_add_f16 v23, v31, v13
	v_max_f16_e32 v22, v73, v73
	v_lshrrev_b32_e32 v46, 16, v73
	v_lshrrev_b32_e32 v47, 16, v21
	;; [unrolled: 1-line block ×3, first 2 shown]
	v_min_f16_e32 v50, v22, v21
	v_mad_i64_i32 v[21:22], null, v18, s4, 0
	v_min3_f16 v46, v46, v47, v48
	v_min3_f16 v18, v50, v23, v46
	v_max_f32_e32 v23, v19, v19
	v_cvt_f32_f16_e32 v46, v18
	v_lshlrev_b64 v[18:19], 1, v[21:22]
	v_min_f32_e32 v21, v23, v46
	v_add_co_u32 v18, vcc_lo, s5, v18
	v_add_co_ci_u32_e64 v19, null, s6, v19, vcc_lo
	v_cvt_f16_f32_e32 v23, v21
	v_add_co_u32 v21, vcc_lo, v18, v28
	v_add_co_ci_u32_e64 v22, null, v19, v29, vcc_lo
	s_and_b32 vcc_lo, exec_lo, s1
	global_store_short v[21:22], v23, off
	s_cbranch_vccnz .LBB272_132
; %bb.131:
	v_add_co_u32 v20, vcc_lo, v16, v32
	v_add_co_ci_u32_e64 v21, null, v17, v33, vcc_lo
	global_load_ushort v20, v[20:21], off
	s_waitcnt vmcnt(0)
	v_mul_f16_e32 v20, s3, v20
	v_cvt_f32_f16_e32 v20, v20
.LBB272_132:
	v_pk_add_f16 v21, v8, v12
	v_pk_add_f16 v22, v9, v13
	v_max_f16_e32 v23, v72, v72
	v_lshrrev_b32_e32 v46, 16, v72
	v_max_f32_e32 v20, v20, v20
	v_lshrrev_b32_e32 v47, 16, v21
	v_lshrrev_b32_e32 v48, 16, v22
	v_min_f16_e32 v21, v23, v21
	v_min3_f16 v23, v46, v47, v48
	v_min3_f16 v21, v21, v22, v23
	v_add_co_u32 v22, vcc_lo, v18, v32
	v_add_co_ci_u32_e64 v23, null, v19, v33, vcc_lo
	v_cvt_f32_f16_e32 v21, v21
	s_and_b32 vcc_lo, exec_lo, s1
	v_min_f32_e32 v20, v20, v21
	v_mov_b32_e32 v21, 0
	v_cvt_f16_f32_e32 v46, v20
	v_mov_b32_e32 v20, 0
	global_store_short v[22:23], v46, off
	s_cbranch_vccnz .LBB272_134
; %bb.133:
	v_add_co_u32 v21, vcc_lo, v16, v34
	v_add_co_ci_u32_e64 v22, null, v17, v35, vcc_lo
	global_load_ushort v21, v[21:22], off
	s_waitcnt vmcnt(0)
	v_mul_f16_e32 v21, s3, v21
	v_cvt_f32_f16_e32 v21, v21
.LBB272_134:
	v_pk_add_f16 v22, v10, v12
	v_pk_add_f16 v23, v11, v13
	v_max_f16_e32 v46, v71, v71
	v_lshrrev_b32_e32 v47, 16, v71
	v_max_f32_e32 v21, v21, v21
	v_lshrrev_b32_e32 v48, 16, v22
	v_lshrrev_b32_e32 v50, 16, v23
	v_min_f16_e32 v22, v46, v22
	v_min3_f16 v46, v47, v48, v50
	v_min3_f16 v22, v22, v23, v46
	v_cvt_f32_f16_e32 v22, v22
	v_min_f32_e32 v21, v21, v22
	v_cvt_f16_f32_e32 v23, v21
	v_add_co_u32 v21, vcc_lo, v18, v34
	v_add_co_ci_u32_e64 v22, null, v19, v35, vcc_lo
	s_and_b32 vcc_lo, exec_lo, s1
	global_store_short v[21:22], v23, off
	s_cbranch_vccnz .LBB272_136
; %bb.135:
	v_add_co_u32 v20, vcc_lo, v16, v36
	v_add_co_ci_u32_e64 v21, null, v17, v37, vcc_lo
	global_load_ushort v20, v[20:21], off
	s_waitcnt vmcnt(0)
	v_mul_f16_e32 v20, s3, v20
	v_cvt_f32_f16_e32 v20, v20
.LBB272_136:
	v_pk_add_f16 v21, v4, v12
	v_pk_add_f16 v22, v5, v13
	v_max_f16_e32 v23, v70, v70
	v_lshrrev_b32_e32 v46, 16, v70
	v_max_f32_e32 v20, v20, v20
	v_lshrrev_b32_e32 v47, 16, v21
	v_lshrrev_b32_e32 v48, 16, v22
	v_min_f16_e32 v21, v23, v21
	v_min3_f16 v23, v46, v47, v48
	v_min3_f16 v21, v21, v22, v23
	v_add_co_u32 v22, vcc_lo, v18, v36
	v_add_co_ci_u32_e64 v23, null, v19, v37, vcc_lo
	v_cvt_f32_f16_e32 v21, v21
	s_and_b32 vcc_lo, exec_lo, s1
	v_min_f32_e32 v20, v20, v21
	v_mov_b32_e32 v21, 0
	v_cvt_f16_f32_e32 v46, v20
	v_mov_b32_e32 v20, 0
	global_store_short v[22:23], v46, off
	s_cbranch_vccnz .LBB272_138
; %bb.137:
	v_add_co_u32 v21, vcc_lo, v16, v42
	v_add_co_ci_u32_e64 v22, null, v17, v43, vcc_lo
	global_load_ushort v21, v[21:22], off
	s_waitcnt vmcnt(0)
	v_mul_f16_e32 v21, s3, v21
	v_cvt_f32_f16_e32 v21, v21
.LBB272_138:
	v_pk_add_f16 v22, v6, v12
	v_pk_add_f16 v23, v7, v13
	v_max_f16_e32 v46, v69, v69
	v_lshrrev_b32_e32 v47, 16, v69
	v_max_f32_e32 v21, v21, v21
	v_lshrrev_b32_e32 v48, 16, v22
	v_lshrrev_b32_e32 v50, 16, v23
	v_min_f16_e32 v22, v46, v22
	v_min3_f16 v46, v47, v48, v50
	v_min3_f16 v22, v22, v23, v46
	v_cvt_f32_f16_e32 v22, v22
	v_min_f32_e32 v21, v21, v22
	;; [unrolled: 54-line block ×3, first 2 shown]
	v_cvt_f16_f32_e32 v23, v21
	v_add_co_u32 v21, vcc_lo, v18, v38
	v_add_co_ci_u32_e64 v22, null, v19, v39, vcc_lo
	s_and_b32 vcc_lo, exec_lo, s1
	global_store_short v[21:22], v23, off
	s_cbranch_vccnz .LBB272_144
; %bb.143:
	v_add_co_u32 v16, vcc_lo, v16, v44
	v_add_co_ci_u32_e64 v17, null, v17, v45, vcc_lo
	global_load_ushort v16, v[16:17], off
	s_waitcnt vmcnt(0)
	v_mul_f16_e32 v16, s3, v16
	v_cvt_f32_f16_e32 v20, v16
.LBB272_144:
	v_pk_add_f16 v12, v24, v12
	v_pk_add_f16 v17, v25, v13
	v_max_f16_e32 v13, v65, v65
	v_lshrrev_b32_e32 v21, 16, v65
	v_add_nc_u32_e32 v16, 0xc0, v84
	v_lshrrev_b32_e32 v22, 16, v12
	v_lshrrev_b32_e32 v23, 16, v17
	v_min_f16_e32 v46, v13, v12
	v_mad_i64_i32 v[12:13], null, v16, s2, 0
	v_min3_f16 v21, v21, v22, v23
	v_max_f32_e32 v22, v20, v20
	v_add_co_u32 v20, vcc_lo, v18, v44
	v_mov_b32_e32 v18, 0
	v_min3_f16 v17, v46, v17, v21
	v_lshlrev_b64 v[12:13], 1, v[12:13]
	v_add_co_ci_u32_e64 v21, null, v19, v45, vcc_lo
	v_cvt_f32_f16_e32 v17, v17
	v_add_co_u32 v12, vcc_lo, s12, v12
	v_add_co_ci_u32_e64 v13, null, s13, v13, vcc_lo
	v_min_f32_e32 v17, v22, v17
	s_and_b32 vcc_lo, exec_lo, s1
	v_cvt_f16_f32_e32 v19, v17
	v_mov_b32_e32 v17, 0
	global_store_short v[20:21], v19, off
	s_cbranch_vccnz .LBB272_146
; %bb.145:
	v_add_co_u32 v19, vcc_lo, v12, v28
	v_add_co_ci_u32_e64 v20, null, v13, v29, vcc_lo
	global_load_ushort v17, v[19:20], off
	s_waitcnt vmcnt(0)
	v_mul_f16_e32 v17, s3, v17
	v_cvt_f32_f16_e32 v17, v17
.LBB272_146:
	v_pk_add_f16 v19, v30, v14
	v_pk_add_f16 v21, v31, v15
	v_max_f16_e32 v20, v63, v63
	v_lshrrev_b32_e32 v22, 16, v63
	v_lshrrev_b32_e32 v23, 16, v19
	;; [unrolled: 1-line block ×3, first 2 shown]
	v_min_f16_e32 v47, v20, v19
	v_mad_i64_i32 v[19:20], null, v16, s4, 0
	v_min3_f16 v22, v22, v23, v46
	v_min3_f16 v16, v47, v21, v22
	v_max_f32_e32 v21, v17, v17
	v_cvt_f32_f16_e32 v22, v16
	v_lshlrev_b64 v[16:17], 1, v[19:20]
	v_min_f32_e32 v19, v21, v22
	v_add_co_u32 v16, vcc_lo, s5, v16
	v_add_co_ci_u32_e64 v17, null, s6, v17, vcc_lo
	v_cvt_f16_f32_e32 v21, v19
	v_add_co_u32 v19, vcc_lo, v16, v28
	v_add_co_ci_u32_e64 v20, null, v17, v29, vcc_lo
	s_and_b32 vcc_lo, exec_lo, s1
	global_store_short v[19:20], v21, off
	s_cbranch_vccnz .LBB272_148
; %bb.147:
	v_add_co_u32 v18, vcc_lo, v12, v32
	v_add_co_ci_u32_e64 v19, null, v13, v33, vcc_lo
	global_load_ushort v18, v[18:19], off
	s_waitcnt vmcnt(0)
	v_mul_f16_e32 v18, s3, v18
	v_cvt_f32_f16_e32 v18, v18
.LBB272_148:
	v_pk_add_f16 v19, v8, v14
	v_pk_add_f16 v20, v9, v15
	v_max_f16_e32 v21, v61, v61
	v_lshrrev_b32_e32 v22, 16, v61
	v_max_f32_e32 v18, v18, v18
	v_lshrrev_b32_e32 v23, 16, v19
	v_lshrrev_b32_e32 v46, 16, v20
	v_min_f16_e32 v19, v21, v19
	v_min3_f16 v21, v22, v23, v46
	v_min3_f16 v19, v19, v20, v21
	v_add_co_u32 v20, vcc_lo, v16, v32
	v_add_co_ci_u32_e64 v21, null, v17, v33, vcc_lo
	v_cvt_f32_f16_e32 v19, v19
	s_and_b32 vcc_lo, exec_lo, s1
	v_min_f32_e32 v18, v18, v19
	v_mov_b32_e32 v19, 0
	v_cvt_f16_f32_e32 v22, v18
	v_mov_b32_e32 v18, 0
	global_store_short v[20:21], v22, off
	s_cbranch_vccnz .LBB272_150
; %bb.149:
	v_add_co_u32 v19, vcc_lo, v12, v34
	v_add_co_ci_u32_e64 v20, null, v13, v35, vcc_lo
	global_load_ushort v19, v[19:20], off
	s_waitcnt vmcnt(0)
	v_mul_f16_e32 v19, s3, v19
	v_cvt_f32_f16_e32 v19, v19
.LBB272_150:
	v_pk_add_f16 v20, v10, v14
	v_pk_add_f16 v21, v11, v15
	v_max_f16_e32 v22, v59, v59
	v_lshrrev_b32_e32 v23, 16, v59
	v_max_f32_e32 v19, v19, v19
	v_lshrrev_b32_e32 v46, 16, v20
	v_lshrrev_b32_e32 v47, 16, v21
	v_min_f16_e32 v20, v22, v20
	v_min3_f16 v22, v23, v46, v47
	v_min3_f16 v20, v20, v21, v22
	v_cvt_f32_f16_e32 v20, v20
	v_min_f32_e32 v19, v19, v20
	v_cvt_f16_f32_e32 v21, v19
	v_add_co_u32 v19, vcc_lo, v16, v34
	v_add_co_ci_u32_e64 v20, null, v17, v35, vcc_lo
	s_and_b32 vcc_lo, exec_lo, s1
	global_store_short v[19:20], v21, off
	s_cbranch_vccnz .LBB272_152
; %bb.151:
	v_add_co_u32 v18, vcc_lo, v12, v36
	v_add_co_ci_u32_e64 v19, null, v13, v37, vcc_lo
	global_load_ushort v18, v[18:19], off
	s_waitcnt vmcnt(0)
	v_mul_f16_e32 v18, s3, v18
	v_cvt_f32_f16_e32 v18, v18
.LBB272_152:
	v_pk_add_f16 v19, v4, v14
	v_pk_add_f16 v20, v5, v15
	v_max_f16_e32 v21, v58, v58
	v_lshrrev_b32_e32 v22, 16, v58
	v_max_f32_e32 v18, v18, v18
	v_lshrrev_b32_e32 v23, 16, v19
	v_lshrrev_b32_e32 v46, 16, v20
	v_min_f16_e32 v19, v21, v19
	v_min3_f16 v21, v22, v23, v46
	v_min3_f16 v19, v19, v20, v21
	v_add_co_u32 v20, vcc_lo, v16, v36
	v_add_co_ci_u32_e64 v21, null, v17, v37, vcc_lo
	v_cvt_f32_f16_e32 v19, v19
	s_and_b32 vcc_lo, exec_lo, s1
	v_min_f32_e32 v18, v18, v19
	v_mov_b32_e32 v19, 0
	v_cvt_f16_f32_e32 v22, v18
	v_mov_b32_e32 v18, 0
	global_store_short v[20:21], v22, off
	s_cbranch_vccnz .LBB272_154
; %bb.153:
	v_add_co_u32 v19, vcc_lo, v12, v42
	v_add_co_ci_u32_e64 v20, null, v13, v43, vcc_lo
	global_load_ushort v19, v[19:20], off
	s_waitcnt vmcnt(0)
	v_mul_f16_e32 v19, s3, v19
	v_cvt_f32_f16_e32 v19, v19
.LBB272_154:
	v_pk_add_f16 v20, v6, v14
	v_pk_add_f16 v21, v7, v15
	v_max_f16_e32 v22, v56, v56
	v_lshrrev_b32_e32 v23, 16, v56
	v_max_f32_e32 v19, v19, v19
	v_lshrrev_b32_e32 v46, 16, v20
	v_lshrrev_b32_e32 v47, 16, v21
	v_min_f16_e32 v20, v22, v20
	v_min3_f16 v22, v23, v46, v47
	v_min3_f16 v20, v20, v21, v22
	v_cvt_f32_f16_e32 v20, v20
	v_min_f32_e32 v19, v19, v20
	;; [unrolled: 54-line block ×3, first 2 shown]
	v_cvt_f16_f32_e32 v21, v19
	v_add_co_u32 v19, vcc_lo, v16, v38
	v_add_co_ci_u32_e64 v20, null, v17, v39, vcc_lo
	s_and_b32 vcc_lo, exec_lo, s1
	global_store_short v[19:20], v21, off
	s_cbranch_vccnz .LBB272_160
; %bb.159:
	v_add_co_u32 v12, vcc_lo, v12, v44
	v_add_co_ci_u32_e64 v13, null, v13, v45, vcc_lo
	global_load_ushort v12, v[12:13], off
	s_waitcnt vmcnt(0)
	v_mul_f16_e32 v12, s3, v12
	v_cvt_f32_f16_e32 v18, v12
.LBB272_160:
	v_pk_add_f16 v12, v24, v14
	v_pk_add_f16 v15, v25, v15
	v_max_f16_e32 v13, v54, v54
	v_lshrrev_b32_e32 v19, 16, v54
	v_add_nc_u32_e32 v14, 0xe0, v84
	v_lshrrev_b32_e32 v20, 16, v12
	v_lshrrev_b32_e32 v21, 16, v15
	v_min_f16_e32 v22, v13, v12
	v_mad_i64_i32 v[12:13], null, v14, s2, 0
	v_min3_f16 v19, v19, v20, v21
	v_max_f32_e32 v20, v18, v18
	v_add_co_u32 v18, vcc_lo, v16, v44
	v_mov_b32_e32 v16, 0
	v_min3_f16 v15, v22, v15, v19
	v_lshlrev_b64 v[12:13], 1, v[12:13]
	v_add_co_ci_u32_e64 v19, null, v17, v45, vcc_lo
	v_cvt_f32_f16_e32 v15, v15
	v_add_co_u32 v12, vcc_lo, s12, v12
	v_add_co_ci_u32_e64 v13, null, s13, v13, vcc_lo
	v_min_f32_e32 v15, v20, v15
	s_and_b32 vcc_lo, exec_lo, s1
	v_cvt_f16_f32_e32 v17, v15
	v_mov_b32_e32 v15, 0
	global_store_short v[18:19], v17, off
	s_cbranch_vccnz .LBB272_162
; %bb.161:
	v_add_co_u32 v17, vcc_lo, v12, v28
	v_add_co_ci_u32_e64 v18, null, v13, v29, vcc_lo
	global_load_ushort v15, v[17:18], off
	s_waitcnt vmcnt(0)
	v_mul_f16_e32 v15, s3, v15
	v_cvt_f32_f16_e32 v15, v15
.LBB272_162:
	v_pk_add_f16 v17, v30, v26
	v_pk_add_f16 v19, v31, v27
	v_max_f16_e32 v18, v52, v52
	v_lshrrev_b32_e32 v20, 16, v52
	v_lshrrev_b32_e32 v21, 16, v17
	;; [unrolled: 1-line block ×3, first 2 shown]
	v_min_f16_e32 v23, v18, v17
	v_mad_i64_i32 v[17:18], null, v14, s4, 0
	v_min3_f16 v20, v20, v21, v22
	v_min3_f16 v14, v23, v19, v20
	v_max_f32_e32 v19, v15, v15
	v_cvt_f32_f16_e32 v20, v14
	v_lshlrev_b64 v[14:15], 1, v[17:18]
	v_min_f32_e32 v17, v19, v20
	v_add_co_u32 v14, vcc_lo, s5, v14
	v_add_co_ci_u32_e64 v15, null, s6, v15, vcc_lo
	v_cvt_f16_f32_e32 v19, v17
	v_add_co_u32 v17, vcc_lo, v14, v28
	v_add_co_ci_u32_e64 v18, null, v15, v29, vcc_lo
	s_and_b32 vcc_lo, exec_lo, s1
	global_store_short v[17:18], v19, off
	s_cbranch_vccnz .LBB272_164
; %bb.163:
	v_add_co_u32 v16, vcc_lo, v12, v32
	v_add_co_ci_u32_e64 v17, null, v13, v33, vcc_lo
	global_load_ushort v16, v[16:17], off
	s_waitcnt vmcnt(0)
	v_mul_f16_e32 v16, s3, v16
	v_cvt_f32_f16_e32 v16, v16
.LBB272_164:
	v_pk_add_f16 v8, v8, v26
	v_pk_add_f16 v9, v9, v27
	v_max_f16_e32 v17, v51, v51
	v_lshrrev_b32_e32 v18, 16, v51
	v_lshrrev_b32_e32 v19, 16, v8
	;; [unrolled: 1-line block ×3, first 2 shown]
	v_min_f16_e32 v8, v17, v8
	v_min3_f16 v17, v18, v19, v20
	v_min3_f16 v8, v8, v9, v17
	v_max_f32_e32 v9, v16, v16
	v_add_co_u32 v16, vcc_lo, v14, v32
	v_add_co_ci_u32_e64 v17, null, v15, v33, vcc_lo
	v_cvt_f32_f16_e32 v8, v8
	s_and_b32 vcc_lo, exec_lo, s1
	v_min_f32_e32 v8, v9, v8
	v_mov_b32_e32 v9, 0
	v_cvt_f16_f32_e32 v18, v8
	v_mov_b32_e32 v8, 0
	global_store_short v[16:17], v18, off
	s_cbranch_vccnz .LBB272_166
; %bb.165:
	v_add_co_u32 v16, vcc_lo, v12, v34
	v_add_co_ci_u32_e64 v17, null, v13, v35, vcc_lo
	global_load_ushort v9, v[16:17], off
	s_waitcnt vmcnt(0)
	v_mul_f16_e32 v9, s3, v9
	v_cvt_f32_f16_e32 v9, v9
.LBB272_166:
	v_pk_add_f16 v10, v10, v26
	v_pk_add_f16 v11, v11, v27
	v_max_f16_e32 v16, v49, v49
	v_lshrrev_b32_e32 v17, 16, v49
	v_max_f32_e32 v9, v9, v9
	v_lshrrev_b32_e32 v18, 16, v10
	v_lshrrev_b32_e32 v19, 16, v11
	v_min_f16_e32 v10, v16, v10
	v_min3_f16 v16, v17, v18, v19
	v_min3_f16 v10, v10, v11, v16
	v_cvt_f32_f16_e32 v10, v10
	v_min_f32_e32 v9, v9, v10
	v_cvt_f16_f32_e32 v11, v9
	v_add_co_u32 v9, vcc_lo, v14, v34
	v_add_co_ci_u32_e64 v10, null, v15, v35, vcc_lo
	s_and_b32 vcc_lo, exec_lo, s1
	global_store_short v[9:10], v11, off
	s_cbranch_vccnz .LBB272_168
; %bb.167:
	v_add_co_u32 v8, vcc_lo, v12, v36
	v_add_co_ci_u32_e64 v9, null, v13, v37, vcc_lo
	global_load_ushort v8, v[8:9], off
	s_waitcnt vmcnt(0)
	v_mul_f16_e32 v8, s3, v8
	v_cvt_f32_f16_e32 v8, v8
.LBB272_168:
	v_pk_add_f16 v4, v4, v26
	v_pk_add_f16 v5, v5, v27
	v_max_f16_e32 v9, v67, v67
	v_lshrrev_b32_e32 v10, 16, v67
	v_lshrrev_b32_e32 v11, 16, v4
	;; [unrolled: 1-line block ×3, first 2 shown]
	v_min_f16_e32 v4, v9, v4
	v_min3_f16 v9, v10, v11, v16
	v_min3_f16 v4, v4, v5, v9
	v_max_f32_e32 v5, v8, v8
	v_add_co_u32 v8, vcc_lo, v14, v36
	v_add_co_ci_u32_e64 v9, null, v15, v37, vcc_lo
	v_cvt_f32_f16_e32 v4, v4
	s_and_b32 vcc_lo, exec_lo, s1
	v_min_f32_e32 v4, v5, v4
	v_mov_b32_e32 v5, 0
	v_cvt_f16_f32_e32 v10, v4
	v_mov_b32_e32 v4, 0
	global_store_short v[8:9], v10, off
	s_cbranch_vccnz .LBB272_170
; %bb.169:
	v_add_co_u32 v8, vcc_lo, v12, v42
	v_add_co_ci_u32_e64 v9, null, v13, v43, vcc_lo
	global_load_ushort v5, v[8:9], off
	s_waitcnt vmcnt(0)
	v_mul_f16_e32 v5, s3, v5
	v_cvt_f32_f16_e32 v5, v5
.LBB272_170:
	v_pk_add_f16 v6, v6, v26
	v_pk_add_f16 v7, v7, v27
	v_max_f16_e32 v8, v64, v64
	v_lshrrev_b32_e32 v9, 16, v64
	v_max_f32_e32 v5, v5, v5
	v_lshrrev_b32_e32 v10, 16, v6
	v_lshrrev_b32_e32 v11, 16, v7
	v_min_f16_e32 v6, v8, v6
	v_min3_f16 v8, v9, v10, v11
	v_min3_f16 v6, v6, v7, v8
	v_cvt_f32_f16_e32 v6, v6
	v_min_f32_e32 v5, v5, v6
	v_cvt_f16_f32_e32 v7, v5
	v_add_co_u32 v5, vcc_lo, v14, v42
	v_add_co_ci_u32_e64 v6, null, v15, v43, vcc_lo
	s_and_b32 vcc_lo, exec_lo, s1
	global_store_short v[5:6], v7, off
	s_cbranch_vccnz .LBB272_172
; %bb.171:
	v_add_co_u32 v4, vcc_lo, v12, v40
	v_add_co_ci_u32_e64 v5, null, v13, v41, vcc_lo
	global_load_ushort v4, v[4:5], off
	s_waitcnt vmcnt(0)
	v_mul_f16_e32 v4, s3, v4
	v_cvt_f32_f16_e32 v4, v4
.LBB272_172:
	v_pk_add_f16 v0, v0, v26
	v_pk_add_f16 v1, v1, v27
	v_max_f16_e32 v5, v62, v62
	v_lshrrev_b32_e32 v6, 16, v62
	v_pk_add_f16 v3, v3, v27
	v_lshrrev_b32_e32 v7, 16, v0
	v_lshrrev_b32_e32 v8, 16, v1
	v_min_f16_e32 v0, v5, v0
	s_mov_b32 s1, -1
	v_min3_f16 v5, v6, v7, v8
	v_lshrrev_b32_e32 v6, 16, v60
	v_lshrrev_b32_e32 v8, 16, v3
	v_min3_f16 v0, v0, v1, v5
	v_pk_add_f16 v5, v2, v26
	v_max_f32_e32 v1, v4, v4
	v_max_f16_e32 v4, v60, v60
	v_cvt_f32_f16_e32 v0, v0
	v_lshrrev_b32_e32 v7, 16, v5
	v_min_f16_e32 v4, v4, v5
	v_min_f32_e32 v0, v1, v0
	v_min3_f16 v5, v6, v7, v8
	v_add_co_u32 v1, vcc_lo, v14, v40
	v_add_co_ci_u32_e64 v2, null, v15, v41, vcc_lo
	v_cvt_f16_f32_e32 v6, v0
	v_min3_f16 v0, v4, v3, v5
	s_mov_b32 vcc_lo, s0
	global_store_short v[1:2], v6, off
	s_cbranch_vccz .LBB272_174
; %bb.173:
	v_cvt_f32_f16_e32 v1, v0
	s_mov_b32 s1, 0
	v_min_f32_e32 v1, 0, v1
	v_cvt_f16_f32_e32 v3, v1
	v_add_co_u32 v1, vcc_lo, v14, v38
	v_add_co_ci_u32_e64 v2, null, v15, v39, vcc_lo
	global_store_short v[1:2], v3, off
.LBB272_174:
	v_mov_b32_e32 v1, 0
	s_andn2_b32 vcc_lo, exec_lo, s1
	s_cbranch_vccnz .LBB272_176
; %bb.175:
	v_add_co_u32 v1, vcc_lo, v12, v38
	v_add_co_ci_u32_e64 v2, null, v13, v39, vcc_lo
	global_load_ushort v1, v[1:2], off
	v_max_f16_e32 v2, v0, v0
	v_add_co_u32 v0, vcc_lo, v14, v38
	s_waitcnt vmcnt(0)
	v_mul_f16_e32 v3, s3, v1
	v_add_co_ci_u32_e64 v1, null, v15, v39, vcc_lo
	v_min_f16_e32 v4, v3, v2
	v_add_co_u32 v2, vcc_lo, v12, v44
	v_add_co_ci_u32_e64 v3, null, v13, v45, vcc_lo
	global_store_short v[0:1], v4, off
	global_load_ushort v0, v[2:3], off
	s_waitcnt vmcnt(0)
	v_mul_f16_e32 v0, s3, v0
	v_cvt_f32_f16_e32 v1, v0
.LBB272_176:
	v_pk_add_f16 v0, v24, v26
	v_pk_add_f16 v2, v25, v27
	v_max_f16_e32 v3, v57, v57
	v_lshrrev_b32_e32 v4, 16, v57
	v_max_f32_e32 v1, v1, v1
	v_lshrrev_b32_e32 v5, 16, v0
	v_lshrrev_b32_e32 v6, 16, v2
	v_min_f16_e32 v0, v3, v0
	v_min3_f16 v3, v4, v5, v6
	v_min3_f16 v0, v0, v2, v3
	v_cvt_f32_f16_e32 v0, v0
	v_min_f32_e32 v0, v1, v0
	v_cvt_f16_f32_e32 v2, v0
	v_add_co_u32 v0, vcc_lo, v14, v44
	v_add_co_ci_u32_e64 v1, null, v15, v45, vcc_lo
	global_store_short v[0:1], v2, off
	s_endpgm
	.section	.rodata,"a",@progbits
	.p2align	6, 0x0
	.amdhsa_kernel _ZN12_GLOBAL__N_120geam_min_plus_kernelIDF16_Dv2_DF16_S1_Li8ELi32ELi64ELi256ELi4ELi64ELi4ELi64ELi4ELc78ELc84ELb0ELb0ELb1EDF16_KDF16_DF16_EEviiiT16_PT17_ilS5_ilS3_S5_ilPT18_ili26rocblas_geam_ex_operation_
		.amdhsa_group_segment_fixed_size 5120
		.amdhsa_private_segment_fixed_size 0
		.amdhsa_kernarg_size 128
		.amdhsa_user_sgpr_count 6
		.amdhsa_user_sgpr_private_segment_buffer 1
		.amdhsa_user_sgpr_dispatch_ptr 0
		.amdhsa_user_sgpr_queue_ptr 0
		.amdhsa_user_sgpr_kernarg_segment_ptr 1
		.amdhsa_user_sgpr_dispatch_id 0
		.amdhsa_user_sgpr_flat_scratch_init 0
		.amdhsa_user_sgpr_private_segment_size 0
		.amdhsa_wavefront_size32 1
		.amdhsa_uses_dynamic_stack 0
		.amdhsa_system_sgpr_private_segment_wavefront_offset 0
		.amdhsa_system_sgpr_workgroup_id_x 1
		.amdhsa_system_sgpr_workgroup_id_y 0
		.amdhsa_system_sgpr_workgroup_id_z 1
		.amdhsa_system_sgpr_workgroup_info 0
		.amdhsa_system_vgpr_workitem_id 1
		.amdhsa_next_free_vgpr 170
		.amdhsa_next_free_sgpr 25
		.amdhsa_reserve_vcc 1
		.amdhsa_reserve_flat_scratch 0
		.amdhsa_float_round_mode_32 0
		.amdhsa_float_round_mode_16_64 0
		.amdhsa_float_denorm_mode_32 3
		.amdhsa_float_denorm_mode_16_64 3
		.amdhsa_dx10_clamp 1
		.amdhsa_ieee_mode 1
		.amdhsa_fp16_overflow 0
		.amdhsa_workgroup_processor_mode 1
		.amdhsa_memory_ordered 1
		.amdhsa_forward_progress 1
		.amdhsa_shared_vgpr_count 0
		.amdhsa_exception_fp_ieee_invalid_op 0
		.amdhsa_exception_fp_denorm_src 0
		.amdhsa_exception_fp_ieee_div_zero 0
		.amdhsa_exception_fp_ieee_overflow 0
		.amdhsa_exception_fp_ieee_underflow 0
		.amdhsa_exception_fp_ieee_inexact 0
		.amdhsa_exception_int_div_zero 0
	.end_amdhsa_kernel
	.section	.text._ZN12_GLOBAL__N_120geam_min_plus_kernelIDF16_Dv2_DF16_S1_Li8ELi32ELi64ELi256ELi4ELi64ELi4ELi64ELi4ELc78ELc84ELb0ELb0ELb1EDF16_KDF16_DF16_EEviiiT16_PT17_ilS5_ilS3_S5_ilPT18_ili26rocblas_geam_ex_operation_,"axG",@progbits,_ZN12_GLOBAL__N_120geam_min_plus_kernelIDF16_Dv2_DF16_S1_Li8ELi32ELi64ELi256ELi4ELi64ELi4ELi64ELi4ELc78ELc84ELb0ELb0ELb1EDF16_KDF16_DF16_EEviiiT16_PT17_ilS5_ilS3_S5_ilPT18_ili26rocblas_geam_ex_operation_,comdat
.Lfunc_end272:
	.size	_ZN12_GLOBAL__N_120geam_min_plus_kernelIDF16_Dv2_DF16_S1_Li8ELi32ELi64ELi256ELi4ELi64ELi4ELi64ELi4ELc78ELc84ELb0ELb0ELb1EDF16_KDF16_DF16_EEviiiT16_PT17_ilS5_ilS3_S5_ilPT18_ili26rocblas_geam_ex_operation_, .Lfunc_end272-_ZN12_GLOBAL__N_120geam_min_plus_kernelIDF16_Dv2_DF16_S1_Li8ELi32ELi64ELi256ELi4ELi64ELi4ELi64ELi4ELc78ELc84ELb0ELb0ELb1EDF16_KDF16_DF16_EEviiiT16_PT17_ilS5_ilS3_S5_ilPT18_ili26rocblas_geam_ex_operation_
                                        ; -- End function
	.set _ZN12_GLOBAL__N_120geam_min_plus_kernelIDF16_Dv2_DF16_S1_Li8ELi32ELi64ELi256ELi4ELi64ELi4ELi64ELi4ELc78ELc84ELb0ELb0ELb1EDF16_KDF16_DF16_EEviiiT16_PT17_ilS5_ilS3_S5_ilPT18_ili26rocblas_geam_ex_operation_.num_vgpr, 170
	.set _ZN12_GLOBAL__N_120geam_min_plus_kernelIDF16_Dv2_DF16_S1_Li8ELi32ELi64ELi256ELi4ELi64ELi4ELi64ELi4ELc78ELc84ELb0ELb0ELb1EDF16_KDF16_DF16_EEviiiT16_PT17_ilS5_ilS3_S5_ilPT18_ili26rocblas_geam_ex_operation_.num_agpr, 0
	.set _ZN12_GLOBAL__N_120geam_min_plus_kernelIDF16_Dv2_DF16_S1_Li8ELi32ELi64ELi256ELi4ELi64ELi4ELi64ELi4ELc78ELc84ELb0ELb0ELb1EDF16_KDF16_DF16_EEviiiT16_PT17_ilS5_ilS3_S5_ilPT18_ili26rocblas_geam_ex_operation_.numbered_sgpr, 25
	.set _ZN12_GLOBAL__N_120geam_min_plus_kernelIDF16_Dv2_DF16_S1_Li8ELi32ELi64ELi256ELi4ELi64ELi4ELi64ELi4ELc78ELc84ELb0ELb0ELb1EDF16_KDF16_DF16_EEviiiT16_PT17_ilS5_ilS3_S5_ilPT18_ili26rocblas_geam_ex_operation_.num_named_barrier, 0
	.set _ZN12_GLOBAL__N_120geam_min_plus_kernelIDF16_Dv2_DF16_S1_Li8ELi32ELi64ELi256ELi4ELi64ELi4ELi64ELi4ELc78ELc84ELb0ELb0ELb1EDF16_KDF16_DF16_EEviiiT16_PT17_ilS5_ilS3_S5_ilPT18_ili26rocblas_geam_ex_operation_.private_seg_size, 0
	.set _ZN12_GLOBAL__N_120geam_min_plus_kernelIDF16_Dv2_DF16_S1_Li8ELi32ELi64ELi256ELi4ELi64ELi4ELi64ELi4ELc78ELc84ELb0ELb0ELb1EDF16_KDF16_DF16_EEviiiT16_PT17_ilS5_ilS3_S5_ilPT18_ili26rocblas_geam_ex_operation_.uses_vcc, 1
	.set _ZN12_GLOBAL__N_120geam_min_plus_kernelIDF16_Dv2_DF16_S1_Li8ELi32ELi64ELi256ELi4ELi64ELi4ELi64ELi4ELc78ELc84ELb0ELb0ELb1EDF16_KDF16_DF16_EEviiiT16_PT17_ilS5_ilS3_S5_ilPT18_ili26rocblas_geam_ex_operation_.uses_flat_scratch, 0
	.set _ZN12_GLOBAL__N_120geam_min_plus_kernelIDF16_Dv2_DF16_S1_Li8ELi32ELi64ELi256ELi4ELi64ELi4ELi64ELi4ELc78ELc84ELb0ELb0ELb1EDF16_KDF16_DF16_EEviiiT16_PT17_ilS5_ilS3_S5_ilPT18_ili26rocblas_geam_ex_operation_.has_dyn_sized_stack, 0
	.set _ZN12_GLOBAL__N_120geam_min_plus_kernelIDF16_Dv2_DF16_S1_Li8ELi32ELi64ELi256ELi4ELi64ELi4ELi64ELi4ELc78ELc84ELb0ELb0ELb1EDF16_KDF16_DF16_EEviiiT16_PT17_ilS5_ilS3_S5_ilPT18_ili26rocblas_geam_ex_operation_.has_recursion, 0
	.set _ZN12_GLOBAL__N_120geam_min_plus_kernelIDF16_Dv2_DF16_S1_Li8ELi32ELi64ELi256ELi4ELi64ELi4ELi64ELi4ELc78ELc84ELb0ELb0ELb1EDF16_KDF16_DF16_EEviiiT16_PT17_ilS5_ilS3_S5_ilPT18_ili26rocblas_geam_ex_operation_.has_indirect_call, 0
	.section	.AMDGPU.csdata,"",@progbits
; Kernel info:
; codeLenInByte = 19924
; TotalNumSgprs: 27
; NumVgprs: 170
; ScratchSize: 0
; MemoryBound: 0
; FloatMode: 240
; IeeeMode: 1
; LDSByteSize: 5120 bytes/workgroup (compile time only)
; SGPRBlocks: 0
; VGPRBlocks: 21
; NumSGPRsForWavesPerEU: 27
; NumVGPRsForWavesPerEU: 170
; Occupancy: 5
; WaveLimiterHint : 1
; COMPUTE_PGM_RSRC2:SCRATCH_EN: 0
; COMPUTE_PGM_RSRC2:USER_SGPR: 6
; COMPUTE_PGM_RSRC2:TRAP_HANDLER: 0
; COMPUTE_PGM_RSRC2:TGID_X_EN: 1
; COMPUTE_PGM_RSRC2:TGID_Y_EN: 0
; COMPUTE_PGM_RSRC2:TGID_Z_EN: 1
; COMPUTE_PGM_RSRC2:TIDIG_COMP_CNT: 1
	.section	.text._ZN12_GLOBAL__N_120geam_min_plus_kernelIDF16_Dv2_DF16_S1_Li8ELi32ELi64ELi256ELi4ELi64ELi4ELi64ELi4ELc78ELc84ELb0ELb1ELb1EPKDF16_S2_DF16_EEviiiT16_PT17_ilS6_ilS4_S6_ilPT18_ili26rocblas_geam_ex_operation_,"axG",@progbits,_ZN12_GLOBAL__N_120geam_min_plus_kernelIDF16_Dv2_DF16_S1_Li8ELi32ELi64ELi256ELi4ELi64ELi4ELi64ELi4ELc78ELc84ELb0ELb1ELb1EPKDF16_S2_DF16_EEviiiT16_PT17_ilS6_ilS4_S6_ilPT18_ili26rocblas_geam_ex_operation_,comdat
	.globl	_ZN12_GLOBAL__N_120geam_min_plus_kernelIDF16_Dv2_DF16_S1_Li8ELi32ELi64ELi256ELi4ELi64ELi4ELi64ELi4ELc78ELc84ELb0ELb1ELb1EPKDF16_S2_DF16_EEviiiT16_PT17_ilS6_ilS4_S6_ilPT18_ili26rocblas_geam_ex_operation_ ; -- Begin function _ZN12_GLOBAL__N_120geam_min_plus_kernelIDF16_Dv2_DF16_S1_Li8ELi32ELi64ELi256ELi4ELi64ELi4ELi64ELi4ELc78ELc84ELb0ELb1ELb1EPKDF16_S2_DF16_EEviiiT16_PT17_ilS6_ilS4_S6_ilPT18_ili26rocblas_geam_ex_operation_
	.p2align	8
	.type	_ZN12_GLOBAL__N_120geam_min_plus_kernelIDF16_Dv2_DF16_S1_Li8ELi32ELi64ELi256ELi4ELi64ELi4ELi64ELi4ELc78ELc84ELb0ELb1ELb1EPKDF16_S2_DF16_EEviiiT16_PT17_ilS6_ilS4_S6_ilPT18_ili26rocblas_geam_ex_operation_,@function
_ZN12_GLOBAL__N_120geam_min_plus_kernelIDF16_Dv2_DF16_S1_Li8ELi32ELi64ELi256ELi4ELi64ELi4ELi64ELi4ELc78ELc84ELb0ELb1ELb1EPKDF16_S2_DF16_EEviiiT16_PT17_ilS6_ilS4_S6_ilPT18_ili26rocblas_geam_ex_operation_: ; @_ZN12_GLOBAL__N_120geam_min_plus_kernelIDF16_Dv2_DF16_S1_Li8ELi32ELi64ELi256ELi4ELi64ELi4ELi64ELi4ELc78ELc84ELb0ELb1ELb1EPKDF16_S2_DF16_EEviiiT16_PT17_ilS6_ilS4_S6_ilPT18_ili26rocblas_geam_ex_operation_
; %bb.0:
	s_clause 0x1
	s_load_dwordx4 s[0:3], s[4:5], 0x10
	s_load_dwordx4 s[8:11], s[4:5], 0x40
	s_mov_b32 s18, s7
	s_mov_b32 s19, 0
	v_mov_b32_e32 v2, 0
	s_lshl_b64 s[20:21], s[18:19], 1
	s_clause 0x1
	s_load_dwordx4 s[12:15], s[4:5], 0x28
	s_load_dwordx2 s[16:17], s[4:5], 0x50
	s_mov_b64 s[22:23], 0
	s_waitcnt lgkmcnt(0)
	s_add_u32 s0, s0, s20
	s_addc_u32 s1, s1, s21
	global_load_ushort v46, v2, s[0:1]
	s_add_u32 s0, s10, s20
	s_addc_u32 s1, s11, s21
	s_mov_b64 s[20:21], 0
	global_load_ushort v48, v2, s[0:1]
	s_waitcnt vmcnt(1)
	v_cmp_eq_f16_e32 vcc_lo, 0, v46
	v_cmp_neq_f16_e64 s0, 0, v46
	s_cbranch_vccnz .LBB273_2
; %bb.1:
	s_mul_i32 s1, s13, s18
	s_mul_hi_u32 s7, s12, s18
	s_mul_i32 s10, s12, s18
	s_add_i32 s11, s7, s1
	s_lshl_b64 s[10:11], s[10:11], 1
	s_add_u32 s22, s2, s10
	s_addc_u32 s23, s3, s11
.LBB273_2:
	s_andn2_b32 vcc_lo, exec_lo, s0
	s_cbranch_vccnz .LBB273_4
; %bb.3:
	s_mul_i32 s0, s9, s18
	s_mul_hi_u32 s1, s8, s18
	s_add_i32 s1, s1, s0
	s_mul_i32 s0, s8, s18
	s_lshl_b64 s[0:1], s[0:1], 1
	s_add_u32 s20, s14, s0
	s_addc_u32 s21, s15, s1
.LBB273_4:
	s_load_dwordx4 s[8:11], s[4:5], 0x60
	s_waitcnt vmcnt(0)
	v_cmp_eq_f16_e32 vcc_lo, 0, v48
	v_cmp_neq_f16_e64 s1, 0, v48
	s_cbranch_vccnz .LBB273_6
; %bb.5:
	s_waitcnt lgkmcnt(0)
	s_mul_i32 s0, s9, s18
	s_mul_hi_u32 s2, s8, s18
	s_add_i32 s3, s2, s0
	s_mul_i32 s2, s8, s18
	s_lshl_b64 s[2:3], s[2:3], 1
	s_add_u32 s16, s16, s2
	s_addc_u32 s17, s17, s3
	s_branch .LBB273_7
.LBB273_6:
	s_mov_b64 s[16:17], 0
.LBB273_7:
	s_clause 0x1
	s_load_dwordx4 s[12:15], s[4:5], 0x0
	s_load_dword s24, s[4:5], 0x20
	v_lshl_add_u32 v3, v1, 3, v0
	v_lshrrev_b32_e32 v47, 6, v3
	s_waitcnt lgkmcnt(0)
	s_add_i32 s0, s12, -1
	s_ashr_i32 s25, s24, 31
	s_ashr_i32 s2, s0, 31
	s_lshr_b32 s2, s2, 26
	s_add_i32 s0, s0, s2
	s_ashr_i32 s0, s0, 6
	s_add_i32 s2, s0, 1
	s_not_b32 s0, s0
	v_cvt_f32_u32_e32 v2, s2
	v_rcp_iflag_f32_e32 v2, v2
	v_mul_f32_e32 v2, 0x4f7ffffe, v2
	v_cvt_u32_f32_e32 v2, v2
	v_readfirstlane_b32 s3, v2
	v_and_b32_e32 v2, 63, v3
                                        ; implicit-def: $vgpr3
	s_mul_i32 s0, s0, s3
	s_mul_hi_u32 s0, s3, s0
	s_add_i32 s3, s3, s0
	s_mul_hi_u32 s0, s6, s3
	s_mul_i32 s3, s0, s2
	s_add_i32 s7, s0, 1
	s_sub_i32 s3, s6, s3
	s_sub_i32 s8, s3, s2
	s_cmp_ge_u32 s3, s2
	s_cselect_b32 s0, s7, s0
	s_cselect_b32 s3, s8, s3
	s_add_i32 s7, s0, 1
	s_cmp_ge_u32 s3, s2
	v_cmp_le_i32_e64 s8, s14, v47
	s_cselect_b32 s3, s7, s0
                                        ; implicit-def: $sgpr7
	s_mul_i32 s0, s3, s2
	s_sub_i32 s0, s6, s0
	s_lshl_b32 s15, s0, 6
	v_cmp_eq_f16_e64 s0, 0, v46
	v_or_b32_e32 v22, s15, v2
	v_cmp_le_i32_e32 vcc_lo, s12, v22
	v_ashrrev_i32_e32 v23, 31, v22
	s_or_b32 s6, vcc_lo, s8
	s_nor_b32 s2, s0, s6
	s_and_saveexec_b32 s9, s2
	s_xor_b32 s9, exec_lo, s9
	s_cbranch_execz .LBB273_9
; %bb.8:
	s_add_i32 s7, s14, -1
	v_lshlrev_b64 v[5:6], 1, v[22:23]
	v_min_u32_e32 v3, s7, v47
	v_mad_i64_i32 v[3:4], null, s24, v3, 0
	v_lshlrev_b64 v[3:4], 1, v[3:4]
	v_add_co_u32 v3, s2, s22, v3
	v_add_co_ci_u32_e64 v4, null, s23, v4, s2
	v_add_co_u32 v3, s2, v3, v5
	v_add_co_ci_u32_e64 v4, null, v4, v6, s2
	global_load_ushort v3, v[3:4], off
	s_waitcnt vmcnt(0)
	v_mul_f16_e32 v3, v46, v3
.LBB273_9:
	s_or_saveexec_b32 s2, s9
	v_mov_b32_e32 v4, s7
	s_xor_b32 exec_lo, exec_lo, s2
; %bb.10:
	s_add_i32 s7, s14, -1
	v_cndmask_b32_e64 v3, 0, 0x7c00, s6
	v_mov_b32_e32 v4, s7
; %bb.11:
	s_or_b32 exec_lo, exec_lo, s2
	s_load_dword s26, s[4:5], 0x38
	v_min_i32_e32 v4, v47, v4
	s_lshl_b32 s19, s3, 8
	v_or_b32_e32 v24, s19, v2
	v_cmp_le_i32_e64 s2, s13, v24
	v_ashrrev_i32_e32 v25, 31, v24
	s_or_b32 s6, s2, s8
	s_waitcnt lgkmcnt(0)
	v_mad_i64_i32 v[4:5], null, v4, s26, 0
	v_lshlrev_b64 v[5:6], 1, v[4:5]
	v_cndmask_b32_e64 v4, 0, 0x7c00, s6
	v_add_co_u32 v8, s3, s20, v5
	v_add_co_ci_u32_e64 v9, null, s21, v6, s3
	s_nor_b32 s3, s0, s6
	s_and_saveexec_b32 s6, s3
	s_cbranch_execz .LBB273_13
; %bb.12:
	v_lshlrev_b64 v[4:5], 1, v[24:25]
	v_add_co_u32 v4, s3, v8, v4
	v_add_co_ci_u32_e64 v5, null, v9, v5, s3
	global_load_ushort v4, v[4:5], off
	s_waitcnt vmcnt(0)
	v_mul_f16_e32 v4, v46, v4
.LBB273_13:
	s_or_b32 exec_lo, exec_lo, s6
	v_or_b32_e32 v5, 64, v24
	s_add_i32 s9, s13, -1
	v_cmp_le_i32_e64 s3, s13, v5
	v_min_i32_e32 v26, s9, v5
	s_or_b32 s6, s3, s8
	v_ashrrev_i32_e32 v27, 31, v26
	v_cndmask_b32_e64 v5, 0, 0x7c00, s6
	s_nor_b32 s6, s6, s0
	s_and_saveexec_b32 s7, s6
	s_cbranch_execz .LBB273_15
; %bb.14:
	v_lshlrev_b64 v[5:6], 1, v[26:27]
	v_add_co_u32 v5, s6, v8, v5
	v_add_co_ci_u32_e64 v6, null, v9, v6, s6
	global_load_ushort v5, v[5:6], off
	s_waitcnt vmcnt(0)
	v_mul_f16_e32 v5, v46, v5
.LBB273_15:
	s_or_b32 exec_lo, exec_lo, s7
	v_or_b32_e32 v6, 0x80, v24
	v_cmp_le_i32_e64 s6, s13, v6
	v_min_i32_e32 v28, s9, v6
	s_or_b32 s7, s6, s8
	v_ashrrev_i32_e32 v29, 31, v28
	v_cndmask_b32_e64 v6, 0, 0x7c00, s7
	s_nor_b32 s7, s7, s0
	s_and_saveexec_b32 s27, s7
	s_cbranch_execz .LBB273_17
; %bb.16:
	v_lshlrev_b64 v[6:7], 1, v[28:29]
	v_add_co_u32 v6, s7, v8, v6
	v_add_co_ci_u32_e64 v7, null, v9, v7, s7
	global_load_ushort v6, v[6:7], off
	s_waitcnt vmcnt(0)
	v_mul_f16_e32 v6, v46, v6
.LBB273_17:
	s_or_b32 exec_lo, exec_lo, s27
	v_or_b32_e32 v7, 0xc0, v24
	v_cmp_le_i32_e64 s7, s13, v7
	v_min_i32_e32 v30, s9, v7
	s_or_b32 s8, s7, s8
	v_ashrrev_i32_e32 v31, 31, v30
	v_cndmask_b32_e64 v7, 0, 0x7c00, s8
	s_nor_b32 s8, s8, s0
	s_and_saveexec_b32 s9, s8
	s_cbranch_execz .LBB273_19
; %bb.18:
	v_lshlrev_b64 v[10:11], 1, v[30:31]
	v_add_co_u32 v7, s8, v8, v10
	v_add_co_ci_u32_e64 v8, null, v9, v11, s8
	global_load_ushort v7, v[7:8], off
	s_waitcnt vmcnt(0)
	v_mul_f16_e32 v7, v46, v7
.LBB273_19:
	s_or_b32 exec_lo, exec_lo, s9
	v_add_nc_u32_e32 v8, 4, v47
                                        ; implicit-def: $vgpr32
                                        ; implicit-def: $sgpr28
	v_cmp_le_i32_e64 s8, s14, v8
	s_or_b32 s27, vcc_lo, s8
	s_nor_b32 s9, s0, s27
	s_and_saveexec_b32 s29, s9
	s_xor_b32 s29, exec_lo, s29
	s_cbranch_execz .LBB273_21
; %bb.20:
	s_add_i32 s28, s14, -1
	v_min_u32_e32 v11, s28, v8
	v_mad_u64_u32 v[9:10], null, s24, v11, 0
	v_mad_u64_u32 v[10:11], null, s25, v11, v[10:11]
	v_lshlrev_b64 v[11:12], 1, v[22:23]
	v_lshlrev_b64 v[9:10], 1, v[9:10]
	v_add_co_u32 v9, s9, s22, v9
	v_add_co_ci_u32_e64 v10, null, s23, v10, s9
	v_add_co_u32 v9, s9, v9, v11
	v_add_co_ci_u32_e64 v10, null, v10, v12, s9
	global_load_ushort v9, v[9:10], off
	s_waitcnt vmcnt(0)
	v_mul_f16_e32 v32, v46, v9
.LBB273_21:
	s_or_saveexec_b32 s9, s29
	v_mov_b32_e32 v9, s28
	s_xor_b32 exec_lo, exec_lo, s9
; %bb.22:
	s_add_i32 s28, s14, -1
	v_cndmask_b32_e64 v32, 0, 0x7c00, s27
	v_mov_b32_e32 v9, s28
; %bb.23:
	s_or_b32 exec_lo, exec_lo, s9
	v_min_i32_e32 v8, v8, v9
	v_mad_i64_i32 v[8:9], null, v8, s26, 0
	v_lshlrev_b64 v[8:9], 1, v[8:9]
	v_add_co_u32 v8, s9, s20, v8
	v_add_co_ci_u32_e64 v9, null, s21, v9, s9
	s_or_b32 s9, s2, s8
	v_cndmask_b32_e64 v33, 0, 0x7c00, s9
	s_nor_b32 s9, s0, s9
	s_and_saveexec_b32 s27, s9
	s_cbranch_execz .LBB273_25
; %bb.24:
	v_lshlrev_b64 v[10:11], 1, v[24:25]
	v_add_co_u32 v10, s9, v8, v10
	v_add_co_ci_u32_e64 v11, null, v9, v11, s9
	global_load_ushort v10, v[10:11], off
	s_waitcnt vmcnt(0)
	v_mul_f16_e32 v33, v46, v10
.LBB273_25:
	s_or_b32 exec_lo, exec_lo, s27
	s_or_b32 s9, s3, s8
	v_cndmask_b32_e64 v34, 0, 0x7c00, s9
	s_nor_b32 s9, s9, s0
	s_and_saveexec_b32 s27, s9
	s_cbranch_execz .LBB273_27
; %bb.26:
	v_lshlrev_b64 v[10:11], 1, v[26:27]
	v_add_co_u32 v10, s9, v8, v10
	v_add_co_ci_u32_e64 v11, null, v9, v11, s9
	global_load_ushort v10, v[10:11], off
	s_waitcnt vmcnt(0)
	v_mul_f16_e32 v34, v46, v10
.LBB273_27:
	s_or_b32 exec_lo, exec_lo, s27
	;; [unrolled: 14-line block ×4, first 2 shown]
	v_lshlrev_b32_e32 v2, 3, v2
	v_lshlrev_b32_e32 v83, 3, v0
	;; [unrolled: 1-line block ×3, first 2 shown]
	s_cmp_lt_i32 s14, 9
	v_lshl_add_u32 v107, v47, 1, v2
	v_add_nc_u32_e32 v2, 0x1000, v83
	ds_write_b16 v107, v3 offset:4096
	ds_write_b16 v107, v4
	ds_write_b16 v107, v5 offset:512
	ds_write_b16 v107, v6 offset:1024
	;; [unrolled: 1-line block ×3, first 2 shown]
	s_waitcnt lgkmcnt(0)
	s_barrier
	buffer_gl0_inv
	ds_read2_b64 v[18:21], v2 offset1:8
	ds_read2_b64 v[37:40], v75 offset1:32
	ds_read2_b64 v[14:17], v2 offset0:16 offset1:24
	ds_read2_b64 v[10:13], v2 offset0:32 offset1:40
	;; [unrolled: 1-line block ×6, first 2 shown]
	ds_write_b16 v107, v32 offset:4608
	ds_write_b16 v107, v33 offset:2048
	;; [unrolled: 1-line block ×5, first 2 shown]
	s_waitcnt lgkmcnt(0)
	s_barrier
	buffer_gl0_inv
	v_pk_add_f16 v45, v18, v37
	v_pk_add_f16 v53, v20, v37
	;; [unrolled: 1-line block ×64, first 2 shown]
	v_pk_min_f16 v45, 0x7c00, v45 op_sel_hi:[0,1]
	v_pk_add_f16 v85, v21, v38
	v_pk_min_f16 v53, 0x7c00, v53 op_sel_hi:[0,1]
	v_pk_add_f16 v86, v15, v38
	;; [unrolled: 2-line block ×3, first 2 shown]
	v_pk_add_f16 v4, v11, v38
	v_pk_min_f16 v8, 0x7c00, v56 op_sel_hi:[0,1]
	v_pk_add_f16 v87, v17, v38
	v_pk_min_f16 v55, 0x7c00, v55 op_sel_hi:[0,1]
	v_pk_min_f16 v115, v45, v84
	v_pk_min_f16 v114, v53, v85
	;; [unrolled: 1-line block ×3, first 2 shown]
	v_pk_add_f16 v45, v13, v38
	v_pk_min_f16 v53, 0x7c00, v57 op_sel_hi:[0,1]
	v_pk_add_f16 v54, v3, v38
	v_pk_add_f16 v38, v5, v38
	v_pk_min_f16 v37, 0x7c00, v37 op_sel_hi:[0,1]
	v_pk_min_f16 v111, v8, v4
	v_pk_add_f16 v4, v21, v40
	v_pk_min_f16 v8, 0x7c00, v60 op_sel_hi:[0,1]
	v_pk_min_f16 v112, v55, v87
	v_pk_min_f16 v55, 0x7c00, v58 op_sel_hi:[0,1]
	v_pk_add_f16 v56, v19, v40
	v_pk_min_f16 v57, 0x7c00, v59 op_sel_hi:[0,1]
	v_pk_min_f16 v110, v53, v45
	v_pk_min_f16 v108, v37, v38
	v_pk_add_f16 v37, v15, v40
	v_pk_min_f16 v38, 0x7c00, v61 op_sel_hi:[0,1]
	v_pk_add_f16 v45, v17, v40
	v_pk_min_f16 v53, 0x7c00, v62 op_sel_hi:[0,1]
	v_pk_min_f16 v105, v8, v4
	v_pk_add_f16 v4, v3, v40
	v_pk_min_f16 v8, 0x7c00, v65 op_sel_hi:[0,1]
	v_pk_min_f16 v109, v55, v54
	v_pk_min_f16 v106, v57, v56
	v_pk_add_f16 v54, v11, v40
	v_pk_min_f16 v55, 0x7c00, v63 op_sel_hi:[0,1]
	v_pk_add_f16 v56, v13, v40
	v_pk_min_f16 v104, v38, v37
	v_pk_min_f16 v103, v53, v45
	v_pk_add_f16 v37, v5, v40
	v_pk_min_f16 v38, 0x7c00, v39 op_sel_hi:[0,1]
	v_pk_add_f16 v39, v19, v42
	v_pk_min_f16 v40, 0x7c00, v66 op_sel_hi:[0,1]
	;; [unrolled: 2-line block ×3, first 2 shown]
	v_pk_min_f16 v100, v8, v4
	v_pk_add_f16 v4, v17, v42
	v_pk_min_f16 v8, 0x7c00, v69 op_sel_hi:[0,1]
	v_pk_min_f16 v102, v55, v54
	v_pk_add_f16 v54, v15, v42
	v_pk_min_f16 v99, v38, v37
	v_pk_min_f16 v98, v40, v39
	v_pk_min_f16 v97, v53, v45
	v_pk_add_f16 v37, v11, v42
	v_pk_min_f16 v38, 0x7c00, v70 op_sel_hi:[0,1]
	v_pk_add_f16 v39, v13, v42
	v_pk_min_f16 v40, 0x7c00, v71 op_sel_hi:[0,1]
	v_pk_add_f16 v45, v3, v42
	v_pk_add_f16 v42, v5, v42
	v_pk_min_f16 v41, 0x7c00, v41 op_sel_hi:[0,1]
	v_pk_min_f16 v95, v8, v4
	v_pk_add_f16 v4, v19, v44
	v_pk_min_f16 v8, 0x7c00, v73 op_sel_hi:[0,1]
	v_pk_min_f16 v53, 0x7c00, v72 op_sel_hi:[0,1]
	v_pk_min_f16 v94, v38, v37
	v_pk_min_f16 v93, v40, v39
	;; [unrolled: 1-line block ×3, first 2 shown]
	v_pk_add_f16 v37, v21, v44
	v_pk_min_f16 v38, 0x7c00, v74 op_sel_hi:[0,1]
	v_pk_add_f16 v39, v15, v44
	v_pk_min_f16 v40, 0x7c00, v76 op_sel_hi:[0,1]
	;; [unrolled: 2-line block ×3, first 2 shown]
	v_pk_min_f16 v90, v8, v4
	v_pk_add_f16 v4, v13, v44
	v_pk_min_f16 v8, 0x7c00, v79 op_sel_hi:[0,1]
	v_pk_min_f16 v92, v53, v45
	v_pk_add_f16 v45, v11, v44
	v_pk_min_f16 v89, v38, v37
	v_pk_min_f16 v88, v40, v39
	;; [unrolled: 1-line block ×3, first 2 shown]
	v_pk_add_f16 v37, v3, v44
	v_pk_min_f16 v38, 0x7c00, v80 op_sel_hi:[0,1]
	v_pk_add_f16 v39, v5, v44
	v_pk_min_f16 v40, 0x7c00, v43 op_sel_hi:[0,1]
	;; [unrolled: 2-line block ×4, first 2 shown]
	v_pk_min_f16 v85, v8, v4
	v_pk_add_f16 v4, v15, v50
	v_pk_min_f16 v8, 0x7c00, v116 op_sel_hi:[0,1]
	v_pk_min_f16 v84, v38, v37
	v_pk_min_f16 v82, v40, v39
	v_pk_min_f16 v81, v42, v41
	v_pk_min_f16 v80, v44, v43
	v_pk_add_f16 v37, v17, v50
	v_pk_min_f16 v38, 0x7c00, v117 op_sel_hi:[0,1]
	v_pk_add_f16 v39, v11, v50
	v_pk_min_f16 v40, 0x7c00, v118 op_sel_hi:[0,1]
	v_pk_add_f16 v41, v13, v50
	v_pk_min_f16 v42, 0x7c00, v119 op_sel_hi:[0,1]
	v_pk_add_f16 v43, v3, v50
	v_pk_min_f16 v44, 0x7c00, v120 op_sel_hi:[0,1]
	v_pk_min_f16 v79, v8, v4
	v_pk_add_f16 v4, v5, v50
	v_pk_min_f16 v8, 0x7c00, v49 op_sel_hi:[0,1]
	v_pk_min_f16 v53, 0x7c00, v78 op_sel_hi:[0,1]
	v_pk_min_f16 v78, v38, v37
	v_pk_min_f16 v77, v40, v39
	v_pk_min_f16 v76, v42, v41
	v_pk_min_f16 v74, v44, v43
	v_pk_add_f16 v37, v19, v52
	v_pk_min_f16 v38, 0x7c00, v121 op_sel_hi:[0,1]
	v_pk_add_f16 v39, v21, v52
	v_pk_min_f16 v40, 0x7c00, v122 op_sel_hi:[0,1]
	v_pk_add_f16 v41, v15, v52
	v_pk_min_f16 v42, 0x7c00, v123 op_sel_hi:[0,1]
	v_pk_add_f16 v43, v17, v52
	v_pk_min_f16 v44, 0x7c00, v124 op_sel_hi:[0,1]
	v_pk_min_f16 v73, v8, v4
	v_pk_add_f16 v4, v11, v52
	v_pk_min_f16 v8, 0x7c00, v125 op_sel_hi:[0,1]
	;; [unrolled: 16-line block ×3, first 2 shown]
	v_pk_min_f16 v57, 0x7c00, v64 op_sel_hi:[0,1]
	v_pk_min_f16 v67, v38, v37
	v_pk_min_f16 v66, v40, v39
	;; [unrolled: 1-line block ×4, first 2 shown]
	v_pk_add_f16 v37, v15, v7
	v_pk_add_f16 v39, v17, v7
	v_pk_add_f16 v41, v11, v7
	v_pk_add_f16 v43, v13, v7
	v_pk_min_f16 v63, v8, v4
	v_pk_add_f16 v4, v3, v7
	v_pk_min_f16 v8, 0x7c00, v134 op_sel_hi:[0,1]
	v_pk_add_f16 v7, v5, v7
	v_pk_min_f16 v6, 0x7c00, v6 op_sel_hi:[0,1]
	v_pk_min_f16 v101, v57, v56
	v_pk_min_f16 v38, 0x7c00, v130 op_sel_hi:[0,1]
	v_pk_min_f16 v40, 0x7c00, v131 op_sel_hi:[0,1]
	;; [unrolled: 1-line block ×4, first 2 shown]
	v_pk_add_f16 v19, v19, v9
	v_pk_min_f16 v18, 0x7c00, v18 op_sel_hi:[0,1]
	v_pk_add_f16 v21, v21, v9
	v_pk_min_f16 v20, 0x7c00, v20 op_sel_hi:[0,1]
	;; [unrolled: 2-line block ×3, first 2 shown]
	v_pk_min_f16 v58, v8, v4
	v_pk_min_f16 v57, v6, v7
	v_pk_add_f16 v4, v17, v9
	v_pk_min_f16 v6, 0x7c00, v16 op_sel_hi:[0,1]
	v_pk_add_f16 v7, v11, v9
	v_pk_min_f16 v8, 0x7c00, v10 op_sel_hi:[0,1]
	;; [unrolled: 2-line block ×5, first 2 shown]
	v_pk_min_f16 v96, v55, v54
	v_pk_min_f16 v86, v53, v45
	;; [unrolled: 1-line block ×14, first 2 shown]
	s_cbranch_scc1 .LBB273_58
; %bb.32:
	v_add_nc_u32_e32 v2, v75, v0
	v_lshlrev_b64 v[34:35], 1, v[24:25]
	v_lshlrev_b64 v[36:37], 1, v[26:27]
	;; [unrolled: 1-line block ×4, first 2 shown]
	v_lshrrev_b32_e32 v4, 6, v2
	v_lshlrev_b64 v[2:3], 1, v[22:23]
	v_or_b32_e32 v116, 0x1000, v107
	v_or_b32_e32 v117, 0x1000, v83
	v_add_nc_u32_e32 v118, 0x1200, v107
	v_add_nc_u32_e32 v5, 12, v4
	;; [unrolled: 1-line block ×3, first 2 shown]
	v_add_co_u32 v121, s8, s22, v2
	v_or_b32_e32 v119, 0x800, v107
	v_mad_i64_i32 v[4:5], null, v5, s24, 0
	v_mad_i64_i32 v[6:7], null, v6, s24, 0
	v_lshl_add_u32 v120, v0, 3, 0x1200
	v_add_co_ci_u32_e64 v122, null, s23, v3, s8
	v_or_b32_e32 v123, 0x800, v75
	v_lshlrev_b64 v[40:41], 1, v[4:5]
	s_add_i32 s27, s14, -8
	v_lshlrev_b64 v[42:43], 1, v[6:7]
	s_add_i32 s28, s14, -1
	s_lshl_b64 s[22:23], s[24:25], 4
	s_mov_b32 s24, 0
	s_branch .LBB273_34
.LBB273_33:                             ;   in Loop: Header=BB273_34 Depth=1
	s_or_b32 exec_lo, exec_lo, s9
	v_pk_add_f16 v129, v18, v30
	v_pk_max_f16 v115, v115, v115
	v_pk_add_f16 v130, v20, v30
	v_pk_max_f16 v114, v114, v114
	;; [unrolled: 2-line block ×3, first 2 shown]
	v_pk_min_f16 v115, v115, v129
	v_pk_add_f16 v129, v12, v30
	v_pk_max_f16 v112, v112, v112
	v_pk_add_f16 v132, v2, v30
	v_pk_max_f16 v111, v111, v111
	v_pk_add_f16 v133, v4, v30
	v_pk_min_f16 v114, v114, v130
	v_pk_min_f16 v113, v113, v131
	;; [unrolled: 1-line block ×3, first 2 shown]
	v_pk_add_f16 v129, v6, v30
	v_pk_max_f16 v109, v109, v109
	v_pk_add_f16 v30, v8, v30
	v_pk_max_f16 v108, v108, v108
	;; [unrolled: 2-line block ×4, first 2 shown]
	v_pk_min_f16 v111, v111, v132
	v_pk_add_f16 v132, v10, v32
	v_pk_min_f16 v109, v109, v129
	v_pk_min_f16 v30, v108, v30
	;; [unrolled: 1-line block ×4, first 2 shown]
	v_pk_add_f16 v108, v12, v32
	v_pk_max_f16 v103, v103, v103
	v_pk_add_f16 v129, v2, v32
	v_pk_add_f16 v130, v4, v32
	;; [unrolled: 1-line block ×4, first 2 shown]
	v_pk_max_f16 v99, v99, v99
	v_pk_max_f16 v102, v102, v102
	;; [unrolled: 1-line block ×4, first 2 shown]
	v_pk_min_f16 v103, v103, v108
	v_pk_min_f16 v32, v99, v32
	v_pk_add_f16 v99, v18, v26
	v_pk_max_f16 v98, v98, v98
	v_pk_add_f16 v108, v20, v26
	v_pk_max_f16 v97, v97, v97
	v_pk_min_f16 v102, v102, v129
	v_pk_min_f16 v101, v101, v130
	;; [unrolled: 1-line block ×3, first 2 shown]
	v_pk_add_f16 v129, v10, v26
	v_pk_max_f16 v96, v96, v96
	v_pk_add_f16 v130, v12, v26
	v_pk_max_f16 v95, v95, v95
	v_pk_add_f16 v131, v2, v26
	v_pk_min_f16 v98, v98, v99
	v_pk_min_f16 v97, v97, v108
	v_pk_add_f16 v99, v4, v26
	v_pk_max_f16 v93, v93, v93
	v_pk_add_f16 v108, v6, v26
	v_pk_add_f16 v26, v8, v26
	v_pk_max_f16 v91, v91, v91
	v_pk_min_f16 v96, v96, v129
	v_pk_min_f16 v95, v95, v130
	v_pk_max_f16 v92, v92, v92
	v_pk_add_f16 v129, v18, v28
	v_pk_max_f16 v90, v90, v90
	v_pk_add_f16 v130, v20, v28
	v_pk_max_f16 v89, v89, v89
	v_pk_min_f16 v93, v93, v99
	v_pk_min_f16 v26, v91, v26
	v_pk_add_f16 v91, v10, v28
	v_pk_max_f16 v88, v88, v88
	v_pk_add_f16 v99, v12, v28
	v_pk_max_f16 v87, v87, v87
	v_pk_min_f16 v92, v92, v108
	v_pk_min_f16 v90, v90, v129
	v_pk_min_f16 v89, v89, v130
	v_pk_add_f16 v108, v2, v28
	v_pk_max_f16 v86, v86, v86
	v_pk_add_f16 v129, v4, v28
	v_pk_max_f16 v85, v85, v85
	v_pk_add_f16 v130, v6, v28
	v_pk_min_f16 v88, v88, v91
	v_pk_min_f16 v87, v87, v99
	v_pk_add_f16 v28, v8, v28
	v_pk_max_f16 v82, v82, v82
	v_pk_add_f16 v91, v18, v22
	v_pk_max_f16 v81, v81, v81
	;; [unrolled: 2-line block ×3, first 2 shown]
	v_pk_min_f16 v86, v86, v108
	v_pk_min_f16 v85, v85, v129
	v_pk_add_f16 v108, v10, v22
	v_pk_max_f16 v79, v79, v79
	v_pk_add_f16 v129, v12, v22
	v_pk_min_f16 v28, v82, v28
	v_pk_min_f16 v81, v81, v91
	;; [unrolled: 1-line block ×3, first 2 shown]
	v_pk_add_f16 v82, v2, v22
	v_pk_max_f16 v77, v77, v77
	v_pk_add_f16 v91, v4, v22
	v_pk_max_f16 v76, v76, v76
	v_pk_add_f16 v99, v6, v22
	v_pk_add_f16 v22, v8, v22
	v_pk_max_f16 v73, v73, v73
	v_pk_min_f16 v79, v79, v108
	v_pk_max_f16 v74, v74, v74
	v_pk_add_f16 v108, v18, v24
	v_pk_max_f16 v72, v72, v72
	v_pk_min_f16 v77, v77, v82
	v_pk_min_f16 v76, v76, v91
	v_pk_min_f16 v22, v73, v22
	v_pk_add_f16 v73, v20, v24
	v_pk_max_f16 v71, v71, v71
	v_pk_add_f16 v82, v10, v24
	v_pk_max_f16 v70, v70, v70
	;; [unrolled: 2-line block ×3, first 2 shown]
	v_pk_min_f16 v74, v74, v99
	v_pk_min_f16 v72, v72, v108
	v_pk_add_f16 v99, v2, v24
	v_pk_max_f16 v68, v68, v68
	v_pk_add_f16 v108, v4, v24
	v_pk_min_f16 v71, v71, v73
	v_pk_min_f16 v70, v70, v82
	;; [unrolled: 1-line block ×3, first 2 shown]
	v_pk_add_f16 v73, v6, v24
	v_pk_max_f16 v66, v66, v66
	v_pk_add_f16 v24, v8, v24
	v_pk_max_f16 v65, v65, v65
	;; [unrolled: 2-line block ×4, first 2 shown]
	v_pk_min_f16 v68, v68, v99
	v_pk_add_f16 v99, v10, v14
	v_pk_min_f16 v66, v66, v73
	v_pk_min_f16 v24, v65, v24
	;; [unrolled: 1-line block ×4, first 2 shown]
	v_pk_add_f16 v65, v12, v14
	v_pk_add_f16 v73, v2, v14
	v_pk_max_f16 v60, v60, v60
	v_pk_add_f16 v82, v4, v14
	v_pk_add_f16 v91, v6, v14
	v_pk_add_f16 v14, v8, v14
	v_pk_max_f16 v57, v57, v57
	v_pk_add_f16 v18, v18, v16
	;; [unrolled: 4-line block ×3, first 2 shown]
	v_pk_max_f16 v56, v56, v56
	v_pk_add_f16 v2, v2, v16
	v_pk_add_f16 v4, v4, v16
	;; [unrolled: 1-line block ×4, first 2 shown]
	v_pk_max_f16 v16, v49, v49
	v_pk_max_f16 v110, v110, v110
	;; [unrolled: 1-line block ×4, first 2 shown]
	v_pk_min_f16 v60, v60, v73
	v_pk_min_f16 v14, v57, v14
	;; [unrolled: 1-line block ×4, first 2 shown]
	v_pk_max_f16 v10, v52, v52
	v_pk_max_f16 v12, v50, v50
	v_pk_min_f16 v73, v16, v8
	v_pk_add_f16 v8, v13, v31
	v_pk_min_f16 v110, v110, v133
	v_pk_max_f16 v104, v104, v104
	v_pk_min_f16 v67, v67, v108
	v_pk_max_f16 v62, v62, v62
	v_pk_min_f16 v61, v61, v65
	v_pk_min_f16 v4, v10, v4
	;; [unrolled: 1-line block ×3, first 2 shown]
	v_pk_add_f16 v6, v11, v31
	v_pk_add_f16 v10, v3, v31
	;; [unrolled: 1-line block ×3, first 2 shown]
	v_pk_min_f16 v108, v112, v8
	v_pk_add_f16 v8, v19, v33
	v_pk_min_f16 v104, v104, v132
	v_pk_max_f16 v78, v78, v78
	v_pk_min_f16 v62, v62, v99
	v_pk_add_f16 v16, v7, v31
	v_pk_min_f16 v99, v113, v6
	v_pk_min_f16 v111, v111, v10
	;; [unrolled: 1-line block ×3, first 2 shown]
	v_pk_add_f16 v6, v9, v31
	v_pk_add_f16 v10, v21, v33
	v_pk_add_f16 v12, v11, v33
	v_pk_min_f16 v106, v106, v8
	v_pk_add_f16 v8, v5, v33
	v_pk_max_f16 v94, v94, v94
	v_pk_max_f16 v84, v84, v84
	v_pk_min_f16 v78, v78, v129
	v_pk_min_f16 v109, v109, v16
	v_pk_add_f16 v16, v13, v33
	v_pk_min_f16 v129, v30, v6
	v_pk_min_f16 v105, v105, v10
	;; [unrolled: 1-line block ×3, first 2 shown]
	v_pk_add_f16 v6, v3, v33
	v_pk_add_f16 v10, v7, v33
	;; [unrolled: 1-line block ×3, first 2 shown]
	v_pk_min_f16 v101, v101, v8
	v_pk_add_f16 v8, v11, v27
	v_pk_min_f16 v94, v94, v131
	v_pk_min_f16 v84, v84, v130
	;; [unrolled: 1-line block ×3, first 2 shown]
	v_pk_add_f16 v16, v19, v27
	v_pk_min_f16 v102, v102, v6
	v_pk_min_f16 v100, v100, v10
	v_pk_min_f16 v130, v32, v12
	v_pk_add_f16 v6, v21, v27
	v_pk_add_f16 v10, v13, v27
	v_pk_add_f16 v12, v3, v27
	v_pk_min_f16 v96, v96, v8
	v_pk_add_f16 v8, v9, v27
	v_pk_min_f16 v98, v98, v16
	v_pk_add_f16 v16, v5, v27
	v_pk_min_f16 v97, v97, v6
	v_pk_min_f16 v95, v95, v10
	v_pk_min_f16 v94, v94, v12
	v_pk_add_f16 v6, v7, v27
	v_pk_add_f16 v10, v19, v29
	v_pk_add_f16 v12, v21, v29
	v_pk_min_f16 v131, v26, v8
	v_pk_add_f16 v8, v3, v29
	v_pk_min_f16 v93, v93, v16
	;; [unrolled: 10-line block ×4, first 2 shown]
	v_pk_add_f16 v16, v3, v23
	v_pk_min_f16 v81, v81, v6
	v_pk_min_f16 v79, v79, v10
	;; [unrolled: 1-line block ×3, first 2 shown]
	v_pk_add_f16 v6, v5, v23
	v_pk_add_f16 v10, v9, v23
	v_pk_add_f16 v12, v19, v25
	v_pk_min_f16 v74, v74, v8
	v_pk_add_f16 v8, v13, v25
	v_pk_max_f16 v59, v59, v59
	v_pk_min_f16 v77, v77, v16
	v_pk_add_f16 v16, v21, v25
	v_pk_min_f16 v76, v76, v6
	v_pk_min_f16 v133, v22, v10
	;; [unrolled: 1-line block ×3, first 2 shown]
	v_pk_add_f16 v6, v11, v25
	v_pk_add_f16 v10, v3, v25
	;; [unrolled: 1-line block ×3, first 2 shown]
	v_pk_min_f16 v69, v69, v8
	v_pk_add_f16 v8, v19, v15
	v_pk_min_f16 v59, v59, v82
	v_pk_max_f16 v55, v55, v55
	v_pk_max_f16 v53, v53, v53
	;; [unrolled: 1-line block ×3, first 2 shown]
	v_pk_min_f16 v71, v71, v16
	v_pk_add_f16 v16, v7, v25
	v_pk_min_f16 v70, v70, v6
	v_pk_min_f16 v68, v68, v10
	;; [unrolled: 1-line block ×3, first 2 shown]
	v_pk_add_f16 v6, v9, v25
	v_pk_add_f16 v10, v21, v15
	;; [unrolled: 1-line block ×3, first 2 shown]
	v_pk_min_f16 v64, v64, v8
	v_pk_add_f16 v8, v5, v15
	v_pk_max_f16 v58, v58, v58
	v_pk_min_f16 v18, v55, v18
	v_pk_min_f16 v20, v53, v20
	;; [unrolled: 1-line block ×3, first 2 shown]
	v_pk_add_f16 v49, v19, v31
	v_pk_add_f16 v50, v21, v31
	v_pk_min_f16 v66, v66, v16
	v_pk_add_f16 v16, v13, v15
	v_pk_min_f16 v134, v24, v6
	v_pk_min_f16 v135, v63, v10
	;; [unrolled: 1-line block ×3, first 2 shown]
	v_pk_add_f16 v6, v3, v15
	v_pk_add_f16 v10, v7, v15
	;; [unrolled: 1-line block ×4, first 2 shown]
	v_pk_min_f16 v31, v59, v8
	v_pk_add_f16 v8, v21, v17
	ds_read2_b64 v[26:29], v117 offset1:8
	ds_read2_b64 v[52:55], v75 offset1:32
	v_pk_min_f16 v58, v58, v91
	v_pk_min_f16 v91, v114, v50
	;; [unrolled: 1-line block ×4, first 2 shown]
	v_pk_add_f16 v15, v11, v17
	ds_read2_b64 v[22:25], v117 offset0:16 offset1:24
	v_pk_min_f16 v50, v20, v8
	v_pk_add_f16 v8, v13, v17
	v_pk_min_f16 v82, v115, v49
	v_pk_min_f16 v32, v61, v16
	;; [unrolled: 1-line block ×4, first 2 shown]
	ds_read2_b64 v[18:21], v117 offset0:32 offset1:40
	ds_read2_b64 v[10:13], v117 offset0:48 offset1:56
	v_pk_min_f16 v49, v57, v15
	v_pk_min_f16 v30, v56, v8
	ds_read2_b64 v[56:59], v75 offset0:64 offset1:96
	v_pk_add_f16 v3, v3, v17
	v_pk_add_f16 v5, v5, v17
	;; [unrolled: 1-line block ×4, first 2 shown]
	v_pk_max_f16 v82, v82, v82
	s_waitcnt lgkmcnt(4)
	v_pk_add_f16 v113, v27, v53
	v_pk_max_f16 v91, v91, v91
	v_pk_min_f16 v8, v65, v7
	v_pk_min_f16 v7, v73, v17
	v_pk_add_f16 v17, v26, v52
	v_pk_add_f16 v65, v28, v52
	s_waitcnt lgkmcnt(3)
	v_pk_add_f16 v73, v22, v52
	v_pk_max_f16 v99, v99, v99
	v_pk_add_f16 v112, v24, v52
	v_pk_min_f16 v17, v82, v17
	s_waitcnt lgkmcnt(2)
	v_pk_add_f16 v137, v20, v52
	v_pk_min_f16 v65, v91, v65
	v_pk_add_f16 v151, v21, v53
	v_pk_add_f16 v136, v18, v52
	s_waitcnt lgkmcnt(0)
	v_pk_add_f16 v146, v26, v56
	v_pk_add_f16 v147, v28, v56
	;; [unrolled: 1-line block ×7, first 2 shown]
	v_pk_min_f16 v115, v17, v113
	v_pk_add_f16 v17, v12, v56
	v_pk_min_f16 v56, v99, v73
	v_pk_max_f16 v99, v110, v110
	v_pk_add_f16 v138, v10, v52
	v_pk_add_f16 v52, v12, v52
	;; [unrolled: 1-line block ×3, first 2 shown]
	v_pk_max_f16 v106, v106, v106
	v_pk_min_f16 v99, v99, v137
	v_pk_add_f16 v153, v27, v55
	v_pk_add_f16 v141, v22, v54
	;; [unrolled: 1-line block ×4, first 2 shown]
	v_pk_min_f16 v110, v99, v151
	v_pk_max_f16 v99, v129, v129
	v_pk_add_f16 v140, v28, v54
	v_pk_add_f16 v142, v24, v54
	v_pk_add_f16 v144, v20, v54
	v_pk_add_f16 v145, v10, v54
	v_pk_min_f16 v52, v99, v52
	v_pk_min_f16 v99, v106, v139
	v_pk_add_f16 v54, v12, v54
	v_pk_add_f16 v157, v19, v55
	v_pk_max_f16 v100, v100, v100
	v_pk_max_f16 v130, v130, v130
	v_pk_min_f16 v106, v99, v153
	v_pk_max_f16 v99, v104, v104
	v_pk_add_f16 v154, v29, v55
	v_pk_add_f16 v156, v25, v55
	;; [unrolled: 1-line block ×4, first 2 shown]
	v_pk_min_f16 v99, v99, v141
	v_pk_add_f16 v55, v13, v55
	v_pk_min_f16 v54, v130, v54
	v_pk_max_f16 v97, v97, v97
	v_pk_max_f16 v96, v96, v96
	v_pk_min_f16 v104, v99, v155
	v_pk_max_f16 v99, v102, v102
	v_pk_add_f16 v148, v23, v53
	v_pk_max_f16 v94, v94, v94
	v_pk_add_f16 v155, v25, v57
	v_pk_min_f16 v15, v2, v3
	v_pk_min_f16 v99, v99, v143
	;; [unrolled: 1-line block ×3, first 2 shown]
	ds_read2_b64 v[60:63], v75 offset0:128 offset1:160
	ds_read2_b64 v[2:5], v75 offset0:192 offset1:224
	v_pk_min_f16 v113, v56, v148
	v_pk_max_f16 v56, v111, v111
	v_pk_min_f16 v102, v99, v157
	v_pk_min_f16 v99, v100, v145
	;; [unrolled: 1-line block ×3, first 2 shown]
	v_pk_add_f16 v114, v29, v53
	v_pk_add_f16 v149, v25, v53
	;; [unrolled: 1-line block ×3, first 2 shown]
	v_pk_min_f16 v100, v99, v159
	v_pk_min_f16 v99, v54, v55
	v_pk_add_f16 v54, v29, v57
	v_pk_min_f16 v55, v97, v147
	v_pk_add_f16 v152, v11, v53
	v_pk_add_f16 v53, v13, v53
	v_pk_min_f16 v56, v56, v136
	v_pk_min_f16 v114, v65, v114
	;; [unrolled: 1-line block ×3, first 2 shown]
	v_pk_max_f16 v54, v95, v95
	v_pk_add_f16 v55, v23, v57
	v_pk_min_f16 v95, v96, v160
	v_pk_max_f16 v65, v108, v108
	v_pk_min_f16 v111, v56, v150
	v_pk_min_f16 v54, v54, v161
	v_pk_max_f16 v56, v109, v109
	v_pk_min_f16 v96, v95, v55
	v_pk_add_f16 v55, v19, v57
	v_pk_min_f16 v108, v52, v53
	v_pk_min_f16 v95, v54, v155
	v_pk_max_f16 v54, v93, v93
	v_pk_max_f16 v52, v105, v105
	v_pk_min_f16 v94, v94, v55
	v_pk_max_f16 v55, v92, v92
	v_pk_add_f16 v92, v21, v57
	v_pk_min_f16 v54, v54, v82
	v_pk_max_f16 v82, v131, v131
	v_pk_max_f16 v98, v98, v98
	v_pk_min_f16 v55, v55, v91
	v_pk_add_f16 v91, v11, v57
	v_pk_min_f16 v93, v54, v92
	v_pk_add_f16 v54, v13, v57
	;; [unrolled: 2-line block ×3, first 2 shown]
	v_pk_add_f16 v163, v28, v58
	v_pk_min_f16 v65, v65, v112
	v_pk_min_f16 v56, v56, v138
	;; [unrolled: 1-line block ×3, first 2 shown]
	v_pk_max_f16 v103, v103, v103
	v_pk_max_f16 v101, v101, v101
	v_pk_min_f16 v98, v98, v146
	v_pk_add_f16 v146, v27, v57
	v_pk_min_f16 v92, v55, v91
	v_pk_max_f16 v55, v90, v90
	v_pk_min_f16 v91, v17, v54
	v_pk_max_f16 v17, v89, v89
	v_pk_add_f16 v148, v22, v58
	v_pk_add_f16 v164, v24, v58
	;; [unrolled: 1-line block ×3, first 2 shown]
	v_pk_min_f16 v112, v65, v149
	v_pk_add_f16 v65, v20, v58
	v_pk_add_f16 v137, v10, v58
	;; [unrolled: 1-line block ×3, first 2 shown]
	s_waitcnt lgkmcnt(1)
	v_pk_add_f16 v129, v26, v60
	v_pk_add_f16 v138, v28, v60
	v_pk_add_f16 v149, v22, v60
	v_pk_min_f16 v109, v56, v152
	v_pk_add_f16 v56, v24, v60
	v_pk_add_f16 v139, v18, v60
	;; [unrolled: 1-line block ×6, first 2 shown]
	v_pk_min_f16 v105, v52, v154
	v_pk_add_f16 v52, v28, v62
	v_pk_min_f16 v103, v103, v142
	v_pk_add_f16 v141, v22, v62
	v_pk_add_f16 v142, v24, v62
	;; [unrolled: 1-line block ×4, first 2 shown]
	v_pk_min_f16 v101, v101, v144
	v_pk_add_f16 v144, v10, v62
	v_pk_add_f16 v62, v12, v62
	s_waitcnt lgkmcnt(0)
	v_pk_add_f16 v145, v26, v2
	v_pk_add_f16 v152, v28, v2
	;; [unrolled: 1-line block ×5, first 2 shown]
	v_pk_min_f16 v98, v98, v146
	v_pk_add_f16 v146, v20, v2
	v_pk_add_f16 v154, v10, v2
	;; [unrolled: 1-line block ×8, first 2 shown]
	v_pk_min_f16 v55, v55, v73
	v_pk_add_f16 v18, v18, v4
	v_pk_max_f16 v57, v88, v88
	v_pk_min_f16 v17, v17, v163
	v_pk_add_f16 v73, v29, v59
	v_pk_add_f16 v20, v20, v4
	;; [unrolled: 1-line block ×4, first 2 shown]
	v_pk_max_f16 v12, v86, v86
	v_pk_min_f16 v90, v55, v54
	v_pk_add_f16 v54, v23, v59
	v_pk_min_f16 v55, v57, v148
	v_pk_min_f16 v89, v17, v73
	v_pk_max_f16 v17, v87, v87
	v_pk_min_f16 v12, v12, v136
	v_pk_add_f16 v73, v19, v59
	v_pk_min_f16 v88, v55, v54
	v_pk_add_f16 v55, v25, v59
	v_pk_min_f16 v17, v17, v164
	v_pk_max_f16 v57, v84, v84
	v_pk_min_f16 v86, v12, v73
	v_pk_max_f16 v12, v132, v132
	v_pk_max_f16 v54, v85, v85
	v_pk_add_f16 v82, v11, v59
	v_pk_min_f16 v57, v57, v137
	v_pk_min_f16 v87, v17, v55
	v_pk_add_f16 v17, v13, v59
	v_pk_min_f16 v12, v12, v58
	v_pk_min_f16 v54, v54, v65
	v_pk_add_f16 v65, v21, v59
	v_pk_min_f16 v84, v57, v82
	v_pk_max_f16 v55, v80, v80
	v_pk_min_f16 v82, v12, v17
	v_pk_max_f16 v12, v78, v78
	;; [unrolled: 2-line block ×3, first 2 shown]
	v_pk_add_f16 v17, v25, v61
	v_pk_add_f16 v57, v27, v61
	v_pk_min_f16 v12, v12, v56
	v_pk_max_f16 v58, v79, v79
	v_pk_min_f16 v54, v54, v129
	v_pk_add_f16 v59, v29, v61
	v_pk_min_f16 v55, v55, v138
	v_pk_min_f16 v78, v12, v17
	v_pk_max_f16 v12, v133, v133
	v_pk_min_f16 v81, v54, v57
	v_pk_max_f16 v54, v77, v77
	v_pk_add_f16 v17, v13, v61
	v_pk_add_f16 v65, v23, v61
	v_pk_min_f16 v12, v12, v60
	v_pk_min_f16 v58, v58, v149
	;; [unrolled: 1-line block ×3, first 2 shown]
	v_pk_max_f16 v55, v76, v76
	v_pk_add_f16 v56, v19, v61
	v_pk_max_f16 v57, v74, v74
	v_pk_min_f16 v54, v54, v139
	v_pk_min_f16 v73, v12, v17
	v_pk_max_f16 v12, v69, v69
	v_pk_min_f16 v79, v58, v65
	v_pk_add_f16 v58, v21, v61
	v_pk_min_f16 v53, v55, v53
	v_pk_add_f16 v55, v11, v61
	v_pk_min_f16 v57, v57, v150
	v_pk_min_f16 v77, v54, v56
	v_pk_max_f16 v54, v71, v71
	v_pk_add_f16 v17, v25, v63
	v_pk_min_f16 v12, v12, v142
	v_pk_min_f16 v76, v53, v58
	;; [unrolled: 1-line block ×3, first 2 shown]
	v_pk_max_f16 v53, v72, v72
	v_pk_max_f16 v56, v70, v70
	v_pk_add_f16 v57, v29, v63
	v_pk_min_f16 v52, v54, v52
	v_pk_min_f16 v69, v12, v17
	v_pk_max_f16 v12, v134, v134
	v_pk_add_f16 v55, v27, v63
	v_pk_min_f16 v53, v53, v140
	v_pk_add_f16 v54, v23, v63
	v_pk_min_f16 v56, v56, v141
	v_pk_min_f16 v71, v52, v57
	v_pk_max_f16 v52, v68, v68
	v_pk_add_f16 v17, v13, v63
	v_pk_min_f16 v12, v12, v62
	v_pk_min_f16 v72, v53, v55
	;; [unrolled: 1-line block ×3, first 2 shown]
	v_pk_max_f16 v53, v67, v67
	v_pk_add_f16 v54, v19, v63
	v_pk_min_f16 v52, v52, v151
	v_pk_min_f16 v65, v12, v17
	v_pk_max_f16 v12, v32, v32
	v_pk_max_f16 v55, v66, v66
	v_pk_add_f16 v56, v21, v63
	v_pk_min_f16 v53, v53, v143
	v_pk_min_f16 v68, v52, v54
	v_pk_max_f16 v52, v64, v64
	v_pk_max_f16 v51, v51, v51
	v_pk_add_f16 v17, v25, v3
	v_pk_min_f16 v12, v12, v130
	v_pk_add_f16 v57, v11, v63
	v_pk_min_f16 v55, v55, v144
	v_pk_min_f16 v67, v53, v56
	v_pk_add_f16 v54, v27, v3
	v_pk_min_f16 v52, v52, v145
	v_pk_add_f16 v56, v23, v3
	v_pk_min_f16 v51, v51, v153
	v_pk_max_f16 v16, v16, v16
	v_pk_min_f16 v61, v12, v17
	v_pk_max_f16 v12, v14, v14
	;; [unrolled: 2-line block ×3, first 2 shown]
	v_pk_add_f16 v55, v29, v3
	v_pk_min_f16 v64, v52, v54
	v_pk_min_f16 v62, v51, v56
	v_pk_max_f16 v32, v33, v33
	v_pk_add_f16 v33, v19, v3
	v_pk_add_f16 v51, v21, v3
	;; [unrolled: 1-line block ×3, first 2 shown]
	v_pk_min_f16 v16, v16, v154
	v_pk_add_f16 v3, v13, v3
	v_pk_max_f16 v6, v6, v6
	v_pk_min_f16 v2, v12, v2
	v_pk_max_f16 v12, v50, v50
	v_pk_min_f16 v53, v53, v152
	;; [unrolled: 2-line block ×3, first 2 shown]
	v_pk_add_f16 v14, v27, v5
	v_pk_max_f16 v16, v49, v49
	v_pk_min_f16 v6, v6, v26
	v_pk_add_f16 v17, v29, v5
	v_pk_min_f16 v12, v12, v28
	v_pk_min_f16 v57, v2, v3
	v_pk_max_f16 v2, v30, v30
	v_pk_max_f16 v3, v15, v15
	;; [unrolled: 1-line block ×5, first 2 shown]
	v_pk_min_f16 v63, v53, v55
	v_pk_min_f16 v32, v32, v147
	;; [unrolled: 1-line block ×3, first 2 shown]
	v_pk_add_f16 v23, v23, v5
	v_pk_min_f16 v16, v16, v22
	v_pk_min_f16 v55, v6, v14
	;; [unrolled: 1-line block ×3, first 2 shown]
	v_pk_add_f16 v6, v25, v5
	v_pk_min_f16 v2, v2, v24
	v_pk_add_f16 v12, v19, v5
	v_pk_min_f16 v3, v3, v18
	;; [unrolled: 2-line block ×5, first 2 shown]
	v_add_co_u32 v121, s8, v121, s22
	v_pk_min_f16 v103, v103, v156
	v_pk_min_f16 v101, v101, v158
	;; [unrolled: 1-line block ×10, first 2 shown]
	v_add_co_ci_u32_e64 v122, null, s23, v122, s8
	s_add_i32 s24, s24, 8
	ds_write_b16 v118, v124
	ds_write_b16 v119, v125
	ds_write_b16 v119, v126 offset:512
	ds_write_b16 v119, v127 offset:1024
	ds_write_b16 v119, v128 offset:1536
	s_cmp_ge_i32 s24, s27
	s_waitcnt lgkmcnt(0)
	s_barrier
	buffer_gl0_inv
	s_cbranch_scc1 .LBB273_58
.LBB273_34:                             ; =>This Inner Loop Header: Depth=1
	v_add_nc_u32_e32 v124, s24, v47
                                        ; implicit-def: $vgpr125
	v_add_nc_u32_e32 v2, 8, v124
	v_cmp_le_i32_e64 s8, s14, v2
	s_or_b32 s25, vcc_lo, s8
	s_nor_b32 s9, s0, s25
	s_and_saveexec_b32 s29, s9
	s_xor_b32 s29, exec_lo, s29
	s_cbranch_execz .LBB273_36
; %bb.35:                               ;   in Loop: Header=BB273_34 Depth=1
	v_add_co_u32 v3, s9, v121, v42
	v_add_co_ci_u32_e64 v4, null, v122, v43, s9
	global_load_ushort v3, v[3:4], off
	s_waitcnt vmcnt(0)
	v_mul_f16_e32 v125, v46, v3
.LBB273_36:                             ;   in Loop: Header=BB273_34 Depth=1
	s_andn2_saveexec_b32 s9, s29
; %bb.37:                               ;   in Loop: Header=BB273_34 Depth=1
	v_cndmask_b32_e64 v125, 0, 0x7c00, s25
; %bb.38:                               ;   in Loop: Header=BB273_34 Depth=1
	s_or_b32 exec_lo, exec_lo, s9
	v_min_i32_e32 v2, s28, v2
	v_mad_i64_i32 v[2:3], null, v2, s26, 0
	v_lshlrev_b64 v[2:3], 1, v[2:3]
	v_add_co_u32 v2, s9, s20, v2
	v_add_co_ci_u32_e64 v3, null, s21, v3, s9
	s_or_b32 s9, s2, s8
	v_cndmask_b32_e64 v126, 0, 0x7c00, s9
	s_nor_b32 s9, s0, s9
	s_and_saveexec_b32 s25, s9
	s_cbranch_execz .LBB273_40
; %bb.39:                               ;   in Loop: Header=BB273_34 Depth=1
	v_add_co_u32 v4, s9, v2, v34
	v_add_co_ci_u32_e64 v5, null, v3, v35, s9
	global_load_ushort v4, v[4:5], off
	s_waitcnt vmcnt(0)
	v_mul_f16_e32 v126, v46, v4
.LBB273_40:                             ;   in Loop: Header=BB273_34 Depth=1
	s_or_b32 exec_lo, exec_lo, s25
	s_or_b32 s9, s3, s8
	v_cndmask_b32_e64 v127, 0, 0x7c00, s9
	s_nor_b32 s9, s9, s0
	s_and_saveexec_b32 s25, s9
	s_cbranch_execz .LBB273_42
; %bb.41:                               ;   in Loop: Header=BB273_34 Depth=1
	v_add_co_u32 v4, s9, v2, v36
	v_add_co_ci_u32_e64 v5, null, v3, v37, s9
	global_load_ushort v4, v[4:5], off
	s_waitcnt vmcnt(0)
	v_mul_f16_e32 v127, v46, v4
.LBB273_42:                             ;   in Loop: Header=BB273_34 Depth=1
	s_or_b32 exec_lo, exec_lo, s25
	;; [unrolled: 13-line block ×4, first 2 shown]
	ds_read2_b64 v[18:21], v120 offset1:8
	ds_read2_b64 v[10:13], v120 offset0:16 offset1:24
	ds_read2_b64 v[2:5], v120 offset0:32 offset1:40
	;; [unrolled: 1-line block ×3, first 2 shown]
	ds_read2_b64 v[30:33], v123 offset1:32
	ds_read2_b64 v[26:29], v123 offset0:64 offset1:96
	ds_read2_b64 v[22:25], v123 offset0:128 offset1:160
	;; [unrolled: 1-line block ×3, first 2 shown]
	v_add_nc_u32_e32 v130, 12, v124
	ds_write_b16 v116, v125
	ds_write_b16 v107, v126
	ds_write_b16 v107, v127 offset:512
	ds_write_b16 v107, v128 offset:1024
	;; [unrolled: 1-line block ×3, first 2 shown]
	s_waitcnt lgkmcnt(0)
	s_barrier
	v_cmp_le_i32_e64 s8, s14, v130
	buffer_gl0_inv
                                        ; implicit-def: $vgpr124
	s_or_b32 s25, vcc_lo, s8
	s_nor_b32 s9, s0, s25
	s_and_saveexec_b32 s29, s9
	s_xor_b32 s29, exec_lo, s29
	s_cbranch_execz .LBB273_48
; %bb.47:                               ;   in Loop: Header=BB273_34 Depth=1
	v_add_co_u32 v124, s9, v121, v40
	v_add_co_ci_u32_e64 v125, null, v122, v41, s9
	global_load_ushort v124, v[124:125], off
	s_waitcnt vmcnt(0)
	v_mul_f16_e32 v124, v46, v124
.LBB273_48:                             ;   in Loop: Header=BB273_34 Depth=1
	s_andn2_saveexec_b32 s9, s29
; %bb.49:                               ;   in Loop: Header=BB273_34 Depth=1
	v_cndmask_b32_e64 v124, 0, 0x7c00, s25
; %bb.50:                               ;   in Loop: Header=BB273_34 Depth=1
	s_or_b32 exec_lo, exec_lo, s9
	v_min_i32_e32 v125, s28, v130
	v_mad_i64_i32 v[125:126], null, v125, s26, 0
	v_lshlrev_b64 v[125:126], 1, v[125:126]
	v_add_co_u32 v129, s9, s20, v125
	v_add_co_ci_u32_e64 v130, null, s21, v126, s9
	s_or_b32 s9, s2, s8
	v_cndmask_b32_e64 v125, 0, 0x7c00, s9
	s_nor_b32 s9, s0, s9
	s_and_saveexec_b32 s25, s9
	s_cbranch_execz .LBB273_52
; %bb.51:                               ;   in Loop: Header=BB273_34 Depth=1
	v_add_co_u32 v125, s9, v129, v34
	v_add_co_ci_u32_e64 v126, null, v130, v35, s9
	global_load_ushort v125, v[125:126], off
	s_waitcnt vmcnt(0)
	v_mul_f16_e32 v125, v46, v125
.LBB273_52:                             ;   in Loop: Header=BB273_34 Depth=1
	s_or_b32 exec_lo, exec_lo, s25
	s_or_b32 s9, s3, s8
	v_cndmask_b32_e64 v126, 0, 0x7c00, s9
	s_nor_b32 s9, s9, s0
	s_and_saveexec_b32 s25, s9
	s_cbranch_execz .LBB273_54
; %bb.53:                               ;   in Loop: Header=BB273_34 Depth=1
	v_add_co_u32 v126, s9, v129, v36
	v_add_co_ci_u32_e64 v127, null, v130, v37, s9
	global_load_ushort v126, v[126:127], off
	s_waitcnt vmcnt(0)
	v_mul_f16_e32 v126, v46, v126
.LBB273_54:                             ;   in Loop: Header=BB273_34 Depth=1
	s_or_b32 exec_lo, exec_lo, s25
	;; [unrolled: 13-line block ×3, first 2 shown]
	s_or_b32 s8, s7, s8
	v_cndmask_b32_e64 v128, 0, 0x7c00, s8
	s_nor_b32 s8, s8, s0
	s_and_saveexec_b32 s9, s8
	s_cbranch_execz .LBB273_33
; %bb.57:                               ;   in Loop: Header=BB273_34 Depth=1
	v_add_co_u32 v128, s8, v129, v44
	v_add_co_ci_u32_e64 v129, null, v130, v45, s8
	global_load_ushort v128, v[128:129], off
	s_waitcnt vmcnt(0)
	v_mul_f16_e32 v128, v46, v128
	s_branch .LBB273_33
.LBB273_58:
	s_clause 0x2
	s_load_dwordx2 s[2:3], s[4:5], 0x78
	s_load_dword s14, s[4:5], 0x58
	s_load_dword s9, s[4:5], 0x70
	v_add_nc_u32_e32 v2, 0x1000, v83
	v_add_nc_u32_e32 v83, s19, v1
	v_add_nc_u32_e32 v4, 0x800, v75
	v_add_nc_u32_e32 v32, s15, v0
	ds_read2_b64 v[16:19], v2 offset0:64 offset1:72
	ds_read2_b64 v[12:15], v2 offset0:80 offset1:88
	;; [unrolled: 1-line block ×4, first 2 shown]
	ds_read2_b64 v[28:31], v4 offset1:32
	ds_read2_b64 v[24:27], v4 offset0:64 offset1:96
	ds_read2_b64 v[20:23], v4 offset0:128 offset1:160
	;; [unrolled: 1-line block ×3, first 2 shown]
	v_cmp_gt_i32_e64 s8, s13, v83
	v_cndmask_b32_e64 v75, 0, 1, s1
	v_cmp_gt_i32_e64 s0, s12, v32
	v_ashrrev_i32_e32 v33, 31, v32
	s_waitcnt lgkmcnt(0)
	s_mul_i32 s3, s3, s18
	v_mad_i64_i32 v[34:35], null, v83, s14, 0
	v_mad_i64_i32 v[36:37], null, v83, s9, 0
	s_mul_hi_u32 s4, s2, s18
	s_mul_i32 s2, s2, s18
	s_add_i32 s3, s4, s3
	s_lshl_b64 s[2:3], s[2:3], 1
	v_lshlrev_b64 v[34:35], 1, v[34:35]
	v_lshlrev_b64 v[36:37], 1, v[36:37]
	s_add_u32 s10, s10, s2
	s_addc_u32 s11, s11, s3
	s_and_b32 s3, s0, s8
	v_add_co_u32 v117, vcc_lo, s16, v34
	v_add_co_ci_u32_e64 v118, null, s17, v35, vcc_lo
	v_add_co_u32 v107, vcc_lo, s10, v36
	v_add_co_ci_u32_e64 v116, null, s11, v37, vcc_lo
	s_and_saveexec_b32 s2, s3
	s_cbranch_execz .LBB273_63
; %bb.59:
	s_andn2_b32 vcc_lo, exec_lo, s1
	s_cbranch_vccnz .LBB273_61
; %bb.60:
	v_lshlrev_b64 v[34:35], 1, v[32:33]
	v_add_co_u32 v34, vcc_lo, v117, v34
	v_add_co_ci_u32_e64 v35, null, v118, v35, vcc_lo
	global_load_ushort v34, v[34:35], off
	s_waitcnt vmcnt(0)
	v_mul_f16_e32 v34, v48, v34
	v_cvt_f32_f16_e32 v34, v34
	s_branch .LBB273_62
.LBB273_61:
	v_mov_b32_e32 v34, 0
.LBB273_62:
	v_pk_add_f16 v35, v16, v28
	v_pk_add_f16 v36, v17, v29
	v_max_f16_e32 v37, v115, v115
	v_lshrrev_b32_e32 v38, 16, v115
	v_max_f32_e32 v34, v34, v34
	v_lshrrev_b32_e32 v39, 16, v35
	v_lshrrev_b32_e32 v40, 16, v36
	v_min_f16_e32 v35, v37, v35
	v_min3_f16 v37, v38, v39, v40
	v_min3_f16 v35, v35, v36, v37
	v_cvt_f32_f16_e32 v35, v35
	v_min_f32_e32 v36, v34, v35
	v_lshlrev_b64 v[34:35], 1, v[32:33]
	v_cvt_f16_f32_e32 v36, v36
	v_add_co_u32 v34, vcc_lo, v107, v34
	v_add_co_ci_u32_e64 v35, null, v116, v35, vcc_lo
	global_store_short v[34:35], v36, off
.LBB273_63:
	s_or_b32 exec_lo, exec_lo, s2
	v_add_nc_u32_e32 v34, 8, v32
	v_cmp_gt_i32_e64 s1, s12, v34
	v_ashrrev_i32_e32 v35, 31, v34
	s_and_b32 s3, s1, s8
	s_and_saveexec_b32 s2, s3
	s_cbranch_execz .LBB273_68
; %bb.64:
	v_cmp_ne_u32_e32 vcc_lo, 1, v75
	s_cbranch_vccnz .LBB273_66
; %bb.65:
	v_lshlrev_b64 v[36:37], 1, v[34:35]
	v_add_co_u32 v36, vcc_lo, v117, v36
	v_add_co_ci_u32_e64 v37, null, v118, v37, vcc_lo
	global_load_ushort v36, v[36:37], off
	s_waitcnt vmcnt(0)
	v_mul_f16_e32 v36, v48, v36
	v_cvt_f32_f16_e32 v36, v36
	s_branch .LBB273_67
.LBB273_66:
	v_mov_b32_e32 v36, 0
.LBB273_67:
	v_pk_add_f16 v37, v18, v28
	v_pk_add_f16 v38, v19, v29
	v_max_f16_e32 v39, v114, v114
	v_lshrrev_b32_e32 v40, 16, v114
	v_max_f32_e32 v36, v36, v36
	v_lshrrev_b32_e32 v41, 16, v37
	v_lshrrev_b32_e32 v42, 16, v38
	v_min_f16_e32 v37, v39, v37
	v_min3_f16 v39, v40, v41, v42
	v_min3_f16 v37, v37, v38, v39
	v_cvt_f32_f16_e32 v37, v37
	v_min_f32_e32 v38, v36, v37
	v_lshlrev_b64 v[36:37], 1, v[34:35]
	v_cvt_f16_f32_e32 v38, v38
	v_add_co_u32 v36, vcc_lo, v107, v36
	v_add_co_ci_u32_e64 v37, null, v116, v37, vcc_lo
	global_store_short v[36:37], v38, off
.LBB273_68:
	s_or_b32 exec_lo, exec_lo, s2
	v_add_nc_u32_e32 v36, 16, v32
	v_cmp_gt_i32_e64 s2, s12, v36
	v_ashrrev_i32_e32 v37, 31, v36
	s_and_b32 s4, s2, s8
	s_and_saveexec_b32 s3, s4
	s_cbranch_execz .LBB273_73
; %bb.69:
	v_cmp_ne_u32_e32 vcc_lo, 1, v75
	s_cbranch_vccnz .LBB273_71
; %bb.70:
	v_lshlrev_b64 v[38:39], 1, v[36:37]
	v_add_co_u32 v38, vcc_lo, v117, v38
	v_add_co_ci_u32_e64 v39, null, v118, v39, vcc_lo
	global_load_ushort v38, v[38:39], off
	s_waitcnt vmcnt(0)
	v_mul_f16_e32 v38, v48, v38
	v_cvt_f32_f16_e32 v38, v38
	s_branch .LBB273_72
.LBB273_71:
	v_mov_b32_e32 v38, 0
.LBB273_72:
	v_pk_add_f16 v39, v12, v28
	v_pk_add_f16 v40, v13, v29
	v_max_f16_e32 v41, v113, v113
	v_lshrrev_b32_e32 v42, 16, v113
	v_max_f32_e32 v38, v38, v38
	v_lshrrev_b32_e32 v43, 16, v39
	v_lshrrev_b32_e32 v44, 16, v40
	v_min_f16_e32 v39, v41, v39
	v_min3_f16 v41, v42, v43, v44
	v_min3_f16 v39, v39, v40, v41
	v_cvt_f32_f16_e32 v39, v39
	v_min_f32_e32 v40, v38, v39
	v_lshlrev_b64 v[38:39], 1, v[36:37]
	v_cvt_f16_f32_e32 v40, v40
	v_add_co_u32 v38, vcc_lo, v107, v38
	v_add_co_ci_u32_e64 v39, null, v116, v39, vcc_lo
	global_store_short v[38:39], v40, off
.LBB273_73:
	;; [unrolled: 40-line block ×6, first 2 shown]
	s_or_b32 exec_lo, exec_lo, s7
	v_add_nc_u32_e32 v46, 56, v32
	v_cmp_gt_i32_e64 s7, s12, v46
	v_ashrrev_i32_e32 v47, 31, v46
	s_and_b32 s12, s7, s8
	s_and_saveexec_b32 s8, s12
	s_cbranch_execz .LBB273_98
; %bb.94:
	v_cmp_ne_u32_e32 vcc_lo, 1, v75
	s_cbranch_vccnz .LBB273_96
; %bb.95:
	v_lshlrev_b64 v[109:110], 1, v[46:47]
	v_add_co_u32 v109, vcc_lo, v117, v109
	v_add_co_ci_u32_e64 v110, null, v118, v110, vcc_lo
	global_load_ushort v109, v[109:110], off
	s_waitcnt vmcnt(0)
	v_mul_f16_e32 v109, v48, v109
	v_cvt_f32_f16_e32 v109, v109
	s_branch .LBB273_97
.LBB273_96:
	v_mov_b32_e32 v109, 0
.LBB273_97:
	v_pk_add_f16 v28, v2, v28
	v_pk_add_f16 v29, v3, v29
	v_max_f16_e32 v110, v108, v108
	v_lshrrev_b32_e32 v108, 16, v108
	v_lshrrev_b32_e32 v111, 16, v28
	;; [unrolled: 1-line block ×3, first 2 shown]
	v_min_f16_e32 v28, v110, v28
	v_min3_f16 v108, v108, v111, v112
	v_min3_f16 v28, v28, v29, v108
	v_max_f32_e32 v29, v109, v109
	v_cvt_f32_f16_e32 v28, v28
	v_min_f32_e32 v108, v29, v28
	v_lshlrev_b64 v[28:29], 1, v[46:47]
	v_cvt_f16_f32_e32 v108, v108
	v_add_co_u32 v28, vcc_lo, v107, v28
	v_add_co_ci_u32_e64 v29, null, v116, v29, vcc_lo
	global_store_short v[28:29], v108, off
.LBB273_98:
	s_or_b32 exec_lo, exec_lo, s8
	v_add_nc_u32_e32 v109, 32, v83
	v_mad_i64_i32 v[28:29], null, v109, s14, 0
	v_mad_i64_i32 v[107:108], null, v109, s9, 0
	v_cmp_gt_i32_e64 s8, s13, v109
	v_lshlrev_b64 v[28:29], 1, v[28:29]
	s_and_b32 s15, s0, s8
	v_lshlrev_b64 v[109:110], 1, v[107:108]
	v_add_co_u32 v107, vcc_lo, s16, v28
	v_add_co_ci_u32_e64 v108, null, s17, v29, vcc_lo
	v_add_co_u32 v28, vcc_lo, s10, v109
	v_add_co_ci_u32_e64 v29, null, s11, v110, vcc_lo
	s_and_saveexec_b32 s12, s15
	s_cbranch_execnz .LBB273_106
; %bb.99:
	s_or_b32 exec_lo, exec_lo, s12
	s_and_b32 s15, s1, s8
	s_and_saveexec_b32 s12, s15
	s_cbranch_execnz .LBB273_110
.LBB273_100:
	s_or_b32 exec_lo, exec_lo, s12
	s_and_b32 s15, s2, s8
	s_and_saveexec_b32 s12, s15
	s_cbranch_execnz .LBB273_114
.LBB273_101:
	s_or_b32 exec_lo, exec_lo, s12
	s_and_b32 s15, s3, s8
	s_and_saveexec_b32 s12, s15
	s_cbranch_execnz .LBB273_118
.LBB273_102:
	s_or_b32 exec_lo, exec_lo, s12
	s_and_b32 s15, s4, s8
	s_and_saveexec_b32 s12, s15
	s_cbranch_execnz .LBB273_122
.LBB273_103:
	s_or_b32 exec_lo, exec_lo, s12
	s_and_b32 s15, s5, s8
	s_and_saveexec_b32 s12, s15
	s_cbranch_execnz .LBB273_126
.LBB273_104:
	s_or_b32 exec_lo, exec_lo, s12
	s_and_b32 s15, s6, s8
	s_and_saveexec_b32 s12, s15
	s_cbranch_execnz .LBB273_130
.LBB273_105:
	s_or_b32 exec_lo, exec_lo, s12
	s_and_b32 s12, s7, s8
	s_and_saveexec_b32 s8, s12
	s_cbranch_execnz .LBB273_134
	s_branch .LBB273_138
.LBB273_106:
	v_cmp_ne_u32_e32 vcc_lo, 1, v75
	s_cbranch_vccnz .LBB273_108
; %bb.107:
	v_lshlrev_b64 v[109:110], 1, v[32:33]
	v_add_co_u32 v109, vcc_lo, v107, v109
	v_add_co_ci_u32_e64 v110, null, v108, v110, vcc_lo
	global_load_ushort v109, v[109:110], off
	s_waitcnt vmcnt(0)
	v_mul_f16_e32 v109, v48, v109
	v_cvt_f32_f16_e32 v109, v109
	s_branch .LBB273_109
.LBB273_108:
	v_mov_b32_e32 v109, 0
.LBB273_109:
	v_pk_add_f16 v110, v16, v30
	v_pk_add_f16 v111, v17, v31
	v_max_f16_e32 v112, v106, v106
	v_lshrrev_b32_e32 v106, 16, v106
	v_max_f32_e32 v109, v109, v109
	v_lshrrev_b32_e32 v113, 16, v110
	v_lshrrev_b32_e32 v114, 16, v111
	v_min_f16_e32 v110, v112, v110
	v_min3_f16 v106, v106, v113, v114
	v_min3_f16 v106, v110, v111, v106
	v_cvt_f32_f16_e32 v106, v106
	v_min_f32_e32 v106, v109, v106
	v_lshlrev_b64 v[109:110], 1, v[32:33]
	v_cvt_f16_f32_e32 v106, v106
	v_add_co_u32 v109, vcc_lo, v28, v109
	v_add_co_ci_u32_e64 v110, null, v29, v110, vcc_lo
	global_store_short v[109:110], v106, off
	s_or_b32 exec_lo, exec_lo, s12
	s_and_b32 s15, s1, s8
	s_and_saveexec_b32 s12, s15
	s_cbranch_execz .LBB273_100
.LBB273_110:
	v_cmp_ne_u32_e32 vcc_lo, 1, v75
	s_cbranch_vccnz .LBB273_112
; %bb.111:
	v_lshlrev_b64 v[109:110], 1, v[34:35]
	v_add_co_u32 v109, vcc_lo, v107, v109
	v_add_co_ci_u32_e64 v110, null, v108, v110, vcc_lo
	global_load_ushort v106, v[109:110], off
	s_waitcnt vmcnt(0)
	v_mul_f16_e32 v106, v48, v106
	v_cvt_f32_f16_e32 v106, v106
	s_branch .LBB273_113
.LBB273_112:
	v_mov_b32_e32 v106, 0
.LBB273_113:
	v_pk_add_f16 v109, v18, v30
	v_pk_add_f16 v110, v19, v31
	v_max_f16_e32 v111, v105, v105
	v_lshrrev_b32_e32 v105, 16, v105
	v_max_f32_e32 v106, v106, v106
	v_lshrrev_b32_e32 v112, 16, v109
	v_lshrrev_b32_e32 v113, 16, v110
	v_min_f16_e32 v109, v111, v109
	v_min3_f16 v105, v105, v112, v113
	v_min3_f16 v105, v109, v110, v105
	v_cvt_f32_f16_e32 v105, v105
	v_min_f32_e32 v109, v106, v105
	v_lshlrev_b64 v[105:106], 1, v[34:35]
	v_cvt_f16_f32_e32 v109, v109
	v_add_co_u32 v105, vcc_lo, v28, v105
	v_add_co_ci_u32_e64 v106, null, v29, v106, vcc_lo
	global_store_short v[105:106], v109, off
	s_or_b32 exec_lo, exec_lo, s12
	s_and_b32 s15, s2, s8
	s_and_saveexec_b32 s12, s15
	s_cbranch_execz .LBB273_101
.LBB273_114:
	v_cmp_ne_u32_e32 vcc_lo, 1, v75
	s_cbranch_vccnz .LBB273_116
; %bb.115:
	v_lshlrev_b64 v[105:106], 1, v[36:37]
	v_add_co_u32 v105, vcc_lo, v107, v105
	v_add_co_ci_u32_e64 v106, null, v108, v106, vcc_lo
	global_load_ushort v105, v[105:106], off
	s_waitcnt vmcnt(0)
	v_mul_f16_e32 v105, v48, v105
	v_cvt_f32_f16_e32 v105, v105
	s_branch .LBB273_117
.LBB273_116:
	v_mov_b32_e32 v105, 0
.LBB273_117:
	v_pk_add_f16 v106, v12, v30
	v_pk_add_f16 v109, v13, v31
	v_max_f16_e32 v110, v104, v104
	v_lshrrev_b32_e32 v104, 16, v104
	v_max_f32_e32 v105, v105, v105
	v_lshrrev_b32_e32 v111, 16, v106
	v_lshrrev_b32_e32 v112, 16, v109
	v_min_f16_e32 v106, v110, v106
	v_min3_f16 v104, v104, v111, v112
	v_min3_f16 v104, v106, v109, v104
	v_cvt_f32_f16_e32 v104, v104
	v_min_f32_e32 v106, v105, v104
	v_lshlrev_b64 v[104:105], 1, v[36:37]
	v_cvt_f16_f32_e32 v106, v106
	v_add_co_u32 v104, vcc_lo, v28, v104
	v_add_co_ci_u32_e64 v105, null, v29, v105, vcc_lo
	global_store_short v[104:105], v106, off
	s_or_b32 exec_lo, exec_lo, s12
	s_and_b32 s15, s3, s8
	s_and_saveexec_b32 s12, s15
	s_cbranch_execz .LBB273_102
.LBB273_118:
	v_cmp_ne_u32_e32 vcc_lo, 1, v75
	s_cbranch_vccnz .LBB273_120
; %bb.119:
	v_lshlrev_b64 v[104:105], 1, v[38:39]
	v_add_co_u32 v104, vcc_lo, v107, v104
	v_add_co_ci_u32_e64 v105, null, v108, v105, vcc_lo
	global_load_ushort v104, v[104:105], off
	s_waitcnt vmcnt(0)
	v_mul_f16_e32 v104, v48, v104
	v_cvt_f32_f16_e32 v104, v104
	s_branch .LBB273_121
.LBB273_120:
	v_mov_b32_e32 v104, 0
.LBB273_121:
	v_pk_add_f16 v105, v14, v30
	v_pk_add_f16 v106, v15, v31
	v_max_f16_e32 v109, v103, v103
	v_lshrrev_b32_e32 v103, 16, v103
	v_max_f32_e32 v104, v104, v104
	v_lshrrev_b32_e32 v110, 16, v105
	v_lshrrev_b32_e32 v111, 16, v106
	v_min_f16_e32 v105, v109, v105
	v_min3_f16 v103, v103, v110, v111
	v_min3_f16 v103, v105, v106, v103
	v_cvt_f32_f16_e32 v103, v103
	v_min_f32_e32 v105, v104, v103
	v_lshlrev_b64 v[103:104], 1, v[38:39]
	v_cvt_f16_f32_e32 v105, v105
	v_add_co_u32 v103, vcc_lo, v28, v103
	v_add_co_ci_u32_e64 v104, null, v29, v104, vcc_lo
	global_store_short v[103:104], v105, off
	s_or_b32 exec_lo, exec_lo, s12
	s_and_b32 s15, s4, s8
	s_and_saveexec_b32 s12, s15
	s_cbranch_execz .LBB273_103
.LBB273_122:
	v_cmp_ne_u32_e32 vcc_lo, 1, v75
	s_cbranch_vccnz .LBB273_124
; %bb.123:
	v_lshlrev_b64 v[103:104], 1, v[40:41]
	v_add_co_u32 v103, vcc_lo, v107, v103
	v_add_co_ci_u32_e64 v104, null, v108, v104, vcc_lo
	global_load_ushort v103, v[103:104], off
	s_waitcnt vmcnt(0)
	v_mul_f16_e32 v103, v48, v103
	v_cvt_f32_f16_e32 v103, v103
	s_branch .LBB273_125
.LBB273_124:
	v_mov_b32_e32 v103, 0
.LBB273_125:
	v_pk_add_f16 v104, v8, v30
	v_pk_add_f16 v105, v9, v31
	v_max_f16_e32 v106, v102, v102
	v_lshrrev_b32_e32 v102, 16, v102
	v_max_f32_e32 v103, v103, v103
	v_lshrrev_b32_e32 v109, 16, v104
	v_lshrrev_b32_e32 v110, 16, v105
	v_min_f16_e32 v104, v106, v104
	v_min3_f16 v102, v102, v109, v110
	v_min3_f16 v102, v104, v105, v102
	v_cvt_f32_f16_e32 v102, v102
	v_min_f32_e32 v104, v103, v102
	v_lshlrev_b64 v[102:103], 1, v[40:41]
	v_cvt_f16_f32_e32 v104, v104
	v_add_co_u32 v102, vcc_lo, v28, v102
	v_add_co_ci_u32_e64 v103, null, v29, v103, vcc_lo
	global_store_short v[102:103], v104, off
	s_or_b32 exec_lo, exec_lo, s12
	s_and_b32 s15, s5, s8
	s_and_saveexec_b32 s12, s15
	s_cbranch_execz .LBB273_104
.LBB273_126:
	v_cmp_ne_u32_e32 vcc_lo, 1, v75
	s_cbranch_vccnz .LBB273_128
; %bb.127:
	v_lshlrev_b64 v[102:103], 1, v[42:43]
	v_add_co_u32 v102, vcc_lo, v107, v102
	v_add_co_ci_u32_e64 v103, null, v108, v103, vcc_lo
	global_load_ushort v102, v[102:103], off
	s_waitcnt vmcnt(0)
	v_mul_f16_e32 v102, v48, v102
	v_cvt_f32_f16_e32 v102, v102
	s_branch .LBB273_129
.LBB273_128:
	v_mov_b32_e32 v102, 0
.LBB273_129:
	v_pk_add_f16 v103, v10, v30
	v_pk_add_f16 v104, v11, v31
	v_max_f16_e32 v105, v101, v101
	v_lshrrev_b32_e32 v101, 16, v101
	v_max_f32_e32 v102, v102, v102
	v_lshrrev_b32_e32 v106, 16, v103
	v_lshrrev_b32_e32 v109, 16, v104
	v_min_f16_e32 v103, v105, v103
	v_min3_f16 v101, v101, v106, v109
	v_min3_f16 v101, v103, v104, v101
	v_cvt_f32_f16_e32 v101, v101
	v_min_f32_e32 v103, v102, v101
	v_lshlrev_b64 v[101:102], 1, v[42:43]
	v_cvt_f16_f32_e32 v103, v103
	v_add_co_u32 v101, vcc_lo, v28, v101
	v_add_co_ci_u32_e64 v102, null, v29, v102, vcc_lo
	global_store_short v[101:102], v103, off
	s_or_b32 exec_lo, exec_lo, s12
	s_and_b32 s15, s6, s8
	s_and_saveexec_b32 s12, s15
	s_cbranch_execz .LBB273_105
.LBB273_130:
	v_cmp_ne_u32_e32 vcc_lo, 1, v75
	s_cbranch_vccnz .LBB273_132
; %bb.131:
	v_lshlrev_b64 v[101:102], 1, v[44:45]
	v_add_co_u32 v101, vcc_lo, v107, v101
	v_add_co_ci_u32_e64 v102, null, v108, v102, vcc_lo
	global_load_ushort v101, v[101:102], off
	s_waitcnt vmcnt(0)
	v_mul_f16_e32 v101, v48, v101
	v_cvt_f32_f16_e32 v101, v101
	s_branch .LBB273_133
.LBB273_132:
	v_mov_b32_e32 v101, 0
.LBB273_133:
	v_pk_add_f16 v102, v0, v30
	v_pk_add_f16 v103, v1, v31
	v_max_f16_e32 v104, v100, v100
	v_lshrrev_b32_e32 v100, 16, v100
	v_max_f32_e32 v101, v101, v101
	v_lshrrev_b32_e32 v105, 16, v102
	v_lshrrev_b32_e32 v106, 16, v103
	v_min_f16_e32 v102, v104, v102
	v_min3_f16 v100, v100, v105, v106
	v_min3_f16 v100, v102, v103, v100
	v_cvt_f32_f16_e32 v100, v100
	v_min_f32_e32 v102, v101, v100
	v_lshlrev_b64 v[100:101], 1, v[44:45]
	v_cvt_f16_f32_e32 v102, v102
	v_add_co_u32 v100, vcc_lo, v28, v100
	v_add_co_ci_u32_e64 v101, null, v29, v101, vcc_lo
	global_store_short v[100:101], v102, off
	s_or_b32 exec_lo, exec_lo, s12
	s_and_b32 s12, s7, s8
	s_and_saveexec_b32 s8, s12
	s_cbranch_execz .LBB273_138
.LBB273_134:
	v_cmp_ne_u32_e32 vcc_lo, 1, v75
	s_cbranch_vccnz .LBB273_136
; %bb.135:
	v_lshlrev_b64 v[100:101], 1, v[46:47]
	v_add_co_u32 v100, vcc_lo, v107, v100
	v_add_co_ci_u32_e64 v101, null, v108, v101, vcc_lo
	global_load_ushort v100, v[100:101], off
	s_waitcnt vmcnt(0)
	v_mul_f16_e32 v100, v48, v100
	v_cvt_f32_f16_e32 v100, v100
	s_branch .LBB273_137
.LBB273_136:
	v_mov_b32_e32 v100, 0
.LBB273_137:
	v_pk_add_f16 v30, v2, v30
	v_pk_add_f16 v31, v3, v31
	v_max_f16_e32 v101, v99, v99
	v_lshrrev_b32_e32 v99, 16, v99
	v_lshrrev_b32_e32 v102, 16, v30
	;; [unrolled: 1-line block ×3, first 2 shown]
	v_min_f16_e32 v30, v101, v30
	v_min3_f16 v99, v99, v102, v103
	v_min3_f16 v30, v30, v31, v99
	v_max_f32_e32 v31, v100, v100
	v_cvt_f32_f16_e32 v30, v30
	v_min_f32_e32 v99, v31, v30
	v_lshlrev_b64 v[30:31], 1, v[46:47]
	v_cvt_f16_f32_e32 v99, v99
	v_add_co_u32 v28, vcc_lo, v28, v30
	v_add_co_ci_u32_e64 v29, null, v29, v31, vcc_lo
	global_store_short v[28:29], v99, off
.LBB273_138:
	s_or_b32 exec_lo, exec_lo, s8
	v_add_nc_u32_e32 v99, 64, v83
	v_mad_i64_i32 v[28:29], null, v99, s14, 0
	v_mad_i64_i32 v[30:31], null, v99, s9, 0
	v_cmp_gt_i32_e64 s8, s13, v99
	v_lshlrev_b64 v[28:29], 1, v[28:29]
	s_and_b32 s15, s0, s8
	v_lshlrev_b64 v[99:100], 1, v[30:31]
	v_add_co_u32 v30, vcc_lo, s16, v28
	v_add_co_ci_u32_e64 v31, null, s17, v29, vcc_lo
	v_add_co_u32 v28, vcc_lo, s10, v99
	v_add_co_ci_u32_e64 v29, null, s11, v100, vcc_lo
	s_and_saveexec_b32 s12, s15
	s_cbranch_execnz .LBB273_146
; %bb.139:
	s_or_b32 exec_lo, exec_lo, s12
	s_and_b32 s15, s1, s8
	s_and_saveexec_b32 s12, s15
	s_cbranch_execnz .LBB273_150
.LBB273_140:
	s_or_b32 exec_lo, exec_lo, s12
	s_and_b32 s15, s2, s8
	s_and_saveexec_b32 s12, s15
	s_cbranch_execnz .LBB273_154
.LBB273_141:
	s_or_b32 exec_lo, exec_lo, s12
	s_and_b32 s15, s3, s8
	s_and_saveexec_b32 s12, s15
	s_cbranch_execnz .LBB273_158
.LBB273_142:
	s_or_b32 exec_lo, exec_lo, s12
	s_and_b32 s15, s4, s8
	s_and_saveexec_b32 s12, s15
	s_cbranch_execnz .LBB273_162
.LBB273_143:
	s_or_b32 exec_lo, exec_lo, s12
	s_and_b32 s15, s5, s8
	s_and_saveexec_b32 s12, s15
	s_cbranch_execnz .LBB273_166
.LBB273_144:
	s_or_b32 exec_lo, exec_lo, s12
	s_and_b32 s15, s6, s8
	s_and_saveexec_b32 s12, s15
	s_cbranch_execnz .LBB273_170
.LBB273_145:
	s_or_b32 exec_lo, exec_lo, s12
	s_and_b32 s12, s7, s8
	s_and_saveexec_b32 s8, s12
	s_cbranch_execnz .LBB273_174
	s_branch .LBB273_178
.LBB273_146:
	v_cmp_ne_u32_e32 vcc_lo, 1, v75
	s_cbranch_vccnz .LBB273_148
; %bb.147:
	v_lshlrev_b64 v[99:100], 1, v[32:33]
	v_add_co_u32 v99, vcc_lo, v30, v99
	v_add_co_ci_u32_e64 v100, null, v31, v100, vcc_lo
	global_load_ushort v99, v[99:100], off
	s_waitcnt vmcnt(0)
	v_mul_f16_e32 v99, v48, v99
	v_cvt_f32_f16_e32 v99, v99
	s_branch .LBB273_149
.LBB273_148:
	v_mov_b32_e32 v99, 0
.LBB273_149:
	v_pk_add_f16 v100, v16, v24
	v_pk_add_f16 v101, v17, v25
	v_max_f16_e32 v102, v98, v98
	v_lshrrev_b32_e32 v98, 16, v98
	v_max_f32_e32 v99, v99, v99
	v_lshrrev_b32_e32 v103, 16, v100
	v_lshrrev_b32_e32 v104, 16, v101
	v_min_f16_e32 v100, v102, v100
	v_min3_f16 v98, v98, v103, v104
	v_min3_f16 v98, v100, v101, v98
	v_cvt_f32_f16_e32 v98, v98
	v_min_f32_e32 v100, v99, v98
	v_lshlrev_b64 v[98:99], 1, v[32:33]
	v_cvt_f16_f32_e32 v100, v100
	v_add_co_u32 v98, vcc_lo, v28, v98
	v_add_co_ci_u32_e64 v99, null, v29, v99, vcc_lo
	global_store_short v[98:99], v100, off
	s_or_b32 exec_lo, exec_lo, s12
	s_and_b32 s15, s1, s8
	s_and_saveexec_b32 s12, s15
	s_cbranch_execz .LBB273_140
.LBB273_150:
	v_cmp_ne_u32_e32 vcc_lo, 1, v75
	s_cbranch_vccnz .LBB273_152
; %bb.151:
	v_lshlrev_b64 v[98:99], 1, v[34:35]
	v_add_co_u32 v98, vcc_lo, v30, v98
	v_add_co_ci_u32_e64 v99, null, v31, v99, vcc_lo
	global_load_ushort v98, v[98:99], off
	s_waitcnt vmcnt(0)
	v_mul_f16_e32 v98, v48, v98
	v_cvt_f32_f16_e32 v98, v98
	s_branch .LBB273_153
.LBB273_152:
	v_mov_b32_e32 v98, 0
.LBB273_153:
	v_pk_add_f16 v99, v18, v24
	v_pk_add_f16 v100, v19, v25
	v_max_f16_e32 v101, v97, v97
	v_lshrrev_b32_e32 v97, 16, v97
	v_max_f32_e32 v98, v98, v98
	v_lshrrev_b32_e32 v102, 16, v99
	v_lshrrev_b32_e32 v103, 16, v100
	v_min_f16_e32 v99, v101, v99
	v_min3_f16 v97, v97, v102, v103
	v_min3_f16 v97, v99, v100, v97
	v_cvt_f32_f16_e32 v97, v97
	v_min_f32_e32 v99, v98, v97
	v_lshlrev_b64 v[97:98], 1, v[34:35]
	v_cvt_f16_f32_e32 v99, v99
	v_add_co_u32 v97, vcc_lo, v28, v97
	v_add_co_ci_u32_e64 v98, null, v29, v98, vcc_lo
	global_store_short v[97:98], v99, off
	s_or_b32 exec_lo, exec_lo, s12
	s_and_b32 s15, s2, s8
	s_and_saveexec_b32 s12, s15
	s_cbranch_execz .LBB273_141
.LBB273_154:
	v_cmp_ne_u32_e32 vcc_lo, 1, v75
	s_cbranch_vccnz .LBB273_156
; %bb.155:
	v_lshlrev_b64 v[97:98], 1, v[36:37]
	v_add_co_u32 v97, vcc_lo, v30, v97
	v_add_co_ci_u32_e64 v98, null, v31, v98, vcc_lo
	global_load_ushort v97, v[97:98], off
	s_waitcnt vmcnt(0)
	v_mul_f16_e32 v97, v48, v97
	v_cvt_f32_f16_e32 v97, v97
	s_branch .LBB273_157
.LBB273_156:
	v_mov_b32_e32 v97, 0
.LBB273_157:
	v_pk_add_f16 v98, v12, v24
	v_pk_add_f16 v99, v13, v25
	v_max_f16_e32 v100, v96, v96
	v_lshrrev_b32_e32 v96, 16, v96
	v_max_f32_e32 v97, v97, v97
	v_lshrrev_b32_e32 v101, 16, v98
	v_lshrrev_b32_e32 v102, 16, v99
	v_min_f16_e32 v98, v100, v98
	v_min3_f16 v96, v96, v101, v102
	v_min3_f16 v96, v98, v99, v96
	v_cvt_f32_f16_e32 v96, v96
	v_min_f32_e32 v98, v97, v96
	v_lshlrev_b64 v[96:97], 1, v[36:37]
	v_cvt_f16_f32_e32 v98, v98
	v_add_co_u32 v96, vcc_lo, v28, v96
	v_add_co_ci_u32_e64 v97, null, v29, v97, vcc_lo
	global_store_short v[96:97], v98, off
	s_or_b32 exec_lo, exec_lo, s12
	s_and_b32 s15, s3, s8
	s_and_saveexec_b32 s12, s15
	s_cbranch_execz .LBB273_142
.LBB273_158:
	v_cmp_ne_u32_e32 vcc_lo, 1, v75
	s_cbranch_vccnz .LBB273_160
; %bb.159:
	v_lshlrev_b64 v[96:97], 1, v[38:39]
	v_add_co_u32 v96, vcc_lo, v30, v96
	v_add_co_ci_u32_e64 v97, null, v31, v97, vcc_lo
	global_load_ushort v96, v[96:97], off
	s_waitcnt vmcnt(0)
	v_mul_f16_e32 v96, v48, v96
	v_cvt_f32_f16_e32 v96, v96
	s_branch .LBB273_161
.LBB273_160:
	v_mov_b32_e32 v96, 0
.LBB273_161:
	v_pk_add_f16 v97, v14, v24
	v_pk_add_f16 v98, v15, v25
	v_max_f16_e32 v99, v95, v95
	v_lshrrev_b32_e32 v95, 16, v95
	v_max_f32_e32 v96, v96, v96
	v_lshrrev_b32_e32 v100, 16, v97
	v_lshrrev_b32_e32 v101, 16, v98
	v_min_f16_e32 v97, v99, v97
	v_min3_f16 v95, v95, v100, v101
	v_min3_f16 v95, v97, v98, v95
	v_cvt_f32_f16_e32 v95, v95
	v_min_f32_e32 v97, v96, v95
	v_lshlrev_b64 v[95:96], 1, v[38:39]
	v_cvt_f16_f32_e32 v97, v97
	v_add_co_u32 v95, vcc_lo, v28, v95
	v_add_co_ci_u32_e64 v96, null, v29, v96, vcc_lo
	global_store_short v[95:96], v97, off
	s_or_b32 exec_lo, exec_lo, s12
	s_and_b32 s15, s4, s8
	s_and_saveexec_b32 s12, s15
	s_cbranch_execz .LBB273_143
.LBB273_162:
	v_cmp_ne_u32_e32 vcc_lo, 1, v75
	s_cbranch_vccnz .LBB273_164
; %bb.163:
	v_lshlrev_b64 v[95:96], 1, v[40:41]
	v_add_co_u32 v95, vcc_lo, v30, v95
	v_add_co_ci_u32_e64 v96, null, v31, v96, vcc_lo
	global_load_ushort v95, v[95:96], off
	s_waitcnt vmcnt(0)
	v_mul_f16_e32 v95, v48, v95
	v_cvt_f32_f16_e32 v95, v95
	s_branch .LBB273_165
.LBB273_164:
	v_mov_b32_e32 v95, 0
.LBB273_165:
	v_pk_add_f16 v96, v8, v24
	v_pk_add_f16 v97, v9, v25
	v_max_f16_e32 v98, v94, v94
	v_lshrrev_b32_e32 v94, 16, v94
	v_max_f32_e32 v95, v95, v95
	v_lshrrev_b32_e32 v99, 16, v96
	v_lshrrev_b32_e32 v100, 16, v97
	v_min_f16_e32 v96, v98, v96
	v_min3_f16 v94, v94, v99, v100
	v_min3_f16 v94, v96, v97, v94
	v_cvt_f32_f16_e32 v94, v94
	v_min_f32_e32 v96, v95, v94
	v_lshlrev_b64 v[94:95], 1, v[40:41]
	v_cvt_f16_f32_e32 v96, v96
	v_add_co_u32 v94, vcc_lo, v28, v94
	v_add_co_ci_u32_e64 v95, null, v29, v95, vcc_lo
	global_store_short v[94:95], v96, off
	s_or_b32 exec_lo, exec_lo, s12
	s_and_b32 s15, s5, s8
	s_and_saveexec_b32 s12, s15
	s_cbranch_execz .LBB273_144
.LBB273_166:
	v_cmp_ne_u32_e32 vcc_lo, 1, v75
	s_cbranch_vccnz .LBB273_168
; %bb.167:
	v_lshlrev_b64 v[94:95], 1, v[42:43]
	v_add_co_u32 v94, vcc_lo, v30, v94
	v_add_co_ci_u32_e64 v95, null, v31, v95, vcc_lo
	global_load_ushort v94, v[94:95], off
	s_waitcnt vmcnt(0)
	v_mul_f16_e32 v94, v48, v94
	v_cvt_f32_f16_e32 v94, v94
	s_branch .LBB273_169
.LBB273_168:
	v_mov_b32_e32 v94, 0
.LBB273_169:
	v_pk_add_f16 v95, v10, v24
	v_pk_add_f16 v96, v11, v25
	v_max_f16_e32 v97, v93, v93
	v_lshrrev_b32_e32 v93, 16, v93
	v_max_f32_e32 v94, v94, v94
	v_lshrrev_b32_e32 v98, 16, v95
	v_lshrrev_b32_e32 v99, 16, v96
	v_min_f16_e32 v95, v97, v95
	v_min3_f16 v93, v93, v98, v99
	v_min3_f16 v93, v95, v96, v93
	v_cvt_f32_f16_e32 v93, v93
	v_min_f32_e32 v95, v94, v93
	v_lshlrev_b64 v[93:94], 1, v[42:43]
	v_cvt_f16_f32_e32 v95, v95
	v_add_co_u32 v93, vcc_lo, v28, v93
	v_add_co_ci_u32_e64 v94, null, v29, v94, vcc_lo
	global_store_short v[93:94], v95, off
	s_or_b32 exec_lo, exec_lo, s12
	s_and_b32 s15, s6, s8
	s_and_saveexec_b32 s12, s15
	s_cbranch_execz .LBB273_145
.LBB273_170:
	v_cmp_ne_u32_e32 vcc_lo, 1, v75
	s_cbranch_vccnz .LBB273_172
; %bb.171:
	v_lshlrev_b64 v[93:94], 1, v[44:45]
	v_add_co_u32 v93, vcc_lo, v30, v93
	v_add_co_ci_u32_e64 v94, null, v31, v94, vcc_lo
	global_load_ushort v93, v[93:94], off
	s_waitcnt vmcnt(0)
	v_mul_f16_e32 v93, v48, v93
	v_cvt_f32_f16_e32 v93, v93
	s_branch .LBB273_173
.LBB273_172:
	v_mov_b32_e32 v93, 0
.LBB273_173:
	v_pk_add_f16 v94, v0, v24
	v_pk_add_f16 v95, v1, v25
	v_max_f16_e32 v96, v92, v92
	v_lshrrev_b32_e32 v92, 16, v92
	v_max_f32_e32 v93, v93, v93
	v_lshrrev_b32_e32 v97, 16, v94
	v_lshrrev_b32_e32 v98, 16, v95
	v_min_f16_e32 v94, v96, v94
	v_min3_f16 v92, v92, v97, v98
	v_min3_f16 v92, v94, v95, v92
	v_cvt_f32_f16_e32 v92, v92
	v_min_f32_e32 v94, v93, v92
	v_lshlrev_b64 v[92:93], 1, v[44:45]
	v_cvt_f16_f32_e32 v94, v94
	v_add_co_u32 v92, vcc_lo, v28, v92
	v_add_co_ci_u32_e64 v93, null, v29, v93, vcc_lo
	global_store_short v[92:93], v94, off
	s_or_b32 exec_lo, exec_lo, s12
	s_and_b32 s12, s7, s8
	s_and_saveexec_b32 s8, s12
	s_cbranch_execz .LBB273_178
.LBB273_174:
	v_cmp_ne_u32_e32 vcc_lo, 1, v75
	s_cbranch_vccnz .LBB273_176
; %bb.175:
	v_lshlrev_b64 v[92:93], 1, v[46:47]
	v_add_co_u32 v30, vcc_lo, v30, v92
	v_add_co_ci_u32_e64 v31, null, v31, v93, vcc_lo
	global_load_ushort v30, v[30:31], off
	s_waitcnt vmcnt(0)
	v_mul_f16_e32 v30, v48, v30
	v_cvt_f32_f16_e32 v30, v30
	s_branch .LBB273_177
.LBB273_176:
	v_mov_b32_e32 v30, 0
.LBB273_177:
	v_pk_add_f16 v24, v2, v24
	v_pk_add_f16 v25, v3, v25
	v_max_f16_e32 v31, v91, v91
	v_lshrrev_b32_e32 v91, 16, v91
	v_lshrrev_b32_e32 v92, 16, v24
	;; [unrolled: 1-line block ×3, first 2 shown]
	v_min_f16_e32 v24, v31, v24
	v_min3_f16 v31, v91, v92, v93
	v_min3_f16 v24, v24, v25, v31
	v_max_f32_e32 v25, v30, v30
	v_cvt_f32_f16_e32 v24, v24
	v_min_f32_e32 v30, v25, v24
	v_lshlrev_b64 v[24:25], 1, v[46:47]
	v_cvt_f16_f32_e32 v30, v30
	v_add_co_u32 v24, vcc_lo, v28, v24
	v_add_co_ci_u32_e64 v25, null, v29, v25, vcc_lo
	global_store_short v[24:25], v30, off
.LBB273_178:
	s_or_b32 exec_lo, exec_lo, s8
	v_add_nc_u32_e32 v30, 0x60, v83
	v_mad_i64_i32 v[24:25], null, v30, s14, 0
	v_mad_i64_i32 v[28:29], null, v30, s9, 0
	v_cmp_gt_i32_e64 s8, s13, v30
	v_lshlrev_b64 v[24:25], 1, v[24:25]
	s_and_b32 s15, s0, s8
	v_lshlrev_b64 v[30:31], 1, v[28:29]
	v_add_co_u32 v28, vcc_lo, s16, v24
	v_add_co_ci_u32_e64 v29, null, s17, v25, vcc_lo
	v_add_co_u32 v24, vcc_lo, s10, v30
	v_add_co_ci_u32_e64 v25, null, s11, v31, vcc_lo
	s_and_saveexec_b32 s12, s15
	s_cbranch_execnz .LBB273_186
; %bb.179:
	s_or_b32 exec_lo, exec_lo, s12
	s_and_b32 s15, s1, s8
	s_and_saveexec_b32 s12, s15
	s_cbranch_execnz .LBB273_190
.LBB273_180:
	s_or_b32 exec_lo, exec_lo, s12
	s_and_b32 s15, s2, s8
	s_and_saveexec_b32 s12, s15
	s_cbranch_execnz .LBB273_194
.LBB273_181:
	s_or_b32 exec_lo, exec_lo, s12
	s_and_b32 s15, s3, s8
	s_and_saveexec_b32 s12, s15
	s_cbranch_execnz .LBB273_198
.LBB273_182:
	s_or_b32 exec_lo, exec_lo, s12
	s_and_b32 s15, s4, s8
	s_and_saveexec_b32 s12, s15
	s_cbranch_execnz .LBB273_202
.LBB273_183:
	s_or_b32 exec_lo, exec_lo, s12
	s_and_b32 s15, s5, s8
	s_and_saveexec_b32 s12, s15
	s_cbranch_execnz .LBB273_206
.LBB273_184:
	s_or_b32 exec_lo, exec_lo, s12
	s_and_b32 s15, s6, s8
	s_and_saveexec_b32 s12, s15
	s_cbranch_execnz .LBB273_210
.LBB273_185:
	s_or_b32 exec_lo, exec_lo, s12
	s_and_b32 s12, s7, s8
	s_and_saveexec_b32 s8, s12
	s_cbranch_execnz .LBB273_214
	s_branch .LBB273_218
.LBB273_186:
	v_cmp_ne_u32_e32 vcc_lo, 1, v75
	s_cbranch_vccnz .LBB273_188
; %bb.187:
	v_lshlrev_b64 v[30:31], 1, v[32:33]
	v_add_co_u32 v30, vcc_lo, v28, v30
	v_add_co_ci_u32_e64 v31, null, v29, v31, vcc_lo
	global_load_ushort v30, v[30:31], off
	s_waitcnt vmcnt(0)
	v_mul_f16_e32 v30, v48, v30
	v_cvt_f32_f16_e32 v30, v30
	s_branch .LBB273_189
.LBB273_188:
	v_mov_b32_e32 v30, 0
.LBB273_189:
	v_pk_add_f16 v31, v16, v26
	v_pk_add_f16 v91, v17, v27
	v_max_f16_e32 v92, v90, v90
	v_lshrrev_b32_e32 v90, 16, v90
	v_max_f32_e32 v30, v30, v30
	v_lshrrev_b32_e32 v93, 16, v31
	v_lshrrev_b32_e32 v94, 16, v91
	v_min_f16_e32 v31, v92, v31
	v_min3_f16 v90, v90, v93, v94
	v_min3_f16 v31, v31, v91, v90
	v_cvt_f32_f16_e32 v31, v31
	v_min_f32_e32 v90, v30, v31
	v_lshlrev_b64 v[30:31], 1, v[32:33]
	v_cvt_f16_f32_e32 v90, v90
	v_add_co_u32 v30, vcc_lo, v24, v30
	v_add_co_ci_u32_e64 v31, null, v25, v31, vcc_lo
	global_store_short v[30:31], v90, off
	s_or_b32 exec_lo, exec_lo, s12
	s_and_b32 s15, s1, s8
	s_and_saveexec_b32 s12, s15
	s_cbranch_execz .LBB273_180
.LBB273_190:
	v_cmp_ne_u32_e32 vcc_lo, 1, v75
	s_cbranch_vccnz .LBB273_192
; %bb.191:
	v_lshlrev_b64 v[30:31], 1, v[34:35]
	v_add_co_u32 v30, vcc_lo, v28, v30
	v_add_co_ci_u32_e64 v31, null, v29, v31, vcc_lo
	global_load_ushort v30, v[30:31], off
	s_waitcnt vmcnt(0)
	v_mul_f16_e32 v30, v48, v30
	v_cvt_f32_f16_e32 v30, v30
	s_branch .LBB273_193
.LBB273_192:
	v_mov_b32_e32 v30, 0
.LBB273_193:
	v_pk_add_f16 v31, v18, v26
	v_pk_add_f16 v90, v19, v27
	v_max_f16_e32 v91, v89, v89
	v_lshrrev_b32_e32 v89, 16, v89
	v_max_f32_e32 v30, v30, v30
	v_lshrrev_b32_e32 v92, 16, v31
	v_lshrrev_b32_e32 v93, 16, v90
	v_min_f16_e32 v31, v91, v31
	v_min3_f16 v89, v89, v92, v93
	v_min3_f16 v31, v31, v90, v89
	v_cvt_f32_f16_e32 v31, v31
	v_min_f32_e32 v89, v30, v31
	v_lshlrev_b64 v[30:31], 1, v[34:35]
	v_cvt_f16_f32_e32 v89, v89
	v_add_co_u32 v30, vcc_lo, v24, v30
	v_add_co_ci_u32_e64 v31, null, v25, v31, vcc_lo
	global_store_short v[30:31], v89, off
	s_or_b32 exec_lo, exec_lo, s12
	s_and_b32 s15, s2, s8
	s_and_saveexec_b32 s12, s15
	s_cbranch_execz .LBB273_181
.LBB273_194:
	v_cmp_ne_u32_e32 vcc_lo, 1, v75
	s_cbranch_vccnz .LBB273_196
; %bb.195:
	v_lshlrev_b64 v[30:31], 1, v[36:37]
	v_add_co_u32 v30, vcc_lo, v28, v30
	v_add_co_ci_u32_e64 v31, null, v29, v31, vcc_lo
	global_load_ushort v30, v[30:31], off
	s_waitcnt vmcnt(0)
	v_mul_f16_e32 v30, v48, v30
	v_cvt_f32_f16_e32 v30, v30
	s_branch .LBB273_197
.LBB273_196:
	v_mov_b32_e32 v30, 0
.LBB273_197:
	v_pk_add_f16 v31, v12, v26
	v_pk_add_f16 v89, v13, v27
	v_max_f16_e32 v90, v88, v88
	v_lshrrev_b32_e32 v88, 16, v88
	v_max_f32_e32 v30, v30, v30
	v_lshrrev_b32_e32 v91, 16, v31
	v_lshrrev_b32_e32 v92, 16, v89
	v_min_f16_e32 v31, v90, v31
	v_min3_f16 v88, v88, v91, v92
	v_min3_f16 v31, v31, v89, v88
	v_cvt_f32_f16_e32 v31, v31
	v_min_f32_e32 v88, v30, v31
	v_lshlrev_b64 v[30:31], 1, v[36:37]
	v_cvt_f16_f32_e32 v88, v88
	v_add_co_u32 v30, vcc_lo, v24, v30
	v_add_co_ci_u32_e64 v31, null, v25, v31, vcc_lo
	global_store_short v[30:31], v88, off
	s_or_b32 exec_lo, exec_lo, s12
	s_and_b32 s15, s3, s8
	s_and_saveexec_b32 s12, s15
	s_cbranch_execz .LBB273_182
.LBB273_198:
	v_cmp_ne_u32_e32 vcc_lo, 1, v75
	s_cbranch_vccnz .LBB273_200
; %bb.199:
	v_lshlrev_b64 v[30:31], 1, v[38:39]
	v_add_co_u32 v30, vcc_lo, v28, v30
	v_add_co_ci_u32_e64 v31, null, v29, v31, vcc_lo
	global_load_ushort v30, v[30:31], off
	s_waitcnt vmcnt(0)
	v_mul_f16_e32 v30, v48, v30
	v_cvt_f32_f16_e32 v30, v30
	s_branch .LBB273_201
.LBB273_200:
	v_mov_b32_e32 v30, 0
.LBB273_201:
	v_pk_add_f16 v31, v14, v26
	v_pk_add_f16 v88, v15, v27
	v_max_f16_e32 v89, v87, v87
	v_lshrrev_b32_e32 v87, 16, v87
	v_max_f32_e32 v30, v30, v30
	v_lshrrev_b32_e32 v90, 16, v31
	v_lshrrev_b32_e32 v91, 16, v88
	v_min_f16_e32 v31, v89, v31
	v_min3_f16 v87, v87, v90, v91
	v_min3_f16 v31, v31, v88, v87
	v_cvt_f32_f16_e32 v31, v31
	v_min_f32_e32 v87, v30, v31
	v_lshlrev_b64 v[30:31], 1, v[38:39]
	v_cvt_f16_f32_e32 v87, v87
	v_add_co_u32 v30, vcc_lo, v24, v30
	v_add_co_ci_u32_e64 v31, null, v25, v31, vcc_lo
	global_store_short v[30:31], v87, off
	s_or_b32 exec_lo, exec_lo, s12
	s_and_b32 s15, s4, s8
	s_and_saveexec_b32 s12, s15
	s_cbranch_execz .LBB273_183
.LBB273_202:
	v_cmp_ne_u32_e32 vcc_lo, 1, v75
	s_cbranch_vccnz .LBB273_204
; %bb.203:
	v_lshlrev_b64 v[30:31], 1, v[40:41]
	v_add_co_u32 v30, vcc_lo, v28, v30
	v_add_co_ci_u32_e64 v31, null, v29, v31, vcc_lo
	global_load_ushort v30, v[30:31], off
	s_waitcnt vmcnt(0)
	v_mul_f16_e32 v30, v48, v30
	v_cvt_f32_f16_e32 v30, v30
	s_branch .LBB273_205
.LBB273_204:
	v_mov_b32_e32 v30, 0
.LBB273_205:
	v_pk_add_f16 v31, v8, v26
	v_pk_add_f16 v87, v9, v27
	v_max_f16_e32 v88, v86, v86
	v_lshrrev_b32_e32 v86, 16, v86
	v_max_f32_e32 v30, v30, v30
	v_lshrrev_b32_e32 v89, 16, v31
	v_lshrrev_b32_e32 v90, 16, v87
	v_min_f16_e32 v31, v88, v31
	v_min3_f16 v86, v86, v89, v90
	v_min3_f16 v31, v31, v87, v86
	v_cvt_f32_f16_e32 v31, v31
	v_min_f32_e32 v86, v30, v31
	v_lshlrev_b64 v[30:31], 1, v[40:41]
	v_cvt_f16_f32_e32 v86, v86
	v_add_co_u32 v30, vcc_lo, v24, v30
	v_add_co_ci_u32_e64 v31, null, v25, v31, vcc_lo
	global_store_short v[30:31], v86, off
	s_or_b32 exec_lo, exec_lo, s12
	s_and_b32 s15, s5, s8
	s_and_saveexec_b32 s12, s15
	s_cbranch_execz .LBB273_184
.LBB273_206:
	v_cmp_ne_u32_e32 vcc_lo, 1, v75
	s_cbranch_vccnz .LBB273_208
; %bb.207:
	v_lshlrev_b64 v[30:31], 1, v[42:43]
	v_add_co_u32 v30, vcc_lo, v28, v30
	v_add_co_ci_u32_e64 v31, null, v29, v31, vcc_lo
	global_load_ushort v30, v[30:31], off
	s_waitcnt vmcnt(0)
	v_mul_f16_e32 v30, v48, v30
	v_cvt_f32_f16_e32 v30, v30
	s_branch .LBB273_209
.LBB273_208:
	v_mov_b32_e32 v30, 0
.LBB273_209:
	v_pk_add_f16 v31, v10, v26
	v_pk_add_f16 v86, v11, v27
	v_max_f16_e32 v87, v85, v85
	v_lshrrev_b32_e32 v85, 16, v85
	v_max_f32_e32 v30, v30, v30
	v_lshrrev_b32_e32 v88, 16, v31
	v_lshrrev_b32_e32 v89, 16, v86
	v_min_f16_e32 v31, v87, v31
	v_min3_f16 v85, v85, v88, v89
	v_min3_f16 v31, v31, v86, v85
	v_cvt_f32_f16_e32 v31, v31
	v_min_f32_e32 v85, v30, v31
	v_lshlrev_b64 v[30:31], 1, v[42:43]
	v_cvt_f16_f32_e32 v85, v85
	v_add_co_u32 v30, vcc_lo, v24, v30
	v_add_co_ci_u32_e64 v31, null, v25, v31, vcc_lo
	global_store_short v[30:31], v85, off
	s_or_b32 exec_lo, exec_lo, s12
	s_and_b32 s15, s6, s8
	s_and_saveexec_b32 s12, s15
	s_cbranch_execz .LBB273_185
.LBB273_210:
	v_cmp_ne_u32_e32 vcc_lo, 1, v75
	s_cbranch_vccnz .LBB273_212
; %bb.211:
	v_lshlrev_b64 v[30:31], 1, v[44:45]
	v_add_co_u32 v30, vcc_lo, v28, v30
	v_add_co_ci_u32_e64 v31, null, v29, v31, vcc_lo
	global_load_ushort v30, v[30:31], off
	s_waitcnt vmcnt(0)
	v_mul_f16_e32 v30, v48, v30
	v_cvt_f32_f16_e32 v30, v30
	s_branch .LBB273_213
.LBB273_212:
	v_mov_b32_e32 v30, 0
.LBB273_213:
	v_pk_add_f16 v31, v0, v26
	v_pk_add_f16 v85, v1, v27
	v_max_f16_e32 v86, v84, v84
	v_lshrrev_b32_e32 v84, 16, v84
	v_max_f32_e32 v30, v30, v30
	v_lshrrev_b32_e32 v87, 16, v31
	v_lshrrev_b32_e32 v88, 16, v85
	v_min_f16_e32 v31, v86, v31
	v_min3_f16 v84, v84, v87, v88
	v_min3_f16 v31, v31, v85, v84
	v_cvt_f32_f16_e32 v31, v31
	v_min_f32_e32 v84, v30, v31
	v_lshlrev_b64 v[30:31], 1, v[44:45]
	v_cvt_f16_f32_e32 v84, v84
	v_add_co_u32 v30, vcc_lo, v24, v30
	v_add_co_ci_u32_e64 v31, null, v25, v31, vcc_lo
	global_store_short v[30:31], v84, off
	s_or_b32 exec_lo, exec_lo, s12
	s_and_b32 s12, s7, s8
	s_and_saveexec_b32 s8, s12
	s_cbranch_execz .LBB273_218
.LBB273_214:
	v_cmp_ne_u32_e32 vcc_lo, 1, v75
	s_cbranch_vccnz .LBB273_216
; %bb.215:
	v_lshlrev_b64 v[30:31], 1, v[46:47]
	v_add_co_u32 v28, vcc_lo, v28, v30
	v_add_co_ci_u32_e64 v29, null, v29, v31, vcc_lo
	global_load_ushort v28, v[28:29], off
	s_waitcnt vmcnt(0)
	v_mul_f16_e32 v28, v48, v28
	v_cvt_f32_f16_e32 v28, v28
	s_branch .LBB273_217
.LBB273_216:
	v_mov_b32_e32 v28, 0
.LBB273_217:
	v_pk_add_f16 v26, v2, v26
	v_pk_add_f16 v27, v3, v27
	v_max_f16_e32 v29, v82, v82
	v_lshrrev_b32_e32 v30, 16, v82
	v_lshrrev_b32_e32 v31, 16, v26
	v_lshrrev_b32_e32 v82, 16, v27
	v_min_f16_e32 v26, v29, v26
	v_min3_f16 v29, v30, v31, v82
	v_min3_f16 v26, v26, v27, v29
	v_max_f32_e32 v27, v28, v28
	v_cvt_f32_f16_e32 v26, v26
	v_min_f32_e32 v28, v27, v26
	v_lshlrev_b64 v[26:27], 1, v[46:47]
	v_cvt_f16_f32_e32 v28, v28
	v_add_co_u32 v24, vcc_lo, v24, v26
	v_add_co_ci_u32_e64 v25, null, v25, v27, vcc_lo
	global_store_short v[24:25], v28, off
.LBB273_218:
	s_or_b32 exec_lo, exec_lo, s8
	v_add_nc_u32_e32 v28, 0x80, v83
	v_mad_i64_i32 v[24:25], null, v28, s14, 0
	v_mad_i64_i32 v[26:27], null, v28, s9, 0
	v_cmp_gt_i32_e64 s8, s13, v28
	v_lshlrev_b64 v[24:25], 1, v[24:25]
	s_and_b32 s15, s0, s8
	v_lshlrev_b64 v[28:29], 1, v[26:27]
	v_add_co_u32 v26, vcc_lo, s16, v24
	v_add_co_ci_u32_e64 v27, null, s17, v25, vcc_lo
	v_add_co_u32 v24, vcc_lo, s10, v28
	v_add_co_ci_u32_e64 v25, null, s11, v29, vcc_lo
	s_and_saveexec_b32 s12, s15
	s_cbranch_execnz .LBB273_226
; %bb.219:
	s_or_b32 exec_lo, exec_lo, s12
	s_and_b32 s15, s1, s8
	s_and_saveexec_b32 s12, s15
	s_cbranch_execnz .LBB273_230
.LBB273_220:
	s_or_b32 exec_lo, exec_lo, s12
	s_and_b32 s15, s2, s8
	s_and_saveexec_b32 s12, s15
	s_cbranch_execnz .LBB273_234
.LBB273_221:
	s_or_b32 exec_lo, exec_lo, s12
	s_and_b32 s15, s3, s8
	s_and_saveexec_b32 s12, s15
	s_cbranch_execnz .LBB273_238
.LBB273_222:
	s_or_b32 exec_lo, exec_lo, s12
	s_and_b32 s15, s4, s8
	s_and_saveexec_b32 s12, s15
	s_cbranch_execnz .LBB273_242
.LBB273_223:
	s_or_b32 exec_lo, exec_lo, s12
	s_and_b32 s15, s5, s8
	s_and_saveexec_b32 s12, s15
	s_cbranch_execnz .LBB273_246
.LBB273_224:
	s_or_b32 exec_lo, exec_lo, s12
	s_and_b32 s15, s6, s8
	s_and_saveexec_b32 s12, s15
	s_cbranch_execnz .LBB273_250
.LBB273_225:
	s_or_b32 exec_lo, exec_lo, s12
	s_and_b32 s12, s7, s8
	s_and_saveexec_b32 s8, s12
	s_cbranch_execnz .LBB273_254
	s_branch .LBB273_258
.LBB273_226:
	v_cmp_ne_u32_e32 vcc_lo, 1, v75
	s_cbranch_vccnz .LBB273_228
; %bb.227:
	v_lshlrev_b64 v[28:29], 1, v[32:33]
	v_add_co_u32 v28, vcc_lo, v26, v28
	v_add_co_ci_u32_e64 v29, null, v27, v29, vcc_lo
	global_load_ushort v28, v[28:29], off
	s_waitcnt vmcnt(0)
	v_mul_f16_e32 v28, v48, v28
	v_cvt_f32_f16_e32 v28, v28
	s_branch .LBB273_229
.LBB273_228:
	v_mov_b32_e32 v28, 0
.LBB273_229:
	v_pk_add_f16 v29, v16, v20
	v_pk_add_f16 v30, v17, v21
	v_max_f16_e32 v31, v81, v81
	v_lshrrev_b32_e32 v81, 16, v81
	v_max_f32_e32 v28, v28, v28
	v_lshrrev_b32_e32 v82, 16, v29
	v_lshrrev_b32_e32 v84, 16, v30
	v_min_f16_e32 v29, v31, v29
	v_min3_f16 v31, v81, v82, v84
	v_min3_f16 v29, v29, v30, v31
	v_cvt_f32_f16_e32 v29, v29
	v_min_f32_e32 v30, v28, v29
	v_lshlrev_b64 v[28:29], 1, v[32:33]
	v_cvt_f16_f32_e32 v30, v30
	v_add_co_u32 v28, vcc_lo, v24, v28
	v_add_co_ci_u32_e64 v29, null, v25, v29, vcc_lo
	global_store_short v[28:29], v30, off
	s_or_b32 exec_lo, exec_lo, s12
	s_and_b32 s15, s1, s8
	s_and_saveexec_b32 s12, s15
	s_cbranch_execz .LBB273_220
.LBB273_230:
	v_cmp_ne_u32_e32 vcc_lo, 1, v75
	s_cbranch_vccnz .LBB273_232
; %bb.231:
	v_lshlrev_b64 v[28:29], 1, v[34:35]
	v_add_co_u32 v28, vcc_lo, v26, v28
	v_add_co_ci_u32_e64 v29, null, v27, v29, vcc_lo
	global_load_ushort v28, v[28:29], off
	s_waitcnt vmcnt(0)
	v_mul_f16_e32 v28, v48, v28
	v_cvt_f32_f16_e32 v28, v28
	s_branch .LBB273_233
.LBB273_232:
	v_mov_b32_e32 v28, 0
.LBB273_233:
	v_pk_add_f16 v29, v18, v20
	v_pk_add_f16 v30, v19, v21
	v_max_f16_e32 v31, v80, v80
	v_lshrrev_b32_e32 v80, 16, v80
	v_max_f32_e32 v28, v28, v28
	v_lshrrev_b32_e32 v81, 16, v29
	v_lshrrev_b32_e32 v82, 16, v30
	v_min_f16_e32 v29, v31, v29
	v_min3_f16 v31, v80, v81, v82
	v_min3_f16 v29, v29, v30, v31
	v_cvt_f32_f16_e32 v29, v29
	v_min_f32_e32 v30, v28, v29
	v_lshlrev_b64 v[28:29], 1, v[34:35]
	v_cvt_f16_f32_e32 v30, v30
	v_add_co_u32 v28, vcc_lo, v24, v28
	v_add_co_ci_u32_e64 v29, null, v25, v29, vcc_lo
	global_store_short v[28:29], v30, off
	s_or_b32 exec_lo, exec_lo, s12
	s_and_b32 s15, s2, s8
	s_and_saveexec_b32 s12, s15
	s_cbranch_execz .LBB273_221
.LBB273_234:
	v_cmp_ne_u32_e32 vcc_lo, 1, v75
	s_cbranch_vccnz .LBB273_236
; %bb.235:
	v_lshlrev_b64 v[28:29], 1, v[36:37]
	v_add_co_u32 v28, vcc_lo, v26, v28
	v_add_co_ci_u32_e64 v29, null, v27, v29, vcc_lo
	global_load_ushort v28, v[28:29], off
	s_waitcnt vmcnt(0)
	v_mul_f16_e32 v28, v48, v28
	v_cvt_f32_f16_e32 v28, v28
	s_branch .LBB273_237
.LBB273_236:
	v_mov_b32_e32 v28, 0
.LBB273_237:
	v_pk_add_f16 v29, v12, v20
	v_pk_add_f16 v30, v13, v21
	v_max_f16_e32 v31, v79, v79
	v_lshrrev_b32_e32 v79, 16, v79
	v_max_f32_e32 v28, v28, v28
	v_lshrrev_b32_e32 v80, 16, v29
	v_lshrrev_b32_e32 v81, 16, v30
	v_min_f16_e32 v29, v31, v29
	v_min3_f16 v31, v79, v80, v81
	v_min3_f16 v29, v29, v30, v31
	v_cvt_f32_f16_e32 v29, v29
	v_min_f32_e32 v30, v28, v29
	v_lshlrev_b64 v[28:29], 1, v[36:37]
	v_cvt_f16_f32_e32 v30, v30
	v_add_co_u32 v28, vcc_lo, v24, v28
	v_add_co_ci_u32_e64 v29, null, v25, v29, vcc_lo
	global_store_short v[28:29], v30, off
	s_or_b32 exec_lo, exec_lo, s12
	s_and_b32 s15, s3, s8
	s_and_saveexec_b32 s12, s15
	s_cbranch_execz .LBB273_222
.LBB273_238:
	v_cmp_ne_u32_e32 vcc_lo, 1, v75
	s_cbranch_vccnz .LBB273_240
; %bb.239:
	v_lshlrev_b64 v[28:29], 1, v[38:39]
	v_add_co_u32 v28, vcc_lo, v26, v28
	v_add_co_ci_u32_e64 v29, null, v27, v29, vcc_lo
	global_load_ushort v28, v[28:29], off
	s_waitcnt vmcnt(0)
	v_mul_f16_e32 v28, v48, v28
	v_cvt_f32_f16_e32 v28, v28
	s_branch .LBB273_241
.LBB273_240:
	v_mov_b32_e32 v28, 0
.LBB273_241:
	v_pk_add_f16 v29, v14, v20
	v_pk_add_f16 v30, v15, v21
	v_max_f16_e32 v31, v78, v78
	v_lshrrev_b32_e32 v78, 16, v78
	v_max_f32_e32 v28, v28, v28
	v_lshrrev_b32_e32 v79, 16, v29
	v_lshrrev_b32_e32 v80, 16, v30
	v_min_f16_e32 v29, v31, v29
	v_min3_f16 v31, v78, v79, v80
	v_min3_f16 v29, v29, v30, v31
	v_cvt_f32_f16_e32 v29, v29
	v_min_f32_e32 v30, v28, v29
	v_lshlrev_b64 v[28:29], 1, v[38:39]
	v_cvt_f16_f32_e32 v30, v30
	v_add_co_u32 v28, vcc_lo, v24, v28
	v_add_co_ci_u32_e64 v29, null, v25, v29, vcc_lo
	global_store_short v[28:29], v30, off
	s_or_b32 exec_lo, exec_lo, s12
	s_and_b32 s15, s4, s8
	s_and_saveexec_b32 s12, s15
	s_cbranch_execz .LBB273_223
.LBB273_242:
	v_cmp_ne_u32_e32 vcc_lo, 1, v75
	s_cbranch_vccnz .LBB273_244
; %bb.243:
	v_lshlrev_b64 v[28:29], 1, v[40:41]
	v_add_co_u32 v28, vcc_lo, v26, v28
	v_add_co_ci_u32_e64 v29, null, v27, v29, vcc_lo
	global_load_ushort v28, v[28:29], off
	s_waitcnt vmcnt(0)
	v_mul_f16_e32 v28, v48, v28
	v_cvt_f32_f16_e32 v28, v28
	s_branch .LBB273_245
.LBB273_244:
	v_mov_b32_e32 v28, 0
.LBB273_245:
	v_pk_add_f16 v29, v8, v20
	v_pk_add_f16 v30, v9, v21
	v_max_f16_e32 v31, v77, v77
	v_lshrrev_b32_e32 v77, 16, v77
	v_max_f32_e32 v28, v28, v28
	v_lshrrev_b32_e32 v78, 16, v29
	v_lshrrev_b32_e32 v79, 16, v30
	v_min_f16_e32 v29, v31, v29
	v_min3_f16 v31, v77, v78, v79
	v_min3_f16 v29, v29, v30, v31
	v_cvt_f32_f16_e32 v29, v29
	v_min_f32_e32 v30, v28, v29
	v_lshlrev_b64 v[28:29], 1, v[40:41]
	v_cvt_f16_f32_e32 v30, v30
	v_add_co_u32 v28, vcc_lo, v24, v28
	v_add_co_ci_u32_e64 v29, null, v25, v29, vcc_lo
	global_store_short v[28:29], v30, off
	s_or_b32 exec_lo, exec_lo, s12
	s_and_b32 s15, s5, s8
	s_and_saveexec_b32 s12, s15
	s_cbranch_execz .LBB273_224
.LBB273_246:
	v_cmp_ne_u32_e32 vcc_lo, 1, v75
	s_cbranch_vccnz .LBB273_248
; %bb.247:
	v_lshlrev_b64 v[28:29], 1, v[42:43]
	v_add_co_u32 v28, vcc_lo, v26, v28
	v_add_co_ci_u32_e64 v29, null, v27, v29, vcc_lo
	global_load_ushort v28, v[28:29], off
	s_waitcnt vmcnt(0)
	v_mul_f16_e32 v28, v48, v28
	v_cvt_f32_f16_e32 v28, v28
	s_branch .LBB273_249
.LBB273_248:
	v_mov_b32_e32 v28, 0
.LBB273_249:
	v_pk_add_f16 v29, v10, v20
	v_pk_add_f16 v30, v11, v21
	v_max_f16_e32 v31, v76, v76
	v_lshrrev_b32_e32 v76, 16, v76
	v_max_f32_e32 v28, v28, v28
	v_lshrrev_b32_e32 v77, 16, v29
	v_lshrrev_b32_e32 v78, 16, v30
	v_min_f16_e32 v29, v31, v29
	v_min3_f16 v31, v76, v77, v78
	v_min3_f16 v29, v29, v30, v31
	v_cvt_f32_f16_e32 v29, v29
	v_min_f32_e32 v30, v28, v29
	v_lshlrev_b64 v[28:29], 1, v[42:43]
	v_cvt_f16_f32_e32 v30, v30
	v_add_co_u32 v28, vcc_lo, v24, v28
	v_add_co_ci_u32_e64 v29, null, v25, v29, vcc_lo
	global_store_short v[28:29], v30, off
	s_or_b32 exec_lo, exec_lo, s12
	s_and_b32 s15, s6, s8
	s_and_saveexec_b32 s12, s15
	s_cbranch_execz .LBB273_225
.LBB273_250:
	v_cmp_ne_u32_e32 vcc_lo, 1, v75
	s_cbranch_vccnz .LBB273_252
; %bb.251:
	v_lshlrev_b64 v[28:29], 1, v[44:45]
	v_add_co_u32 v28, vcc_lo, v26, v28
	v_add_co_ci_u32_e64 v29, null, v27, v29, vcc_lo
	global_load_ushort v28, v[28:29], off
	s_waitcnt vmcnt(0)
	v_mul_f16_e32 v28, v48, v28
	v_cvt_f32_f16_e32 v28, v28
	s_branch .LBB273_253
.LBB273_252:
	v_mov_b32_e32 v28, 0
.LBB273_253:
	v_pk_add_f16 v29, v0, v20
	v_pk_add_f16 v30, v1, v21
	v_max_f16_e32 v31, v74, v74
	v_lshrrev_b32_e32 v74, 16, v74
	v_max_f32_e32 v28, v28, v28
	v_lshrrev_b32_e32 v76, 16, v29
	v_lshrrev_b32_e32 v77, 16, v30
	v_min_f16_e32 v29, v31, v29
	v_min3_f16 v31, v74, v76, v77
	v_min3_f16 v29, v29, v30, v31
	v_cvt_f32_f16_e32 v29, v29
	v_min_f32_e32 v30, v28, v29
	v_lshlrev_b64 v[28:29], 1, v[44:45]
	v_cvt_f16_f32_e32 v30, v30
	v_add_co_u32 v28, vcc_lo, v24, v28
	v_add_co_ci_u32_e64 v29, null, v25, v29, vcc_lo
	global_store_short v[28:29], v30, off
	s_or_b32 exec_lo, exec_lo, s12
	s_and_b32 s12, s7, s8
	s_and_saveexec_b32 s8, s12
	s_cbranch_execz .LBB273_258
.LBB273_254:
	v_cmp_ne_u32_e32 vcc_lo, 1, v75
	s_cbranch_vccnz .LBB273_256
; %bb.255:
	v_lshlrev_b64 v[28:29], 1, v[46:47]
	v_add_co_u32 v26, vcc_lo, v26, v28
	v_add_co_ci_u32_e64 v27, null, v27, v29, vcc_lo
	global_load_ushort v26, v[26:27], off
	s_waitcnt vmcnt(0)
	v_mul_f16_e32 v26, v48, v26
	v_cvt_f32_f16_e32 v26, v26
	s_branch .LBB273_257
.LBB273_256:
	v_mov_b32_e32 v26, 0
.LBB273_257:
	v_pk_add_f16 v20, v2, v20
	v_pk_add_f16 v21, v3, v21
	v_max_f16_e32 v27, v73, v73
	v_lshrrev_b32_e32 v28, 16, v73
	v_lshrrev_b32_e32 v29, 16, v20
	;; [unrolled: 1-line block ×3, first 2 shown]
	v_min_f16_e32 v20, v27, v20
	v_min3_f16 v27, v28, v29, v30
	v_min3_f16 v20, v20, v21, v27
	v_max_f32_e32 v21, v26, v26
	v_cvt_f32_f16_e32 v20, v20
	v_min_f32_e32 v26, v21, v20
	v_lshlrev_b64 v[20:21], 1, v[46:47]
	v_cvt_f16_f32_e32 v26, v26
	v_add_co_u32 v20, vcc_lo, v24, v20
	v_add_co_ci_u32_e64 v21, null, v25, v21, vcc_lo
	global_store_short v[20:21], v26, off
.LBB273_258:
	s_or_b32 exec_lo, exec_lo, s8
	v_add_nc_u32_e32 v26, 0xa0, v83
	v_mad_i64_i32 v[20:21], null, v26, s14, 0
	v_mad_i64_i32 v[24:25], null, v26, s9, 0
	v_cmp_gt_i32_e64 s8, s13, v26
	v_lshlrev_b64 v[20:21], 1, v[20:21]
	s_and_b32 s15, s0, s8
	v_lshlrev_b64 v[26:27], 1, v[24:25]
	v_add_co_u32 v24, vcc_lo, s16, v20
	v_add_co_ci_u32_e64 v25, null, s17, v21, vcc_lo
	v_add_co_u32 v20, vcc_lo, s10, v26
	v_add_co_ci_u32_e64 v21, null, s11, v27, vcc_lo
	s_and_saveexec_b32 s12, s15
	s_cbranch_execnz .LBB273_266
; %bb.259:
	s_or_b32 exec_lo, exec_lo, s12
	s_and_b32 s15, s1, s8
	s_and_saveexec_b32 s12, s15
	s_cbranch_execnz .LBB273_270
.LBB273_260:
	s_or_b32 exec_lo, exec_lo, s12
	s_and_b32 s15, s2, s8
	s_and_saveexec_b32 s12, s15
	s_cbranch_execnz .LBB273_274
.LBB273_261:
	s_or_b32 exec_lo, exec_lo, s12
	s_and_b32 s15, s3, s8
	s_and_saveexec_b32 s12, s15
	s_cbranch_execnz .LBB273_278
.LBB273_262:
	s_or_b32 exec_lo, exec_lo, s12
	s_and_b32 s15, s4, s8
	s_and_saveexec_b32 s12, s15
	s_cbranch_execnz .LBB273_282
.LBB273_263:
	s_or_b32 exec_lo, exec_lo, s12
	s_and_b32 s15, s5, s8
	s_and_saveexec_b32 s12, s15
	s_cbranch_execnz .LBB273_286
.LBB273_264:
	s_or_b32 exec_lo, exec_lo, s12
	s_and_b32 s15, s6, s8
	s_and_saveexec_b32 s12, s15
	s_cbranch_execnz .LBB273_290
.LBB273_265:
	s_or_b32 exec_lo, exec_lo, s12
	s_and_b32 s12, s7, s8
	s_and_saveexec_b32 s8, s12
	s_cbranch_execnz .LBB273_294
	s_branch .LBB273_298
.LBB273_266:
	v_cmp_ne_u32_e32 vcc_lo, 1, v75
	s_cbranch_vccnz .LBB273_268
; %bb.267:
	v_lshlrev_b64 v[26:27], 1, v[32:33]
	v_add_co_u32 v26, vcc_lo, v24, v26
	v_add_co_ci_u32_e64 v27, null, v25, v27, vcc_lo
	global_load_ushort v26, v[26:27], off
	s_waitcnt vmcnt(0)
	v_mul_f16_e32 v26, v48, v26
	v_cvt_f32_f16_e32 v26, v26
	s_branch .LBB273_269
.LBB273_268:
	v_mov_b32_e32 v26, 0
.LBB273_269:
	v_pk_add_f16 v27, v16, v22
	v_pk_add_f16 v28, v17, v23
	v_max_f16_e32 v29, v72, v72
	v_lshrrev_b32_e32 v30, 16, v72
	v_max_f32_e32 v26, v26, v26
	v_lshrrev_b32_e32 v31, 16, v27
	v_lshrrev_b32_e32 v72, 16, v28
	v_min_f16_e32 v27, v29, v27
	v_min3_f16 v29, v30, v31, v72
	v_min3_f16 v27, v27, v28, v29
	v_cvt_f32_f16_e32 v27, v27
	v_min_f32_e32 v28, v26, v27
	v_lshlrev_b64 v[26:27], 1, v[32:33]
	v_cvt_f16_f32_e32 v28, v28
	v_add_co_u32 v26, vcc_lo, v20, v26
	v_add_co_ci_u32_e64 v27, null, v21, v27, vcc_lo
	global_store_short v[26:27], v28, off
	s_or_b32 exec_lo, exec_lo, s12
	s_and_b32 s15, s1, s8
	s_and_saveexec_b32 s12, s15
	s_cbranch_execz .LBB273_260
.LBB273_270:
	v_cmp_ne_u32_e32 vcc_lo, 1, v75
	s_cbranch_vccnz .LBB273_272
; %bb.271:
	v_lshlrev_b64 v[26:27], 1, v[34:35]
	v_add_co_u32 v26, vcc_lo, v24, v26
	v_add_co_ci_u32_e64 v27, null, v25, v27, vcc_lo
	global_load_ushort v26, v[26:27], off
	s_waitcnt vmcnt(0)
	v_mul_f16_e32 v26, v48, v26
	v_cvt_f32_f16_e32 v26, v26
	s_branch .LBB273_273
.LBB273_272:
	v_mov_b32_e32 v26, 0
.LBB273_273:
	v_pk_add_f16 v27, v18, v22
	v_pk_add_f16 v28, v19, v23
	v_max_f16_e32 v29, v71, v71
	v_lshrrev_b32_e32 v30, 16, v71
	v_max_f32_e32 v26, v26, v26
	v_lshrrev_b32_e32 v31, 16, v27
	v_lshrrev_b32_e32 v71, 16, v28
	v_min_f16_e32 v27, v29, v27
	v_min3_f16 v29, v30, v31, v71
	v_min3_f16 v27, v27, v28, v29
	v_cvt_f32_f16_e32 v27, v27
	v_min_f32_e32 v28, v26, v27
	v_lshlrev_b64 v[26:27], 1, v[34:35]
	v_cvt_f16_f32_e32 v28, v28
	v_add_co_u32 v26, vcc_lo, v20, v26
	v_add_co_ci_u32_e64 v27, null, v21, v27, vcc_lo
	global_store_short v[26:27], v28, off
	s_or_b32 exec_lo, exec_lo, s12
	s_and_b32 s15, s2, s8
	s_and_saveexec_b32 s12, s15
	s_cbranch_execz .LBB273_261
.LBB273_274:
	v_cmp_ne_u32_e32 vcc_lo, 1, v75
	s_cbranch_vccnz .LBB273_276
; %bb.275:
	v_lshlrev_b64 v[26:27], 1, v[36:37]
	v_add_co_u32 v26, vcc_lo, v24, v26
	v_add_co_ci_u32_e64 v27, null, v25, v27, vcc_lo
	global_load_ushort v26, v[26:27], off
	s_waitcnt vmcnt(0)
	v_mul_f16_e32 v26, v48, v26
	v_cvt_f32_f16_e32 v26, v26
	s_branch .LBB273_277
.LBB273_276:
	v_mov_b32_e32 v26, 0
.LBB273_277:
	v_pk_add_f16 v27, v12, v22
	v_pk_add_f16 v28, v13, v23
	v_max_f16_e32 v29, v70, v70
	v_lshrrev_b32_e32 v30, 16, v70
	v_max_f32_e32 v26, v26, v26
	v_lshrrev_b32_e32 v31, 16, v27
	v_lshrrev_b32_e32 v70, 16, v28
	v_min_f16_e32 v27, v29, v27
	v_min3_f16 v29, v30, v31, v70
	v_min3_f16 v27, v27, v28, v29
	v_cvt_f32_f16_e32 v27, v27
	v_min_f32_e32 v28, v26, v27
	v_lshlrev_b64 v[26:27], 1, v[36:37]
	v_cvt_f16_f32_e32 v28, v28
	v_add_co_u32 v26, vcc_lo, v20, v26
	v_add_co_ci_u32_e64 v27, null, v21, v27, vcc_lo
	global_store_short v[26:27], v28, off
	s_or_b32 exec_lo, exec_lo, s12
	s_and_b32 s15, s3, s8
	s_and_saveexec_b32 s12, s15
	s_cbranch_execz .LBB273_262
.LBB273_278:
	v_cmp_ne_u32_e32 vcc_lo, 1, v75
	s_cbranch_vccnz .LBB273_280
; %bb.279:
	v_lshlrev_b64 v[26:27], 1, v[38:39]
	v_add_co_u32 v26, vcc_lo, v24, v26
	v_add_co_ci_u32_e64 v27, null, v25, v27, vcc_lo
	global_load_ushort v26, v[26:27], off
	s_waitcnt vmcnt(0)
	v_mul_f16_e32 v26, v48, v26
	v_cvt_f32_f16_e32 v26, v26
	s_branch .LBB273_281
.LBB273_280:
	v_mov_b32_e32 v26, 0
.LBB273_281:
	v_pk_add_f16 v27, v14, v22
	v_pk_add_f16 v28, v15, v23
	v_max_f16_e32 v29, v69, v69
	v_lshrrev_b32_e32 v30, 16, v69
	v_max_f32_e32 v26, v26, v26
	v_lshrrev_b32_e32 v31, 16, v27
	v_lshrrev_b32_e32 v69, 16, v28
	v_min_f16_e32 v27, v29, v27
	v_min3_f16 v29, v30, v31, v69
	v_min3_f16 v27, v27, v28, v29
	v_cvt_f32_f16_e32 v27, v27
	v_min_f32_e32 v28, v26, v27
	v_lshlrev_b64 v[26:27], 1, v[38:39]
	v_cvt_f16_f32_e32 v28, v28
	v_add_co_u32 v26, vcc_lo, v20, v26
	v_add_co_ci_u32_e64 v27, null, v21, v27, vcc_lo
	global_store_short v[26:27], v28, off
	s_or_b32 exec_lo, exec_lo, s12
	s_and_b32 s15, s4, s8
	s_and_saveexec_b32 s12, s15
	s_cbranch_execz .LBB273_263
.LBB273_282:
	v_cmp_ne_u32_e32 vcc_lo, 1, v75
	s_cbranch_vccnz .LBB273_284
; %bb.283:
	v_lshlrev_b64 v[26:27], 1, v[40:41]
	v_add_co_u32 v26, vcc_lo, v24, v26
	v_add_co_ci_u32_e64 v27, null, v25, v27, vcc_lo
	global_load_ushort v26, v[26:27], off
	s_waitcnt vmcnt(0)
	v_mul_f16_e32 v26, v48, v26
	v_cvt_f32_f16_e32 v26, v26
	s_branch .LBB273_285
.LBB273_284:
	v_mov_b32_e32 v26, 0
.LBB273_285:
	v_pk_add_f16 v27, v8, v22
	v_pk_add_f16 v28, v9, v23
	v_max_f16_e32 v29, v68, v68
	v_lshrrev_b32_e32 v30, 16, v68
	v_max_f32_e32 v26, v26, v26
	v_lshrrev_b32_e32 v31, 16, v27
	v_lshrrev_b32_e32 v68, 16, v28
	v_min_f16_e32 v27, v29, v27
	v_min3_f16 v29, v30, v31, v68
	v_min3_f16 v27, v27, v28, v29
	v_cvt_f32_f16_e32 v27, v27
	v_min_f32_e32 v28, v26, v27
	v_lshlrev_b64 v[26:27], 1, v[40:41]
	v_cvt_f16_f32_e32 v28, v28
	v_add_co_u32 v26, vcc_lo, v20, v26
	v_add_co_ci_u32_e64 v27, null, v21, v27, vcc_lo
	global_store_short v[26:27], v28, off
	s_or_b32 exec_lo, exec_lo, s12
	s_and_b32 s15, s5, s8
	s_and_saveexec_b32 s12, s15
	s_cbranch_execz .LBB273_264
.LBB273_286:
	v_cmp_ne_u32_e32 vcc_lo, 1, v75
	s_cbranch_vccnz .LBB273_288
; %bb.287:
	v_lshlrev_b64 v[26:27], 1, v[42:43]
	v_add_co_u32 v26, vcc_lo, v24, v26
	v_add_co_ci_u32_e64 v27, null, v25, v27, vcc_lo
	global_load_ushort v26, v[26:27], off
	s_waitcnt vmcnt(0)
	v_mul_f16_e32 v26, v48, v26
	v_cvt_f32_f16_e32 v26, v26
	s_branch .LBB273_289
.LBB273_288:
	v_mov_b32_e32 v26, 0
.LBB273_289:
	v_pk_add_f16 v27, v10, v22
	v_pk_add_f16 v28, v11, v23
	v_max_f16_e32 v29, v67, v67
	v_lshrrev_b32_e32 v30, 16, v67
	v_max_f32_e32 v26, v26, v26
	v_lshrrev_b32_e32 v31, 16, v27
	v_lshrrev_b32_e32 v67, 16, v28
	v_min_f16_e32 v27, v29, v27
	v_min3_f16 v29, v30, v31, v67
	v_min3_f16 v27, v27, v28, v29
	v_cvt_f32_f16_e32 v27, v27
	v_min_f32_e32 v28, v26, v27
	v_lshlrev_b64 v[26:27], 1, v[42:43]
	v_cvt_f16_f32_e32 v28, v28
	v_add_co_u32 v26, vcc_lo, v20, v26
	v_add_co_ci_u32_e64 v27, null, v21, v27, vcc_lo
	global_store_short v[26:27], v28, off
	s_or_b32 exec_lo, exec_lo, s12
	s_and_b32 s15, s6, s8
	s_and_saveexec_b32 s12, s15
	s_cbranch_execz .LBB273_265
.LBB273_290:
	v_cmp_ne_u32_e32 vcc_lo, 1, v75
	s_cbranch_vccnz .LBB273_292
; %bb.291:
	v_lshlrev_b64 v[26:27], 1, v[44:45]
	v_add_co_u32 v26, vcc_lo, v24, v26
	v_add_co_ci_u32_e64 v27, null, v25, v27, vcc_lo
	global_load_ushort v26, v[26:27], off
	s_waitcnt vmcnt(0)
	v_mul_f16_e32 v26, v48, v26
	v_cvt_f32_f16_e32 v26, v26
	s_branch .LBB273_293
.LBB273_292:
	v_mov_b32_e32 v26, 0
.LBB273_293:
	v_pk_add_f16 v27, v0, v22
	v_pk_add_f16 v28, v1, v23
	v_max_f16_e32 v29, v66, v66
	v_lshrrev_b32_e32 v30, 16, v66
	v_max_f32_e32 v26, v26, v26
	v_lshrrev_b32_e32 v31, 16, v27
	v_lshrrev_b32_e32 v66, 16, v28
	v_min_f16_e32 v27, v29, v27
	v_min3_f16 v29, v30, v31, v66
	v_min3_f16 v27, v27, v28, v29
	v_cvt_f32_f16_e32 v27, v27
	v_min_f32_e32 v28, v26, v27
	v_lshlrev_b64 v[26:27], 1, v[44:45]
	v_cvt_f16_f32_e32 v28, v28
	v_add_co_u32 v26, vcc_lo, v20, v26
	v_add_co_ci_u32_e64 v27, null, v21, v27, vcc_lo
	global_store_short v[26:27], v28, off
	s_or_b32 exec_lo, exec_lo, s12
	s_and_b32 s12, s7, s8
	s_and_saveexec_b32 s8, s12
	s_cbranch_execz .LBB273_298
.LBB273_294:
	v_cmp_ne_u32_e32 vcc_lo, 1, v75
	s_cbranch_vccnz .LBB273_296
; %bb.295:
	v_lshlrev_b64 v[26:27], 1, v[46:47]
	v_add_co_u32 v24, vcc_lo, v24, v26
	v_add_co_ci_u32_e64 v25, null, v25, v27, vcc_lo
	global_load_ushort v24, v[24:25], off
	s_waitcnt vmcnt(0)
	v_mul_f16_e32 v24, v48, v24
	v_cvt_f32_f16_e32 v24, v24
	s_branch .LBB273_297
.LBB273_296:
	v_mov_b32_e32 v24, 0
.LBB273_297:
	v_pk_add_f16 v22, v2, v22
	v_pk_add_f16 v23, v3, v23
	v_max_f16_e32 v25, v65, v65
	v_lshrrev_b32_e32 v26, 16, v65
	v_lshrrev_b32_e32 v27, 16, v22
	;; [unrolled: 1-line block ×3, first 2 shown]
	v_min_f16_e32 v22, v25, v22
	v_min3_f16 v25, v26, v27, v28
	v_min3_f16 v22, v22, v23, v25
	v_max_f32_e32 v23, v24, v24
	v_cvt_f32_f16_e32 v22, v22
	v_min_f32_e32 v24, v23, v22
	v_lshlrev_b64 v[22:23], 1, v[46:47]
	v_cvt_f16_f32_e32 v24, v24
	v_add_co_u32 v20, vcc_lo, v20, v22
	v_add_co_ci_u32_e64 v21, null, v21, v23, vcc_lo
	global_store_short v[20:21], v24, off
.LBB273_298:
	s_or_b32 exec_lo, exec_lo, s8
	v_add_nc_u32_e32 v24, 0xc0, v83
	v_mad_i64_i32 v[20:21], null, v24, s14, 0
	v_mad_i64_i32 v[22:23], null, v24, s9, 0
	v_cmp_gt_i32_e64 s8, s13, v24
	v_lshlrev_b64 v[20:21], 1, v[20:21]
	s_and_b32 s15, s0, s8
	v_lshlrev_b64 v[24:25], 1, v[22:23]
	v_add_co_u32 v22, vcc_lo, s16, v20
	v_add_co_ci_u32_e64 v23, null, s17, v21, vcc_lo
	v_add_co_u32 v20, vcc_lo, s10, v24
	v_add_co_ci_u32_e64 v21, null, s11, v25, vcc_lo
	s_and_saveexec_b32 s12, s15
	s_cbranch_execnz .LBB273_306
; %bb.299:
	s_or_b32 exec_lo, exec_lo, s12
	s_and_b32 s15, s1, s8
	s_and_saveexec_b32 s12, s15
	s_cbranch_execnz .LBB273_310
.LBB273_300:
	s_or_b32 exec_lo, exec_lo, s12
	s_and_b32 s15, s2, s8
	s_and_saveexec_b32 s12, s15
	s_cbranch_execnz .LBB273_314
.LBB273_301:
	s_or_b32 exec_lo, exec_lo, s12
	s_and_b32 s15, s3, s8
	s_and_saveexec_b32 s12, s15
	s_cbranch_execnz .LBB273_318
.LBB273_302:
	s_or_b32 exec_lo, exec_lo, s12
	s_and_b32 s15, s4, s8
	s_and_saveexec_b32 s12, s15
	s_cbranch_execnz .LBB273_322
.LBB273_303:
	s_or_b32 exec_lo, exec_lo, s12
	s_and_b32 s15, s5, s8
	s_and_saveexec_b32 s12, s15
	s_cbranch_execnz .LBB273_326
.LBB273_304:
	s_or_b32 exec_lo, exec_lo, s12
	s_and_b32 s15, s6, s8
	s_and_saveexec_b32 s12, s15
	s_cbranch_execnz .LBB273_330
.LBB273_305:
	s_or_b32 exec_lo, exec_lo, s12
	s_and_b32 s12, s7, s8
	s_and_saveexec_b32 s8, s12
	s_cbranch_execnz .LBB273_334
	s_branch .LBB273_338
.LBB273_306:
	v_cmp_ne_u32_e32 vcc_lo, 1, v75
	s_cbranch_vccnz .LBB273_308
; %bb.307:
	v_lshlrev_b64 v[24:25], 1, v[32:33]
	v_add_co_u32 v24, vcc_lo, v22, v24
	v_add_co_ci_u32_e64 v25, null, v23, v25, vcc_lo
	global_load_ushort v24, v[24:25], off
	s_waitcnt vmcnt(0)
	v_mul_f16_e32 v24, v48, v24
	v_cvt_f32_f16_e32 v24, v24
	s_branch .LBB273_309
.LBB273_308:
	v_mov_b32_e32 v24, 0
.LBB273_309:
	v_pk_add_f16 v25, v16, v4
	v_pk_add_f16 v26, v17, v5
	v_max_f16_e32 v27, v64, v64
	v_lshrrev_b32_e32 v28, 16, v64
	v_max_f32_e32 v24, v24, v24
	v_lshrrev_b32_e32 v29, 16, v25
	v_lshrrev_b32_e32 v30, 16, v26
	v_min_f16_e32 v25, v27, v25
	v_min3_f16 v27, v28, v29, v30
	v_min3_f16 v25, v25, v26, v27
	v_cvt_f32_f16_e32 v25, v25
	v_min_f32_e32 v26, v24, v25
	v_lshlrev_b64 v[24:25], 1, v[32:33]
	v_cvt_f16_f32_e32 v26, v26
	v_add_co_u32 v24, vcc_lo, v20, v24
	v_add_co_ci_u32_e64 v25, null, v21, v25, vcc_lo
	global_store_short v[24:25], v26, off
	s_or_b32 exec_lo, exec_lo, s12
	s_and_b32 s15, s1, s8
	s_and_saveexec_b32 s12, s15
	s_cbranch_execz .LBB273_300
.LBB273_310:
	v_cmp_ne_u32_e32 vcc_lo, 1, v75
	s_cbranch_vccnz .LBB273_312
; %bb.311:
	v_lshlrev_b64 v[24:25], 1, v[34:35]
	v_add_co_u32 v24, vcc_lo, v22, v24
	v_add_co_ci_u32_e64 v25, null, v23, v25, vcc_lo
	global_load_ushort v24, v[24:25], off
	s_waitcnt vmcnt(0)
	v_mul_f16_e32 v24, v48, v24
	v_cvt_f32_f16_e32 v24, v24
	s_branch .LBB273_313
.LBB273_312:
	v_mov_b32_e32 v24, 0
.LBB273_313:
	v_pk_add_f16 v25, v18, v4
	v_pk_add_f16 v26, v19, v5
	v_max_f16_e32 v27, v63, v63
	v_lshrrev_b32_e32 v28, 16, v63
	v_max_f32_e32 v24, v24, v24
	v_lshrrev_b32_e32 v29, 16, v25
	v_lshrrev_b32_e32 v30, 16, v26
	v_min_f16_e32 v25, v27, v25
	v_min3_f16 v27, v28, v29, v30
	v_min3_f16 v25, v25, v26, v27
	v_cvt_f32_f16_e32 v25, v25
	v_min_f32_e32 v26, v24, v25
	v_lshlrev_b64 v[24:25], 1, v[34:35]
	v_cvt_f16_f32_e32 v26, v26
	v_add_co_u32 v24, vcc_lo, v20, v24
	v_add_co_ci_u32_e64 v25, null, v21, v25, vcc_lo
	global_store_short v[24:25], v26, off
	s_or_b32 exec_lo, exec_lo, s12
	s_and_b32 s15, s2, s8
	s_and_saveexec_b32 s12, s15
	s_cbranch_execz .LBB273_301
.LBB273_314:
	v_cmp_ne_u32_e32 vcc_lo, 1, v75
	s_cbranch_vccnz .LBB273_316
; %bb.315:
	v_lshlrev_b64 v[24:25], 1, v[36:37]
	v_add_co_u32 v24, vcc_lo, v22, v24
	v_add_co_ci_u32_e64 v25, null, v23, v25, vcc_lo
	global_load_ushort v24, v[24:25], off
	s_waitcnt vmcnt(0)
	v_mul_f16_e32 v24, v48, v24
	v_cvt_f32_f16_e32 v24, v24
	s_branch .LBB273_317
.LBB273_316:
	v_mov_b32_e32 v24, 0
.LBB273_317:
	v_pk_add_f16 v25, v12, v4
	v_pk_add_f16 v26, v13, v5
	v_max_f16_e32 v27, v62, v62
	v_lshrrev_b32_e32 v28, 16, v62
	v_max_f32_e32 v24, v24, v24
	v_lshrrev_b32_e32 v29, 16, v25
	v_lshrrev_b32_e32 v30, 16, v26
	v_min_f16_e32 v25, v27, v25
	v_min3_f16 v27, v28, v29, v30
	v_min3_f16 v25, v25, v26, v27
	v_cvt_f32_f16_e32 v25, v25
	v_min_f32_e32 v26, v24, v25
	v_lshlrev_b64 v[24:25], 1, v[36:37]
	v_cvt_f16_f32_e32 v26, v26
	v_add_co_u32 v24, vcc_lo, v20, v24
	v_add_co_ci_u32_e64 v25, null, v21, v25, vcc_lo
	global_store_short v[24:25], v26, off
	s_or_b32 exec_lo, exec_lo, s12
	s_and_b32 s15, s3, s8
	s_and_saveexec_b32 s12, s15
	s_cbranch_execz .LBB273_302
.LBB273_318:
	v_cmp_ne_u32_e32 vcc_lo, 1, v75
	s_cbranch_vccnz .LBB273_320
; %bb.319:
	v_lshlrev_b64 v[24:25], 1, v[38:39]
	v_add_co_u32 v24, vcc_lo, v22, v24
	v_add_co_ci_u32_e64 v25, null, v23, v25, vcc_lo
	global_load_ushort v24, v[24:25], off
	s_waitcnt vmcnt(0)
	v_mul_f16_e32 v24, v48, v24
	v_cvt_f32_f16_e32 v24, v24
	s_branch .LBB273_321
.LBB273_320:
	v_mov_b32_e32 v24, 0
.LBB273_321:
	v_pk_add_f16 v25, v14, v4
	v_pk_add_f16 v26, v15, v5
	v_max_f16_e32 v27, v61, v61
	v_lshrrev_b32_e32 v28, 16, v61
	v_max_f32_e32 v24, v24, v24
	v_lshrrev_b32_e32 v29, 16, v25
	v_lshrrev_b32_e32 v30, 16, v26
	v_min_f16_e32 v25, v27, v25
	v_min3_f16 v27, v28, v29, v30
	v_min3_f16 v25, v25, v26, v27
	v_cvt_f32_f16_e32 v25, v25
	v_min_f32_e32 v26, v24, v25
	v_lshlrev_b64 v[24:25], 1, v[38:39]
	v_cvt_f16_f32_e32 v26, v26
	v_add_co_u32 v24, vcc_lo, v20, v24
	v_add_co_ci_u32_e64 v25, null, v21, v25, vcc_lo
	global_store_short v[24:25], v26, off
	s_or_b32 exec_lo, exec_lo, s12
	s_and_b32 s15, s4, s8
	s_and_saveexec_b32 s12, s15
	s_cbranch_execz .LBB273_303
.LBB273_322:
	v_cmp_ne_u32_e32 vcc_lo, 1, v75
	s_cbranch_vccnz .LBB273_324
; %bb.323:
	v_lshlrev_b64 v[24:25], 1, v[40:41]
	v_add_co_u32 v24, vcc_lo, v22, v24
	v_add_co_ci_u32_e64 v25, null, v23, v25, vcc_lo
	global_load_ushort v24, v[24:25], off
	s_waitcnt vmcnt(0)
	v_mul_f16_e32 v24, v48, v24
	v_cvt_f32_f16_e32 v24, v24
	s_branch .LBB273_325
.LBB273_324:
	v_mov_b32_e32 v24, 0
.LBB273_325:
	v_pk_add_f16 v25, v8, v4
	v_pk_add_f16 v26, v9, v5
	v_max_f16_e32 v27, v60, v60
	v_lshrrev_b32_e32 v28, 16, v60
	v_max_f32_e32 v24, v24, v24
	v_lshrrev_b32_e32 v29, 16, v25
	v_lshrrev_b32_e32 v30, 16, v26
	v_min_f16_e32 v25, v27, v25
	v_min3_f16 v27, v28, v29, v30
	v_min3_f16 v25, v25, v26, v27
	v_cvt_f32_f16_e32 v25, v25
	v_min_f32_e32 v26, v24, v25
	v_lshlrev_b64 v[24:25], 1, v[40:41]
	v_cvt_f16_f32_e32 v26, v26
	v_add_co_u32 v24, vcc_lo, v20, v24
	v_add_co_ci_u32_e64 v25, null, v21, v25, vcc_lo
	global_store_short v[24:25], v26, off
	s_or_b32 exec_lo, exec_lo, s12
	s_and_b32 s15, s5, s8
	s_and_saveexec_b32 s12, s15
	s_cbranch_execz .LBB273_304
.LBB273_326:
	v_cmp_ne_u32_e32 vcc_lo, 1, v75
	s_cbranch_vccnz .LBB273_328
; %bb.327:
	v_lshlrev_b64 v[24:25], 1, v[42:43]
	v_add_co_u32 v24, vcc_lo, v22, v24
	v_add_co_ci_u32_e64 v25, null, v23, v25, vcc_lo
	global_load_ushort v24, v[24:25], off
	s_waitcnt vmcnt(0)
	v_mul_f16_e32 v24, v48, v24
	v_cvt_f32_f16_e32 v24, v24
	s_branch .LBB273_329
.LBB273_328:
	v_mov_b32_e32 v24, 0
.LBB273_329:
	v_pk_add_f16 v25, v10, v4
	v_pk_add_f16 v26, v11, v5
	v_max_f16_e32 v27, v59, v59
	v_lshrrev_b32_e32 v28, 16, v59
	v_max_f32_e32 v24, v24, v24
	v_lshrrev_b32_e32 v29, 16, v25
	v_lshrrev_b32_e32 v30, 16, v26
	v_min_f16_e32 v25, v27, v25
	v_min3_f16 v27, v28, v29, v30
	v_min3_f16 v25, v25, v26, v27
	v_cvt_f32_f16_e32 v25, v25
	v_min_f32_e32 v26, v24, v25
	v_lshlrev_b64 v[24:25], 1, v[42:43]
	v_cvt_f16_f32_e32 v26, v26
	v_add_co_u32 v24, vcc_lo, v20, v24
	v_add_co_ci_u32_e64 v25, null, v21, v25, vcc_lo
	global_store_short v[24:25], v26, off
	s_or_b32 exec_lo, exec_lo, s12
	s_and_b32 s15, s6, s8
	s_and_saveexec_b32 s12, s15
	s_cbranch_execz .LBB273_305
.LBB273_330:
	v_cmp_ne_u32_e32 vcc_lo, 1, v75
	s_cbranch_vccnz .LBB273_332
; %bb.331:
	v_lshlrev_b64 v[24:25], 1, v[44:45]
	v_add_co_u32 v24, vcc_lo, v22, v24
	v_add_co_ci_u32_e64 v25, null, v23, v25, vcc_lo
	global_load_ushort v24, v[24:25], off
	s_waitcnt vmcnt(0)
	v_mul_f16_e32 v24, v48, v24
	v_cvt_f32_f16_e32 v24, v24
	s_branch .LBB273_333
.LBB273_332:
	v_mov_b32_e32 v24, 0
.LBB273_333:
	v_pk_add_f16 v25, v0, v4
	v_pk_add_f16 v26, v1, v5
	v_max_f16_e32 v27, v58, v58
	v_lshrrev_b32_e32 v28, 16, v58
	v_max_f32_e32 v24, v24, v24
	v_lshrrev_b32_e32 v29, 16, v25
	v_lshrrev_b32_e32 v30, 16, v26
	v_min_f16_e32 v25, v27, v25
	v_min3_f16 v27, v28, v29, v30
	v_min3_f16 v25, v25, v26, v27
	v_cvt_f32_f16_e32 v25, v25
	v_min_f32_e32 v26, v24, v25
	v_lshlrev_b64 v[24:25], 1, v[44:45]
	v_cvt_f16_f32_e32 v26, v26
	v_add_co_u32 v24, vcc_lo, v20, v24
	v_add_co_ci_u32_e64 v25, null, v21, v25, vcc_lo
	global_store_short v[24:25], v26, off
	s_or_b32 exec_lo, exec_lo, s12
	s_and_b32 s12, s7, s8
	s_and_saveexec_b32 s8, s12
	s_cbranch_execz .LBB273_338
.LBB273_334:
	v_cmp_ne_u32_e32 vcc_lo, 1, v75
	s_cbranch_vccnz .LBB273_336
; %bb.335:
	v_lshlrev_b64 v[24:25], 1, v[46:47]
	v_add_co_u32 v22, vcc_lo, v22, v24
	v_add_co_ci_u32_e64 v23, null, v23, v25, vcc_lo
	global_load_ushort v22, v[22:23], off
	s_waitcnt vmcnt(0)
	v_mul_f16_e32 v22, v48, v22
	v_cvt_f32_f16_e32 v22, v22
	s_branch .LBB273_337
.LBB273_336:
	v_mov_b32_e32 v22, 0
.LBB273_337:
	v_pk_add_f16 v4, v2, v4
	v_pk_add_f16 v5, v3, v5
	v_max_f16_e32 v23, v57, v57
	v_lshrrev_b32_e32 v24, 16, v57
	v_lshrrev_b32_e32 v25, 16, v4
	;; [unrolled: 1-line block ×3, first 2 shown]
	v_min_f16_e32 v4, v23, v4
	v_min3_f16 v23, v24, v25, v26
	v_min3_f16 v4, v4, v5, v23
	v_max_f32_e32 v5, v22, v22
	v_cvt_f32_f16_e32 v4, v4
	v_min_f32_e32 v22, v5, v4
	v_lshlrev_b64 v[4:5], 1, v[46:47]
	v_cvt_f16_f32_e32 v22, v22
	v_add_co_u32 v4, vcc_lo, v20, v4
	v_add_co_ci_u32_e64 v5, null, v21, v5, vcc_lo
	global_store_short v[4:5], v22, off
.LBB273_338:
	s_or_b32 exec_lo, exec_lo, s8
	v_add_nc_u32_e32 v22, 0xe0, v83
	v_mad_i64_i32 v[4:5], null, v22, s14, 0
	v_mad_i64_i32 v[20:21], null, v22, s9, 0
	v_cmp_gt_i32_e64 s8, s13, v22
	v_lshlrev_b64 v[4:5], 1, v[4:5]
	s_and_b32 s9, s0, s8
	v_lshlrev_b64 v[20:21], 1, v[20:21]
	v_add_co_u32 v22, vcc_lo, s16, v4
	v_add_co_ci_u32_e64 v23, null, s17, v5, vcc_lo
	v_add_co_u32 v20, vcc_lo, s10, v20
	v_add_co_ci_u32_e64 v21, null, s11, v21, vcc_lo
	s_and_saveexec_b32 s0, s9
	s_cbranch_execnz .LBB273_347
; %bb.339:
	s_or_b32 exec_lo, exec_lo, s0
	s_and_b32 s1, s1, s8
	s_and_saveexec_b32 s0, s1
	s_cbranch_execnz .LBB273_351
.LBB273_340:
	s_or_b32 exec_lo, exec_lo, s0
	s_and_b32 s1, s2, s8
	s_and_saveexec_b32 s0, s1
	s_cbranch_execnz .LBB273_355
.LBB273_341:
	s_or_b32 exec_lo, exec_lo, s0
	s_and_b32 s1, s3, s8
	s_and_saveexec_b32 s0, s1
	s_cbranch_execnz .LBB273_359
.LBB273_342:
	s_or_b32 exec_lo, exec_lo, s0
	s_and_b32 s1, s4, s8
	s_and_saveexec_b32 s0, s1
	s_cbranch_execnz .LBB273_363
.LBB273_343:
	s_or_b32 exec_lo, exec_lo, s0
	s_and_b32 s1, s5, s8
	s_and_saveexec_b32 s0, s1
	s_cbranch_execnz .LBB273_367
.LBB273_344:
	s_or_b32 exec_lo, exec_lo, s0
	s_and_b32 s1, s6, s8
	s_and_saveexec_b32 s0, s1
	s_cbranch_execnz .LBB273_371
.LBB273_345:
	s_or_b32 exec_lo, exec_lo, s0
	s_and_b32 s0, s7, s8
	s_and_saveexec_b32 s1, s0
	s_cbranch_execnz .LBB273_375
.LBB273_346:
	s_endpgm
.LBB273_347:
	v_cmp_ne_u32_e32 vcc_lo, 1, v75
	v_lshlrev_b64 v[4:5], 1, v[32:33]
	s_cbranch_vccnz .LBB273_349
; %bb.348:
	v_add_co_u32 v24, vcc_lo, v22, v4
	v_add_co_ci_u32_e64 v25, null, v23, v5, vcc_lo
	global_load_ushort v24, v[24:25], off
	s_waitcnt vmcnt(0)
	v_mul_f16_e32 v24, v48, v24
	v_cvt_f32_f16_e32 v24, v24
	s_branch .LBB273_350
.LBB273_349:
	v_mov_b32_e32 v24, 0
.LBB273_350:
	v_pk_add_f16 v16, v16, v6
	v_pk_add_f16 v17, v17, v7
	v_max_f16_e32 v25, v55, v55
	v_lshrrev_b32_e32 v26, 16, v55
	v_add_co_u32 v4, vcc_lo, v20, v4
	v_lshrrev_b32_e32 v27, 16, v16
	v_lshrrev_b32_e32 v28, 16, v17
	v_min_f16_e32 v16, v25, v16
	v_add_co_ci_u32_e64 v5, null, v21, v5, vcc_lo
	v_min3_f16 v25, v26, v27, v28
	v_min3_f16 v16, v16, v17, v25
	v_max_f32_e32 v17, v24, v24
	v_cvt_f32_f16_e32 v16, v16
	v_min_f32_e32 v16, v17, v16
	v_cvt_f16_f32_e32 v16, v16
	global_store_short v[4:5], v16, off
	s_or_b32 exec_lo, exec_lo, s0
	s_and_b32 s1, s1, s8
	s_and_saveexec_b32 s0, s1
	s_cbranch_execz .LBB273_340
.LBB273_351:
	v_cmp_ne_u32_e32 vcc_lo, 1, v75
	v_lshlrev_b64 v[4:5], 1, v[34:35]
	s_cbranch_vccnz .LBB273_353
; %bb.352:
	v_add_co_u32 v16, vcc_lo, v22, v4
	v_add_co_ci_u32_e64 v17, null, v23, v5, vcc_lo
	global_load_ushort v16, v[16:17], off
	s_waitcnt vmcnt(0)
	v_mul_f16_e32 v16, v48, v16
	v_cvt_f32_f16_e32 v16, v16
	s_branch .LBB273_354
.LBB273_353:
	v_mov_b32_e32 v16, 0
.LBB273_354:
	v_pk_add_f16 v17, v18, v6
	v_pk_add_f16 v18, v19, v7
	v_max_f16_e32 v19, v53, v53
	v_lshrrev_b32_e32 v24, 16, v53
	v_max_f32_e32 v16, v16, v16
	v_lshrrev_b32_e32 v25, 16, v17
	v_lshrrev_b32_e32 v26, 16, v18
	v_min_f16_e32 v17, v19, v17
	v_add_co_u32 v4, vcc_lo, v20, v4
	v_add_co_ci_u32_e64 v5, null, v21, v5, vcc_lo
	v_min3_f16 v19, v24, v25, v26
	v_min3_f16 v17, v17, v18, v19
	v_cvt_f32_f16_e32 v17, v17
	v_min_f32_e32 v16, v16, v17
	v_cvt_f16_f32_e32 v16, v16
	global_store_short v[4:5], v16, off
	s_or_b32 exec_lo, exec_lo, s0
	s_and_b32 s1, s2, s8
	s_and_saveexec_b32 s0, s1
	s_cbranch_execz .LBB273_341
.LBB273_355:
	v_cmp_ne_u32_e32 vcc_lo, 1, v75
	v_lshlrev_b64 v[4:5], 1, v[36:37]
	s_cbranch_vccnz .LBB273_357
; %bb.356:
	v_add_co_u32 v16, vcc_lo, v22, v4
	v_add_co_ci_u32_e64 v17, null, v23, v5, vcc_lo
	global_load_ushort v16, v[16:17], off
	s_waitcnt vmcnt(0)
	v_mul_f16_e32 v16, v48, v16
	v_cvt_f32_f16_e32 v16, v16
	s_branch .LBB273_358
.LBB273_357:
	v_mov_b32_e32 v16, 0
.LBB273_358:
	v_pk_add_f16 v12, v12, v6
	v_pk_add_f16 v13, v13, v7
	v_max_f16_e32 v17, v51, v51
	v_lshrrev_b32_e32 v18, 16, v51
	v_add_co_u32 v4, vcc_lo, v20, v4
	v_lshrrev_b32_e32 v19, 16, v12
	v_lshrrev_b32_e32 v24, 16, v13
	v_min_f16_e32 v12, v17, v12
	v_add_co_ci_u32_e64 v5, null, v21, v5, vcc_lo
	v_min3_f16 v17, v18, v19, v24
	v_min3_f16 v12, v12, v13, v17
	v_max_f32_e32 v13, v16, v16
	v_cvt_f32_f16_e32 v12, v12
	v_min_f32_e32 v12, v13, v12
	v_cvt_f16_f32_e32 v12, v12
	global_store_short v[4:5], v12, off
	s_or_b32 exec_lo, exec_lo, s0
	s_and_b32 s1, s3, s8
	s_and_saveexec_b32 s0, s1
	s_cbranch_execz .LBB273_342
.LBB273_359:
	v_cmp_ne_u32_e32 vcc_lo, 1, v75
	v_lshlrev_b64 v[4:5], 1, v[38:39]
	s_cbranch_vccnz .LBB273_361
; %bb.360:
	v_add_co_u32 v12, vcc_lo, v22, v4
	v_add_co_ci_u32_e64 v13, null, v23, v5, vcc_lo
	global_load_ushort v12, v[12:13], off
	s_waitcnt vmcnt(0)
	v_mul_f16_e32 v12, v48, v12
	v_cvt_f32_f16_e32 v12, v12
	s_branch .LBB273_362
.LBB273_361:
	v_mov_b32_e32 v12, 0
.LBB273_362:
	v_pk_add_f16 v13, v14, v6
	v_pk_add_f16 v14, v15, v7
	v_max_f16_e32 v15, v56, v56
	v_lshrrev_b32_e32 v16, 16, v56
	v_max_f32_e32 v12, v12, v12
	v_lshrrev_b32_e32 v17, 16, v13
	v_lshrrev_b32_e32 v18, 16, v14
	v_min_f16_e32 v13, v15, v13
	v_add_co_u32 v4, vcc_lo, v20, v4
	v_add_co_ci_u32_e64 v5, null, v21, v5, vcc_lo
	v_min3_f16 v15, v16, v17, v18
	v_min3_f16 v13, v13, v14, v15
	v_cvt_f32_f16_e32 v13, v13
	v_min_f32_e32 v12, v12, v13
	v_cvt_f16_f32_e32 v12, v12
	global_store_short v[4:5], v12, off
	s_or_b32 exec_lo, exec_lo, s0
	s_and_b32 s1, s4, s8
	s_and_saveexec_b32 s0, s1
	s_cbranch_execz .LBB273_343
.LBB273_363:
	v_cmp_ne_u32_e32 vcc_lo, 1, v75
	v_lshlrev_b64 v[4:5], 1, v[40:41]
	s_cbranch_vccnz .LBB273_365
; %bb.364:
	v_add_co_u32 v12, vcc_lo, v22, v4
	v_add_co_ci_u32_e64 v13, null, v23, v5, vcc_lo
	global_load_ushort v12, v[12:13], off
	s_waitcnt vmcnt(0)
	v_mul_f16_e32 v12, v48, v12
	v_cvt_f32_f16_e32 v12, v12
	s_branch .LBB273_366
.LBB273_365:
	v_mov_b32_e32 v12, 0
.LBB273_366:
	v_pk_add_f16 v8, v8, v6
	v_pk_add_f16 v9, v9, v7
	v_max_f16_e32 v13, v54, v54
	v_lshrrev_b32_e32 v14, 16, v54
	v_add_co_u32 v4, vcc_lo, v20, v4
	v_lshrrev_b32_e32 v15, 16, v8
	v_lshrrev_b32_e32 v16, 16, v9
	v_min_f16_e32 v8, v13, v8
	v_add_co_ci_u32_e64 v5, null, v21, v5, vcc_lo
	v_min3_f16 v13, v14, v15, v16
	v_min3_f16 v8, v8, v9, v13
	v_max_f32_e32 v9, v12, v12
	v_cvt_f32_f16_e32 v8, v8
	v_min_f32_e32 v8, v9, v8
	v_cvt_f16_f32_e32 v8, v8
	global_store_short v[4:5], v8, off
	s_or_b32 exec_lo, exec_lo, s0
	s_and_b32 s1, s5, s8
	s_and_saveexec_b32 s0, s1
	s_cbranch_execz .LBB273_344
.LBB273_367:
	v_cmp_ne_u32_e32 vcc_lo, 1, v75
	v_lshlrev_b64 v[4:5], 1, v[42:43]
	s_cbranch_vccnz .LBB273_369
; %bb.368:
	v_add_co_u32 v8, vcc_lo, v22, v4
	v_add_co_ci_u32_e64 v9, null, v23, v5, vcc_lo
	global_load_ushort v8, v[8:9], off
	s_waitcnt vmcnt(0)
	v_mul_f16_e32 v8, v48, v8
	v_cvt_f32_f16_e32 v8, v8
	s_branch .LBB273_370
.LBB273_369:
	v_mov_b32_e32 v8, 0
.LBB273_370:
	v_pk_add_f16 v9, v10, v6
	v_pk_add_f16 v10, v11, v7
	v_max_f16_e32 v11, v52, v52
	v_lshrrev_b32_e32 v12, 16, v52
	v_max_f32_e32 v8, v8, v8
	v_lshrrev_b32_e32 v13, 16, v9
	v_lshrrev_b32_e32 v14, 16, v10
	v_min_f16_e32 v9, v11, v9
	v_add_co_u32 v4, vcc_lo, v20, v4
	v_add_co_ci_u32_e64 v5, null, v21, v5, vcc_lo
	v_min3_f16 v11, v12, v13, v14
	v_min3_f16 v9, v9, v10, v11
	v_cvt_f32_f16_e32 v9, v9
	v_min_f32_e32 v8, v8, v9
	v_cvt_f16_f32_e32 v8, v8
	global_store_short v[4:5], v8, off
	s_or_b32 exec_lo, exec_lo, s0
	s_and_b32 s1, s6, s8
	s_and_saveexec_b32 s0, s1
	s_cbranch_execz .LBB273_345
.LBB273_371:
	v_cmp_ne_u32_e32 vcc_lo, 1, v75
	v_lshlrev_b64 v[4:5], 1, v[44:45]
	s_cbranch_vccnz .LBB273_373
; %bb.372:
	v_add_co_u32 v8, vcc_lo, v22, v4
	v_add_co_ci_u32_e64 v9, null, v23, v5, vcc_lo
	global_load_ushort v8, v[8:9], off
	s_waitcnt vmcnt(0)
	v_mul_f16_e32 v8, v48, v8
	v_cvt_f32_f16_e32 v8, v8
	s_branch .LBB273_374
.LBB273_373:
	v_mov_b32_e32 v8, 0
.LBB273_374:
	v_pk_add_f16 v0, v0, v6
	v_pk_add_f16 v1, v1, v7
	v_max_f16_e32 v9, v50, v50
	v_lshrrev_b32_e32 v10, 16, v50
	v_lshrrev_b32_e32 v11, 16, v0
	;; [unrolled: 1-line block ×3, first 2 shown]
	v_min_f16_e32 v0, v9, v0
	v_min3_f16 v9, v10, v11, v12
	v_min3_f16 v0, v0, v1, v9
	v_max_f32_e32 v1, v8, v8
	v_cvt_f32_f16_e32 v0, v0
	v_min_f32_e32 v0, v1, v0
	v_cvt_f16_f32_e32 v8, v0
	v_add_co_u32 v0, vcc_lo, v20, v4
	v_add_co_ci_u32_e64 v1, null, v21, v5, vcc_lo
	global_store_short v[0:1], v8, off
	s_or_b32 exec_lo, exec_lo, s0
	s_and_b32 s0, s7, s8
	s_and_saveexec_b32 s1, s0
	s_cbranch_execz .LBB273_346
.LBB273_375:
	v_cmp_ne_u32_e32 vcc_lo, 1, v75
	v_lshlrev_b64 v[0:1], 1, v[46:47]
	s_cbranch_vccnz .LBB273_377
; %bb.376:
	v_add_co_u32 v4, vcc_lo, v22, v0
	v_add_co_ci_u32_e64 v5, null, v23, v1, vcc_lo
	global_load_ushort v4, v[4:5], off
	s_waitcnt vmcnt(0)
	v_mul_f16_e32 v4, v48, v4
	v_cvt_f32_f16_e32 v4, v4
	s_branch .LBB273_378
.LBB273_377:
	v_mov_b32_e32 v4, 0
.LBB273_378:
	v_pk_add_f16 v2, v2, v6
	v_pk_add_f16 v3, v3, v7
	v_max_f16_e32 v5, v49, v49
	v_lshrrev_b32_e32 v6, 16, v49
	v_add_co_u32 v0, vcc_lo, v20, v0
	v_lshrrev_b32_e32 v7, 16, v2
	v_lshrrev_b32_e32 v8, 16, v3
	v_min_f16_e32 v2, v5, v2
	v_add_co_ci_u32_e64 v1, null, v21, v1, vcc_lo
	v_min3_f16 v5, v6, v7, v8
	v_min3_f16 v2, v2, v3, v5
	v_max_f32_e32 v3, v4, v4
	v_cvt_f32_f16_e32 v2, v2
	v_min_f32_e32 v2, v3, v2
	v_cvt_f16_f32_e32 v2, v2
	global_store_short v[0:1], v2, off
	s_endpgm
	.section	.rodata,"a",@progbits
	.p2align	6, 0x0
	.amdhsa_kernel _ZN12_GLOBAL__N_120geam_min_plus_kernelIDF16_Dv2_DF16_S1_Li8ELi32ELi64ELi256ELi4ELi64ELi4ELi64ELi4ELc78ELc84ELb0ELb1ELb1EPKDF16_S2_DF16_EEviiiT16_PT17_ilS6_ilS4_S6_ilPT18_ili26rocblas_geam_ex_operation_
		.amdhsa_group_segment_fixed_size 5120
		.amdhsa_private_segment_fixed_size 0
		.amdhsa_kernarg_size 136
		.amdhsa_user_sgpr_count 6
		.amdhsa_user_sgpr_private_segment_buffer 1
		.amdhsa_user_sgpr_dispatch_ptr 0
		.amdhsa_user_sgpr_queue_ptr 0
		.amdhsa_user_sgpr_kernarg_segment_ptr 1
		.amdhsa_user_sgpr_dispatch_id 0
		.amdhsa_user_sgpr_flat_scratch_init 0
		.amdhsa_user_sgpr_private_segment_size 0
		.amdhsa_wavefront_size32 1
		.amdhsa_uses_dynamic_stack 0
		.amdhsa_system_sgpr_private_segment_wavefront_offset 0
		.amdhsa_system_sgpr_workgroup_id_x 1
		.amdhsa_system_sgpr_workgroup_id_y 0
		.amdhsa_system_sgpr_workgroup_id_z 1
		.amdhsa_system_sgpr_workgroup_info 0
		.amdhsa_system_vgpr_workitem_id 1
		.amdhsa_next_free_vgpr 165
		.amdhsa_next_free_sgpr 30
		.amdhsa_reserve_vcc 1
		.amdhsa_reserve_flat_scratch 0
		.amdhsa_float_round_mode_32 0
		.amdhsa_float_round_mode_16_64 0
		.amdhsa_float_denorm_mode_32 3
		.amdhsa_float_denorm_mode_16_64 3
		.amdhsa_dx10_clamp 1
		.amdhsa_ieee_mode 1
		.amdhsa_fp16_overflow 0
		.amdhsa_workgroup_processor_mode 1
		.amdhsa_memory_ordered 1
		.amdhsa_forward_progress 1
		.amdhsa_shared_vgpr_count 0
		.amdhsa_exception_fp_ieee_invalid_op 0
		.amdhsa_exception_fp_denorm_src 0
		.amdhsa_exception_fp_ieee_div_zero 0
		.amdhsa_exception_fp_ieee_overflow 0
		.amdhsa_exception_fp_ieee_underflow 0
		.amdhsa_exception_fp_ieee_inexact 0
		.amdhsa_exception_int_div_zero 0
	.end_amdhsa_kernel
	.section	.text._ZN12_GLOBAL__N_120geam_min_plus_kernelIDF16_Dv2_DF16_S1_Li8ELi32ELi64ELi256ELi4ELi64ELi4ELi64ELi4ELc78ELc84ELb0ELb1ELb1EPKDF16_S2_DF16_EEviiiT16_PT17_ilS6_ilS4_S6_ilPT18_ili26rocblas_geam_ex_operation_,"axG",@progbits,_ZN12_GLOBAL__N_120geam_min_plus_kernelIDF16_Dv2_DF16_S1_Li8ELi32ELi64ELi256ELi4ELi64ELi4ELi64ELi4ELc78ELc84ELb0ELb1ELb1EPKDF16_S2_DF16_EEviiiT16_PT17_ilS6_ilS4_S6_ilPT18_ili26rocblas_geam_ex_operation_,comdat
.Lfunc_end273:
	.size	_ZN12_GLOBAL__N_120geam_min_plus_kernelIDF16_Dv2_DF16_S1_Li8ELi32ELi64ELi256ELi4ELi64ELi4ELi64ELi4ELc78ELc84ELb0ELb1ELb1EPKDF16_S2_DF16_EEviiiT16_PT17_ilS6_ilS4_S6_ilPT18_ili26rocblas_geam_ex_operation_, .Lfunc_end273-_ZN12_GLOBAL__N_120geam_min_plus_kernelIDF16_Dv2_DF16_S1_Li8ELi32ELi64ELi256ELi4ELi64ELi4ELi64ELi4ELc78ELc84ELb0ELb1ELb1EPKDF16_S2_DF16_EEviiiT16_PT17_ilS6_ilS4_S6_ilPT18_ili26rocblas_geam_ex_operation_
                                        ; -- End function
	.set _ZN12_GLOBAL__N_120geam_min_plus_kernelIDF16_Dv2_DF16_S1_Li8ELi32ELi64ELi256ELi4ELi64ELi4ELi64ELi4ELc78ELc84ELb0ELb1ELb1EPKDF16_S2_DF16_EEviiiT16_PT17_ilS6_ilS4_S6_ilPT18_ili26rocblas_geam_ex_operation_.num_vgpr, 165
	.set _ZN12_GLOBAL__N_120geam_min_plus_kernelIDF16_Dv2_DF16_S1_Li8ELi32ELi64ELi256ELi4ELi64ELi4ELi64ELi4ELc78ELc84ELb0ELb1ELb1EPKDF16_S2_DF16_EEviiiT16_PT17_ilS6_ilS4_S6_ilPT18_ili26rocblas_geam_ex_operation_.num_agpr, 0
	.set _ZN12_GLOBAL__N_120geam_min_plus_kernelIDF16_Dv2_DF16_S1_Li8ELi32ELi64ELi256ELi4ELi64ELi4ELi64ELi4ELc78ELc84ELb0ELb1ELb1EPKDF16_S2_DF16_EEviiiT16_PT17_ilS6_ilS4_S6_ilPT18_ili26rocblas_geam_ex_operation_.numbered_sgpr, 30
	.set _ZN12_GLOBAL__N_120geam_min_plus_kernelIDF16_Dv2_DF16_S1_Li8ELi32ELi64ELi256ELi4ELi64ELi4ELi64ELi4ELc78ELc84ELb0ELb1ELb1EPKDF16_S2_DF16_EEviiiT16_PT17_ilS6_ilS4_S6_ilPT18_ili26rocblas_geam_ex_operation_.num_named_barrier, 0
	.set _ZN12_GLOBAL__N_120geam_min_plus_kernelIDF16_Dv2_DF16_S1_Li8ELi32ELi64ELi256ELi4ELi64ELi4ELi64ELi4ELc78ELc84ELb0ELb1ELb1EPKDF16_S2_DF16_EEviiiT16_PT17_ilS6_ilS4_S6_ilPT18_ili26rocblas_geam_ex_operation_.private_seg_size, 0
	.set _ZN12_GLOBAL__N_120geam_min_plus_kernelIDF16_Dv2_DF16_S1_Li8ELi32ELi64ELi256ELi4ELi64ELi4ELi64ELi4ELc78ELc84ELb0ELb1ELb1EPKDF16_S2_DF16_EEviiiT16_PT17_ilS6_ilS4_S6_ilPT18_ili26rocblas_geam_ex_operation_.uses_vcc, 1
	.set _ZN12_GLOBAL__N_120geam_min_plus_kernelIDF16_Dv2_DF16_S1_Li8ELi32ELi64ELi256ELi4ELi64ELi4ELi64ELi4ELc78ELc84ELb0ELb1ELb1EPKDF16_S2_DF16_EEviiiT16_PT17_ilS6_ilS4_S6_ilPT18_ili26rocblas_geam_ex_operation_.uses_flat_scratch, 0
	.set _ZN12_GLOBAL__N_120geam_min_plus_kernelIDF16_Dv2_DF16_S1_Li8ELi32ELi64ELi256ELi4ELi64ELi4ELi64ELi4ELc78ELc84ELb0ELb1ELb1EPKDF16_S2_DF16_EEviiiT16_PT17_ilS6_ilS4_S6_ilPT18_ili26rocblas_geam_ex_operation_.has_dyn_sized_stack, 0
	.set _ZN12_GLOBAL__N_120geam_min_plus_kernelIDF16_Dv2_DF16_S1_Li8ELi32ELi64ELi256ELi4ELi64ELi4ELi64ELi4ELc78ELc84ELb0ELb1ELb1EPKDF16_S2_DF16_EEviiiT16_PT17_ilS6_ilS4_S6_ilPT18_ili26rocblas_geam_ex_operation_.has_recursion, 0
	.set _ZN12_GLOBAL__N_120geam_min_plus_kernelIDF16_Dv2_DF16_S1_Li8ELi32ELi64ELi256ELi4ELi64ELi4ELi64ELi4ELc78ELc84ELb0ELb1ELb1EPKDF16_S2_DF16_EEviiiT16_PT17_ilS6_ilS4_S6_ilPT18_ili26rocblas_geam_ex_operation_.has_indirect_call, 0
	.section	.AMDGPU.csdata,"",@progbits
; Kernel info:
; codeLenInByte = 23268
; TotalNumSgprs: 32
; NumVgprs: 165
; ScratchSize: 0
; MemoryBound: 0
; FloatMode: 240
; IeeeMode: 1
; LDSByteSize: 5120 bytes/workgroup (compile time only)
; SGPRBlocks: 0
; VGPRBlocks: 20
; NumSGPRsForWavesPerEU: 32
; NumVGPRsForWavesPerEU: 165
; Occupancy: 5
; WaveLimiterHint : 0
; COMPUTE_PGM_RSRC2:SCRATCH_EN: 0
; COMPUTE_PGM_RSRC2:USER_SGPR: 6
; COMPUTE_PGM_RSRC2:TRAP_HANDLER: 0
; COMPUTE_PGM_RSRC2:TGID_X_EN: 1
; COMPUTE_PGM_RSRC2:TGID_Y_EN: 0
; COMPUTE_PGM_RSRC2:TGID_Z_EN: 1
; COMPUTE_PGM_RSRC2:TIDIG_COMP_CNT: 1
	.section	.text._ZN12_GLOBAL__N_120geam_min_plus_kernelIDF16_Dv2_DF16_S1_Li8ELi32ELi64ELi256ELi4ELi64ELi4ELi64ELi4ELc78ELc84ELb1ELb1ELb1EDF16_KDF16_DF16_EEviiiT16_PT17_ilS5_ilS3_S5_ilPT18_ili26rocblas_geam_ex_operation_,"axG",@progbits,_ZN12_GLOBAL__N_120geam_min_plus_kernelIDF16_Dv2_DF16_S1_Li8ELi32ELi64ELi256ELi4ELi64ELi4ELi64ELi4ELc78ELc84ELb1ELb1ELb1EDF16_KDF16_DF16_EEviiiT16_PT17_ilS5_ilS3_S5_ilPT18_ili26rocblas_geam_ex_operation_,comdat
	.globl	_ZN12_GLOBAL__N_120geam_min_plus_kernelIDF16_Dv2_DF16_S1_Li8ELi32ELi64ELi256ELi4ELi64ELi4ELi64ELi4ELc78ELc84ELb1ELb1ELb1EDF16_KDF16_DF16_EEviiiT16_PT17_ilS5_ilS3_S5_ilPT18_ili26rocblas_geam_ex_operation_ ; -- Begin function _ZN12_GLOBAL__N_120geam_min_plus_kernelIDF16_Dv2_DF16_S1_Li8ELi32ELi64ELi256ELi4ELi64ELi4ELi64ELi4ELc78ELc84ELb1ELb1ELb1EDF16_KDF16_DF16_EEviiiT16_PT17_ilS5_ilS3_S5_ilPT18_ili26rocblas_geam_ex_operation_
	.p2align	8
	.type	_ZN12_GLOBAL__N_120geam_min_plus_kernelIDF16_Dv2_DF16_S1_Li8ELi32ELi64ELi256ELi4ELi64ELi4ELi64ELi4ELc78ELc84ELb1ELb1ELb1EDF16_KDF16_DF16_EEviiiT16_PT17_ilS5_ilS3_S5_ilPT18_ili26rocblas_geam_ex_operation_,@function
_ZN12_GLOBAL__N_120geam_min_plus_kernelIDF16_Dv2_DF16_S1_Li8ELi32ELi64ELi256ELi4ELi64ELi4ELi64ELi4ELc78ELc84ELb1ELb1ELb1EDF16_KDF16_DF16_EEviiiT16_PT17_ilS5_ilS3_S5_ilPT18_ili26rocblas_geam_ex_operation_: ; @_ZN12_GLOBAL__N_120geam_min_plus_kernelIDF16_Dv2_DF16_S1_Li8ELi32ELi64ELi256ELi4ELi64ELi4ELi64ELi4ELc78ELc84ELb1ELb1ELb1EDF16_KDF16_DF16_EEviiiT16_PT17_ilS5_ilS3_S5_ilPT18_ili26rocblas_geam_ex_operation_
; %bb.0:
	s_clause 0x1
	s_load_dwordx4 s[12:15], s[4:5], 0x0
	s_load_dwordx4 s[0:3], s[4:5], 0x20
	s_waitcnt lgkmcnt(0)
	v_cmp_eq_f16_e64 s8, s15, 0
	s_and_b32 vcc_lo, exec_lo, s8
	s_cbranch_vccnz .LBB274_53
; %bb.1:
	s_load_dwordx2 s[10:11], s[4:5], 0x10
	s_mul_i32 s1, s1, s7
	s_mul_hi_u32 s9, s0, s7
	s_mul_i32 s0, s0, s7
	s_add_i32 s1, s9, s1
	s_lshl_b64 s[0:1], s[0:1], 1
	s_waitcnt lgkmcnt(0)
	s_add_u32 s18, s10, s0
	s_addc_u32 s19, s11, s1
	s_andn2_b32 vcc_lo, exec_lo, s8
	s_mov_b32 s0, -1
	s_cbranch_vccnz .LBB274_3
.LBB274_2:
	s_mov_b32 s0, 0
.LBB274_3:
	s_mov_b64 s[16:17], 0
	s_andn2_b32 vcc_lo, exec_lo, s0
	s_mov_b64 s[20:21], 0
	s_cbranch_vccnz .LBB274_5
; %bb.4:
	s_load_dwordx2 s[0:1], s[4:5], 0x38
	s_waitcnt lgkmcnt(0)
	s_mul_i32 s1, s1, s7
	s_mul_hi_u32 s8, s0, s7
	s_mul_i32 s0, s0, s7
	s_add_i32 s1, s8, s1
	s_lshl_b64 s[0:1], s[0:1], 1
	s_add_u32 s20, s2, s0
	s_addc_u32 s21, s3, s1
.LBB274_5:
	s_clause 0x1
	s_load_dword s15, s[4:5], 0x40
	s_load_dwordx4 s[8:11], s[4:5], 0x58
	s_waitcnt lgkmcnt(0)
	v_cmp_eq_f16_e64 s0, s15, 0
	v_cmp_neq_f16_e64 s26, s15, 0
	s_and_b32 vcc_lo, exec_lo, s0
	s_cbranch_vccnz .LBB274_7
; %bb.6:
	s_load_dwordx2 s[0:1], s[4:5], 0x48
	s_mul_i32 s2, s9, s7
	s_mul_hi_u32 s3, s8, s7
	s_add_i32 s3, s3, s2
	s_mul_i32 s2, s8, s7
	s_lshl_b64 s[2:3], s[2:3], 1
	s_waitcnt lgkmcnt(0)
	s_add_u32 s16, s0, s2
	s_addc_u32 s17, s1, s3
.LBB274_7:
	s_add_i32 s0, s12, -1
	s_load_dword s22, s[4:5], 0x18
	s_ashr_i32 s1, s0, 31
	v_mov_b32_e32 v4, 0x7c00
	s_lshr_b32 s1, s1, 26
	s_add_i32 s0, s0, s1
	s_ashr_i32 s0, s0, 6
	s_add_i32 s2, s0, 1
	s_not_b32 s0, s0
	v_cvt_f32_u32_e32 v2, s2
	v_rcp_iflag_f32_e32 v2, v2
	s_waitcnt lgkmcnt(0)
	s_ashr_i32 s23, s22, 31
	v_mul_f32_e32 v2, 0x4f7ffffe, v2
	v_cvt_u32_f32_e32 v2, v2
	v_readfirstlane_b32 s1, v2
	v_lshl_add_u32 v2, v1, 3, v0
	s_mul_i32 s0, s0, s1
	v_and_b32_e32 v3, 63, v2
	s_mul_hi_u32 s0, s1, s0
	v_lshrrev_b32_e32 v43, 6, v2
	s_add_i32 s1, s1, s0
	v_mov_b32_e32 v2, 0x7c00
	s_mul_hi_u32 s0, s6, s1
	s_mul_i32 s1, s0, s2
	s_add_i32 s3, s0, 1
	s_sub_i32 s1, s6, s1
	s_sub_i32 s8, s1, s2
	s_cmp_ge_u32 s1, s2
	s_cselect_b32 s0, s3, s0
	s_cselect_b32 s1, s8, s1
	s_add_i32 s3, s0, 1
	s_cmp_ge_u32 s1, s2
	s_cselect_b32 s1, s3, s0
	s_mul_i32 s0, s1, s2
	s_sub_i32 s0, s6, s0
	v_cmp_le_i32_e64 s6, s14, v43
	s_lshl_b32 s9, s0, 6
	v_or_b32_e32 v22, s9, v3
	v_cmp_le_i32_e32 vcc_lo, s12, v22
	v_ashrrev_i32_e32 v23, 31, v22
	s_nor_b32 s0, vcc_lo, s6
	s_and_saveexec_b32 s2, s0
	s_cbranch_execz .LBB274_9
; %bb.8:
	v_mad_i64_i32 v[4:5], null, s22, v43, 0
	v_lshlrev_b64 v[6:7], 1, v[22:23]
	v_lshlrev_b64 v[4:5], 1, v[4:5]
	v_add_co_u32 v4, s0, s18, v4
	v_add_co_ci_u32_e64 v5, null, s19, v5, s0
	v_add_co_u32 v4, s0, v4, v6
	v_add_co_ci_u32_e64 v5, null, v5, v7, s0
	global_load_ushort v4, v[4:5], off
.LBB274_9:
	s_or_b32 exec_lo, exec_lo, s2
	s_load_dword s24, s[4:5], 0x30
	s_lshl_b32 s27, s1, 8
	v_or_b32_e32 v24, s27, v3
	v_cmp_le_i32_e64 s0, s13, v24
	v_ashrrev_i32_e32 v25, 31, v24
	s_waitcnt lgkmcnt(0)
	v_mad_i64_i32 v[5:6], null, v43, s24, 0
	v_lshlrev_b64 v[5:6], 1, v[5:6]
	v_add_co_u32 v8, s1, s20, v5
	v_add_co_ci_u32_e64 v9, null, s21, v6, s1
	s_nor_b32 s1, s0, s6
	s_and_saveexec_b32 s2, s1
	s_cbranch_execz .LBB274_11
; %bb.10:
	v_lshlrev_b64 v[5:6], 1, v[24:25]
	v_add_co_u32 v5, s1, v8, v5
	v_add_co_ci_u32_e64 v6, null, v9, v6, s1
	global_load_ushort v2, v[5:6], off
.LBB274_11:
	s_or_b32 exec_lo, exec_lo, s2
	v_or_b32_e32 v5, 64, v24
	v_mov_b32_e32 v6, 0x7c00
	v_cmp_le_i32_e64 s1, s13, v5
	v_mov_b32_e32 v5, 0x7c00
	s_nor_b32 s2, s1, s6
	s_and_saveexec_b32 s3, s2
	s_cbranch_execz .LBB274_13
; %bb.12:
	v_lshlrev_b64 v[6:7], 1, v[24:25]
	v_add_co_u32 v6, s2, v8, v6
	v_add_co_ci_u32_e64 v7, null, v9, v7, s2
	global_load_ushort v6, v[6:7], off offset:128
.LBB274_13:
	s_or_b32 exec_lo, exec_lo, s3
	v_or_b32_e32 v7, 0x80, v24
	s_ashr_i32 s25, s24, 31
	v_cmp_le_i32_e64 s2, s13, v7
	s_nor_b32 s3, s2, s6
	s_and_saveexec_b32 s8, s3
	s_cbranch_execz .LBB274_15
; %bb.14:
	v_lshlrev_b64 v[10:11], 1, v[24:25]
	v_add_co_u32 v10, s3, v8, v10
	v_add_co_ci_u32_e64 v11, null, v9, v11, s3
	global_load_ushort v5, v[10:11], off offset:256
.LBB274_15:
	s_or_b32 exec_lo, exec_lo, s8
	v_or_b32_e32 v7, 0xc0, v24
	v_mov_b32_e32 v26, 0x7c00
	v_cmp_le_i32_e64 s3, s13, v7
	v_mov_b32_e32 v7, 0x7c00
	s_nor_b32 s6, s3, s6
	s_and_saveexec_b32 s8, s6
	s_cbranch_execz .LBB274_17
; %bb.16:
	v_lshlrev_b64 v[10:11], 1, v[24:25]
	v_add_co_u32 v7, s6, v8, v10
	v_add_co_ci_u32_e64 v8, null, v9, v11, s6
	global_load_ushort v7, v[7:8], off offset:384
.LBB274_17:
	s_or_b32 exec_lo, exec_lo, s8
	v_add_nc_u32_e32 v8, 4, v43
	v_cmp_le_i32_e64 s6, s14, v8
	s_nor_b32 s8, vcc_lo, s6
	s_and_saveexec_b32 s28, s8
	s_cbranch_execz .LBB274_19
; %bb.18:
	v_mad_u64_u32 v[9:10], null, s22, v8, 0
	v_mad_u64_u32 v[10:11], null, s23, v8, v[10:11]
	v_lshlrev_b64 v[11:12], 1, v[22:23]
	v_lshlrev_b64 v[9:10], 1, v[9:10]
	v_add_co_u32 v9, s8, s18, v9
	v_add_co_ci_u32_e64 v10, null, s19, v10, s8
	v_add_co_u32 v9, s8, v9, v11
	v_add_co_ci_u32_e64 v10, null, v10, v12, s8
	global_load_ushort v26, v[9:10], off
.LBB274_19:
	s_or_b32 exec_lo, exec_lo, s28
	v_mad_u64_u32 v[9:10], null, v8, s24, 0
	v_mov_b32_e32 v27, 0x7c00
	v_mov_b32_e32 v28, 0x7c00
	v_mad_u64_u32 v[10:11], null, v8, s25, v[10:11]
	v_lshlrev_b64 v[8:9], 1, v[9:10]
	v_add_co_u32 v8, s8, s20, v8
	v_add_co_ci_u32_e64 v9, null, s21, v9, s8
	s_nor_b32 s8, s0, s6
	s_and_saveexec_b32 s28, s8
	s_cbranch_execz .LBB274_21
; %bb.20:
	v_lshlrev_b64 v[10:11], 1, v[24:25]
	v_add_co_u32 v10, s8, v8, v10
	v_add_co_ci_u32_e64 v11, null, v9, v11, s8
	global_load_ushort v28, v[10:11], off
.LBB274_21:
	s_or_b32 exec_lo, exec_lo, s28
	s_nor_b32 s8, s1, s6
	s_and_saveexec_b32 s28, s8
	s_cbranch_execz .LBB274_23
; %bb.22:
	v_lshlrev_b64 v[10:11], 1, v[24:25]
	v_add_co_u32 v10, s8, v8, v10
	v_add_co_ci_u32_e64 v11, null, v9, v11, s8
	global_load_ushort v27, v[10:11], off offset:128
.LBB274_23:
	s_or_b32 exec_lo, exec_lo, s28
	v_mov_b32_e32 v29, 0x7c00
	v_mov_b32_e32 v30, 0x7c00
	s_nor_b32 s8, s2, s6
	s_and_saveexec_b32 s28, s8
	s_cbranch_execz .LBB274_25
; %bb.24:
	v_lshlrev_b64 v[10:11], 1, v[24:25]
	v_add_co_u32 v10, s8, v8, v10
	v_add_co_ci_u32_e64 v11, null, v9, v11, s8
	global_load_ushort v30, v[10:11], off offset:256
.LBB274_25:
	s_or_b32 exec_lo, exec_lo, s28
	s_nor_b32 s6, s3, s6
	s_and_saveexec_b32 s8, s6
	s_cbranch_execz .LBB274_27
; %bb.26:
	v_lshlrev_b64 v[10:11], 1, v[24:25]
	v_add_co_u32 v8, s6, v8, v10
	v_add_co_ci_u32_e64 v9, null, v9, v11, s6
	global_load_ushort v29, v[8:9], off offset:384
.LBB274_27:
	s_or_b32 exec_lo, exec_lo, s8
	v_lshlrev_b32_e32 v3, 3, v3
	v_lshlrev_b32_e32 v45, 3, v0
	;; [unrolled: 1-line block ×3, first 2 shown]
	s_cmp_lt_i32 s14, 9
	v_lshl_add_u32 v46, v43, 1, v3
	v_add_nc_u32_e32 v3, 0x1000, v45
	s_waitcnt vmcnt(0)
	ds_write_b16 v46, v4 offset:4096
	ds_write_b16 v46, v2
	ds_write_b16 v46, v6 offset:512
	ds_write_b16 v46, v5 offset:1024
	;; [unrolled: 1-line block ×3, first 2 shown]
	s_waitcnt lgkmcnt(0)
	s_barrier
	buffer_gl0_inv
	ds_read2_b64 v[18:21], v3 offset1:8
	ds_read2_b64 v[31:34], v44 offset1:32
	ds_read2_b64 v[14:17], v3 offset0:16 offset1:24
	ds_read2_b64 v[10:13], v3 offset0:32 offset1:40
	;; [unrolled: 1-line block ×6, first 2 shown]
	ds_write_b16 v46, v26 offset:4608
	ds_write_b16 v46, v28 offset:2048
	;; [unrolled: 1-line block ×5, first 2 shown]
	s_waitcnt lgkmcnt(0)
	s_barrier
	buffer_gl0_inv
	v_pk_add_f16 v47, v18, v31
	v_pk_add_f16 v48, v20, v31
	;; [unrolled: 1-line block ×64, first 2 shown]
	v_pk_min_f16 v47, 0x7c00, v47 op_sel_hi:[0,1]
	v_pk_add_f16 v79, v21, v32
	v_pk_min_f16 v48, 0x7c00, v48 op_sel_hi:[0,1]
	v_pk_add_f16 v80, v15, v32
	;; [unrolled: 2-line block ×4, first 2 shown]
	v_pk_add_f16 v4, v11, v32
	v_pk_min_f16 v8, 0x7c00, v51 op_sel_hi:[0,1]
	v_pk_min_f16 v122, v47, v77
	v_pk_min_f16 v121, v48, v79
	;; [unrolled: 1-line block ×4, first 2 shown]
	v_pk_add_f16 v47, v13, v32
	v_pk_min_f16 v48, 0x7c00, v52 op_sel_hi:[0,1]
	v_pk_add_f16 v49, v3, v32
	v_pk_min_f16 v50, 0x7c00, v53 op_sel_hi:[0,1]
	;; [unrolled: 2-line block ×3, first 2 shown]
	v_pk_min_f16 v118, v8, v4
	v_pk_add_f16 v4, v21, v34
	v_pk_min_f16 v8, 0x7c00, v55 op_sel_hi:[0,1]
	v_pk_add_f16 v51, v19, v34
	v_pk_min_f16 v52, 0x7c00, v54 op_sel_hi:[0,1]
	v_pk_min_f16 v117, v48, v47
	v_pk_min_f16 v47, v50, v49
	;; [unrolled: 1-line block ×3, first 2 shown]
	v_pk_add_f16 v31, v15, v34
	v_pk_min_f16 v32, 0x7c00, v56 op_sel_hi:[0,1]
	v_pk_add_f16 v48, v17, v34
	v_pk_min_f16 v49, 0x7c00, v57 op_sel_hi:[0,1]
	v_pk_min_f16 v104, v8, v4
	v_pk_add_f16 v4, v3, v34
	v_pk_min_f16 v8, 0x7c00, v60 op_sel_hi:[0,1]
	v_pk_min_f16 v105, v52, v51
	v_pk_add_f16 v50, v11, v34
	v_pk_min_f16 v51, 0x7c00, v58 op_sel_hi:[0,1]
	v_pk_add_f16 v52, v13, v34
	v_pk_min_f16 v102, v32, v31
	v_pk_min_f16 v101, v49, v48
	v_pk_add_f16 v31, v5, v34
	v_pk_min_f16 v32, 0x7c00, v33 op_sel_hi:[0,1]
	v_pk_add_f16 v33, v19, v36
	v_pk_min_f16 v34, 0x7c00, v61 op_sel_hi:[0,1]
	;; [unrolled: 2-line block ×3, first 2 shown]
	v_pk_min_f16 v98, v8, v4
	v_pk_add_f16 v4, v17, v36
	v_pk_min_f16 v8, 0x7c00, v64 op_sel_hi:[0,1]
	v_pk_min_f16 v100, v51, v50
	v_pk_add_f16 v50, v15, v36
	v_pk_min_f16 v97, v32, v31
	v_pk_min_f16 v94, v34, v33
	v_pk_min_f16 v93, v49, v48
	v_pk_add_f16 v31, v11, v36
	v_pk_min_f16 v32, 0x7c00, v65 op_sel_hi:[0,1]
	v_pk_add_f16 v33, v13, v36
	v_pk_min_f16 v34, 0x7c00, v66 op_sel_hi:[0,1]
	v_pk_add_f16 v48, v3, v36
	v_pk_add_f16 v36, v5, v36
	v_pk_min_f16 v35, 0x7c00, v35 op_sel_hi:[0,1]
	v_pk_min_f16 v88, v8, v4
	v_pk_add_f16 v4, v19, v38
	v_pk_min_f16 v8, 0x7c00, v68 op_sel_hi:[0,1]
	v_pk_min_f16 v49, 0x7c00, v67 op_sel_hi:[0,1]
	v_pk_min_f16 v85, v32, v31
	v_pk_min_f16 v86, v34, v33
	;; [unrolled: 1-line block ×3, first 2 shown]
	v_pk_add_f16 v31, v21, v38
	v_pk_min_f16 v32, 0x7c00, v69 op_sel_hi:[0,1]
	v_pk_add_f16 v33, v15, v38
	v_pk_min_f16 v34, 0x7c00, v70 op_sel_hi:[0,1]
	;; [unrolled: 2-line block ×3, first 2 shown]
	v_pk_min_f16 v91, v8, v4
	v_pk_add_f16 v4, v13, v38
	v_pk_min_f16 v8, 0x7c00, v73 op_sel_hi:[0,1]
	v_pk_min_f16 v96, v49, v48
	v_pk_add_f16 v48, v11, v38
	v_pk_min_f16 v89, v32, v31
	v_pk_min_f16 v87, v34, v33
	;; [unrolled: 1-line block ×3, first 2 shown]
	v_pk_add_f16 v31, v3, v38
	v_pk_min_f16 v32, 0x7c00, v74 op_sel_hi:[0,1]
	v_pk_add_f16 v33, v5, v38
	v_pk_min_f16 v34, 0x7c00, v37 op_sel_hi:[0,1]
	;; [unrolled: 2-line block ×4, first 2 shown]
	v_pk_min_f16 v82, v8, v4
	v_pk_add_f16 v4, v15, v40
	v_pk_min_f16 v8, 0x7c00, v78 op_sel_hi:[0,1]
	v_pk_min_f16 v81, v32, v31
	v_pk_min_f16 v80, v34, v33
	;; [unrolled: 1-line block ×4, first 2 shown]
	v_pk_add_f16 v31, v17, v40
	v_pk_min_f16 v32, 0x7c00, v92 op_sel_hi:[0,1]
	v_pk_add_f16 v33, v11, v40
	v_pk_min_f16 v34, 0x7c00, v103 op_sel_hi:[0,1]
	;; [unrolled: 2-line block ×4, first 2 shown]
	v_pk_min_f16 v78, v8, v4
	v_pk_add_f16 v4, v5, v40
	v_pk_min_f16 v8, 0x7c00, v39 op_sel_hi:[0,1]
	v_pk_min_f16 v49, 0x7c00, v72 op_sel_hi:[0,1]
	v_pk_min_f16 v76, v32, v31
	v_pk_min_f16 v75, v34, v33
	;; [unrolled: 1-line block ×4, first 2 shown]
	v_pk_add_f16 v31, v19, v42
	v_pk_min_f16 v32, 0x7c00, v109 op_sel_hi:[0,1]
	v_pk_add_f16 v33, v21, v42
	v_pk_min_f16 v34, 0x7c00, v110 op_sel_hi:[0,1]
	v_pk_add_f16 v35, v15, v42
	v_pk_min_f16 v36, 0x7c00, v111 op_sel_hi:[0,1]
	v_pk_add_f16 v37, v17, v42
	v_pk_min_f16 v38, 0x7c00, v112 op_sel_hi:[0,1]
	v_pk_min_f16 v72, v8, v4
	v_pk_add_f16 v4, v11, v42
	v_pk_min_f16 v8, 0x7c00, v113 op_sel_hi:[0,1]
	v_pk_min_f16 v71, v32, v31
	v_pk_min_f16 v70, v34, v33
	;; [unrolled: 1-line block ×4, first 2 shown]
	v_pk_add_f16 v31, v13, v42
	v_pk_min_f16 v32, 0x7c00, v114 op_sel_hi:[0,1]
	v_pk_add_f16 v33, v3, v42
	v_pk_min_f16 v34, 0x7c00, v115 op_sel_hi:[0,1]
	;; [unrolled: 2-line block ×4, first 2 shown]
	v_pk_min_f16 v67, v8, v4
	v_pk_add_f16 v4, v21, v7
	v_pk_min_f16 v8, 0x7c00, v123 op_sel_hi:[0,1]
	v_pk_min_f16 v53, 0x7c00, v59 op_sel_hi:[0,1]
	;; [unrolled: 1-line block ×3, first 2 shown]
	v_pk_min_f16 v66, v32, v31
	v_pk_min_f16 v63, v34, v33
	;; [unrolled: 1-line block ×4, first 2 shown]
	v_pk_add_f16 v31, v15, v7
	v_pk_add_f16 v33, v17, v7
	;; [unrolled: 1-line block ×4, first 2 shown]
	v_pk_min_f16 v59, v8, v4
	v_pk_add_f16 v4, v3, v7
	v_pk_min_f16 v8, 0x7c00, v128 op_sel_hi:[0,1]
	v_pk_add_f16 v7, v5, v7
	v_pk_min_f16 v6, 0x7c00, v6 op_sel_hi:[0,1]
	v_pk_min_f16 v99, v53, v52
	v_pk_min_f16 v90, v51, v50
	v_pk_min_f16 v32, 0x7c00, v124 op_sel_hi:[0,1]
	v_pk_min_f16 v34, 0x7c00, v125 op_sel_hi:[0,1]
	;; [unrolled: 1-line block ×4, first 2 shown]
	v_pk_add_f16 v19, v19, v9
	v_pk_min_f16 v18, 0x7c00, v18 op_sel_hi:[0,1]
	v_pk_add_f16 v21, v21, v9
	v_pk_min_f16 v20, 0x7c00, v20 op_sel_hi:[0,1]
	;; [unrolled: 2-line block ×3, first 2 shown]
	v_pk_min_f16 v51, v8, v4
	v_pk_min_f16 v52, v6, v7
	v_pk_add_f16 v4, v17, v9
	v_pk_min_f16 v6, 0x7c00, v16 op_sel_hi:[0,1]
	v_pk_add_f16 v7, v11, v9
	v_pk_min_f16 v8, 0x7c00, v10 op_sel_hi:[0,1]
	;; [unrolled: 2-line block ×5, first 2 shown]
	v_pk_min_f16 v83, v49, v48
	v_pk_min_f16 v57, v32, v31
	;; [unrolled: 1-line block ×13, first 2 shown]
	s_cbranch_scc1 .LBB274_50
; %bb.28:
	v_add_nc_u32_e32 v2, v44, v0
	v_lshlrev_b64 v[37:38], 1, v[24:25]
	v_or_b32_e32 v92, 0x1000, v46
	v_or_b32_e32 v103, 0x1000, v45
	v_add_nc_u32_e32 v107, 0x1200, v46
	v_lshrrev_b32_e32 v4, 6, v2
	v_lshlrev_b64 v[2:3], 1, v[22:23]
	v_or_b32_e32 v108, 0x800, v46
	v_lshl_add_u32 v109, v0, 3, 0x1200
	v_or_b32_e32 v110, 0x800, v44
	v_add_nc_u32_e32 v6, 8, v4
	v_add_nc_u32_e32 v10, 12, v4
	v_add_co_u32 v111, s6, s18, v2
	v_add_co_ci_u32_e64 v112, null, s19, v3, s6
	v_mad_i64_i32 v[4:5], null, v6, s24, 0
	v_mad_i64_i32 v[8:9], null, v10, s24, 0
	;; [unrolled: 1-line block ×4, first 2 shown]
	v_lshlrev_b64 v[4:5], 1, v[4:5]
	s_add_i32 s28, s14, -8
	v_lshlrev_b64 v[2:3], 1, v[8:9]
	s_lshl_b64 s[18:19], s[22:23], 4
	v_lshlrev_b64 v[39:40], 1, v[6:7]
	s_mov_b32 s22, 0
	v_add_co_u32 v113, s6, s20, v4
	v_add_co_ci_u32_e64 v114, null, s21, v5, s6
	v_add_co_u32 v115, s6, s20, v2
	v_lshlrev_b64 v[41:42], 1, v[10:11]
	v_add_co_ci_u32_e64 v116, null, s21, v3, s6
	s_lshl_b64 s[20:21], s[24:25], 4
	s_branch .LBB274_30
.LBB274_29:                             ;   in Loop: Header=BB274_30 Depth=1
	s_or_b32 exec_lo, exec_lo, s8
	v_pk_add_f16 v14, v2, v33
	v_pk_max_f16 v15, v122, v122
	v_pk_add_f16 v16, v4, v33
	v_pk_max_f16 v121, v121, v121
	v_pk_add_f16 v122, v29, v33
	v_pk_add_f16 v130, v31, v33
	;; [unrolled: 1-line block ×3, first 2 shown]
	v_pk_min_f16 v145, v15, v14
	v_pk_min_f16 v128, v121, v16
	v_pk_add_f16 v14, v23, v33
	v_pk_max_f16 v15, v117, v117
	v_pk_add_f16 v16, v17, v33
	v_pk_max_f16 v47, v47, v47
	;; [unrolled: 2-line block ×3, first 2 shown]
	v_pk_max_f16 v119, v119, v119
	v_pk_max_f16 v118, v118, v118
	v_pk_min_f16 v151, v15, v14
	v_pk_min_f16 v106, v47, v16
	v_pk_min_f16 v142, v117, v33
	v_pk_add_f16 v14, v29, v35
	v_pk_max_f16 v15, v102, v102
	v_pk_add_f16 v16, v31, v35
	v_pk_max_f16 v33, v101, v101
	;; [unrolled: 2-line block ×3, first 2 shown]
	v_pk_min_f16 v135, v119, v130
	v_pk_min_f16 v136, v118, v131
	v_pk_add_f16 v118, v2, v35
	v_pk_add_f16 v119, v4, v35
	;; [unrolled: 1-line block ×4, first 2 shown]
	v_pk_min_f16 v153, v15, v14
	v_pk_min_f16 v147, v33, v16
	;; [unrolled: 1-line block ×3, first 2 shown]
	v_pk_add_f16 v14, v19, v35
	v_pk_max_f16 v15, v97, v97
	v_pk_add_f16 v16, v2, v10
	v_pk_max_f16 v33, v94, v94
	;; [unrolled: 2-line block ×3, first 2 shown]
	v_pk_add_f16 v94, v29, v10
	v_pk_add_f16 v97, v31, v10
	v_pk_min_f16 v154, v15, v14
	v_pk_min_f16 v93, v33, v16
	;; [unrolled: 1-line block ×3, first 2 shown]
	v_pk_add_f16 v14, v21, v10
	v_pk_max_f16 v15, v85, v85
	v_pk_add_f16 v16, v23, v10
	v_pk_max_f16 v33, v86, v86
	;; [unrolled: 2-line block ×4, first 2 shown]
	v_pk_max_f16 v120, v120, v120
	v_pk_max_f16 v104, v104, v104
	v_pk_min_f16 v141, v15, v14
	v_pk_min_f16 v130, v33, v16
	;; [unrolled: 1-line block ×4, first 2 shown]
	v_pk_add_f16 v10, v4, v12
	v_pk_max_f16 v14, v89, v89
	v_pk_add_f16 v15, v29, v12
	v_pk_max_f16 v16, v87, v87
	;; [unrolled: 2-line block ×4, first 2 shown]
	v_pk_min_f16 v129, v120, v122
	v_pk_min_f16 v144, v104, v119
	v_pk_max_f16 v99, v99, v99
	v_pk_max_f16 v98, v98, v98
	v_pk_add_f16 v86, v2, v12
	v_pk_add_f16 v84, v23, v12
	v_pk_min_f16 v140, v14, v10
	v_pk_min_f16 v119, v16, v15
	;; [unrolled: 1-line block ×4, first 2 shown]
	v_pk_add_f16 v10, v17, v12
	v_pk_max_f16 v14, v81, v81
	v_pk_add_f16 v12, v19, v12
	v_pk_max_f16 v15, v80, v80
	;; [unrolled: 2-line block ×4, first 2 shown]
	v_pk_max_f16 v105, v105, v105
	v_pk_min_f16 v149, v99, v101
	v_pk_min_f16 v150, v98, v102
	v_pk_max_f16 v88, v88, v88
	v_pk_add_f16 v77, v29, v6
	v_pk_min_f16 v134, v14, v10
	v_pk_min_f16 v101, v15, v12
	;; [unrolled: 1-line block ×4, first 2 shown]
	v_pk_add_f16 v10, v31, v6
	v_pk_max_f16 v12, v76, v76
	v_pk_add_f16 v14, v21, v6
	v_pk_max_f16 v15, v75, v75
	;; [unrolled: 2-line block ×5, first 2 shown]
	v_pk_min_f16 v143, v105, v118
	v_pk_max_f16 v90, v90, v90
	v_pk_min_f16 v139, v88, v97
	v_pk_max_f16 v88, v91, v91
	v_pk_min_f16 v118, v12, v10
	v_pk_min_f16 v95, v15, v14
	;; [unrolled: 1-line block ×5, first 2 shown]
	v_pk_add_f16 v6, v2, v8
	v_pk_max_f16 v10, v71, v71
	v_pk_add_f16 v12, v4, v8
	v_pk_max_f16 v14, v70, v70
	;; [unrolled: 2-line block ×5, first 2 shown]
	v_pk_min_f16 v138, v90, v94
	v_pk_min_f16 v133, v88, v86
	v_pk_min_f16 v117, v10, v6
	v_pk_min_f16 v88, v14, v12
	v_pk_min_f16 v89, v16, v15
	v_pk_min_f16 v90, v35, v33
	v_pk_min_f16 v91, v67, v47
	v_pk_add_f16 v6, v23, v8
	v_pk_max_f16 v10, v66, v66
	v_pk_add_f16 v12, v17, v8
	v_pk_max_f16 v14, v63, v63
	;; [unrolled: 2-line block ×5, first 2 shown]
	v_pk_min_f16 v100, v10, v6
	v_pk_min_f16 v6, v14, v12
	;; [unrolled: 1-line block ×5, first 2 shown]
	v_pk_add_f16 v14, v29, v25
	v_pk_max_f16 v15, v57, v57
	v_pk_add_f16 v16, v31, v25
	v_pk_max_f16 v35, v55, v55
	;; [unrolled: 2-line block ×4, first 2 shown]
	v_pk_add_f16 v55, v23, v25
	v_pk_min_f16 v33, v15, v14
	v_pk_min_f16 v14, v35, v16
	;; [unrolled: 1-line block ×4, first 2 shown]
	v_pk_add_f16 v25, v19, v25
	v_pk_max_f16 v35, v52, v52
	v_pk_add_f16 v2, v2, v27
	v_pk_max_f16 v47, v50, v50
	;; [unrolled: 2-line block ×5, first 2 shown]
	v_pk_min_f16 v4, v35, v25
	v_pk_min_f16 v2, v47, v2
	;; [unrolled: 1-line block ×4, first 2 shown]
	v_pk_add_f16 v21, v21, v27
	v_pk_max_f16 v29, v62, v62
	v_pk_add_f16 v23, v23, v27
	v_pk_max_f16 v31, v60, v60
	;; [unrolled: 2-line block ×3, first 2 shown]
	v_pk_min_f16 v35, v49, v50
	v_pk_add_f16 v19, v19, v27
	v_pk_max_f16 v27, v56, v56
	v_pk_add_f16 v49, v3, v34
	v_pk_min_f16 v155, v29, v21
	v_pk_min_f16 v156, v31, v23
	;; [unrolled: 1-line block ×3, first 2 shown]
	v_pk_add_f16 v17, v5, v34
	v_pk_add_f16 v21, v32, v34
	;; [unrolled: 1-line block ×3, first 2 shown]
	v_pk_min_f16 v158, v27, v19
	v_pk_min_f16 v159, v145, v49
	v_pk_add_f16 v19, v30, v34
	v_pk_add_f16 v27, v24, v34
	v_pk_min_f16 v152, v128, v17
	v_pk_min_f16 v145, v135, v21
	;; [unrolled: 1-line block ×3, first 2 shown]
	v_pk_add_f16 v17, v18, v34
	v_pk_add_f16 v23, v20, v34
	v_pk_min_f16 v146, v129, v19
	v_pk_min_f16 v21, v151, v27
	v_pk_add_f16 v27, v3, v36
	v_pk_add_f16 v29, v5, v36
	;; [unrolled: 1-line block ×3, first 2 shown]
	v_pk_min_f16 v19, v106, v17
	v_pk_min_f16 v128, v142, v23
	v_pk_add_f16 v17, v32, v36
	v_pk_add_f16 v23, v22, v36
	v_pk_max_f16 v82, v82, v82
	v_pk_min_f16 v106, v143, v27
	v_pk_min_f16 v99, v144, v29
	;; [unrolled: 1-line block ×3, first 2 shown]
	v_pk_add_f16 v27, v24, v36
	v_pk_add_f16 v29, v18, v36
	;; [unrolled: 1-line block ×3, first 2 shown]
	v_pk_min_f16 v94, v147, v17
	v_pk_min_f16 v87, v148, v23
	v_pk_add_f16 v17, v3, v11
	v_pk_add_f16 v23, v5, v11
	v_pk_min_f16 v122, v82, v84
	v_pk_max_f16 v78, v78, v78
	v_pk_min_f16 v82, v149, v27
	v_pk_min_f16 v79, v150, v29
	;; [unrolled: 1-line block ×3, first 2 shown]
	v_pk_add_f16 v27, v30, v11
	v_pk_add_f16 v29, v32, v11
	v_pk_add_f16 v31, v22, v11
	v_pk_min_f16 v129, v93, v17
	v_pk_min_f16 v93, v137, v23
	v_pk_add_f16 v17, v24, v11
	v_pk_add_f16 v23, v18, v11
	v_pk_add_f16 v11, v20, v11
	v_pk_min_f16 v105, v78, v77
	v_pk_min_f16 v84, v138, v27
	;; [unrolled: 1-line block ×3, first 2 shown]
	v_pk_add_f16 v27, v3, v13
	v_pk_min_f16 v77, v132, v11
	v_pk_add_f16 v11, v30, v13
	v_pk_add_f16 v29, v5, v13
	v_pk_min_f16 v81, v130, v17
	v_pk_add_f16 v17, v32, v13
	v_pk_min_f16 v78, v141, v31
	v_pk_min_f16 v75, v119, v11
	v_pk_add_f16 v11, v20, v13
	v_pk_min_f16 v76, v133, v27
	v_pk_min_f16 v70, v140, v29
	v_pk_add_f16 v27, v22, v13
	v_pk_add_f16 v29, v24, v13
	;; [unrolled: 1-line block ×3, first 2 shown]
	v_pk_min_f16 v72, v120, v17
	v_pk_add_f16 v13, v3, v7
	v_pk_add_f16 v17, v5, v7
	v_pk_min_f16 v74, v101, v11
	v_pk_add_f16 v11, v22, v7
	v_pk_min_f16 v69, v121, v27
	v_pk_min_f16 v68, v122, v29
	v_pk_add_f16 v27, v30, v7
	v_pk_add_f16 v29, v32, v7
	v_pk_min_f16 v73, v102, v13
	v_pk_min_f16 v71, v104, v17
	v_pk_add_f16 v13, v24, v7
	v_pk_add_f16 v17, v18, v7
	;; [unrolled: 1-line block ×3, first 2 shown]
	v_pk_min_f16 v64, v95, v11
	v_pk_add_f16 v11, v30, v9
	v_pk_min_f16 v66, v105, v27
	v_pk_add_f16 v27, v3, v9
	v_pk_min_f16 v63, v96, v13
	v_pk_min_f16 v60, v98, v7
	v_pk_add_f16 v7, v5, v9
	v_pk_add_f16 v13, v32, v9
	v_pk_min_f16 v58, v89, v11
	v_pk_add_f16 v11, v3, v26
	v_pk_max_f16 v53, v53, v53
	v_pk_min_f16 v62, v97, v17
	v_pk_min_f16 v59, v117, v27
	v_pk_add_f16 v17, v22, v9
	v_pk_add_f16 v27, v24, v9
	v_pk_min_f16 v61, v88, v7
	v_pk_min_f16 v57, v90, v13
	v_pk_add_f16 v7, v18, v9
	v_pk_add_f16 v9, v20, v9
	;; [unrolled: 1-line block ×3, first 2 shown]
	v_pk_min_f16 v50, v10, v11
	v_pk_add_f16 v10, v20, v26
	v_pk_min_f16 v16, v53, v55
	v_pk_min_f16 v55, v91, v17
	v_pk_add_f16 v17, v30, v26
	v_pk_min_f16 v53, v6, v7
	v_pk_min_f16 v51, v8, v9
	;; [unrolled: 1-line block ×3, first 2 shown]
	v_pk_add_f16 v6, v32, v26
	v_pk_add_f16 v7, v22, v26
	;; [unrolled: 1-line block ×4, first 2 shown]
	v_pk_min_f16 v26, v4, v10
	ds_read2_b64 v[10:13], v103 offset1:8
	ds_read2_b64 v[88:91], v44 offset1:32
	v_pk_min_f16 v67, v134, v31
	v_pk_min_f16 v65, v118, v29
	;; [unrolled: 1-line block ×6, first 2 shown]
	v_pk_add_f16 v36, v5, v28
	ds_read2_b64 v[14:17], v103 offset0:16 offset1:24
	v_pk_add_f16 v30, v30, v28
	v_pk_min_f16 v54, v100, v27
	v_pk_min_f16 v27, v85, v9
	v_pk_add_f16 v3, v3, v28
	ds_read2_b64 v[6:9], v103 offset0:32 offset1:40
	v_pk_min_f16 v56, v35, v36
	v_pk_min_f16 v35, v47, v30
	v_pk_add_f16 v30, v32, v28
	v_pk_add_f16 v18, v18, v28
	v_pk_min_f16 v52, v2, v3
	ds_read2_b64 v[2:5], v103 offset0:48 offset1:56
	v_pk_add_f16 v20, v20, v28
	v_pk_min_f16 v48, v25, v30
	v_pk_min_f16 v30, v157, v18
	s_waitcnt lgkmcnt(3)
	v_pk_add_f16 v18, v10, v88
	v_pk_max_f16 v97, v159, v159
	v_pk_add_f16 v22, v22, v28
	v_pk_add_f16 v24, v24, v28
	v_pk_min_f16 v28, v158, v20
	v_pk_add_f16 v20, v12, v88
	v_pk_add_f16 v102, v11, v89
	v_pk_min_f16 v18, v97, v18
	v_pk_max_f16 v104, v152, v152
	v_pk_min_f16 v36, v155, v22
	v_pk_min_f16 v32, v156, v24
	s_waitcnt lgkmcnt(2)
	v_pk_add_f16 v22, v14, v88
	v_pk_add_f16 v24, v16, v88
	v_pk_min_f16 v122, v18, v102
	v_pk_add_f16 v18, v13, v89
	v_pk_max_f16 v102, v146, v146
	v_pk_min_f16 v20, v104, v20
	v_pk_max_f16 v104, v145, v145
	s_waitcnt lgkmcnt(1)
	v_pk_add_f16 v25, v6, v88
	v_pk_add_f16 v47, v8, v88
	v_pk_max_f16 v117, v135, v135
	v_pk_min_f16 v22, v102, v22
	v_pk_add_f16 v102, v17, v89
	v_pk_min_f16 v24, v104, v24
	v_pk_min_f16 v121, v20, v18
	v_pk_max_f16 v18, v21, v21
	s_waitcnt lgkmcnt(0)
	v_pk_add_f16 v85, v2, v88
	v_pk_add_f16 v104, v7, v89
	v_pk_min_f16 v25, v117, v25
	v_pk_min_f16 v119, v24, v102
	;; [unrolled: 1-line block ×3, first 2 shown]
	v_pk_max_f16 v47, v19, v19
	v_pk_add_f16 v95, v10, v90
	v_pk_min_f16 v118, v25, v104
	v_pk_add_f16 v25, v3, v89
	v_pk_add_f16 v105, v15, v89
	v_pk_min_f16 v47, v47, v85
	v_pk_add_f16 v102, v11, v91
	v_pk_add_f16 v98, v14, v90
	v_pk_min_f16 v23, v131, v23
	v_pk_min_f16 v120, v22, v105
	;; [unrolled: 1-line block ×3, first 2 shown]
	v_pk_max_f16 v25, v106, v106
	ds_read2_b64 v[130:133], v44 offset0:64 offset1:96
	v_pk_add_f16 v101, v6, v90
	v_pk_add_f16 v135, v15, v91
	v_pk_max_f16 v87, v87, v87
	v_pk_min_f16 v25, v25, v95
	v_pk_add_f16 v100, v16, v90
	v_pk_add_f16 v137, v7, v91
	;; [unrolled: 1-line block ×4, first 2 shown]
	v_pk_min_f16 v105, v25, v102
	v_pk_max_f16 v25, v86, v86
	v_pk_max_f16 v86, v94, v94
	v_pk_add_f16 v88, v4, v88
	v_pk_add_f16 v96, v12, v90
	;; [unrolled: 1-line block ×3, first 2 shown]
	v_pk_min_f16 v25, v25, v98
	v_pk_min_f16 v86, v86, v100
	v_pk_add_f16 v90, v4, v90
	v_pk_add_f16 v139, v3, v91
	v_pk_min_f16 v117, v24, v22
	v_pk_min_f16 v102, v25, v135
	;; [unrolled: 1-line block ×3, first 2 shown]
	v_pk_max_f16 v22, v128, v128
	v_pk_max_f16 v82, v82, v82
	v_pk_add_f16 v89, v5, v89
	v_pk_add_f16 v104, v13, v91
	v_pk_min_f16 v100, v25, v137
	v_pk_max_f16 v25, v79, v79
	v_pk_max_f16 v79, v80, v80
	v_pk_add_f16 v136, v17, v91
	v_pk_add_f16 v138, v9, v91
	;; [unrolled: 1-line block ×3, first 2 shown]
	v_pk_min_f16 v25, v25, v134
	ds_read2_b64 v[18:21], v44 offset0:128 offset1:160
	s_waitcnt lgkmcnt(1)
	v_pk_add_f16 v85, v10, v130
	v_pk_add_f16 v24, v12, v130
	v_pk_min_f16 v22, v22, v88
	v_pk_max_f16 v99, v99, v99
	v_pk_min_f16 v80, v82, v97
	v_pk_max_f16 v82, v129, v129
	v_pk_min_f16 v79, v79, v90
	v_pk_min_f16 v98, v25, v139
	v_pk_max_f16 v25, v93, v93
	v_pk_add_f16 v128, v14, v130
	v_pk_add_f16 v95, v6, v130
	v_pk_min_f16 v106, v22, v89
	v_pk_min_f16 v89, v99, v96
	;; [unrolled: 1-line block ×3, first 2 shown]
	v_pk_add_f16 v86, v11, v131
	v_pk_min_f16 v82, v82, v85
	v_pk_min_f16 v99, v80, v138
	v_pk_min_f16 v97, v79, v91
	v_pk_add_f16 v79, v13, v131
	v_pk_max_f16 v80, v84, v84
	v_pk_min_f16 v24, v25, v24
	v_pk_max_f16 v78, v78, v78
	v_pk_add_f16 v88, v16, v130
	v_pk_add_f16 v22, v8, v130
	;; [unrolled: 1-line block ×6, first 2 shown]
	v_pk_min_f16 v94, v82, v86
	v_pk_max_f16 v25, v83, v83
	v_pk_add_f16 v82, v15, v131
	v_pk_min_f16 v80, v80, v128
	v_pk_add_f16 v84, v7, v131
	v_pk_min_f16 v78, v78, v95
	v_pk_min_f16 v93, v24, v79
	v_pk_max_f16 v24, v81, v81
	v_pk_max_f16 v77, v77, v77
	;; [unrolled: 1-line block ×4, first 2 shown]
	v_pk_min_f16 v104, v89, v104
	v_pk_add_f16 v89, v10, v132
	v_pk_add_f16 v140, v12, v132
	;; [unrolled: 1-line block ×7, first 2 shown]
	v_pk_min_f16 v25, v25, v88
	v_pk_min_f16 v90, v80, v82
	;; [unrolled: 1-line block ×3, first 2 shown]
	v_pk_add_f16 v78, v9, v131
	v_pk_min_f16 v79, v24, v22
	v_pk_max_f16 v81, v23, v23
	v_pk_add_f16 v82, v5, v131
	v_pk_add_f16 v132, v9, v133
	;; [unrolled: 1-line block ×3, first 2 shown]
	v_pk_max_f16 v76, v76, v76
	v_pk_min_f16 v77, v77, v130
	v_pk_max_f16 v69, v69, v69
	v_pk_min_f16 v68, v68, v136
	v_pk_min_f16 v67, v67, v137
	;; [unrolled: 1-line block ×3, first 2 shown]
	v_pk_add_f16 v80, v3, v131
	v_pk_add_f16 v83, v11, v133
	;; [unrolled: 1-line block ×3, first 2 shown]
	v_pk_min_f16 v86, v79, v78
	s_waitcnt lgkmcnt(0)
	v_pk_add_f16 v78, v10, v18
	v_pk_min_f16 v79, v81, v96
	v_pk_min_f16 v76, v76, v89
	;; [unrolled: 1-line block ×5, first 2 shown]
	v_pk_max_f16 v68, v74, v74
	v_pk_min_f16 v81, v67, v134
	v_pk_max_f16 v67, v73, v73
	v_pk_add_f16 v84, v13, v133
	v_pk_add_f16 v87, v15, v133
	;; [unrolled: 1-line block ×6, first 2 shown]
	v_pk_min_f16 v91, v76, v83
	v_pk_min_f16 v83, v69, v131
	;; [unrolled: 1-line block ×3, first 2 shown]
	v_pk_max_f16 v69, v71, v71
	v_pk_min_f16 v67, v67, v78
	v_pk_add_f16 v71, v11, v19
	v_pk_max_f16 v66, v66, v66
	v_pk_min_f16 v96, v79, v80
	v_pk_add_f16 v139, v16, v18
	v_pk_add_f16 v143, v6, v18
	v_pk_max_f16 v75, v75, v75
	v_pk_min_f16 v80, v68, v133
	v_pk_add_f16 v68, v13, v19
	v_pk_min_f16 v69, v69, v138
	v_pk_min_f16 v79, v67, v71
	v_pk_max_f16 v65, v65, v65
	v_pk_add_f16 v67, v15, v19
	v_pk_min_f16 v66, v66, v130
	v_pk_max_f16 v64, v64, v64
	ds_read2_b64 v[22:25], v44 offset0:192 offset1:224
	v_pk_max_f16 v70, v70, v70
	v_pk_add_f16 v144, v8, v18
	v_pk_add_f16 v145, v2, v18
	v_pk_add_f16 v18, v4, v18
	v_pk_max_f16 v72, v72, v72
	v_pk_min_f16 v75, v75, v141
	v_pk_min_f16 v77, v69, v68
	;; [unrolled: 1-line block ×3, first 2 shown]
	v_pk_add_f16 v68, v17, v19
	v_pk_min_f16 v78, v66, v67
	v_pk_add_f16 v66, v7, v19
	v_pk_min_f16 v64, v64, v143
	v_pk_max_f16 v60, v60, v60
	v_pk_min_f16 v70, v70, v140
	v_pk_add_f16 v140, v10, v20
	v_pk_min_f16 v72, v72, v135
	v_pk_min_f16 v87, v75, v87
	;; [unrolled: 1-line block ×4, first 2 shown]
	v_pk_add_f16 v64, v9, v19
	v_pk_add_f16 v65, v3, v19
	;; [unrolled: 1-line block ×3, first 2 shown]
	v_pk_min_f16 v18, v60, v18
	v_pk_max_f16 v59, v59, v59
	v_pk_min_f16 v89, v70, v84
	v_pk_add_f16 v70, v12, v20
	v_pk_add_f16 v135, v14, v20
	v_pk_min_f16 v84, v72, v128
	v_pk_min_f16 v72, v18, v19
	v_pk_max_f16 v18, v61, v61
	v_pk_add_f16 v19, v11, v21
	v_pk_min_f16 v59, v59, v140
	v_pk_max_f16 v58, v58, v58
	v_pk_add_f16 v60, v13, v21
	v_pk_min_f16 v18, v18, v70
	v_pk_add_f16 v141, v16, v20
	v_pk_min_f16 v71, v59, v19
	v_pk_add_f16 v19, v15, v21
	v_pk_min_f16 v58, v58, v135
	v_pk_add_f16 v128, v6, v20
	v_pk_add_f16 v142, v8, v20
	;; [unrolled: 1-line block ×4, first 2 shown]
	s_waitcnt lgkmcnt(0)
	v_pk_add_f16 v131, v10, v22
	v_pk_add_f16 v132, v12, v22
	;; [unrolled: 1-line block ×8, first 2 shown]
	v_pk_min_f16 v70, v18, v60
	v_pk_add_f16 v60, v2, v24
	v_pk_min_f16 v69, v58, v19
	v_pk_add_f16 v2, v4, v24
	v_pk_max_f16 v4, v55, v55
	v_pk_max_f16 v19, v54, v54
	v_pk_max_f16 v18, v57, v57
	v_pk_add_f16 v54, v7, v21
	v_pk_add_f16 v55, v9, v21
	v_pk_min_f16 v4, v4, v128
	v_pk_min_f16 v19, v19, v142
	v_pk_add_f16 v10, v10, v24
	v_pk_add_f16 v12, v12, v24
	v_pk_add_f16 v14, v14, v24
	v_pk_add_f16 v16, v16, v24
	v_pk_add_f16 v6, v6, v24
	v_pk_add_f16 v8, v8, v24
	v_pk_min_f16 v18, v18, v141
	v_pk_add_f16 v24, v17, v21
	v_pk_min_f16 v67, v4, v54
	v_pk_max_f16 v4, v51, v51
	v_pk_min_f16 v66, v19, v55
	v_pk_max_f16 v19, v50, v50
	v_pk_max_f16 v63, v63, v63
	v_pk_add_f16 v57, v3, v21
	v_pk_min_f16 v68, v18, v24
	v_pk_add_f16 v18, v5, v21
	v_pk_min_f16 v4, v4, v20
	v_pk_max_f16 v20, v49, v49
	v_pk_add_f16 v21, v11, v23
	v_pk_min_f16 v19, v19, v131
	v_pk_min_f16 v63, v63, v144
	v_pk_max_f16 v53, v53, v53
	v_pk_max_f16 v24, v34, v34
	v_pk_add_f16 v34, v13, v23
	v_pk_min_f16 v20, v20, v132
	v_pk_min_f16 v61, v19, v21
	v_pk_max_f16 v19, v31, v31
	v_pk_min_f16 v74, v63, v64
	v_pk_min_f16 v53, v53, v136
	v_pk_add_f16 v49, v15, v23
	v_pk_min_f16 v24, v24, v134
	v_pk_min_f16 v64, v4, v18
	v_pk_max_f16 v4, v33, v33
	v_pk_min_f16 v59, v20, v34
	v_pk_max_f16 v20, v29, v29
	v_pk_add_f16 v21, v7, v23
	v_pk_min_f16 v19, v19, v133
	v_pk_min_f16 v63, v53, v57
	;; [unrolled: 1-line block ×3, first 2 shown]
	v_pk_add_f16 v18, v17, v23
	v_pk_min_f16 v4, v4, v129
	v_pk_max_f16 v24, v27, v27
	v_pk_add_f16 v27, v9, v23
	v_pk_min_f16 v20, v20, v137
	v_pk_min_f16 v54, v19, v21
	v_pk_max_f16 v19, v52, v52
	v_pk_min_f16 v55, v4, v18
	v_pk_max_f16 v4, v26, v26
	v_pk_min_f16 v53, v20, v27
	v_pk_max_f16 v20, v56, v56
	v_pk_add_f16 v11, v11, v25
	v_pk_min_f16 v10, v19, v10
	v_pk_add_f16 v18, v5, v23
	v_pk_min_f16 v4, v4, v22
	;; [unrolled: 2-line block ×3, first 2 shown]
	v_pk_min_f16 v50, v10, v11
	v_pk_max_f16 v10, v36, v36
	v_pk_max_f16 v62, v62, v62
	;; [unrolled: 1-line block ×3, first 2 shown]
	v_pk_min_f16 v52, v4, v18
	v_pk_max_f16 v4, v48, v48
	v_pk_min_f16 v49, v12, v13
	v_pk_max_f16 v12, v32, v32
	;; [unrolled: 2-line block ×3, first 2 shown]
	v_pk_max_f16 v13, v28, v28
	v_add_co_u32 v111, s6, v111, s18
	v_pk_min_f16 v62, v62, v145
	v_pk_add_f16 v29, v3, v23
	v_pk_min_f16 v24, v24, v130
	v_pk_add_f16 v15, v15, v25
	;; [unrolled: 2-line block ×4, first 2 shown]
	v_pk_add_f16 v9, v9, v25
	v_pk_min_f16 v8, v12, v8
	v_pk_add_f16 v3, v3, v25
	v_pk_min_f16 v10, v10, v60
	;; [unrolled: 2-line block ×3, first 2 shown]
	v_add_co_ci_u32_e64 v112, null, s19, v112, s6
	v_add_co_u32 v113, s6, v113, s20
	v_add_co_ci_u32_e64 v114, null, s21, v114, s6
	v_add_co_u32 v115, s6, v115, s20
	v_pk_min_f16 v73, v62, v65
	v_pk_min_f16 v51, v24, v29
	;; [unrolled: 1-line block ×8, first 2 shown]
	v_add_co_ci_u32_e64 v116, null, s21, v116, s6
	s_add_i32 s22, s22, 8
	s_waitcnt vmcnt(0)
	ds_write_b16 v107, v123
	ds_write_b16 v108, v125
	ds_write_b16 v108, v124 offset:512
	ds_write_b16 v108, v127 offset:1024
	;; [unrolled: 1-line block ×3, first 2 shown]
	s_cmp_ge_i32 s22, s28
	s_waitcnt lgkmcnt(0)
	s_barrier
	buffer_gl0_inv
	s_cbranch_scc1 .LBB274_50
.LBB274_30:                             ; =>This Inner Loop Header: Depth=1
	v_add_nc_u32_e32 v14, s22, v43
	v_mov_b32_e32 v15, 0x7c00
	v_mov_b32_e32 v16, 0x7c00
	v_add_nc_u32_e32 v2, 8, v14
	v_cmp_le_i32_e64 s6, s14, v2
	s_nor_b32 s8, vcc_lo, s6
	s_and_saveexec_b32 s23, s8
	s_cbranch_execz .LBB274_32
; %bb.31:                               ;   in Loop: Header=BB274_30 Depth=1
	v_add_co_u32 v2, s8, v111, v39
	v_add_co_ci_u32_e64 v3, null, v112, v40, s8
	global_load_ushort v16, v[2:3], off
.LBB274_32:                             ;   in Loop: Header=BB274_30 Depth=1
	s_or_b32 exec_lo, exec_lo, s23
	s_nor_b32 s8, s0, s6
	s_and_saveexec_b32 s23, s8
	s_cbranch_execz .LBB274_34
; %bb.33:                               ;   in Loop: Header=BB274_30 Depth=1
	v_add_co_u32 v2, s8, v113, v37
	v_add_co_ci_u32_e64 v3, null, v114, v38, s8
	global_load_ushort v15, v[2:3], off
.LBB274_34:                             ;   in Loop: Header=BB274_30 Depth=1
	s_or_b32 exec_lo, exec_lo, s23
	v_mov_b32_e32 v124, 0x7c00
	v_mov_b32_e32 v125, 0x7c00
	s_nor_b32 s8, s1, s6
	s_and_saveexec_b32 s23, s8
	s_cbranch_execz .LBB274_36
; %bb.35:                               ;   in Loop: Header=BB274_30 Depth=1
	v_add_co_u32 v2, s8, v113, v37
	v_add_co_ci_u32_e64 v3, null, v114, v38, s8
	global_load_ushort v125, v[2:3], off offset:128
.LBB274_36:                             ;   in Loop: Header=BB274_30 Depth=1
	s_or_b32 exec_lo, exec_lo, s23
	s_nor_b32 s8, s2, s6
	s_and_saveexec_b32 s23, s8
	s_cbranch_execz .LBB274_38
; %bb.37:                               ;   in Loop: Header=BB274_30 Depth=1
	v_add_co_u32 v2, s8, v113, v37
	v_add_co_ci_u32_e64 v3, null, v114, v38, s8
	global_load_ushort v124, v[2:3], off offset:256
.LBB274_38:                             ;   in Loop: Header=BB274_30 Depth=1
	s_or_b32 exec_lo, exec_lo, s23
	v_mov_b32_e32 v123, 0x7c00
	v_mov_b32_e32 v126, 0x7c00
	s_nor_b32 s6, s3, s6
	s_and_saveexec_b32 s8, s6
	s_cbranch_execz .LBB274_40
; %bb.39:                               ;   in Loop: Header=BB274_30 Depth=1
	v_add_co_u32 v2, s6, v113, v37
	v_add_co_ci_u32_e64 v3, null, v114, v38, s6
	global_load_ushort v126, v[2:3], off offset:384
.LBB274_40:                             ;   in Loop: Header=BB274_30 Depth=1
	s_or_b32 exec_lo, exec_lo, s8
	ds_read2_b64 v[2:5], v109 offset1:8
	ds_read2_b64 v[29:32], v109 offset0:16 offset1:24
	ds_read2_b64 v[21:24], v109 offset0:32 offset1:40
	;; [unrolled: 1-line block ×3, first 2 shown]
	ds_read2_b64 v[33:36], v110 offset1:32
	ds_read2_b64 v[10:13], v110 offset0:64 offset1:96
	ds_read2_b64 v[6:9], v110 offset0:128 offset1:160
	;; [unrolled: 1-line block ×3, first 2 shown]
	v_add_nc_u32_e32 v14, 12, v14
	s_waitcnt vmcnt(0)
	ds_write_b16 v92, v16
	ds_write_b16 v46, v15
	ds_write_b16 v46, v125 offset:512
	ds_write_b16 v46, v124 offset:1024
	;; [unrolled: 1-line block ×3, first 2 shown]
	s_waitcnt lgkmcnt(0)
	s_barrier
	v_cmp_le_i32_e64 s6, s14, v14
	buffer_gl0_inv
	s_nor_b32 s8, vcc_lo, s6
	s_and_saveexec_b32 s23, s8
	s_cbranch_execz .LBB274_42
; %bb.41:                               ;   in Loop: Header=BB274_30 Depth=1
	v_add_co_u32 v14, s8, v111, v41
	v_add_co_ci_u32_e64 v15, null, v112, v42, s8
	global_load_ushort v123, v[14:15], off
.LBB274_42:                             ;   in Loop: Header=BB274_30 Depth=1
	s_or_b32 exec_lo, exec_lo, s23
	v_mov_b32_e32 v124, 0x7c00
	v_mov_b32_e32 v125, 0x7c00
	s_nor_b32 s8, s0, s6
	s_and_saveexec_b32 s23, s8
	s_cbranch_execz .LBB274_44
; %bb.43:                               ;   in Loop: Header=BB274_30 Depth=1
	v_add_co_u32 v14, s8, v115, v37
	v_add_co_ci_u32_e64 v15, null, v116, v38, s8
	global_load_ushort v125, v[14:15], off
.LBB274_44:                             ;   in Loop: Header=BB274_30 Depth=1
	s_or_b32 exec_lo, exec_lo, s23
	s_nor_b32 s8, s1, s6
	s_and_saveexec_b32 s23, s8
	s_cbranch_execz .LBB274_46
; %bb.45:                               ;   in Loop: Header=BB274_30 Depth=1
	v_add_co_u32 v14, s8, v115, v37
	v_add_co_ci_u32_e64 v15, null, v116, v38, s8
	global_load_ushort v124, v[14:15], off offset:128
.LBB274_46:                             ;   in Loop: Header=BB274_30 Depth=1
	s_or_b32 exec_lo, exec_lo, s23
	v_mov_b32_e32 v126, 0x7c00
	v_mov_b32_e32 v127, 0x7c00
	s_nor_b32 s8, s2, s6
	s_and_saveexec_b32 s23, s8
	s_cbranch_execz .LBB274_48
; %bb.47:                               ;   in Loop: Header=BB274_30 Depth=1
	v_add_co_u32 v14, s8, v115, v37
	v_add_co_ci_u32_e64 v15, null, v116, v38, s8
	global_load_ushort v127, v[14:15], off offset:256
.LBB274_48:                             ;   in Loop: Header=BB274_30 Depth=1
	s_or_b32 exec_lo, exec_lo, s23
	s_nor_b32 s6, s3, s6
	s_and_saveexec_b32 s8, s6
	s_cbranch_execz .LBB274_29
; %bb.49:                               ;   in Loop: Header=BB274_30 Depth=1
	v_add_co_u32 v14, s6, v115, v37
	v_add_co_ci_u32_e64 v15, null, v116, v38, s6
	global_load_ushort v126, v[14:15], off offset:384
	s_branch .LBB274_29
.LBB274_50:
	s_clause 0x2
	s_load_dwordx2 s[2:3], s[4:5], 0x70
	s_load_dword s18, s[4:5], 0x50
	s_load_dword s14, s[4:5], 0x68
	v_add_nc_u32_e32 v2, 0x1000, v45
	v_add_nc_u32_e32 v103, s27, v1
	;; [unrolled: 1-line block ×4, first 2 shown]
	ds_read2_b64 v[16:19], v2 offset0:64 offset1:72
	ds_read2_b64 v[12:15], v2 offset0:80 offset1:88
	;; [unrolled: 1-line block ×4, first 2 shown]
	ds_read2_b64 v[28:31], v4 offset1:32
	ds_read2_b64 v[24:27], v4 offset0:64 offset1:96
	ds_read2_b64 v[20:23], v4 offset0:128 offset1:160
	;; [unrolled: 1-line block ×3, first 2 shown]
	v_cmp_gt_i32_e64 s8, s13, v103
	v_cndmask_b32_e64 v92, 0, 1, s26
	v_cmp_gt_i32_e64 s0, s12, v32
	v_ashrrev_i32_e32 v33, 31, v32
	s_waitcnt lgkmcnt(0)
	s_mul_i32 s1, s3, s7
	v_mad_i64_i32 v[34:35], null, v103, s18, 0
	v_mad_i64_i32 v[36:37], null, v103, s14, 0
	s_mul_hi_u32 s3, s2, s7
	s_mul_i32 s2, s2, s7
	s_add_i32 s3, s3, s1
	s_lshl_b64 s[2:3], s[2:3], 1
	v_lshlrev_b64 v[34:35], 1, v[34:35]
	v_lshlrev_b64 v[36:37], 1, v[36:37]
	s_add_u32 s9, s10, s2
	s_addc_u32 s10, s11, s3
	s_and_b32 s2, s0, s8
	v_add_co_u32 v109, vcc_lo, s16, v34
	v_add_co_ci_u32_e64 v110, null, s17, v35, vcc_lo
	v_add_co_u32 v107, vcc_lo, s9, v36
	v_add_co_ci_u32_e64 v108, null, s10, v37, vcc_lo
	s_and_saveexec_b32 s1, s2
	s_cbranch_execz .LBB274_56
; %bb.51:
	s_andn2_b32 vcc_lo, exec_lo, s26
	s_cbranch_vccnz .LBB274_54
; %bb.52:
	v_lshlrev_b64 v[34:35], 1, v[32:33]
	v_add_co_u32 v34, vcc_lo, v109, v34
	v_add_co_ci_u32_e64 v35, null, v110, v35, vcc_lo
	global_load_ushort v34, v[34:35], off
	s_waitcnt vmcnt(0)
	v_mul_f16_e32 v34, s15, v34
	v_cvt_f32_f16_e32 v34, v34
	s_branch .LBB274_55
.LBB274_53:
	s_mov_b64 s[18:19], 0
	s_andn2_b32 vcc_lo, exec_lo, s8
	s_mov_b32 s0, -1
	s_cbranch_vccz .LBB274_2
	s_branch .LBB274_3
.LBB274_54:
	v_mov_b32_e32 v34, 0
.LBB274_55:
	v_pk_add_f16 v35, v16, v28
	v_pk_add_f16 v36, v17, v29
	v_max_f16_e32 v37, v122, v122
	v_lshrrev_b32_e32 v38, 16, v122
	v_max_f32_e32 v34, v34, v34
	v_lshrrev_b32_e32 v39, 16, v35
	v_lshrrev_b32_e32 v40, 16, v36
	v_min_f16_e32 v35, v37, v35
	v_min3_f16 v37, v38, v39, v40
	v_min3_f16 v35, v35, v36, v37
	v_cvt_f32_f16_e32 v35, v35
	v_min_f32_e32 v36, v34, v35
	v_lshlrev_b64 v[34:35], 1, v[32:33]
	v_cvt_f16_f32_e32 v36, v36
	v_add_co_u32 v34, vcc_lo, v107, v34
	v_add_co_ci_u32_e64 v35, null, v108, v35, vcc_lo
	global_store_short v[34:35], v36, off
.LBB274_56:
	s_or_b32 exec_lo, exec_lo, s1
	v_add_nc_u32_e32 v34, 8, v32
	v_cmp_gt_i32_e64 s1, s12, v34
	v_ashrrev_i32_e32 v35, 31, v34
	s_and_b32 s3, s1, s8
	s_and_saveexec_b32 s2, s3
	s_cbranch_execz .LBB274_61
; %bb.57:
	v_cmp_ne_u32_e32 vcc_lo, 1, v92
	s_cbranch_vccnz .LBB274_59
; %bb.58:
	v_lshlrev_b64 v[36:37], 1, v[34:35]
	v_add_co_u32 v36, vcc_lo, v109, v36
	v_add_co_ci_u32_e64 v37, null, v110, v37, vcc_lo
	global_load_ushort v36, v[36:37], off
	s_waitcnt vmcnt(0)
	v_mul_f16_e32 v36, s15, v36
	v_cvt_f32_f16_e32 v36, v36
	s_branch .LBB274_60
.LBB274_59:
	v_mov_b32_e32 v36, 0
.LBB274_60:
	v_pk_add_f16 v37, v18, v28
	v_pk_add_f16 v38, v19, v29
	v_max_f16_e32 v39, v121, v121
	v_lshrrev_b32_e32 v40, 16, v121
	v_max_f32_e32 v36, v36, v36
	v_lshrrev_b32_e32 v41, 16, v37
	v_lshrrev_b32_e32 v42, 16, v38
	v_min_f16_e32 v37, v39, v37
	v_min3_f16 v39, v40, v41, v42
	v_min3_f16 v37, v37, v38, v39
	v_cvt_f32_f16_e32 v37, v37
	v_min_f32_e32 v38, v36, v37
	v_lshlrev_b64 v[36:37], 1, v[34:35]
	v_cvt_f16_f32_e32 v38, v38
	v_add_co_u32 v36, vcc_lo, v107, v36
	v_add_co_ci_u32_e64 v37, null, v108, v37, vcc_lo
	global_store_short v[36:37], v38, off
.LBB274_61:
	s_or_b32 exec_lo, exec_lo, s2
	v_add_nc_u32_e32 v36, 16, v32
	v_cmp_gt_i32_e64 s2, s12, v36
	v_ashrrev_i32_e32 v37, 31, v36
	s_and_b32 s4, s2, s8
	s_and_saveexec_b32 s3, s4
	s_cbranch_execz .LBB274_66
; %bb.62:
	v_cmp_ne_u32_e32 vcc_lo, 1, v92
	s_cbranch_vccnz .LBB274_64
; %bb.63:
	v_lshlrev_b64 v[38:39], 1, v[36:37]
	v_add_co_u32 v38, vcc_lo, v109, v38
	v_add_co_ci_u32_e64 v39, null, v110, v39, vcc_lo
	global_load_ushort v38, v[38:39], off
	s_waitcnt vmcnt(0)
	v_mul_f16_e32 v38, s15, v38
	v_cvt_f32_f16_e32 v38, v38
	s_branch .LBB274_65
.LBB274_64:
	v_mov_b32_e32 v38, 0
.LBB274_65:
	v_pk_add_f16 v39, v12, v28
	v_pk_add_f16 v40, v13, v29
	v_max_f16_e32 v41, v120, v120
	v_lshrrev_b32_e32 v42, 16, v120
	v_max_f32_e32 v38, v38, v38
	v_lshrrev_b32_e32 v43, 16, v39
	v_lshrrev_b32_e32 v44, 16, v40
	v_min_f16_e32 v39, v41, v39
	v_min3_f16 v41, v42, v43, v44
	v_min3_f16 v39, v39, v40, v41
	v_cvt_f32_f16_e32 v39, v39
	v_min_f32_e32 v40, v38, v39
	v_lshlrev_b64 v[38:39], 1, v[36:37]
	v_cvt_f16_f32_e32 v40, v40
	v_add_co_u32 v38, vcc_lo, v107, v38
	v_add_co_ci_u32_e64 v39, null, v108, v39, vcc_lo
	global_store_short v[38:39], v40, off
.LBB274_66:
	;; [unrolled: 40-line block ×6, first 2 shown]
	s_or_b32 exec_lo, exec_lo, s7
	v_add_nc_u32_e32 v46, 56, v32
	v_cmp_gt_i32_e64 s7, s12, v46
	v_ashrrev_i32_e32 v47, 31, v46
	s_and_b32 s11, s7, s8
	s_and_saveexec_b32 s8, s11
	s_cbranch_execz .LBB274_91
; %bb.87:
	v_cmp_ne_u32_e32 vcc_lo, 1, v92
	s_cbranch_vccnz .LBB274_89
; %bb.88:
	v_lshlrev_b64 v[111:112], 1, v[46:47]
	v_add_co_u32 v109, vcc_lo, v109, v111
	v_add_co_ci_u32_e64 v110, null, v110, v112, vcc_lo
	global_load_ushort v109, v[109:110], off
	s_waitcnt vmcnt(0)
	v_mul_f16_e32 v109, s15, v109
	v_cvt_f32_f16_e32 v109, v109
	s_branch .LBB274_90
.LBB274_89:
	v_mov_b32_e32 v109, 0
.LBB274_90:
	v_pk_add_f16 v28, v2, v28
	v_pk_add_f16 v29, v3, v29
	v_max_f16_e32 v110, v106, v106
	v_lshrrev_b32_e32 v106, 16, v106
	v_lshrrev_b32_e32 v111, 16, v28
	;; [unrolled: 1-line block ×3, first 2 shown]
	v_min_f16_e32 v28, v110, v28
	v_min3_f16 v106, v106, v111, v112
	v_min3_f16 v28, v28, v29, v106
	v_max_f32_e32 v29, v109, v109
	v_cvt_f32_f16_e32 v28, v28
	v_min_f32_e32 v106, v29, v28
	v_lshlrev_b64 v[28:29], 1, v[46:47]
	v_cvt_f16_f32_e32 v106, v106
	v_add_co_u32 v28, vcc_lo, v107, v28
	v_add_co_ci_u32_e64 v29, null, v108, v29, vcc_lo
	global_store_short v[28:29], v106, off
.LBB274_91:
	s_or_b32 exec_lo, exec_lo, s8
	v_add_nc_u32_e32 v108, 32, v103
	v_mad_i64_i32 v[28:29], null, v108, s18, 0
	v_mad_i64_i32 v[106:107], null, v108, s14, 0
	v_cmp_gt_i32_e64 s8, s13, v108
	v_lshlrev_b64 v[28:29], 1, v[28:29]
	s_and_b32 s12, s0, s8
	v_lshlrev_b64 v[108:109], 1, v[106:107]
	v_add_co_u32 v106, vcc_lo, s16, v28
	v_add_co_ci_u32_e64 v107, null, s17, v29, vcc_lo
	v_add_co_u32 v28, vcc_lo, s9, v108
	v_add_co_ci_u32_e64 v29, null, s10, v109, vcc_lo
	s_and_saveexec_b32 s11, s12
	s_cbranch_execnz .LBB274_99
; %bb.92:
	s_or_b32 exec_lo, exec_lo, s11
	s_and_b32 s12, s1, s8
	s_and_saveexec_b32 s11, s12
	s_cbranch_execnz .LBB274_103
.LBB274_93:
	s_or_b32 exec_lo, exec_lo, s11
	s_and_b32 s12, s2, s8
	s_and_saveexec_b32 s11, s12
	s_cbranch_execnz .LBB274_107
.LBB274_94:
	s_or_b32 exec_lo, exec_lo, s11
	s_and_b32 s12, s3, s8
	s_and_saveexec_b32 s11, s12
	s_cbranch_execnz .LBB274_111
.LBB274_95:
	s_or_b32 exec_lo, exec_lo, s11
	s_and_b32 s12, s4, s8
	s_and_saveexec_b32 s11, s12
	s_cbranch_execnz .LBB274_115
.LBB274_96:
	s_or_b32 exec_lo, exec_lo, s11
	s_and_b32 s12, s5, s8
	s_and_saveexec_b32 s11, s12
	s_cbranch_execnz .LBB274_119
.LBB274_97:
	s_or_b32 exec_lo, exec_lo, s11
	s_and_b32 s12, s6, s8
	s_and_saveexec_b32 s11, s12
	s_cbranch_execnz .LBB274_123
.LBB274_98:
	s_or_b32 exec_lo, exec_lo, s11
	s_and_b32 s11, s7, s8
	s_and_saveexec_b32 s8, s11
	s_cbranch_execnz .LBB274_127
	s_branch .LBB274_131
.LBB274_99:
	v_cmp_ne_u32_e32 vcc_lo, 1, v92
	s_cbranch_vccnz .LBB274_101
; %bb.100:
	v_lshlrev_b64 v[108:109], 1, v[32:33]
	v_add_co_u32 v108, vcc_lo, v106, v108
	v_add_co_ci_u32_e64 v109, null, v107, v109, vcc_lo
	global_load_ushort v108, v[108:109], off
	s_waitcnt vmcnt(0)
	v_mul_f16_e32 v108, s15, v108
	v_cvt_f32_f16_e32 v108, v108
	s_branch .LBB274_102
.LBB274_101:
	v_mov_b32_e32 v108, 0
.LBB274_102:
	v_pk_add_f16 v109, v16, v30
	v_pk_add_f16 v110, v17, v31
	v_max_f16_e32 v111, v105, v105
	v_lshrrev_b32_e32 v105, 16, v105
	v_max_f32_e32 v108, v108, v108
	v_lshrrev_b32_e32 v112, 16, v109
	v_lshrrev_b32_e32 v113, 16, v110
	v_min_f16_e32 v109, v111, v109
	v_min3_f16 v105, v105, v112, v113
	v_min3_f16 v105, v109, v110, v105
	v_cvt_f32_f16_e32 v105, v105
	v_min_f32_e32 v105, v108, v105
	v_lshlrev_b64 v[108:109], 1, v[32:33]
	v_cvt_f16_f32_e32 v105, v105
	v_add_co_u32 v108, vcc_lo, v28, v108
	v_add_co_ci_u32_e64 v109, null, v29, v109, vcc_lo
	global_store_short v[108:109], v105, off
	s_or_b32 exec_lo, exec_lo, s11
	s_and_b32 s12, s1, s8
	s_and_saveexec_b32 s11, s12
	s_cbranch_execz .LBB274_93
.LBB274_103:
	v_cmp_ne_u32_e32 vcc_lo, 1, v92
	s_cbranch_vccnz .LBB274_105
; %bb.104:
	v_lshlrev_b64 v[108:109], 1, v[34:35]
	v_add_co_u32 v108, vcc_lo, v106, v108
	v_add_co_ci_u32_e64 v109, null, v107, v109, vcc_lo
	global_load_ushort v105, v[108:109], off
	s_waitcnt vmcnt(0)
	v_mul_f16_e32 v105, s15, v105
	v_cvt_f32_f16_e32 v105, v105
	s_branch .LBB274_106
.LBB274_105:
	v_mov_b32_e32 v105, 0
.LBB274_106:
	v_pk_add_f16 v108, v18, v30
	v_pk_add_f16 v109, v19, v31
	v_max_f16_e32 v110, v104, v104
	v_lshrrev_b32_e32 v104, 16, v104
	v_max_f32_e32 v105, v105, v105
	v_lshrrev_b32_e32 v111, 16, v108
	v_lshrrev_b32_e32 v112, 16, v109
	v_min_f16_e32 v108, v110, v108
	v_min3_f16 v104, v104, v111, v112
	v_min3_f16 v104, v108, v109, v104
	v_cvt_f32_f16_e32 v104, v104
	v_min_f32_e32 v108, v105, v104
	v_lshlrev_b64 v[104:105], 1, v[34:35]
	v_cvt_f16_f32_e32 v108, v108
	v_add_co_u32 v104, vcc_lo, v28, v104
	v_add_co_ci_u32_e64 v105, null, v29, v105, vcc_lo
	global_store_short v[104:105], v108, off
	s_or_b32 exec_lo, exec_lo, s11
	s_and_b32 s12, s2, s8
	s_and_saveexec_b32 s11, s12
	s_cbranch_execz .LBB274_94
.LBB274_107:
	v_cmp_ne_u32_e32 vcc_lo, 1, v92
	s_cbranch_vccnz .LBB274_109
; %bb.108:
	v_lshlrev_b64 v[104:105], 1, v[36:37]
	v_add_co_u32 v104, vcc_lo, v106, v104
	v_add_co_ci_u32_e64 v105, null, v107, v105, vcc_lo
	global_load_ushort v104, v[104:105], off
	s_waitcnt vmcnt(0)
	v_mul_f16_e32 v104, s15, v104
	v_cvt_f32_f16_e32 v104, v104
	s_branch .LBB274_110
.LBB274_109:
	v_mov_b32_e32 v104, 0
.LBB274_110:
	v_pk_add_f16 v105, v12, v30
	v_pk_add_f16 v108, v13, v31
	v_max_f16_e32 v109, v102, v102
	v_lshrrev_b32_e32 v102, 16, v102
	v_max_f32_e32 v104, v104, v104
	v_lshrrev_b32_e32 v110, 16, v105
	v_lshrrev_b32_e32 v111, 16, v108
	v_min_f16_e32 v105, v109, v105
	v_min3_f16 v102, v102, v110, v111
	v_min3_f16 v102, v105, v108, v102
	v_cvt_f32_f16_e32 v102, v102
	v_min_f32_e32 v102, v104, v102
	v_lshlrev_b64 v[104:105], 1, v[36:37]
	v_cvt_f16_f32_e32 v102, v102
	v_add_co_u32 v104, vcc_lo, v28, v104
	v_add_co_ci_u32_e64 v105, null, v29, v105, vcc_lo
	global_store_short v[104:105], v102, off
	s_or_b32 exec_lo, exec_lo, s11
	s_and_b32 s12, s3, s8
	s_and_saveexec_b32 s11, s12
	s_cbranch_execz .LBB274_95
.LBB274_111:
	v_cmp_ne_u32_e32 vcc_lo, 1, v92
	s_cbranch_vccnz .LBB274_113
; %bb.112:
	v_lshlrev_b64 v[104:105], 1, v[38:39]
	v_add_co_u32 v104, vcc_lo, v106, v104
	v_add_co_ci_u32_e64 v105, null, v107, v105, vcc_lo
	global_load_ushort v102, v[104:105], off
	s_waitcnt vmcnt(0)
	v_mul_f16_e32 v102, s15, v102
	v_cvt_f32_f16_e32 v102, v102
	s_branch .LBB274_114
.LBB274_113:
	v_mov_b32_e32 v102, 0
.LBB274_114:
	v_pk_add_f16 v104, v14, v30
	v_pk_add_f16 v105, v15, v31
	v_max_f16_e32 v108, v101, v101
	v_lshrrev_b32_e32 v101, 16, v101
	v_max_f32_e32 v102, v102, v102
	v_lshrrev_b32_e32 v109, 16, v104
	v_lshrrev_b32_e32 v110, 16, v105
	v_min_f16_e32 v104, v108, v104
	v_min3_f16 v101, v101, v109, v110
	v_min3_f16 v101, v104, v105, v101
	v_cvt_f32_f16_e32 v101, v101
	v_min_f32_e32 v104, v102, v101
	v_lshlrev_b64 v[101:102], 1, v[38:39]
	v_cvt_f16_f32_e32 v104, v104
	v_add_co_u32 v101, vcc_lo, v28, v101
	v_add_co_ci_u32_e64 v102, null, v29, v102, vcc_lo
	global_store_short v[101:102], v104, off
	s_or_b32 exec_lo, exec_lo, s11
	s_and_b32 s12, s4, s8
	s_and_saveexec_b32 s11, s12
	s_cbranch_execz .LBB274_96
.LBB274_115:
	v_cmp_ne_u32_e32 vcc_lo, 1, v92
	s_cbranch_vccnz .LBB274_117
; %bb.116:
	v_lshlrev_b64 v[101:102], 1, v[40:41]
	v_add_co_u32 v101, vcc_lo, v106, v101
	v_add_co_ci_u32_e64 v102, null, v107, v102, vcc_lo
	global_load_ushort v101, v[101:102], off
	s_waitcnt vmcnt(0)
	v_mul_f16_e32 v101, s15, v101
	v_cvt_f32_f16_e32 v101, v101
	s_branch .LBB274_118
.LBB274_117:
	v_mov_b32_e32 v101, 0
.LBB274_118:
	v_pk_add_f16 v102, v8, v30
	v_pk_add_f16 v104, v9, v31
	v_max_f16_e32 v105, v100, v100
	v_lshrrev_b32_e32 v100, 16, v100
	v_max_f32_e32 v101, v101, v101
	v_lshrrev_b32_e32 v108, 16, v102
	v_lshrrev_b32_e32 v109, 16, v104
	v_min_f16_e32 v102, v105, v102
	v_min3_f16 v100, v100, v108, v109
	v_min3_f16 v100, v102, v104, v100
	v_cvt_f32_f16_e32 v100, v100
	v_min_f32_e32 v102, v101, v100
	v_lshlrev_b64 v[100:101], 1, v[40:41]
	v_cvt_f16_f32_e32 v102, v102
	v_add_co_u32 v100, vcc_lo, v28, v100
	v_add_co_ci_u32_e64 v101, null, v29, v101, vcc_lo
	global_store_short v[100:101], v102, off
	s_or_b32 exec_lo, exec_lo, s11
	s_and_b32 s12, s5, s8
	s_and_saveexec_b32 s11, s12
	s_cbranch_execz .LBB274_97
.LBB274_119:
	v_cmp_ne_u32_e32 vcc_lo, 1, v92
	s_cbranch_vccnz .LBB274_121
; %bb.120:
	v_lshlrev_b64 v[100:101], 1, v[42:43]
	v_add_co_u32 v100, vcc_lo, v106, v100
	v_add_co_ci_u32_e64 v101, null, v107, v101, vcc_lo
	global_load_ushort v100, v[100:101], off
	s_waitcnt vmcnt(0)
	v_mul_f16_e32 v100, s15, v100
	v_cvt_f32_f16_e32 v100, v100
	s_branch .LBB274_122
.LBB274_121:
	v_mov_b32_e32 v100, 0
.LBB274_122:
	v_pk_add_f16 v101, v10, v30
	v_pk_add_f16 v102, v11, v31
	v_max_f16_e32 v104, v99, v99
	v_lshrrev_b32_e32 v99, 16, v99
	v_max_f32_e32 v100, v100, v100
	v_lshrrev_b32_e32 v105, 16, v101
	v_lshrrev_b32_e32 v108, 16, v102
	v_min_f16_e32 v101, v104, v101
	v_min3_f16 v99, v99, v105, v108
	v_min3_f16 v99, v101, v102, v99
	v_cvt_f32_f16_e32 v99, v99
	v_min_f32_e32 v101, v100, v99
	v_lshlrev_b64 v[99:100], 1, v[42:43]
	v_cvt_f16_f32_e32 v101, v101
	v_add_co_u32 v99, vcc_lo, v28, v99
	v_add_co_ci_u32_e64 v100, null, v29, v100, vcc_lo
	global_store_short v[99:100], v101, off
	s_or_b32 exec_lo, exec_lo, s11
	s_and_b32 s12, s6, s8
	s_and_saveexec_b32 s11, s12
	s_cbranch_execz .LBB274_98
.LBB274_123:
	v_cmp_ne_u32_e32 vcc_lo, 1, v92
	s_cbranch_vccnz .LBB274_125
; %bb.124:
	v_lshlrev_b64 v[99:100], 1, v[44:45]
	v_add_co_u32 v99, vcc_lo, v106, v99
	v_add_co_ci_u32_e64 v100, null, v107, v100, vcc_lo
	global_load_ushort v99, v[99:100], off
	s_waitcnt vmcnt(0)
	v_mul_f16_e32 v99, s15, v99
	v_cvt_f32_f16_e32 v99, v99
	s_branch .LBB274_126
.LBB274_125:
	v_mov_b32_e32 v99, 0
.LBB274_126:
	v_pk_add_f16 v100, v0, v30
	v_pk_add_f16 v101, v1, v31
	v_max_f16_e32 v102, v98, v98
	v_lshrrev_b32_e32 v98, 16, v98
	v_max_f32_e32 v99, v99, v99
	v_lshrrev_b32_e32 v104, 16, v100
	v_lshrrev_b32_e32 v105, 16, v101
	v_min_f16_e32 v100, v102, v100
	v_min3_f16 v98, v98, v104, v105
	v_min3_f16 v98, v100, v101, v98
	v_cvt_f32_f16_e32 v98, v98
	v_min_f32_e32 v100, v99, v98
	v_lshlrev_b64 v[98:99], 1, v[44:45]
	v_cvt_f16_f32_e32 v100, v100
	v_add_co_u32 v98, vcc_lo, v28, v98
	v_add_co_ci_u32_e64 v99, null, v29, v99, vcc_lo
	global_store_short v[98:99], v100, off
	s_or_b32 exec_lo, exec_lo, s11
	s_and_b32 s11, s7, s8
	s_and_saveexec_b32 s8, s11
	s_cbranch_execz .LBB274_131
.LBB274_127:
	v_cmp_ne_u32_e32 vcc_lo, 1, v92
	s_cbranch_vccnz .LBB274_129
; %bb.128:
	v_lshlrev_b64 v[98:99], 1, v[46:47]
	v_add_co_u32 v98, vcc_lo, v106, v98
	v_add_co_ci_u32_e64 v99, null, v107, v99, vcc_lo
	global_load_ushort v98, v[98:99], off
	s_waitcnt vmcnt(0)
	v_mul_f16_e32 v98, s15, v98
	v_cvt_f32_f16_e32 v98, v98
	s_branch .LBB274_130
.LBB274_129:
	v_mov_b32_e32 v98, 0
.LBB274_130:
	v_pk_add_f16 v30, v2, v30
	v_pk_add_f16 v31, v3, v31
	v_max_f16_e32 v99, v97, v97
	v_lshrrev_b32_e32 v97, 16, v97
	v_lshrrev_b32_e32 v100, 16, v30
	;; [unrolled: 1-line block ×3, first 2 shown]
	v_min_f16_e32 v30, v99, v30
	v_min3_f16 v97, v97, v100, v101
	v_min3_f16 v30, v30, v31, v97
	v_max_f32_e32 v31, v98, v98
	v_cvt_f32_f16_e32 v30, v30
	v_min_f32_e32 v97, v31, v30
	v_lshlrev_b64 v[30:31], 1, v[46:47]
	v_cvt_f16_f32_e32 v97, v97
	v_add_co_u32 v28, vcc_lo, v28, v30
	v_add_co_ci_u32_e64 v29, null, v29, v31, vcc_lo
	global_store_short v[28:29], v97, off
.LBB274_131:
	s_or_b32 exec_lo, exec_lo, s8
	v_add_nc_u32_e32 v97, 64, v103
	v_mad_i64_i32 v[28:29], null, v97, s18, 0
	v_mad_i64_i32 v[30:31], null, v97, s14, 0
	v_cmp_gt_i32_e64 s8, s13, v97
	v_lshlrev_b64 v[28:29], 1, v[28:29]
	s_and_b32 s12, s0, s8
	v_lshlrev_b64 v[97:98], 1, v[30:31]
	v_add_co_u32 v30, vcc_lo, s16, v28
	v_add_co_ci_u32_e64 v31, null, s17, v29, vcc_lo
	v_add_co_u32 v28, vcc_lo, s9, v97
	v_add_co_ci_u32_e64 v29, null, s10, v98, vcc_lo
	s_and_saveexec_b32 s11, s12
	s_cbranch_execnz .LBB274_139
; %bb.132:
	s_or_b32 exec_lo, exec_lo, s11
	s_and_b32 s12, s1, s8
	s_and_saveexec_b32 s11, s12
	s_cbranch_execnz .LBB274_143
.LBB274_133:
	s_or_b32 exec_lo, exec_lo, s11
	s_and_b32 s12, s2, s8
	s_and_saveexec_b32 s11, s12
	s_cbranch_execnz .LBB274_147
.LBB274_134:
	s_or_b32 exec_lo, exec_lo, s11
	s_and_b32 s12, s3, s8
	s_and_saveexec_b32 s11, s12
	s_cbranch_execnz .LBB274_151
.LBB274_135:
	s_or_b32 exec_lo, exec_lo, s11
	s_and_b32 s12, s4, s8
	s_and_saveexec_b32 s11, s12
	s_cbranch_execnz .LBB274_155
.LBB274_136:
	s_or_b32 exec_lo, exec_lo, s11
	s_and_b32 s12, s5, s8
	s_and_saveexec_b32 s11, s12
	s_cbranch_execnz .LBB274_159
.LBB274_137:
	s_or_b32 exec_lo, exec_lo, s11
	s_and_b32 s12, s6, s8
	s_and_saveexec_b32 s11, s12
	s_cbranch_execnz .LBB274_163
.LBB274_138:
	s_or_b32 exec_lo, exec_lo, s11
	s_and_b32 s11, s7, s8
	s_and_saveexec_b32 s8, s11
	s_cbranch_execnz .LBB274_167
	s_branch .LBB274_171
.LBB274_139:
	v_cmp_ne_u32_e32 vcc_lo, 1, v92
	s_cbranch_vccnz .LBB274_141
; %bb.140:
	v_lshlrev_b64 v[97:98], 1, v[32:33]
	v_add_co_u32 v97, vcc_lo, v30, v97
	v_add_co_ci_u32_e64 v98, null, v31, v98, vcc_lo
	global_load_ushort v97, v[97:98], off
	s_waitcnt vmcnt(0)
	v_mul_f16_e32 v97, s15, v97
	v_cvt_f32_f16_e32 v97, v97
	s_branch .LBB274_142
.LBB274_141:
	v_mov_b32_e32 v97, 0
.LBB274_142:
	v_pk_add_f16 v98, v16, v24
	v_pk_add_f16 v99, v17, v25
	v_max_f16_e32 v100, v94, v94
	v_lshrrev_b32_e32 v94, 16, v94
	v_max_f32_e32 v97, v97, v97
	v_lshrrev_b32_e32 v101, 16, v98
	v_lshrrev_b32_e32 v102, 16, v99
	v_min_f16_e32 v98, v100, v98
	v_min3_f16 v94, v94, v101, v102
	v_min3_f16 v94, v98, v99, v94
	v_cvt_f32_f16_e32 v94, v94
	v_min_f32_e32 v94, v97, v94
	v_lshlrev_b64 v[97:98], 1, v[32:33]
	v_cvt_f16_f32_e32 v94, v94
	v_add_co_u32 v97, vcc_lo, v28, v97
	v_add_co_ci_u32_e64 v98, null, v29, v98, vcc_lo
	global_store_short v[97:98], v94, off
	s_or_b32 exec_lo, exec_lo, s11
	s_and_b32 s12, s1, s8
	s_and_saveexec_b32 s11, s12
	s_cbranch_execz .LBB274_133
.LBB274_143:
	v_cmp_ne_u32_e32 vcc_lo, 1, v92
	s_cbranch_vccnz .LBB274_145
; %bb.144:
	v_lshlrev_b64 v[97:98], 1, v[34:35]
	v_add_co_u32 v97, vcc_lo, v30, v97
	v_add_co_ci_u32_e64 v98, null, v31, v98, vcc_lo
	global_load_ushort v94, v[97:98], off
	s_waitcnt vmcnt(0)
	v_mul_f16_e32 v94, s15, v94
	v_cvt_f32_f16_e32 v94, v94
	s_branch .LBB274_146
.LBB274_145:
	v_mov_b32_e32 v94, 0
.LBB274_146:
	v_pk_add_f16 v97, v18, v24
	v_pk_add_f16 v98, v19, v25
	v_max_f16_e32 v99, v93, v93
	v_lshrrev_b32_e32 v93, 16, v93
	v_max_f32_e32 v94, v94, v94
	v_lshrrev_b32_e32 v100, 16, v97
	v_lshrrev_b32_e32 v101, 16, v98
	v_min_f16_e32 v97, v99, v97
	v_min3_f16 v93, v93, v100, v101
	v_min3_f16 v93, v97, v98, v93
	v_cvt_f32_f16_e32 v93, v93
	v_min_f32_e32 v97, v94, v93
	v_lshlrev_b64 v[93:94], 1, v[34:35]
	v_cvt_f16_f32_e32 v97, v97
	v_add_co_u32 v93, vcc_lo, v28, v93
	v_add_co_ci_u32_e64 v94, null, v29, v94, vcc_lo
	global_store_short v[93:94], v97, off
	s_or_b32 exec_lo, exec_lo, s11
	s_and_b32 s12, s2, s8
	s_and_saveexec_b32 s11, s12
	s_cbranch_execz .LBB274_134
.LBB274_147:
	v_cmp_ne_u32_e32 vcc_lo, 1, v92
	s_cbranch_vccnz .LBB274_149
; %bb.148:
	v_lshlrev_b64 v[93:94], 1, v[36:37]
	v_add_co_u32 v93, vcc_lo, v30, v93
	v_add_co_ci_u32_e64 v94, null, v31, v94, vcc_lo
	global_load_ushort v93, v[93:94], off
	s_waitcnt vmcnt(0)
	v_mul_f16_e32 v93, s15, v93
	v_cvt_f32_f16_e32 v93, v93
	s_branch .LBB274_150
.LBB274_149:
	v_mov_b32_e32 v93, 0
.LBB274_150:
	v_pk_add_f16 v94, v12, v24
	v_pk_add_f16 v97, v13, v25
	v_max_f16_e32 v98, v90, v90
	v_lshrrev_b32_e32 v90, 16, v90
	v_max_f32_e32 v93, v93, v93
	v_lshrrev_b32_e32 v99, 16, v94
	v_lshrrev_b32_e32 v100, 16, v97
	v_min_f16_e32 v94, v98, v94
	v_min3_f16 v90, v90, v99, v100
	v_min3_f16 v90, v94, v97, v90
	v_cvt_f32_f16_e32 v90, v90
	v_min_f32_e32 v90, v93, v90
	v_lshlrev_b64 v[93:94], 1, v[36:37]
	v_cvt_f16_f32_e32 v90, v90
	v_add_co_u32 v93, vcc_lo, v28, v93
	v_add_co_ci_u32_e64 v94, null, v29, v94, vcc_lo
	global_store_short v[93:94], v90, off
	s_or_b32 exec_lo, exec_lo, s11
	s_and_b32 s12, s3, s8
	s_and_saveexec_b32 s11, s12
	s_cbranch_execz .LBB274_135
.LBB274_151:
	v_cmp_ne_u32_e32 vcc_lo, 1, v92
	s_cbranch_vccnz .LBB274_153
; %bb.152:
	v_lshlrev_b64 v[93:94], 1, v[38:39]
	v_add_co_u32 v93, vcc_lo, v30, v93
	v_add_co_ci_u32_e64 v94, null, v31, v94, vcc_lo
	global_load_ushort v90, v[93:94], off
	s_waitcnt vmcnt(0)
	v_mul_f16_e32 v90, s15, v90
	v_cvt_f32_f16_e32 v90, v90
	s_branch .LBB274_154
.LBB274_153:
	v_mov_b32_e32 v90, 0
.LBB274_154:
	v_pk_add_f16 v93, v14, v24
	v_pk_add_f16 v94, v15, v25
	v_max_f16_e32 v97, v88, v88
	v_lshrrev_b32_e32 v88, 16, v88
	v_max_f32_e32 v90, v90, v90
	v_lshrrev_b32_e32 v98, 16, v93
	v_lshrrev_b32_e32 v99, 16, v94
	v_min_f16_e32 v93, v97, v93
	v_min3_f16 v88, v88, v98, v99
	v_min3_f16 v88, v93, v94, v88
	v_lshlrev_b64 v[93:94], 1, v[38:39]
	v_cvt_f32_f16_e32 v88, v88
	v_add_co_u32 v93, vcc_lo, v28, v93
	v_add_co_ci_u32_e64 v94, null, v29, v94, vcc_lo
	v_min_f32_e32 v88, v90, v88
	v_cvt_f16_f32_e32 v88, v88
	global_store_short v[93:94], v88, off
	s_or_b32 exec_lo, exec_lo, s11
	s_and_b32 s12, s4, s8
	s_and_saveexec_b32 s11, s12
	s_cbranch_execz .LBB274_136
.LBB274_155:
	v_cmp_ne_u32_e32 vcc_lo, 1, v92
	s_cbranch_vccnz .LBB274_157
; %bb.156:
	v_lshlrev_b64 v[93:94], 1, v[40:41]
	v_add_co_u32 v93, vcc_lo, v30, v93
	v_add_co_ci_u32_e64 v94, null, v31, v94, vcc_lo
	global_load_ushort v88, v[93:94], off
	s_waitcnt vmcnt(0)
	v_mul_f16_e32 v88, s15, v88
	v_cvt_f32_f16_e32 v88, v88
	s_branch .LBB274_158
.LBB274_157:
	v_mov_b32_e32 v88, 0
.LBB274_158:
	v_pk_add_f16 v90, v8, v24
	v_pk_add_f16 v93, v9, v25
	v_max_f16_e32 v94, v85, v85
	v_lshrrev_b32_e32 v85, 16, v85
	v_max_f32_e32 v88, v88, v88
	v_lshrrev_b32_e32 v97, 16, v90
	v_lshrrev_b32_e32 v98, 16, v93
	v_min_f16_e32 v90, v94, v90
	v_min3_f16 v85, v85, v97, v98
	v_min3_f16 v85, v90, v93, v85
	v_lshlrev_b64 v[93:94], 1, v[40:41]
	v_cvt_f32_f16_e32 v85, v85
	v_add_co_u32 v93, vcc_lo, v28, v93
	v_add_co_ci_u32_e64 v94, null, v29, v94, vcc_lo
	v_min_f32_e32 v85, v88, v85
	v_cvt_f16_f32_e32 v85, v85
	global_store_short v[93:94], v85, off
	s_or_b32 exec_lo, exec_lo, s11
	s_and_b32 s12, s5, s8
	s_and_saveexec_b32 s11, s12
	s_cbranch_execz .LBB274_137
.LBB274_159:
	v_cmp_ne_u32_e32 vcc_lo, 1, v92
	s_cbranch_vccnz .LBB274_161
; %bb.160:
	v_lshlrev_b64 v[93:94], 1, v[42:43]
	v_add_co_u32 v93, vcc_lo, v30, v93
	v_add_co_ci_u32_e64 v94, null, v31, v94, vcc_lo
	global_load_ushort v85, v[93:94], off
	s_waitcnt vmcnt(0)
	v_mul_f16_e32 v85, s15, v85
	v_cvt_f32_f16_e32 v85, v85
	s_branch .LBB274_162
.LBB274_161:
	v_mov_b32_e32 v85, 0
.LBB274_162:
	v_pk_add_f16 v88, v10, v24
	v_pk_add_f16 v90, v11, v25
	v_max_f16_e32 v93, v86, v86
	v_lshrrev_b32_e32 v86, 16, v86
	v_max_f32_e32 v85, v85, v85
	v_lshrrev_b32_e32 v94, 16, v88
	v_lshrrev_b32_e32 v97, 16, v90
	v_min_f16_e32 v88, v93, v88
	v_min3_f16 v86, v86, v94, v97
	v_min3_f16 v86, v88, v90, v86
	v_cvt_f32_f16_e32 v86, v86
	v_min_f32_e32 v88, v85, v86
	v_lshlrev_b64 v[85:86], 1, v[42:43]
	v_cvt_f16_f32_e32 v88, v88
	v_add_co_u32 v85, vcc_lo, v28, v85
	v_add_co_ci_u32_e64 v86, null, v29, v86, vcc_lo
	global_store_short v[85:86], v88, off
	s_or_b32 exec_lo, exec_lo, s11
	s_and_b32 s12, s6, s8
	s_and_saveexec_b32 s11, s12
	s_cbranch_execz .LBB274_138
.LBB274_163:
	v_cmp_ne_u32_e32 vcc_lo, 1, v92
	s_cbranch_vccnz .LBB274_165
; %bb.164:
	v_lshlrev_b64 v[85:86], 1, v[44:45]
	v_add_co_u32 v85, vcc_lo, v30, v85
	v_add_co_ci_u32_e64 v86, null, v31, v86, vcc_lo
	global_load_ushort v85, v[85:86], off
	s_waitcnt vmcnt(0)
	v_mul_f16_e32 v85, s15, v85
	v_cvt_f32_f16_e32 v85, v85
	s_branch .LBB274_166
.LBB274_165:
	v_mov_b32_e32 v85, 0
.LBB274_166:
	v_pk_add_f16 v86, v0, v24
	v_pk_add_f16 v88, v1, v25
	v_max_f16_e32 v90, v96, v96
	v_lshrrev_b32_e32 v93, 16, v96
	v_max_f32_e32 v85, v85, v85
	v_lshrrev_b32_e32 v94, 16, v86
	v_lshrrev_b32_e32 v96, 16, v88
	v_min_f16_e32 v86, v90, v86
	v_min3_f16 v90, v93, v94, v96
	v_min3_f16 v86, v86, v88, v90
	v_cvt_f32_f16_e32 v86, v86
	v_min_f32_e32 v88, v85, v86
	v_lshlrev_b64 v[85:86], 1, v[44:45]
	v_cvt_f16_f32_e32 v88, v88
	v_add_co_u32 v85, vcc_lo, v28, v85
	v_add_co_ci_u32_e64 v86, null, v29, v86, vcc_lo
	global_store_short v[85:86], v88, off
	s_or_b32 exec_lo, exec_lo, s11
	s_and_b32 s11, s7, s8
	s_and_saveexec_b32 s8, s11
	s_cbranch_execz .LBB274_171
.LBB274_167:
	v_cmp_ne_u32_e32 vcc_lo, 1, v92
	s_cbranch_vccnz .LBB274_169
; %bb.168:
	v_lshlrev_b64 v[85:86], 1, v[46:47]
	v_add_co_u32 v30, vcc_lo, v30, v85
	v_add_co_ci_u32_e64 v31, null, v31, v86, vcc_lo
	global_load_ushort v30, v[30:31], off
	s_waitcnt vmcnt(0)
	v_mul_f16_e32 v30, s15, v30
	v_cvt_f32_f16_e32 v30, v30
	s_branch .LBB274_170
.LBB274_169:
	v_mov_b32_e32 v30, 0
.LBB274_170:
	v_pk_add_f16 v24, v2, v24
	v_pk_add_f16 v25, v3, v25
	v_max_f16_e32 v31, v95, v95
	v_lshrrev_b32_e32 v85, 16, v95
	v_lshrrev_b32_e32 v86, 16, v24
	;; [unrolled: 1-line block ×3, first 2 shown]
	v_min_f16_e32 v24, v31, v24
	v_min3_f16 v31, v85, v86, v88
	v_min3_f16 v24, v24, v25, v31
	v_max_f32_e32 v25, v30, v30
	v_cvt_f32_f16_e32 v24, v24
	v_min_f32_e32 v30, v25, v24
	v_lshlrev_b64 v[24:25], 1, v[46:47]
	v_cvt_f16_f32_e32 v30, v30
	v_add_co_u32 v24, vcc_lo, v28, v24
	v_add_co_ci_u32_e64 v25, null, v29, v25, vcc_lo
	global_store_short v[24:25], v30, off
.LBB274_171:
	s_or_b32 exec_lo, exec_lo, s8
	v_add_nc_u32_e32 v30, 0x60, v103
	v_mad_i64_i32 v[24:25], null, v30, s18, 0
	v_mad_i64_i32 v[28:29], null, v30, s14, 0
	v_cmp_gt_i32_e64 s8, s13, v30
	v_lshlrev_b64 v[24:25], 1, v[24:25]
	s_and_b32 s12, s0, s8
	v_lshlrev_b64 v[30:31], 1, v[28:29]
	v_add_co_u32 v28, vcc_lo, s16, v24
	v_add_co_ci_u32_e64 v29, null, s17, v25, vcc_lo
	v_add_co_u32 v24, vcc_lo, s9, v30
	v_add_co_ci_u32_e64 v25, null, s10, v31, vcc_lo
	s_and_saveexec_b32 s11, s12
	s_cbranch_execnz .LBB274_179
; %bb.172:
	s_or_b32 exec_lo, exec_lo, s11
	s_and_b32 s12, s1, s8
	s_and_saveexec_b32 s11, s12
	s_cbranch_execnz .LBB274_183
.LBB274_173:
	s_or_b32 exec_lo, exec_lo, s11
	s_and_b32 s12, s2, s8
	s_and_saveexec_b32 s11, s12
	s_cbranch_execnz .LBB274_187
.LBB274_174:
	s_or_b32 exec_lo, exec_lo, s11
	s_and_b32 s12, s3, s8
	s_and_saveexec_b32 s11, s12
	s_cbranch_execnz .LBB274_191
.LBB274_175:
	s_or_b32 exec_lo, exec_lo, s11
	s_and_b32 s12, s4, s8
	s_and_saveexec_b32 s11, s12
	s_cbranch_execnz .LBB274_195
.LBB274_176:
	s_or_b32 exec_lo, exec_lo, s11
	s_and_b32 s12, s5, s8
	s_and_saveexec_b32 s11, s12
	s_cbranch_execnz .LBB274_199
.LBB274_177:
	s_or_b32 exec_lo, exec_lo, s11
	s_and_b32 s12, s6, s8
	s_and_saveexec_b32 s11, s12
	s_cbranch_execnz .LBB274_203
.LBB274_178:
	s_or_b32 exec_lo, exec_lo, s11
	s_and_b32 s11, s7, s8
	s_and_saveexec_b32 s8, s11
	s_cbranch_execnz .LBB274_207
	s_branch .LBB274_211
.LBB274_179:
	v_cmp_ne_u32_e32 vcc_lo, 1, v92
	s_cbranch_vccnz .LBB274_181
; %bb.180:
	v_lshlrev_b64 v[30:31], 1, v[32:33]
	v_add_co_u32 v30, vcc_lo, v28, v30
	v_add_co_ci_u32_e64 v31, null, v29, v31, vcc_lo
	global_load_ushort v30, v[30:31], off
	s_waitcnt vmcnt(0)
	v_mul_f16_e32 v30, s15, v30
	v_cvt_f32_f16_e32 v30, v30
	s_branch .LBB274_182
.LBB274_181:
	v_mov_b32_e32 v30, 0
.LBB274_182:
	v_pk_add_f16 v31, v16, v26
	v_pk_add_f16 v85, v17, v27
	v_max_f16_e32 v86, v91, v91
	v_lshrrev_b32_e32 v88, 16, v91
	v_max_f32_e32 v30, v30, v30
	v_lshrrev_b32_e32 v90, 16, v31
	v_lshrrev_b32_e32 v91, 16, v85
	v_min_f16_e32 v31, v86, v31
	v_min3_f16 v86, v88, v90, v91
	v_min3_f16 v31, v31, v85, v86
	v_cvt_f32_f16_e32 v31, v31
	v_min_f32_e32 v85, v30, v31
	v_lshlrev_b64 v[30:31], 1, v[32:33]
	v_cvt_f16_f32_e32 v85, v85
	v_add_co_u32 v30, vcc_lo, v24, v30
	v_add_co_ci_u32_e64 v31, null, v25, v31, vcc_lo
	global_store_short v[30:31], v85, off
	s_or_b32 exec_lo, exec_lo, s11
	s_and_b32 s12, s1, s8
	s_and_saveexec_b32 s11, s12
	s_cbranch_execz .LBB274_173
.LBB274_183:
	v_cmp_ne_u32_e32 vcc_lo, 1, v92
	s_cbranch_vccnz .LBB274_185
; %bb.184:
	v_lshlrev_b64 v[30:31], 1, v[34:35]
	v_add_co_u32 v30, vcc_lo, v28, v30
	v_add_co_ci_u32_e64 v31, null, v29, v31, vcc_lo
	global_load_ushort v30, v[30:31], off
	s_waitcnt vmcnt(0)
	v_mul_f16_e32 v30, s15, v30
	v_cvt_f32_f16_e32 v30, v30
	s_branch .LBB274_186
.LBB274_185:
	v_mov_b32_e32 v30, 0
.LBB274_186:
	v_pk_add_f16 v31, v18, v26
	v_pk_add_f16 v85, v19, v27
	v_max_f16_e32 v86, v89, v89
	v_lshrrev_b32_e32 v88, 16, v89
	v_max_f32_e32 v30, v30, v30
	v_lshrrev_b32_e32 v89, 16, v31
	v_lshrrev_b32_e32 v90, 16, v85
	v_min_f16_e32 v31, v86, v31
	v_min3_f16 v86, v88, v89, v90
	v_min3_f16 v31, v31, v85, v86
	v_cvt_f32_f16_e32 v31, v31
	v_min_f32_e32 v85, v30, v31
	v_lshlrev_b64 v[30:31], 1, v[34:35]
	v_cvt_f16_f32_e32 v85, v85
	v_add_co_u32 v30, vcc_lo, v24, v30
	v_add_co_ci_u32_e64 v31, null, v25, v31, vcc_lo
	global_store_short v[30:31], v85, off
	s_or_b32 exec_lo, exec_lo, s11
	s_and_b32 s12, s2, s8
	s_and_saveexec_b32 s11, s12
	s_cbranch_execz .LBB274_174
.LBB274_187:
	v_cmp_ne_u32_e32 vcc_lo, 1, v92
	s_cbranch_vccnz .LBB274_189
; %bb.188:
	v_lshlrev_b64 v[30:31], 1, v[36:37]
	v_add_co_u32 v30, vcc_lo, v28, v30
	v_add_co_ci_u32_e64 v31, null, v29, v31, vcc_lo
	global_load_ushort v30, v[30:31], off
	s_waitcnt vmcnt(0)
	v_mul_f16_e32 v30, s15, v30
	v_cvt_f32_f16_e32 v30, v30
	s_branch .LBB274_190
.LBB274_189:
	v_mov_b32_e32 v30, 0
.LBB274_190:
	v_pk_add_f16 v31, v12, v26
	v_pk_add_f16 v85, v13, v27
	v_max_f16_e32 v86, v87, v87
	v_lshrrev_b32_e32 v87, 16, v87
	v_max_f32_e32 v30, v30, v30
	v_lshrrev_b32_e32 v88, 16, v31
	v_lshrrev_b32_e32 v89, 16, v85
	v_min_f16_e32 v31, v86, v31
	v_min3_f16 v86, v87, v88, v89
	v_min3_f16 v31, v31, v85, v86
	v_cvt_f32_f16_e32 v31, v31
	v_min_f32_e32 v85, v30, v31
	v_lshlrev_b64 v[30:31], 1, v[36:37]
	v_cvt_f16_f32_e32 v85, v85
	v_add_co_u32 v30, vcc_lo, v24, v30
	v_add_co_ci_u32_e64 v31, null, v25, v31, vcc_lo
	global_store_short v[30:31], v85, off
	s_or_b32 exec_lo, exec_lo, s11
	s_and_b32 s12, s3, s8
	s_and_saveexec_b32 s11, s12
	s_cbranch_execz .LBB274_175
.LBB274_191:
	v_cmp_ne_u32_e32 vcc_lo, 1, v92
	s_cbranch_vccnz .LBB274_193
; %bb.192:
	v_lshlrev_b64 v[30:31], 1, v[38:39]
	v_add_co_u32 v30, vcc_lo, v28, v30
	v_add_co_ci_u32_e64 v31, null, v29, v31, vcc_lo
	global_load_ushort v30, v[30:31], off
	s_waitcnt vmcnt(0)
	v_mul_f16_e32 v30, s15, v30
	v_cvt_f32_f16_e32 v30, v30
	s_branch .LBB274_194
.LBB274_193:
	v_mov_b32_e32 v30, 0
.LBB274_194:
	v_pk_add_f16 v31, v14, v26
	v_pk_add_f16 v85, v15, v27
	v_max_f16_e32 v86, v84, v84
	v_lshrrev_b32_e32 v84, 16, v84
	v_max_f32_e32 v30, v30, v30
	v_lshrrev_b32_e32 v87, 16, v31
	v_lshrrev_b32_e32 v88, 16, v85
	v_min_f16_e32 v31, v86, v31
	v_min3_f16 v84, v84, v87, v88
	v_min3_f16 v31, v31, v85, v84
	v_cvt_f32_f16_e32 v31, v31
	v_min_f32_e32 v84, v30, v31
	v_lshlrev_b64 v[30:31], 1, v[38:39]
	v_cvt_f16_f32_e32 v84, v84
	v_add_co_u32 v30, vcc_lo, v24, v30
	v_add_co_ci_u32_e64 v31, null, v25, v31, vcc_lo
	global_store_short v[30:31], v84, off
	s_or_b32 exec_lo, exec_lo, s11
	s_and_b32 s12, s4, s8
	s_and_saveexec_b32 s11, s12
	s_cbranch_execz .LBB274_176
.LBB274_195:
	v_cmp_ne_u32_e32 vcc_lo, 1, v92
	s_cbranch_vccnz .LBB274_197
; %bb.196:
	v_lshlrev_b64 v[30:31], 1, v[40:41]
	v_add_co_u32 v30, vcc_lo, v28, v30
	v_add_co_ci_u32_e64 v31, null, v29, v31, vcc_lo
	global_load_ushort v30, v[30:31], off
	s_waitcnt vmcnt(0)
	v_mul_f16_e32 v30, s15, v30
	v_cvt_f32_f16_e32 v30, v30
	s_branch .LBB274_198
.LBB274_197:
	v_mov_b32_e32 v30, 0
.LBB274_198:
	v_pk_add_f16 v31, v8, v26
	v_pk_add_f16 v84, v9, v27
	v_max_f16_e32 v85, v83, v83
	v_lshrrev_b32_e32 v83, 16, v83
	v_max_f32_e32 v30, v30, v30
	v_lshrrev_b32_e32 v86, 16, v31
	v_lshrrev_b32_e32 v87, 16, v84
	v_min_f16_e32 v31, v85, v31
	v_min3_f16 v83, v83, v86, v87
	v_min3_f16 v31, v31, v84, v83
	v_cvt_f32_f16_e32 v31, v31
	v_min_f32_e32 v83, v30, v31
	v_lshlrev_b64 v[30:31], 1, v[40:41]
	v_cvt_f16_f32_e32 v83, v83
	v_add_co_u32 v30, vcc_lo, v24, v30
	v_add_co_ci_u32_e64 v31, null, v25, v31, vcc_lo
	global_store_short v[30:31], v83, off
	s_or_b32 exec_lo, exec_lo, s11
	s_and_b32 s12, s5, s8
	s_and_saveexec_b32 s11, s12
	s_cbranch_execz .LBB274_177
.LBB274_199:
	v_cmp_ne_u32_e32 vcc_lo, 1, v92
	s_cbranch_vccnz .LBB274_201
; %bb.200:
	v_lshlrev_b64 v[30:31], 1, v[42:43]
	v_add_co_u32 v30, vcc_lo, v28, v30
	v_add_co_ci_u32_e64 v31, null, v29, v31, vcc_lo
	global_load_ushort v30, v[30:31], off
	s_waitcnt vmcnt(0)
	v_mul_f16_e32 v30, s15, v30
	v_cvt_f32_f16_e32 v30, v30
	s_branch .LBB274_202
.LBB274_201:
	v_mov_b32_e32 v30, 0
.LBB274_202:
	v_pk_add_f16 v31, v10, v26
	v_pk_add_f16 v83, v11, v27
	v_max_f16_e32 v84, v82, v82
	v_lshrrev_b32_e32 v82, 16, v82
	v_max_f32_e32 v30, v30, v30
	v_lshrrev_b32_e32 v85, 16, v31
	v_lshrrev_b32_e32 v86, 16, v83
	v_min_f16_e32 v31, v84, v31
	v_min3_f16 v82, v82, v85, v86
	v_min3_f16 v31, v31, v83, v82
	v_cvt_f32_f16_e32 v31, v31
	v_min_f32_e32 v82, v30, v31
	v_lshlrev_b64 v[30:31], 1, v[42:43]
	v_cvt_f16_f32_e32 v82, v82
	v_add_co_u32 v30, vcc_lo, v24, v30
	v_add_co_ci_u32_e64 v31, null, v25, v31, vcc_lo
	global_store_short v[30:31], v82, off
	s_or_b32 exec_lo, exec_lo, s11
	s_and_b32 s12, s6, s8
	s_and_saveexec_b32 s11, s12
	s_cbranch_execz .LBB274_178
.LBB274_203:
	v_cmp_ne_u32_e32 vcc_lo, 1, v92
	s_cbranch_vccnz .LBB274_205
; %bb.204:
	v_lshlrev_b64 v[30:31], 1, v[44:45]
	v_add_co_u32 v30, vcc_lo, v28, v30
	v_add_co_ci_u32_e64 v31, null, v29, v31, vcc_lo
	global_load_ushort v30, v[30:31], off
	s_waitcnt vmcnt(0)
	v_mul_f16_e32 v30, s15, v30
	v_cvt_f32_f16_e32 v30, v30
	s_branch .LBB274_206
.LBB274_205:
	v_mov_b32_e32 v30, 0
.LBB274_206:
	v_pk_add_f16 v31, v0, v26
	v_pk_add_f16 v82, v1, v27
	v_max_f16_e32 v83, v81, v81
	v_lshrrev_b32_e32 v81, 16, v81
	v_max_f32_e32 v30, v30, v30
	v_lshrrev_b32_e32 v84, 16, v31
	v_lshrrev_b32_e32 v85, 16, v82
	v_min_f16_e32 v31, v83, v31
	v_min3_f16 v81, v81, v84, v85
	v_min3_f16 v31, v31, v82, v81
	v_cvt_f32_f16_e32 v31, v31
	v_min_f32_e32 v81, v30, v31
	v_lshlrev_b64 v[30:31], 1, v[44:45]
	v_cvt_f16_f32_e32 v81, v81
	v_add_co_u32 v30, vcc_lo, v24, v30
	v_add_co_ci_u32_e64 v31, null, v25, v31, vcc_lo
	global_store_short v[30:31], v81, off
	s_or_b32 exec_lo, exec_lo, s11
	s_and_b32 s11, s7, s8
	s_and_saveexec_b32 s8, s11
	s_cbranch_execz .LBB274_211
.LBB274_207:
	v_cmp_ne_u32_e32 vcc_lo, 1, v92
	s_cbranch_vccnz .LBB274_209
; %bb.208:
	v_lshlrev_b64 v[30:31], 1, v[46:47]
	v_add_co_u32 v28, vcc_lo, v28, v30
	v_add_co_ci_u32_e64 v29, null, v29, v31, vcc_lo
	global_load_ushort v28, v[28:29], off
	s_waitcnt vmcnt(0)
	v_mul_f16_e32 v28, s15, v28
	v_cvt_f32_f16_e32 v28, v28
	s_branch .LBB274_210
.LBB274_209:
	v_mov_b32_e32 v28, 0
.LBB274_210:
	v_pk_add_f16 v26, v2, v26
	v_pk_add_f16 v27, v3, v27
	v_max_f16_e32 v29, v80, v80
	v_lshrrev_b32_e32 v30, 16, v80
	v_lshrrev_b32_e32 v31, 16, v26
	;; [unrolled: 1-line block ×3, first 2 shown]
	v_min_f16_e32 v26, v29, v26
	v_min3_f16 v29, v30, v31, v80
	v_min3_f16 v26, v26, v27, v29
	v_max_f32_e32 v27, v28, v28
	v_cvt_f32_f16_e32 v26, v26
	v_min_f32_e32 v28, v27, v26
	v_lshlrev_b64 v[26:27], 1, v[46:47]
	v_cvt_f16_f32_e32 v28, v28
	v_add_co_u32 v24, vcc_lo, v24, v26
	v_add_co_ci_u32_e64 v25, null, v25, v27, vcc_lo
	global_store_short v[24:25], v28, off
.LBB274_211:
	s_or_b32 exec_lo, exec_lo, s8
	v_add_nc_u32_e32 v28, 0x80, v103
	v_mad_i64_i32 v[24:25], null, v28, s18, 0
	v_mad_i64_i32 v[26:27], null, v28, s14, 0
	v_cmp_gt_i32_e64 s8, s13, v28
	v_lshlrev_b64 v[24:25], 1, v[24:25]
	s_and_b32 s12, s0, s8
	v_lshlrev_b64 v[28:29], 1, v[26:27]
	v_add_co_u32 v26, vcc_lo, s16, v24
	v_add_co_ci_u32_e64 v27, null, s17, v25, vcc_lo
	v_add_co_u32 v24, vcc_lo, s9, v28
	v_add_co_ci_u32_e64 v25, null, s10, v29, vcc_lo
	s_and_saveexec_b32 s11, s12
	s_cbranch_execnz .LBB274_219
; %bb.212:
	s_or_b32 exec_lo, exec_lo, s11
	s_and_b32 s12, s1, s8
	s_and_saveexec_b32 s11, s12
	s_cbranch_execnz .LBB274_223
.LBB274_213:
	s_or_b32 exec_lo, exec_lo, s11
	s_and_b32 s12, s2, s8
	s_and_saveexec_b32 s11, s12
	s_cbranch_execnz .LBB274_227
.LBB274_214:
	s_or_b32 exec_lo, exec_lo, s11
	s_and_b32 s12, s3, s8
	s_and_saveexec_b32 s11, s12
	s_cbranch_execnz .LBB274_231
.LBB274_215:
	s_or_b32 exec_lo, exec_lo, s11
	s_and_b32 s12, s4, s8
	s_and_saveexec_b32 s11, s12
	s_cbranch_execnz .LBB274_235
.LBB274_216:
	s_or_b32 exec_lo, exec_lo, s11
	s_and_b32 s12, s5, s8
	s_and_saveexec_b32 s11, s12
	s_cbranch_execnz .LBB274_239
.LBB274_217:
	s_or_b32 exec_lo, exec_lo, s11
	s_and_b32 s12, s6, s8
	s_and_saveexec_b32 s11, s12
	s_cbranch_execnz .LBB274_243
.LBB274_218:
	s_or_b32 exec_lo, exec_lo, s11
	s_and_b32 s11, s7, s8
	s_and_saveexec_b32 s8, s11
	s_cbranch_execnz .LBB274_247
	s_branch .LBB274_251
.LBB274_219:
	v_cmp_ne_u32_e32 vcc_lo, 1, v92
	s_cbranch_vccnz .LBB274_221
; %bb.220:
	v_lshlrev_b64 v[28:29], 1, v[32:33]
	v_add_co_u32 v28, vcc_lo, v26, v28
	v_add_co_ci_u32_e64 v29, null, v27, v29, vcc_lo
	global_load_ushort v28, v[28:29], off
	s_waitcnt vmcnt(0)
	v_mul_f16_e32 v28, s15, v28
	v_cvt_f32_f16_e32 v28, v28
	s_branch .LBB274_222
.LBB274_221:
	v_mov_b32_e32 v28, 0
.LBB274_222:
	v_pk_add_f16 v29, v16, v20
	v_pk_add_f16 v30, v17, v21
	v_max_f16_e32 v31, v79, v79
	v_lshrrev_b32_e32 v79, 16, v79
	v_max_f32_e32 v28, v28, v28
	v_lshrrev_b32_e32 v80, 16, v29
	v_lshrrev_b32_e32 v81, 16, v30
	v_min_f16_e32 v29, v31, v29
	v_min3_f16 v31, v79, v80, v81
	v_min3_f16 v29, v29, v30, v31
	v_cvt_f32_f16_e32 v29, v29
	v_min_f32_e32 v30, v28, v29
	v_lshlrev_b64 v[28:29], 1, v[32:33]
	v_cvt_f16_f32_e32 v30, v30
	v_add_co_u32 v28, vcc_lo, v24, v28
	v_add_co_ci_u32_e64 v29, null, v25, v29, vcc_lo
	global_store_short v[28:29], v30, off
	s_or_b32 exec_lo, exec_lo, s11
	s_and_b32 s12, s1, s8
	s_and_saveexec_b32 s11, s12
	s_cbranch_execz .LBB274_213
.LBB274_223:
	v_cmp_ne_u32_e32 vcc_lo, 1, v92
	s_cbranch_vccnz .LBB274_225
; %bb.224:
	v_lshlrev_b64 v[28:29], 1, v[34:35]
	v_add_co_u32 v28, vcc_lo, v26, v28
	v_add_co_ci_u32_e64 v29, null, v27, v29, vcc_lo
	global_load_ushort v28, v[28:29], off
	s_waitcnt vmcnt(0)
	v_mul_f16_e32 v28, s15, v28
	v_cvt_f32_f16_e32 v28, v28
	s_branch .LBB274_226
.LBB274_225:
	v_mov_b32_e32 v28, 0
.LBB274_226:
	v_pk_add_f16 v29, v18, v20
	v_pk_add_f16 v30, v19, v21
	v_max_f16_e32 v31, v77, v77
	v_lshrrev_b32_e32 v77, 16, v77
	v_max_f32_e32 v28, v28, v28
	v_lshrrev_b32_e32 v79, 16, v29
	v_lshrrev_b32_e32 v80, 16, v30
	v_min_f16_e32 v29, v31, v29
	v_min3_f16 v31, v77, v79, v80
	v_min3_f16 v29, v29, v30, v31
	v_cvt_f32_f16_e32 v29, v29
	v_min_f32_e32 v30, v28, v29
	v_lshlrev_b64 v[28:29], 1, v[34:35]
	v_cvt_f16_f32_e32 v30, v30
	v_add_co_u32 v28, vcc_lo, v24, v28
	v_add_co_ci_u32_e64 v29, null, v25, v29, vcc_lo
	global_store_short v[28:29], v30, off
	s_or_b32 exec_lo, exec_lo, s11
	s_and_b32 s12, s2, s8
	s_and_saveexec_b32 s11, s12
	s_cbranch_execz .LBB274_214
.LBB274_227:
	v_cmp_ne_u32_e32 vcc_lo, 1, v92
	s_cbranch_vccnz .LBB274_229
; %bb.228:
	v_lshlrev_b64 v[28:29], 1, v[36:37]
	v_add_co_u32 v28, vcc_lo, v26, v28
	v_add_co_ci_u32_e64 v29, null, v27, v29, vcc_lo
	global_load_ushort v28, v[28:29], off
	s_waitcnt vmcnt(0)
	v_mul_f16_e32 v28, s15, v28
	v_cvt_f32_f16_e32 v28, v28
	s_branch .LBB274_230
.LBB274_229:
	v_mov_b32_e32 v28, 0
.LBB274_230:
	v_pk_add_f16 v29, v12, v20
	v_pk_add_f16 v30, v13, v21
	v_max_f16_e32 v31, v78, v78
	v_lshrrev_b32_e32 v77, 16, v78
	v_max_f32_e32 v28, v28, v28
	v_lshrrev_b32_e32 v78, 16, v29
	v_lshrrev_b32_e32 v79, 16, v30
	v_min_f16_e32 v29, v31, v29
	v_min3_f16 v31, v77, v78, v79
	v_min3_f16 v29, v29, v30, v31
	v_cvt_f32_f16_e32 v29, v29
	v_min_f32_e32 v30, v28, v29
	v_lshlrev_b64 v[28:29], 1, v[36:37]
	v_cvt_f16_f32_e32 v30, v30
	v_add_co_u32 v28, vcc_lo, v24, v28
	v_add_co_ci_u32_e64 v29, null, v25, v29, vcc_lo
	global_store_short v[28:29], v30, off
	s_or_b32 exec_lo, exec_lo, s11
	s_and_b32 s12, s3, s8
	s_and_saveexec_b32 s11, s12
	s_cbranch_execz .LBB274_215
.LBB274_231:
	v_cmp_ne_u32_e32 vcc_lo, 1, v92
	s_cbranch_vccnz .LBB274_233
; %bb.232:
	v_lshlrev_b64 v[28:29], 1, v[38:39]
	v_add_co_u32 v28, vcc_lo, v26, v28
	v_add_co_ci_u32_e64 v29, null, v27, v29, vcc_lo
	global_load_ushort v28, v[28:29], off
	s_waitcnt vmcnt(0)
	v_mul_f16_e32 v28, s15, v28
	v_cvt_f32_f16_e32 v28, v28
	s_branch .LBB274_234
.LBB274_233:
	v_mov_b32_e32 v28, 0
.LBB274_234:
	v_pk_add_f16 v29, v14, v20
	v_pk_add_f16 v30, v15, v21
	v_max_f16_e32 v31, v76, v76
	v_lshrrev_b32_e32 v76, 16, v76
	v_max_f32_e32 v28, v28, v28
	v_lshrrev_b32_e32 v77, 16, v29
	v_lshrrev_b32_e32 v78, 16, v30
	v_min_f16_e32 v29, v31, v29
	v_min3_f16 v31, v76, v77, v78
	v_min3_f16 v29, v29, v30, v31
	v_cvt_f32_f16_e32 v29, v29
	v_min_f32_e32 v30, v28, v29
	v_lshlrev_b64 v[28:29], 1, v[38:39]
	v_cvt_f16_f32_e32 v30, v30
	v_add_co_u32 v28, vcc_lo, v24, v28
	v_add_co_ci_u32_e64 v29, null, v25, v29, vcc_lo
	global_store_short v[28:29], v30, off
	s_or_b32 exec_lo, exec_lo, s11
	s_and_b32 s12, s4, s8
	s_and_saveexec_b32 s11, s12
	s_cbranch_execz .LBB274_216
.LBB274_235:
	v_cmp_ne_u32_e32 vcc_lo, 1, v92
	s_cbranch_vccnz .LBB274_237
; %bb.236:
	v_lshlrev_b64 v[28:29], 1, v[40:41]
	v_add_co_u32 v28, vcc_lo, v26, v28
	v_add_co_ci_u32_e64 v29, null, v27, v29, vcc_lo
	global_load_ushort v28, v[28:29], off
	s_waitcnt vmcnt(0)
	v_mul_f16_e32 v28, s15, v28
	v_cvt_f32_f16_e32 v28, v28
	s_branch .LBB274_238
.LBB274_237:
	v_mov_b32_e32 v28, 0
.LBB274_238:
	v_pk_add_f16 v29, v8, v20
	v_pk_add_f16 v30, v9, v21
	v_max_f16_e32 v31, v75, v75
	v_lshrrev_b32_e32 v75, 16, v75
	v_max_f32_e32 v28, v28, v28
	v_lshrrev_b32_e32 v76, 16, v29
	v_lshrrev_b32_e32 v77, 16, v30
	v_min_f16_e32 v29, v31, v29
	v_min3_f16 v31, v75, v76, v77
	v_min3_f16 v29, v29, v30, v31
	v_cvt_f32_f16_e32 v29, v29
	v_min_f32_e32 v30, v28, v29
	v_lshlrev_b64 v[28:29], 1, v[40:41]
	v_cvt_f16_f32_e32 v30, v30
	v_add_co_u32 v28, vcc_lo, v24, v28
	v_add_co_ci_u32_e64 v29, null, v25, v29, vcc_lo
	global_store_short v[28:29], v30, off
	s_or_b32 exec_lo, exec_lo, s11
	s_and_b32 s12, s5, s8
	s_and_saveexec_b32 s11, s12
	s_cbranch_execz .LBB274_217
.LBB274_239:
	v_cmp_ne_u32_e32 vcc_lo, 1, v92
	s_cbranch_vccnz .LBB274_241
; %bb.240:
	v_lshlrev_b64 v[28:29], 1, v[42:43]
	v_add_co_u32 v28, vcc_lo, v26, v28
	v_add_co_ci_u32_e64 v29, null, v27, v29, vcc_lo
	global_load_ushort v28, v[28:29], off
	s_waitcnt vmcnt(0)
	v_mul_f16_e32 v28, s15, v28
	v_cvt_f32_f16_e32 v28, v28
	s_branch .LBB274_242
.LBB274_241:
	v_mov_b32_e32 v28, 0
.LBB274_242:
	v_pk_add_f16 v29, v10, v20
	v_pk_add_f16 v30, v11, v21
	v_max_f16_e32 v31, v74, v74
	v_lshrrev_b32_e32 v74, 16, v74
	v_max_f32_e32 v28, v28, v28
	v_lshrrev_b32_e32 v75, 16, v29
	v_lshrrev_b32_e32 v76, 16, v30
	v_min_f16_e32 v29, v31, v29
	v_min3_f16 v31, v74, v75, v76
	v_min3_f16 v29, v29, v30, v31
	v_cvt_f32_f16_e32 v29, v29
	v_min_f32_e32 v30, v28, v29
	v_lshlrev_b64 v[28:29], 1, v[42:43]
	v_cvt_f16_f32_e32 v30, v30
	v_add_co_u32 v28, vcc_lo, v24, v28
	v_add_co_ci_u32_e64 v29, null, v25, v29, vcc_lo
	global_store_short v[28:29], v30, off
	s_or_b32 exec_lo, exec_lo, s11
	s_and_b32 s12, s6, s8
	s_and_saveexec_b32 s11, s12
	s_cbranch_execz .LBB274_218
.LBB274_243:
	v_cmp_ne_u32_e32 vcc_lo, 1, v92
	s_cbranch_vccnz .LBB274_245
; %bb.244:
	v_lshlrev_b64 v[28:29], 1, v[44:45]
	v_add_co_u32 v28, vcc_lo, v26, v28
	v_add_co_ci_u32_e64 v29, null, v27, v29, vcc_lo
	global_load_ushort v28, v[28:29], off
	s_waitcnt vmcnt(0)
	v_mul_f16_e32 v28, s15, v28
	v_cvt_f32_f16_e32 v28, v28
	s_branch .LBB274_246
.LBB274_245:
	v_mov_b32_e32 v28, 0
.LBB274_246:
	v_pk_add_f16 v29, v0, v20
	v_pk_add_f16 v30, v1, v21
	v_max_f16_e32 v31, v73, v73
	v_lshrrev_b32_e32 v73, 16, v73
	v_max_f32_e32 v28, v28, v28
	v_lshrrev_b32_e32 v74, 16, v29
	v_lshrrev_b32_e32 v75, 16, v30
	v_min_f16_e32 v29, v31, v29
	v_min3_f16 v31, v73, v74, v75
	v_min3_f16 v29, v29, v30, v31
	v_cvt_f32_f16_e32 v29, v29
	v_min_f32_e32 v30, v28, v29
	v_lshlrev_b64 v[28:29], 1, v[44:45]
	v_cvt_f16_f32_e32 v30, v30
	v_add_co_u32 v28, vcc_lo, v24, v28
	v_add_co_ci_u32_e64 v29, null, v25, v29, vcc_lo
	global_store_short v[28:29], v30, off
	s_or_b32 exec_lo, exec_lo, s11
	s_and_b32 s11, s7, s8
	s_and_saveexec_b32 s8, s11
	s_cbranch_execz .LBB274_251
.LBB274_247:
	v_cmp_ne_u32_e32 vcc_lo, 1, v92
	s_cbranch_vccnz .LBB274_249
; %bb.248:
	v_lshlrev_b64 v[28:29], 1, v[46:47]
	v_add_co_u32 v26, vcc_lo, v26, v28
	v_add_co_ci_u32_e64 v27, null, v27, v29, vcc_lo
	global_load_ushort v26, v[26:27], off
	s_waitcnt vmcnt(0)
	v_mul_f16_e32 v26, s15, v26
	v_cvt_f32_f16_e32 v26, v26
	s_branch .LBB274_250
.LBB274_249:
	v_mov_b32_e32 v26, 0
.LBB274_250:
	v_pk_add_f16 v20, v2, v20
	v_pk_add_f16 v21, v3, v21
	v_max_f16_e32 v27, v72, v72
	v_lshrrev_b32_e32 v28, 16, v72
	v_lshrrev_b32_e32 v29, 16, v20
	;; [unrolled: 1-line block ×3, first 2 shown]
	v_min_f16_e32 v20, v27, v20
	v_min3_f16 v27, v28, v29, v30
	v_min3_f16 v20, v20, v21, v27
	v_max_f32_e32 v21, v26, v26
	v_cvt_f32_f16_e32 v20, v20
	v_min_f32_e32 v26, v21, v20
	v_lshlrev_b64 v[20:21], 1, v[46:47]
	v_cvt_f16_f32_e32 v26, v26
	v_add_co_u32 v20, vcc_lo, v24, v20
	v_add_co_ci_u32_e64 v21, null, v25, v21, vcc_lo
	global_store_short v[20:21], v26, off
.LBB274_251:
	s_or_b32 exec_lo, exec_lo, s8
	v_add_nc_u32_e32 v26, 0xa0, v103
	v_mad_i64_i32 v[20:21], null, v26, s18, 0
	v_mad_i64_i32 v[24:25], null, v26, s14, 0
	v_cmp_gt_i32_e64 s8, s13, v26
	v_lshlrev_b64 v[20:21], 1, v[20:21]
	s_and_b32 s12, s0, s8
	v_lshlrev_b64 v[26:27], 1, v[24:25]
	v_add_co_u32 v24, vcc_lo, s16, v20
	v_add_co_ci_u32_e64 v25, null, s17, v21, vcc_lo
	v_add_co_u32 v20, vcc_lo, s9, v26
	v_add_co_ci_u32_e64 v21, null, s10, v27, vcc_lo
	s_and_saveexec_b32 s11, s12
	s_cbranch_execnz .LBB274_259
; %bb.252:
	s_or_b32 exec_lo, exec_lo, s11
	s_and_b32 s12, s1, s8
	s_and_saveexec_b32 s11, s12
	s_cbranch_execnz .LBB274_263
.LBB274_253:
	s_or_b32 exec_lo, exec_lo, s11
	s_and_b32 s12, s2, s8
	s_and_saveexec_b32 s11, s12
	s_cbranch_execnz .LBB274_267
.LBB274_254:
	s_or_b32 exec_lo, exec_lo, s11
	s_and_b32 s12, s3, s8
	s_and_saveexec_b32 s11, s12
	s_cbranch_execnz .LBB274_271
.LBB274_255:
	s_or_b32 exec_lo, exec_lo, s11
	s_and_b32 s12, s4, s8
	s_and_saveexec_b32 s11, s12
	s_cbranch_execnz .LBB274_275
.LBB274_256:
	s_or_b32 exec_lo, exec_lo, s11
	s_and_b32 s12, s5, s8
	s_and_saveexec_b32 s11, s12
	s_cbranch_execnz .LBB274_279
.LBB274_257:
	s_or_b32 exec_lo, exec_lo, s11
	s_and_b32 s12, s6, s8
	s_and_saveexec_b32 s11, s12
	s_cbranch_execnz .LBB274_283
.LBB274_258:
	s_or_b32 exec_lo, exec_lo, s11
	s_and_b32 s11, s7, s8
	s_and_saveexec_b32 s8, s11
	s_cbranch_execnz .LBB274_287
	s_branch .LBB274_291
.LBB274_259:
	v_cmp_ne_u32_e32 vcc_lo, 1, v92
	s_cbranch_vccnz .LBB274_261
; %bb.260:
	v_lshlrev_b64 v[26:27], 1, v[32:33]
	v_add_co_u32 v26, vcc_lo, v24, v26
	v_add_co_ci_u32_e64 v27, null, v25, v27, vcc_lo
	global_load_ushort v26, v[26:27], off
	s_waitcnt vmcnt(0)
	v_mul_f16_e32 v26, s15, v26
	v_cvt_f32_f16_e32 v26, v26
	s_branch .LBB274_262
.LBB274_261:
	v_mov_b32_e32 v26, 0
.LBB274_262:
	v_pk_add_f16 v27, v16, v22
	v_pk_add_f16 v28, v17, v23
	v_max_f16_e32 v29, v71, v71
	v_lshrrev_b32_e32 v30, 16, v71
	v_max_f32_e32 v26, v26, v26
	v_lshrrev_b32_e32 v31, 16, v27
	v_lshrrev_b32_e32 v71, 16, v28
	v_min_f16_e32 v27, v29, v27
	v_min3_f16 v29, v30, v31, v71
	v_min3_f16 v27, v27, v28, v29
	v_cvt_f32_f16_e32 v27, v27
	v_min_f32_e32 v28, v26, v27
	v_lshlrev_b64 v[26:27], 1, v[32:33]
	v_cvt_f16_f32_e32 v28, v28
	v_add_co_u32 v26, vcc_lo, v20, v26
	v_add_co_ci_u32_e64 v27, null, v21, v27, vcc_lo
	global_store_short v[26:27], v28, off
	s_or_b32 exec_lo, exec_lo, s11
	s_and_b32 s12, s1, s8
	s_and_saveexec_b32 s11, s12
	s_cbranch_execz .LBB274_253
.LBB274_263:
	v_cmp_ne_u32_e32 vcc_lo, 1, v92
	s_cbranch_vccnz .LBB274_265
; %bb.264:
	v_lshlrev_b64 v[26:27], 1, v[34:35]
	v_add_co_u32 v26, vcc_lo, v24, v26
	v_add_co_ci_u32_e64 v27, null, v25, v27, vcc_lo
	global_load_ushort v26, v[26:27], off
	s_waitcnt vmcnt(0)
	v_mul_f16_e32 v26, s15, v26
	v_cvt_f32_f16_e32 v26, v26
	s_branch .LBB274_266
.LBB274_265:
	v_mov_b32_e32 v26, 0
.LBB274_266:
	v_pk_add_f16 v27, v18, v22
	v_pk_add_f16 v28, v19, v23
	v_max_f16_e32 v29, v70, v70
	v_lshrrev_b32_e32 v30, 16, v70
	v_max_f32_e32 v26, v26, v26
	v_lshrrev_b32_e32 v31, 16, v27
	v_lshrrev_b32_e32 v70, 16, v28
	v_min_f16_e32 v27, v29, v27
	v_min3_f16 v29, v30, v31, v70
	v_min3_f16 v27, v27, v28, v29
	v_cvt_f32_f16_e32 v27, v27
	v_min_f32_e32 v28, v26, v27
	v_lshlrev_b64 v[26:27], 1, v[34:35]
	v_cvt_f16_f32_e32 v28, v28
	v_add_co_u32 v26, vcc_lo, v20, v26
	v_add_co_ci_u32_e64 v27, null, v21, v27, vcc_lo
	global_store_short v[26:27], v28, off
	s_or_b32 exec_lo, exec_lo, s11
	s_and_b32 s12, s2, s8
	s_and_saveexec_b32 s11, s12
	s_cbranch_execz .LBB274_254
.LBB274_267:
	v_cmp_ne_u32_e32 vcc_lo, 1, v92
	s_cbranch_vccnz .LBB274_269
; %bb.268:
	v_lshlrev_b64 v[26:27], 1, v[36:37]
	v_add_co_u32 v26, vcc_lo, v24, v26
	v_add_co_ci_u32_e64 v27, null, v25, v27, vcc_lo
	global_load_ushort v26, v[26:27], off
	s_waitcnt vmcnt(0)
	v_mul_f16_e32 v26, s15, v26
	v_cvt_f32_f16_e32 v26, v26
	s_branch .LBB274_270
.LBB274_269:
	v_mov_b32_e32 v26, 0
.LBB274_270:
	v_pk_add_f16 v27, v12, v22
	v_pk_add_f16 v28, v13, v23
	v_max_f16_e32 v29, v69, v69
	v_lshrrev_b32_e32 v30, 16, v69
	v_max_f32_e32 v26, v26, v26
	v_lshrrev_b32_e32 v31, 16, v27
	v_lshrrev_b32_e32 v69, 16, v28
	v_min_f16_e32 v27, v29, v27
	v_min3_f16 v29, v30, v31, v69
	v_min3_f16 v27, v27, v28, v29
	v_cvt_f32_f16_e32 v27, v27
	v_min_f32_e32 v28, v26, v27
	v_lshlrev_b64 v[26:27], 1, v[36:37]
	v_cvt_f16_f32_e32 v28, v28
	v_add_co_u32 v26, vcc_lo, v20, v26
	v_add_co_ci_u32_e64 v27, null, v21, v27, vcc_lo
	global_store_short v[26:27], v28, off
	s_or_b32 exec_lo, exec_lo, s11
	s_and_b32 s12, s3, s8
	s_and_saveexec_b32 s11, s12
	s_cbranch_execz .LBB274_255
.LBB274_271:
	v_cmp_ne_u32_e32 vcc_lo, 1, v92
	s_cbranch_vccnz .LBB274_273
; %bb.272:
	v_lshlrev_b64 v[26:27], 1, v[38:39]
	v_add_co_u32 v26, vcc_lo, v24, v26
	v_add_co_ci_u32_e64 v27, null, v25, v27, vcc_lo
	global_load_ushort v26, v[26:27], off
	s_waitcnt vmcnt(0)
	v_mul_f16_e32 v26, s15, v26
	v_cvt_f32_f16_e32 v26, v26
	s_branch .LBB274_274
.LBB274_273:
	v_mov_b32_e32 v26, 0
.LBB274_274:
	v_pk_add_f16 v27, v14, v22
	v_pk_add_f16 v28, v15, v23
	v_max_f16_e32 v29, v68, v68
	v_lshrrev_b32_e32 v30, 16, v68
	v_max_f32_e32 v26, v26, v26
	v_lshrrev_b32_e32 v31, 16, v27
	v_lshrrev_b32_e32 v68, 16, v28
	v_min_f16_e32 v27, v29, v27
	v_min3_f16 v29, v30, v31, v68
	v_min3_f16 v27, v27, v28, v29
	v_cvt_f32_f16_e32 v27, v27
	v_min_f32_e32 v28, v26, v27
	v_lshlrev_b64 v[26:27], 1, v[38:39]
	v_cvt_f16_f32_e32 v28, v28
	v_add_co_u32 v26, vcc_lo, v20, v26
	v_add_co_ci_u32_e64 v27, null, v21, v27, vcc_lo
	global_store_short v[26:27], v28, off
	s_or_b32 exec_lo, exec_lo, s11
	s_and_b32 s12, s4, s8
	s_and_saveexec_b32 s11, s12
	s_cbranch_execz .LBB274_256
.LBB274_275:
	v_cmp_ne_u32_e32 vcc_lo, 1, v92
	s_cbranch_vccnz .LBB274_277
; %bb.276:
	v_lshlrev_b64 v[26:27], 1, v[40:41]
	v_add_co_u32 v26, vcc_lo, v24, v26
	v_add_co_ci_u32_e64 v27, null, v25, v27, vcc_lo
	global_load_ushort v26, v[26:27], off
	s_waitcnt vmcnt(0)
	v_mul_f16_e32 v26, s15, v26
	v_cvt_f32_f16_e32 v26, v26
	s_branch .LBB274_278
.LBB274_277:
	v_mov_b32_e32 v26, 0
.LBB274_278:
	v_pk_add_f16 v27, v8, v22
	v_pk_add_f16 v28, v9, v23
	v_max_f16_e32 v29, v67, v67
	v_lshrrev_b32_e32 v30, 16, v67
	v_max_f32_e32 v26, v26, v26
	v_lshrrev_b32_e32 v31, 16, v27
	v_lshrrev_b32_e32 v67, 16, v28
	v_min_f16_e32 v27, v29, v27
	v_min3_f16 v29, v30, v31, v67
	v_min3_f16 v27, v27, v28, v29
	v_cvt_f32_f16_e32 v27, v27
	v_min_f32_e32 v28, v26, v27
	v_lshlrev_b64 v[26:27], 1, v[40:41]
	v_cvt_f16_f32_e32 v28, v28
	v_add_co_u32 v26, vcc_lo, v20, v26
	v_add_co_ci_u32_e64 v27, null, v21, v27, vcc_lo
	global_store_short v[26:27], v28, off
	s_or_b32 exec_lo, exec_lo, s11
	s_and_b32 s12, s5, s8
	s_and_saveexec_b32 s11, s12
	s_cbranch_execz .LBB274_257
.LBB274_279:
	v_cmp_ne_u32_e32 vcc_lo, 1, v92
	s_cbranch_vccnz .LBB274_281
; %bb.280:
	v_lshlrev_b64 v[26:27], 1, v[42:43]
	v_add_co_u32 v26, vcc_lo, v24, v26
	v_add_co_ci_u32_e64 v27, null, v25, v27, vcc_lo
	global_load_ushort v26, v[26:27], off
	s_waitcnt vmcnt(0)
	v_mul_f16_e32 v26, s15, v26
	v_cvt_f32_f16_e32 v26, v26
	s_branch .LBB274_282
.LBB274_281:
	v_mov_b32_e32 v26, 0
.LBB274_282:
	v_pk_add_f16 v27, v10, v22
	v_pk_add_f16 v28, v11, v23
	v_max_f16_e32 v29, v66, v66
	v_lshrrev_b32_e32 v30, 16, v66
	v_max_f32_e32 v26, v26, v26
	v_lshrrev_b32_e32 v31, 16, v27
	v_lshrrev_b32_e32 v66, 16, v28
	v_min_f16_e32 v27, v29, v27
	v_min3_f16 v29, v30, v31, v66
	v_min3_f16 v27, v27, v28, v29
	v_cvt_f32_f16_e32 v27, v27
	v_min_f32_e32 v28, v26, v27
	v_lshlrev_b64 v[26:27], 1, v[42:43]
	v_cvt_f16_f32_e32 v28, v28
	v_add_co_u32 v26, vcc_lo, v20, v26
	v_add_co_ci_u32_e64 v27, null, v21, v27, vcc_lo
	global_store_short v[26:27], v28, off
	s_or_b32 exec_lo, exec_lo, s11
	s_and_b32 s12, s6, s8
	s_and_saveexec_b32 s11, s12
	s_cbranch_execz .LBB274_258
.LBB274_283:
	v_cmp_ne_u32_e32 vcc_lo, 1, v92
	s_cbranch_vccnz .LBB274_285
; %bb.284:
	v_lshlrev_b64 v[26:27], 1, v[44:45]
	v_add_co_u32 v26, vcc_lo, v24, v26
	v_add_co_ci_u32_e64 v27, null, v25, v27, vcc_lo
	global_load_ushort v26, v[26:27], off
	s_waitcnt vmcnt(0)
	v_mul_f16_e32 v26, s15, v26
	v_cvt_f32_f16_e32 v26, v26
	s_branch .LBB274_286
.LBB274_285:
	v_mov_b32_e32 v26, 0
.LBB274_286:
	v_pk_add_f16 v27, v0, v22
	v_pk_add_f16 v28, v1, v23
	v_max_f16_e32 v29, v63, v63
	v_lshrrev_b32_e32 v30, 16, v63
	v_max_f32_e32 v26, v26, v26
	v_lshrrev_b32_e32 v31, 16, v27
	v_lshrrev_b32_e32 v63, 16, v28
	v_min_f16_e32 v27, v29, v27
	v_min3_f16 v29, v30, v31, v63
	v_min3_f16 v27, v27, v28, v29
	v_cvt_f32_f16_e32 v27, v27
	v_min_f32_e32 v28, v26, v27
	v_lshlrev_b64 v[26:27], 1, v[44:45]
	v_cvt_f16_f32_e32 v28, v28
	v_add_co_u32 v26, vcc_lo, v20, v26
	v_add_co_ci_u32_e64 v27, null, v21, v27, vcc_lo
	global_store_short v[26:27], v28, off
	s_or_b32 exec_lo, exec_lo, s11
	s_and_b32 s11, s7, s8
	s_and_saveexec_b32 s8, s11
	s_cbranch_execz .LBB274_291
.LBB274_287:
	v_cmp_ne_u32_e32 vcc_lo, 1, v92
	s_cbranch_vccnz .LBB274_289
; %bb.288:
	v_lshlrev_b64 v[26:27], 1, v[46:47]
	v_add_co_u32 v24, vcc_lo, v24, v26
	v_add_co_ci_u32_e64 v25, null, v25, v27, vcc_lo
	global_load_ushort v24, v[24:25], off
	s_waitcnt vmcnt(0)
	v_mul_f16_e32 v24, s15, v24
	v_cvt_f32_f16_e32 v24, v24
	s_branch .LBB274_290
.LBB274_289:
	v_mov_b32_e32 v24, 0
.LBB274_290:
	v_pk_add_f16 v22, v2, v22
	v_pk_add_f16 v23, v3, v23
	v_max_f16_e32 v25, v64, v64
	v_lshrrev_b32_e32 v26, 16, v64
	v_lshrrev_b32_e32 v27, 16, v22
	;; [unrolled: 1-line block ×3, first 2 shown]
	v_min_f16_e32 v22, v25, v22
	v_min3_f16 v25, v26, v27, v28
	v_min3_f16 v22, v22, v23, v25
	v_max_f32_e32 v23, v24, v24
	v_cvt_f32_f16_e32 v22, v22
	v_min_f32_e32 v24, v23, v22
	v_lshlrev_b64 v[22:23], 1, v[46:47]
	v_cvt_f16_f32_e32 v24, v24
	v_add_co_u32 v20, vcc_lo, v20, v22
	v_add_co_ci_u32_e64 v21, null, v21, v23, vcc_lo
	global_store_short v[20:21], v24, off
.LBB274_291:
	s_or_b32 exec_lo, exec_lo, s8
	v_add_nc_u32_e32 v24, 0xc0, v103
	v_mad_i64_i32 v[20:21], null, v24, s18, 0
	v_mad_i64_i32 v[22:23], null, v24, s14, 0
	v_cmp_gt_i32_e64 s8, s13, v24
	v_lshlrev_b64 v[20:21], 1, v[20:21]
	s_and_b32 s12, s0, s8
	v_lshlrev_b64 v[24:25], 1, v[22:23]
	v_add_co_u32 v22, vcc_lo, s16, v20
	v_add_co_ci_u32_e64 v23, null, s17, v21, vcc_lo
	v_add_co_u32 v20, vcc_lo, s9, v24
	v_add_co_ci_u32_e64 v21, null, s10, v25, vcc_lo
	s_and_saveexec_b32 s11, s12
	s_cbranch_execnz .LBB274_299
; %bb.292:
	s_or_b32 exec_lo, exec_lo, s11
	s_and_b32 s12, s1, s8
	s_and_saveexec_b32 s11, s12
	s_cbranch_execnz .LBB274_303
.LBB274_293:
	s_or_b32 exec_lo, exec_lo, s11
	s_and_b32 s12, s2, s8
	s_and_saveexec_b32 s11, s12
	s_cbranch_execnz .LBB274_307
.LBB274_294:
	s_or_b32 exec_lo, exec_lo, s11
	s_and_b32 s12, s3, s8
	s_and_saveexec_b32 s11, s12
	s_cbranch_execnz .LBB274_311
.LBB274_295:
	s_or_b32 exec_lo, exec_lo, s11
	s_and_b32 s12, s4, s8
	s_and_saveexec_b32 s11, s12
	s_cbranch_execnz .LBB274_315
.LBB274_296:
	s_or_b32 exec_lo, exec_lo, s11
	s_and_b32 s12, s5, s8
	s_and_saveexec_b32 s11, s12
	s_cbranch_execnz .LBB274_319
.LBB274_297:
	s_or_b32 exec_lo, exec_lo, s11
	s_and_b32 s12, s6, s8
	s_and_saveexec_b32 s11, s12
	s_cbranch_execnz .LBB274_323
.LBB274_298:
	s_or_b32 exec_lo, exec_lo, s11
	s_and_b32 s11, s7, s8
	s_and_saveexec_b32 s8, s11
	s_cbranch_execnz .LBB274_327
	s_branch .LBB274_331
.LBB274_299:
	v_cmp_ne_u32_e32 vcc_lo, 1, v92
	s_cbranch_vccnz .LBB274_301
; %bb.300:
	v_lshlrev_b64 v[24:25], 1, v[32:33]
	v_add_co_u32 v24, vcc_lo, v22, v24
	v_add_co_ci_u32_e64 v25, null, v23, v25, vcc_lo
	global_load_ushort v24, v[24:25], off
	s_waitcnt vmcnt(0)
	v_mul_f16_e32 v24, s15, v24
	v_cvt_f32_f16_e32 v24, v24
	s_branch .LBB274_302
.LBB274_301:
	v_mov_b32_e32 v24, 0
.LBB274_302:
	v_pk_add_f16 v25, v16, v4
	v_pk_add_f16 v26, v17, v5
	v_max_f16_e32 v27, v61, v61
	v_lshrrev_b32_e32 v28, 16, v61
	v_max_f32_e32 v24, v24, v24
	v_lshrrev_b32_e32 v29, 16, v25
	v_lshrrev_b32_e32 v30, 16, v26
	v_min_f16_e32 v25, v27, v25
	v_min3_f16 v27, v28, v29, v30
	v_min3_f16 v25, v25, v26, v27
	v_cvt_f32_f16_e32 v25, v25
	v_min_f32_e32 v26, v24, v25
	v_lshlrev_b64 v[24:25], 1, v[32:33]
	v_cvt_f16_f32_e32 v26, v26
	v_add_co_u32 v24, vcc_lo, v20, v24
	v_add_co_ci_u32_e64 v25, null, v21, v25, vcc_lo
	global_store_short v[24:25], v26, off
	s_or_b32 exec_lo, exec_lo, s11
	s_and_b32 s12, s1, s8
	s_and_saveexec_b32 s11, s12
	s_cbranch_execz .LBB274_293
.LBB274_303:
	v_cmp_ne_u32_e32 vcc_lo, 1, v92
	s_cbranch_vccnz .LBB274_305
; %bb.304:
	v_lshlrev_b64 v[24:25], 1, v[34:35]
	v_add_co_u32 v24, vcc_lo, v22, v24
	v_add_co_ci_u32_e64 v25, null, v23, v25, vcc_lo
	global_load_ushort v24, v[24:25], off
	s_waitcnt vmcnt(0)
	v_mul_f16_e32 v24, s15, v24
	v_cvt_f32_f16_e32 v24, v24
	s_branch .LBB274_306
.LBB274_305:
	v_mov_b32_e32 v24, 0
.LBB274_306:
	v_pk_add_f16 v25, v18, v4
	v_pk_add_f16 v26, v19, v5
	v_max_f16_e32 v27, v59, v59
	v_lshrrev_b32_e32 v28, 16, v59
	v_max_f32_e32 v24, v24, v24
	v_lshrrev_b32_e32 v29, 16, v25
	v_lshrrev_b32_e32 v30, 16, v26
	v_min_f16_e32 v25, v27, v25
	v_min3_f16 v27, v28, v29, v30
	v_min3_f16 v25, v25, v26, v27
	v_cvt_f32_f16_e32 v25, v25
	v_min_f32_e32 v26, v24, v25
	v_lshlrev_b64 v[24:25], 1, v[34:35]
	v_cvt_f16_f32_e32 v26, v26
	v_add_co_u32 v24, vcc_lo, v20, v24
	v_add_co_ci_u32_e64 v25, null, v21, v25, vcc_lo
	global_store_short v[24:25], v26, off
	s_or_b32 exec_lo, exec_lo, s11
	s_and_b32 s12, s2, s8
	s_and_saveexec_b32 s11, s12
	s_cbranch_execz .LBB274_294
.LBB274_307:
	v_cmp_ne_u32_e32 vcc_lo, 1, v92
	s_cbranch_vccnz .LBB274_309
; %bb.308:
	v_lshlrev_b64 v[24:25], 1, v[36:37]
	v_add_co_u32 v24, vcc_lo, v22, v24
	v_add_co_ci_u32_e64 v25, null, v23, v25, vcc_lo
	global_load_ushort v24, v[24:25], off
	s_waitcnt vmcnt(0)
	v_mul_f16_e32 v24, s15, v24
	v_cvt_f32_f16_e32 v24, v24
	s_branch .LBB274_310
.LBB274_309:
	v_mov_b32_e32 v24, 0
.LBB274_310:
	v_pk_add_f16 v25, v12, v4
	v_pk_add_f16 v26, v13, v5
	v_max_f16_e32 v27, v57, v57
	v_lshrrev_b32_e32 v28, 16, v57
	v_max_f32_e32 v24, v24, v24
	v_lshrrev_b32_e32 v29, 16, v25
	v_lshrrev_b32_e32 v30, 16, v26
	v_min_f16_e32 v25, v27, v25
	v_min3_f16 v27, v28, v29, v30
	v_min3_f16 v25, v25, v26, v27
	v_cvt_f32_f16_e32 v25, v25
	v_min_f32_e32 v26, v24, v25
	v_lshlrev_b64 v[24:25], 1, v[36:37]
	v_cvt_f16_f32_e32 v26, v26
	v_add_co_u32 v24, vcc_lo, v20, v24
	v_add_co_ci_u32_e64 v25, null, v21, v25, vcc_lo
	global_store_short v[24:25], v26, off
	s_or_b32 exec_lo, exec_lo, s11
	s_and_b32 s12, s3, s8
	s_and_saveexec_b32 s11, s12
	s_cbranch_execz .LBB274_295
.LBB274_311:
	v_cmp_ne_u32_e32 vcc_lo, 1, v92
	s_cbranch_vccnz .LBB274_313
; %bb.312:
	v_lshlrev_b64 v[24:25], 1, v[38:39]
	v_add_co_u32 v24, vcc_lo, v22, v24
	v_add_co_ci_u32_e64 v25, null, v23, v25, vcc_lo
	global_load_ushort v24, v[24:25], off
	s_waitcnt vmcnt(0)
	v_mul_f16_e32 v24, s15, v24
	v_cvt_f32_f16_e32 v24, v24
	s_branch .LBB274_314
.LBB274_313:
	v_mov_b32_e32 v24, 0
.LBB274_314:
	v_pk_add_f16 v25, v14, v4
	v_pk_add_f16 v26, v15, v5
	v_max_f16_e32 v27, v55, v55
	v_lshrrev_b32_e32 v28, 16, v55
	v_max_f32_e32 v24, v24, v24
	v_lshrrev_b32_e32 v29, 16, v25
	v_lshrrev_b32_e32 v30, 16, v26
	v_min_f16_e32 v25, v27, v25
	v_min3_f16 v27, v28, v29, v30
	v_min3_f16 v25, v25, v26, v27
	v_cvt_f32_f16_e32 v25, v25
	v_min_f32_e32 v26, v24, v25
	v_lshlrev_b64 v[24:25], 1, v[38:39]
	v_cvt_f16_f32_e32 v26, v26
	v_add_co_u32 v24, vcc_lo, v20, v24
	v_add_co_ci_u32_e64 v25, null, v21, v25, vcc_lo
	global_store_short v[24:25], v26, off
	s_or_b32 exec_lo, exec_lo, s11
	s_and_b32 s12, s4, s8
	s_and_saveexec_b32 s11, s12
	s_cbranch_execz .LBB274_296
.LBB274_315:
	v_cmp_ne_u32_e32 vcc_lo, 1, v92
	s_cbranch_vccnz .LBB274_317
; %bb.316:
	v_lshlrev_b64 v[24:25], 1, v[40:41]
	v_add_co_u32 v24, vcc_lo, v22, v24
	v_add_co_ci_u32_e64 v25, null, v23, v25, vcc_lo
	global_load_ushort v24, v[24:25], off
	s_waitcnt vmcnt(0)
	v_mul_f16_e32 v24, s15, v24
	v_cvt_f32_f16_e32 v24, v24
	s_branch .LBB274_318
.LBB274_317:
	v_mov_b32_e32 v24, 0
.LBB274_318:
	v_pk_add_f16 v25, v8, v4
	v_pk_add_f16 v26, v9, v5
	v_max_f16_e32 v27, v54, v54
	v_lshrrev_b32_e32 v28, 16, v54
	v_max_f32_e32 v24, v24, v24
	v_lshrrev_b32_e32 v29, 16, v25
	v_lshrrev_b32_e32 v30, 16, v26
	v_min_f16_e32 v25, v27, v25
	v_min3_f16 v27, v28, v29, v30
	v_min3_f16 v25, v25, v26, v27
	v_cvt_f32_f16_e32 v25, v25
	v_min_f32_e32 v26, v24, v25
	v_lshlrev_b64 v[24:25], 1, v[40:41]
	v_cvt_f16_f32_e32 v26, v26
	v_add_co_u32 v24, vcc_lo, v20, v24
	v_add_co_ci_u32_e64 v25, null, v21, v25, vcc_lo
	global_store_short v[24:25], v26, off
	s_or_b32 exec_lo, exec_lo, s11
	s_and_b32 s12, s5, s8
	s_and_saveexec_b32 s11, s12
	s_cbranch_execz .LBB274_297
.LBB274_319:
	v_cmp_ne_u32_e32 vcc_lo, 1, v92
	s_cbranch_vccnz .LBB274_321
; %bb.320:
	v_lshlrev_b64 v[24:25], 1, v[42:43]
	v_add_co_u32 v24, vcc_lo, v22, v24
	v_add_co_ci_u32_e64 v25, null, v23, v25, vcc_lo
	global_load_ushort v24, v[24:25], off
	s_waitcnt vmcnt(0)
	v_mul_f16_e32 v24, s15, v24
	v_cvt_f32_f16_e32 v24, v24
	s_branch .LBB274_322
.LBB274_321:
	v_mov_b32_e32 v24, 0
.LBB274_322:
	v_pk_add_f16 v25, v10, v4
	v_pk_add_f16 v26, v11, v5
	v_max_f16_e32 v27, v53, v53
	v_lshrrev_b32_e32 v28, 16, v53
	v_max_f32_e32 v24, v24, v24
	v_lshrrev_b32_e32 v29, 16, v25
	v_lshrrev_b32_e32 v30, 16, v26
	v_min_f16_e32 v25, v27, v25
	v_min3_f16 v27, v28, v29, v30
	v_min3_f16 v25, v25, v26, v27
	v_cvt_f32_f16_e32 v25, v25
	v_min_f32_e32 v26, v24, v25
	v_lshlrev_b64 v[24:25], 1, v[42:43]
	v_cvt_f16_f32_e32 v26, v26
	v_add_co_u32 v24, vcc_lo, v20, v24
	v_add_co_ci_u32_e64 v25, null, v21, v25, vcc_lo
	global_store_short v[24:25], v26, off
	s_or_b32 exec_lo, exec_lo, s11
	s_and_b32 s12, s6, s8
	s_and_saveexec_b32 s11, s12
	s_cbranch_execz .LBB274_298
.LBB274_323:
	v_cmp_ne_u32_e32 vcc_lo, 1, v92
	s_cbranch_vccnz .LBB274_325
; %bb.324:
	v_lshlrev_b64 v[24:25], 1, v[44:45]
	v_add_co_u32 v24, vcc_lo, v22, v24
	v_add_co_ci_u32_e64 v25, null, v23, v25, vcc_lo
	global_load_ushort v24, v[24:25], off
	s_waitcnt vmcnt(0)
	v_mul_f16_e32 v24, s15, v24
	v_cvt_f32_f16_e32 v24, v24
	s_branch .LBB274_326
.LBB274_325:
	v_mov_b32_e32 v24, 0
.LBB274_326:
	v_pk_add_f16 v25, v0, v4
	v_pk_add_f16 v26, v1, v5
	v_max_f16_e32 v27, v51, v51
	v_lshrrev_b32_e32 v28, 16, v51
	v_max_f32_e32 v24, v24, v24
	v_lshrrev_b32_e32 v29, 16, v25
	v_lshrrev_b32_e32 v30, 16, v26
	v_min_f16_e32 v25, v27, v25
	v_min3_f16 v27, v28, v29, v30
	v_min3_f16 v25, v25, v26, v27
	v_cvt_f32_f16_e32 v25, v25
	v_min_f32_e32 v26, v24, v25
	v_lshlrev_b64 v[24:25], 1, v[44:45]
	v_cvt_f16_f32_e32 v26, v26
	v_add_co_u32 v24, vcc_lo, v20, v24
	v_add_co_ci_u32_e64 v25, null, v21, v25, vcc_lo
	global_store_short v[24:25], v26, off
	s_or_b32 exec_lo, exec_lo, s11
	s_and_b32 s11, s7, s8
	s_and_saveexec_b32 s8, s11
	s_cbranch_execz .LBB274_331
.LBB274_327:
	v_cmp_ne_u32_e32 vcc_lo, 1, v92
	s_cbranch_vccnz .LBB274_329
; %bb.328:
	v_lshlrev_b64 v[24:25], 1, v[46:47]
	v_add_co_u32 v22, vcc_lo, v22, v24
	v_add_co_ci_u32_e64 v23, null, v23, v25, vcc_lo
	global_load_ushort v22, v[22:23], off
	s_waitcnt vmcnt(0)
	v_mul_f16_e32 v22, s15, v22
	v_cvt_f32_f16_e32 v22, v22
	s_branch .LBB274_330
.LBB274_329:
	v_mov_b32_e32 v22, 0
.LBB274_330:
	v_pk_add_f16 v4, v2, v4
	v_pk_add_f16 v5, v3, v5
	v_max_f16_e32 v23, v52, v52
	v_lshrrev_b32_e32 v24, 16, v52
	v_lshrrev_b32_e32 v25, 16, v4
	;; [unrolled: 1-line block ×3, first 2 shown]
	v_min_f16_e32 v4, v23, v4
	v_min3_f16 v23, v24, v25, v26
	v_min3_f16 v4, v4, v5, v23
	v_max_f32_e32 v5, v22, v22
	v_cvt_f32_f16_e32 v4, v4
	v_min_f32_e32 v22, v5, v4
	v_lshlrev_b64 v[4:5], 1, v[46:47]
	v_cvt_f16_f32_e32 v22, v22
	v_add_co_u32 v4, vcc_lo, v20, v4
	v_add_co_ci_u32_e64 v5, null, v21, v5, vcc_lo
	global_store_short v[4:5], v22, off
.LBB274_331:
	s_or_b32 exec_lo, exec_lo, s8
	v_add_nc_u32_e32 v22, 0xe0, v103
	v_mad_i64_i32 v[4:5], null, v22, s18, 0
	v_mad_i64_i32 v[20:21], null, v22, s14, 0
	v_cmp_gt_i32_e64 s8, s13, v22
	v_lshlrev_b64 v[4:5], 1, v[4:5]
	v_lshlrev_b64 v[20:21], 1, v[20:21]
	v_add_co_u32 v22, vcc_lo, s16, v4
	v_add_co_ci_u32_e64 v23, null, s17, v5, vcc_lo
	v_add_co_u32 v20, vcc_lo, s9, v20
	v_add_co_ci_u32_e64 v21, null, s10, v21, vcc_lo
	s_and_b32 s9, s0, s8
	s_and_saveexec_b32 s0, s9
	s_cbranch_execnz .LBB274_340
; %bb.332:
	s_or_b32 exec_lo, exec_lo, s0
	s_and_b32 s1, s1, s8
	s_and_saveexec_b32 s0, s1
	s_cbranch_execnz .LBB274_344
.LBB274_333:
	s_or_b32 exec_lo, exec_lo, s0
	s_and_b32 s1, s2, s8
	s_and_saveexec_b32 s0, s1
	s_cbranch_execnz .LBB274_348
.LBB274_334:
	s_or_b32 exec_lo, exec_lo, s0
	s_and_b32 s1, s3, s8
	s_and_saveexec_b32 s0, s1
	s_cbranch_execnz .LBB274_352
.LBB274_335:
	s_or_b32 exec_lo, exec_lo, s0
	s_and_b32 s1, s4, s8
	s_and_saveexec_b32 s0, s1
	s_cbranch_execnz .LBB274_356
.LBB274_336:
	s_or_b32 exec_lo, exec_lo, s0
	s_and_b32 s1, s5, s8
	s_and_saveexec_b32 s0, s1
	s_cbranch_execnz .LBB274_360
.LBB274_337:
	s_or_b32 exec_lo, exec_lo, s0
	s_and_b32 s1, s6, s8
	s_and_saveexec_b32 s0, s1
	s_cbranch_execnz .LBB274_364
.LBB274_338:
	s_or_b32 exec_lo, exec_lo, s0
	s_and_b32 s0, s7, s8
	s_and_saveexec_b32 s1, s0
	s_cbranch_execnz .LBB274_368
.LBB274_339:
	s_endpgm
.LBB274_340:
	v_cmp_ne_u32_e32 vcc_lo, 1, v92
	v_lshlrev_b64 v[4:5], 1, v[32:33]
	s_cbranch_vccnz .LBB274_342
; %bb.341:
	v_add_co_u32 v24, vcc_lo, v22, v4
	v_add_co_ci_u32_e64 v25, null, v23, v5, vcc_lo
	global_load_ushort v24, v[24:25], off
	s_waitcnt vmcnt(0)
	v_mul_f16_e32 v24, s15, v24
	v_cvt_f32_f16_e32 v24, v24
	s_branch .LBB274_343
.LBB274_342:
	v_mov_b32_e32 v24, 0
.LBB274_343:
	v_pk_add_f16 v16, v16, v6
	v_pk_add_f16 v17, v17, v7
	v_max_f16_e32 v25, v50, v50
	v_lshrrev_b32_e32 v26, 16, v50
	v_add_co_u32 v4, vcc_lo, v20, v4
	v_lshrrev_b32_e32 v27, 16, v16
	v_lshrrev_b32_e32 v28, 16, v17
	v_min_f16_e32 v16, v25, v16
	v_add_co_ci_u32_e64 v5, null, v21, v5, vcc_lo
	v_min3_f16 v25, v26, v27, v28
	v_min3_f16 v16, v16, v17, v25
	v_max_f32_e32 v17, v24, v24
	v_cvt_f32_f16_e32 v16, v16
	v_min_f32_e32 v16, v17, v16
	v_cvt_f16_f32_e32 v16, v16
	global_store_short v[4:5], v16, off
	s_or_b32 exec_lo, exec_lo, s0
	s_and_b32 s1, s1, s8
	s_and_saveexec_b32 s0, s1
	s_cbranch_execz .LBB274_333
.LBB274_344:
	v_cmp_ne_u32_e32 vcc_lo, 1, v92
	v_lshlrev_b64 v[4:5], 1, v[34:35]
	s_cbranch_vccnz .LBB274_346
; %bb.345:
	v_add_co_u32 v16, vcc_lo, v22, v4
	v_add_co_ci_u32_e64 v17, null, v23, v5, vcc_lo
	global_load_ushort v16, v[16:17], off
	s_waitcnt vmcnt(0)
	v_mul_f16_e32 v16, s15, v16
	v_cvt_f32_f16_e32 v16, v16
	s_branch .LBB274_347
.LBB274_346:
	v_mov_b32_e32 v16, 0
.LBB274_347:
	v_pk_add_f16 v17, v18, v6
	v_pk_add_f16 v18, v19, v7
	v_max_f16_e32 v19, v49, v49
	v_lshrrev_b32_e32 v24, 16, v49
	v_max_f32_e32 v16, v16, v16
	v_lshrrev_b32_e32 v25, 16, v17
	v_lshrrev_b32_e32 v26, 16, v18
	v_min_f16_e32 v17, v19, v17
	v_add_co_u32 v4, vcc_lo, v20, v4
	v_add_co_ci_u32_e64 v5, null, v21, v5, vcc_lo
	v_min3_f16 v19, v24, v25, v26
	v_min3_f16 v17, v17, v18, v19
	v_cvt_f32_f16_e32 v17, v17
	v_min_f32_e32 v16, v16, v17
	v_cvt_f16_f32_e32 v16, v16
	global_store_short v[4:5], v16, off
	s_or_b32 exec_lo, exec_lo, s0
	s_and_b32 s1, s2, s8
	s_and_saveexec_b32 s0, s1
	s_cbranch_execz .LBB274_334
.LBB274_348:
	v_cmp_ne_u32_e32 vcc_lo, 1, v92
	v_lshlrev_b64 v[4:5], 1, v[36:37]
	s_cbranch_vccnz .LBB274_350
; %bb.349:
	v_add_co_u32 v16, vcc_lo, v22, v4
	v_add_co_ci_u32_e64 v17, null, v23, v5, vcc_lo
	global_load_ushort v16, v[16:17], off
	s_waitcnt vmcnt(0)
	v_mul_f16_e32 v16, s15, v16
	v_cvt_f32_f16_e32 v16, v16
	s_branch .LBB274_351
.LBB274_350:
	v_mov_b32_e32 v16, 0
.LBB274_351:
	v_pk_add_f16 v12, v12, v6
	v_pk_add_f16 v13, v13, v7
	v_max_f16_e32 v17, v48, v48
	v_lshrrev_b32_e32 v18, 16, v48
	v_add_co_u32 v4, vcc_lo, v20, v4
	v_lshrrev_b32_e32 v19, 16, v12
	v_lshrrev_b32_e32 v24, 16, v13
	v_min_f16_e32 v12, v17, v12
	v_add_co_ci_u32_e64 v5, null, v21, v5, vcc_lo
	v_min3_f16 v17, v18, v19, v24
	v_min3_f16 v12, v12, v13, v17
	v_max_f32_e32 v13, v16, v16
	v_cvt_f32_f16_e32 v12, v12
	v_min_f32_e32 v12, v13, v12
	v_cvt_f16_f32_e32 v12, v12
	global_store_short v[4:5], v12, off
	s_or_b32 exec_lo, exec_lo, s0
	s_and_b32 s1, s3, s8
	s_and_saveexec_b32 s0, s1
	s_cbranch_execz .LBB274_335
.LBB274_352:
	v_cmp_ne_u32_e32 vcc_lo, 1, v92
	v_lshlrev_b64 v[4:5], 1, v[38:39]
	s_cbranch_vccnz .LBB274_354
; %bb.353:
	v_add_co_u32 v12, vcc_lo, v22, v4
	v_add_co_ci_u32_e64 v13, null, v23, v5, vcc_lo
	global_load_ushort v12, v[12:13], off
	s_waitcnt vmcnt(0)
	v_mul_f16_e32 v12, s15, v12
	v_cvt_f32_f16_e32 v12, v12
	s_branch .LBB274_355
.LBB274_354:
	v_mov_b32_e32 v12, 0
.LBB274_355:
	v_pk_add_f16 v13, v14, v6
	v_pk_add_f16 v14, v15, v7
	v_max_f16_e32 v15, v65, v65
	v_lshrrev_b32_e32 v16, 16, v65
	v_max_f32_e32 v12, v12, v12
	v_lshrrev_b32_e32 v17, 16, v13
	v_lshrrev_b32_e32 v18, 16, v14
	v_min_f16_e32 v13, v15, v13
	v_add_co_u32 v4, vcc_lo, v20, v4
	v_add_co_ci_u32_e64 v5, null, v21, v5, vcc_lo
	v_min3_f16 v15, v16, v17, v18
	v_min3_f16 v13, v13, v14, v15
	v_cvt_f32_f16_e32 v13, v13
	v_min_f32_e32 v12, v12, v13
	v_cvt_f16_f32_e32 v12, v12
	global_store_short v[4:5], v12, off
	s_or_b32 exec_lo, exec_lo, s0
	s_and_b32 s1, s4, s8
	s_and_saveexec_b32 s0, s1
	s_cbranch_execz .LBB274_336
.LBB274_356:
	v_cmp_ne_u32_e32 vcc_lo, 1, v92
	v_lshlrev_b64 v[4:5], 1, v[40:41]
	s_cbranch_vccnz .LBB274_358
; %bb.357:
	v_add_co_u32 v12, vcc_lo, v22, v4
	v_add_co_ci_u32_e64 v13, null, v23, v5, vcc_lo
	global_load_ushort v12, v[12:13], off
	s_waitcnt vmcnt(0)
	v_mul_f16_e32 v12, s15, v12
	v_cvt_f32_f16_e32 v12, v12
	s_branch .LBB274_359
.LBB274_358:
	v_mov_b32_e32 v12, 0
.LBB274_359:
	v_pk_add_f16 v8, v8, v6
	v_pk_add_f16 v9, v9, v7
	v_max_f16_e32 v13, v62, v62
	v_lshrrev_b32_e32 v14, 16, v62
	v_add_co_u32 v4, vcc_lo, v20, v4
	v_lshrrev_b32_e32 v15, 16, v8
	v_lshrrev_b32_e32 v16, 16, v9
	v_min_f16_e32 v8, v13, v8
	v_add_co_ci_u32_e64 v5, null, v21, v5, vcc_lo
	v_min3_f16 v13, v14, v15, v16
	v_min3_f16 v8, v8, v9, v13
	v_max_f32_e32 v9, v12, v12
	v_cvt_f32_f16_e32 v8, v8
	v_min_f32_e32 v8, v9, v8
	v_cvt_f16_f32_e32 v8, v8
	global_store_short v[4:5], v8, off
	s_or_b32 exec_lo, exec_lo, s0
	s_and_b32 s1, s5, s8
	s_and_saveexec_b32 s0, s1
	s_cbranch_execz .LBB274_337
.LBB274_360:
	v_cmp_ne_u32_e32 vcc_lo, 1, v92
	v_lshlrev_b64 v[4:5], 1, v[42:43]
	s_cbranch_vccnz .LBB274_362
; %bb.361:
	v_add_co_u32 v8, vcc_lo, v22, v4
	v_add_co_ci_u32_e64 v9, null, v23, v5, vcc_lo
	global_load_ushort v8, v[8:9], off
	s_waitcnt vmcnt(0)
	v_mul_f16_e32 v8, s15, v8
	v_cvt_f32_f16_e32 v8, v8
	s_branch .LBB274_363
.LBB274_362:
	v_mov_b32_e32 v8, 0
.LBB274_363:
	v_pk_add_f16 v9, v10, v6
	v_pk_add_f16 v10, v11, v7
	v_max_f16_e32 v11, v60, v60
	v_lshrrev_b32_e32 v12, 16, v60
	v_max_f32_e32 v8, v8, v8
	v_lshrrev_b32_e32 v13, 16, v9
	v_lshrrev_b32_e32 v14, 16, v10
	v_min_f16_e32 v9, v11, v9
	v_add_co_u32 v4, vcc_lo, v20, v4
	v_add_co_ci_u32_e64 v5, null, v21, v5, vcc_lo
	v_min3_f16 v11, v12, v13, v14
	v_min3_f16 v9, v9, v10, v11
	v_cvt_f32_f16_e32 v9, v9
	v_min_f32_e32 v8, v8, v9
	v_cvt_f16_f32_e32 v8, v8
	global_store_short v[4:5], v8, off
	s_or_b32 exec_lo, exec_lo, s0
	s_and_b32 s1, s6, s8
	s_and_saveexec_b32 s0, s1
	s_cbranch_execz .LBB274_338
.LBB274_364:
	v_cmp_ne_u32_e32 vcc_lo, 1, v92
	v_lshlrev_b64 v[4:5], 1, v[44:45]
	s_cbranch_vccnz .LBB274_366
; %bb.365:
	v_add_co_u32 v8, vcc_lo, v22, v4
	v_add_co_ci_u32_e64 v9, null, v23, v5, vcc_lo
	global_load_ushort v8, v[8:9], off
	s_waitcnt vmcnt(0)
	v_mul_f16_e32 v8, s15, v8
	v_cvt_f32_f16_e32 v8, v8
	s_branch .LBB274_367
.LBB274_366:
	v_mov_b32_e32 v8, 0
.LBB274_367:
	v_pk_add_f16 v0, v0, v6
	v_pk_add_f16 v1, v1, v7
	v_max_f16_e32 v9, v58, v58
	v_lshrrev_b32_e32 v10, 16, v58
	v_lshrrev_b32_e32 v11, 16, v0
	v_lshrrev_b32_e32 v12, 16, v1
	v_min_f16_e32 v0, v9, v0
	v_min3_f16 v9, v10, v11, v12
	v_min3_f16 v0, v0, v1, v9
	v_max_f32_e32 v1, v8, v8
	v_cvt_f32_f16_e32 v0, v0
	v_min_f32_e32 v0, v1, v0
	v_cvt_f16_f32_e32 v8, v0
	v_add_co_u32 v0, vcc_lo, v20, v4
	v_add_co_ci_u32_e64 v1, null, v21, v5, vcc_lo
	global_store_short v[0:1], v8, off
	s_or_b32 exec_lo, exec_lo, s0
	s_and_b32 s0, s7, s8
	s_and_saveexec_b32 s1, s0
	s_cbranch_execz .LBB274_339
.LBB274_368:
	v_cmp_ne_u32_e32 vcc_lo, 1, v92
	v_lshlrev_b64 v[0:1], 1, v[46:47]
	s_cbranch_vccnz .LBB274_370
; %bb.369:
	v_add_co_u32 v4, vcc_lo, v22, v0
	v_add_co_ci_u32_e64 v5, null, v23, v1, vcc_lo
	global_load_ushort v4, v[4:5], off
	s_waitcnt vmcnt(0)
	v_mul_f16_e32 v4, s15, v4
	v_cvt_f32_f16_e32 v4, v4
	s_branch .LBB274_371
.LBB274_370:
	v_mov_b32_e32 v4, 0
.LBB274_371:
	v_pk_add_f16 v2, v2, v6
	v_pk_add_f16 v3, v3, v7
	v_max_f16_e32 v5, v56, v56
	v_lshrrev_b32_e32 v6, 16, v56
	v_add_co_u32 v0, vcc_lo, v20, v0
	v_lshrrev_b32_e32 v7, 16, v2
	v_lshrrev_b32_e32 v8, 16, v3
	v_min_f16_e32 v2, v5, v2
	v_add_co_ci_u32_e64 v1, null, v21, v1, vcc_lo
	v_min3_f16 v5, v6, v7, v8
	v_min3_f16 v2, v2, v3, v5
	v_max_f32_e32 v3, v4, v4
	v_cvt_f32_f16_e32 v2, v2
	v_min_f32_e32 v2, v3, v2
	v_cvt_f16_f32_e32 v2, v2
	global_store_short v[0:1], v2, off
	s_endpgm
	.section	.rodata,"a",@progbits
	.p2align	6, 0x0
	.amdhsa_kernel _ZN12_GLOBAL__N_120geam_min_plus_kernelIDF16_Dv2_DF16_S1_Li8ELi32ELi64ELi256ELi4ELi64ELi4ELi64ELi4ELc78ELc84ELb1ELb1ELb1EDF16_KDF16_DF16_EEviiiT16_PT17_ilS5_ilS3_S5_ilPT18_ili26rocblas_geam_ex_operation_
		.amdhsa_group_segment_fixed_size 5120
		.amdhsa_private_segment_fixed_size 0
		.amdhsa_kernarg_size 128
		.amdhsa_user_sgpr_count 6
		.amdhsa_user_sgpr_private_segment_buffer 1
		.amdhsa_user_sgpr_dispatch_ptr 0
		.amdhsa_user_sgpr_queue_ptr 0
		.amdhsa_user_sgpr_kernarg_segment_ptr 1
		.amdhsa_user_sgpr_dispatch_id 0
		.amdhsa_user_sgpr_flat_scratch_init 0
		.amdhsa_user_sgpr_private_segment_size 0
		.amdhsa_wavefront_size32 1
		.amdhsa_uses_dynamic_stack 0
		.amdhsa_system_sgpr_private_segment_wavefront_offset 0
		.amdhsa_system_sgpr_workgroup_id_x 1
		.amdhsa_system_sgpr_workgroup_id_y 0
		.amdhsa_system_sgpr_workgroup_id_z 1
		.amdhsa_system_sgpr_workgroup_info 0
		.amdhsa_system_vgpr_workitem_id 1
		.amdhsa_next_free_vgpr 160
		.amdhsa_next_free_sgpr 29
		.amdhsa_reserve_vcc 1
		.amdhsa_reserve_flat_scratch 0
		.amdhsa_float_round_mode_32 0
		.amdhsa_float_round_mode_16_64 0
		.amdhsa_float_denorm_mode_32 3
		.amdhsa_float_denorm_mode_16_64 3
		.amdhsa_dx10_clamp 1
		.amdhsa_ieee_mode 1
		.amdhsa_fp16_overflow 0
		.amdhsa_workgroup_processor_mode 1
		.amdhsa_memory_ordered 1
		.amdhsa_forward_progress 1
		.amdhsa_shared_vgpr_count 0
		.amdhsa_exception_fp_ieee_invalid_op 0
		.amdhsa_exception_fp_denorm_src 0
		.amdhsa_exception_fp_ieee_div_zero 0
		.amdhsa_exception_fp_ieee_overflow 0
		.amdhsa_exception_fp_ieee_underflow 0
		.amdhsa_exception_fp_ieee_inexact 0
		.amdhsa_exception_int_div_zero 0
	.end_amdhsa_kernel
	.section	.text._ZN12_GLOBAL__N_120geam_min_plus_kernelIDF16_Dv2_DF16_S1_Li8ELi32ELi64ELi256ELi4ELi64ELi4ELi64ELi4ELc78ELc84ELb1ELb1ELb1EDF16_KDF16_DF16_EEviiiT16_PT17_ilS5_ilS3_S5_ilPT18_ili26rocblas_geam_ex_operation_,"axG",@progbits,_ZN12_GLOBAL__N_120geam_min_plus_kernelIDF16_Dv2_DF16_S1_Li8ELi32ELi64ELi256ELi4ELi64ELi4ELi64ELi4ELc78ELc84ELb1ELb1ELb1EDF16_KDF16_DF16_EEviiiT16_PT17_ilS5_ilS3_S5_ilPT18_ili26rocblas_geam_ex_operation_,comdat
.Lfunc_end274:
	.size	_ZN12_GLOBAL__N_120geam_min_plus_kernelIDF16_Dv2_DF16_S1_Li8ELi32ELi64ELi256ELi4ELi64ELi4ELi64ELi4ELc78ELc84ELb1ELb1ELb1EDF16_KDF16_DF16_EEviiiT16_PT17_ilS5_ilS3_S5_ilPT18_ili26rocblas_geam_ex_operation_, .Lfunc_end274-_ZN12_GLOBAL__N_120geam_min_plus_kernelIDF16_Dv2_DF16_S1_Li8ELi32ELi64ELi256ELi4ELi64ELi4ELi64ELi4ELc78ELc84ELb1ELb1ELb1EDF16_KDF16_DF16_EEviiiT16_PT17_ilS5_ilS3_S5_ilPT18_ili26rocblas_geam_ex_operation_
                                        ; -- End function
	.set _ZN12_GLOBAL__N_120geam_min_plus_kernelIDF16_Dv2_DF16_S1_Li8ELi32ELi64ELi256ELi4ELi64ELi4ELi64ELi4ELc78ELc84ELb1ELb1ELb1EDF16_KDF16_DF16_EEviiiT16_PT17_ilS5_ilS3_S5_ilPT18_ili26rocblas_geam_ex_operation_.num_vgpr, 160
	.set _ZN12_GLOBAL__N_120geam_min_plus_kernelIDF16_Dv2_DF16_S1_Li8ELi32ELi64ELi256ELi4ELi64ELi4ELi64ELi4ELc78ELc84ELb1ELb1ELb1EDF16_KDF16_DF16_EEviiiT16_PT17_ilS5_ilS3_S5_ilPT18_ili26rocblas_geam_ex_operation_.num_agpr, 0
	.set _ZN12_GLOBAL__N_120geam_min_plus_kernelIDF16_Dv2_DF16_S1_Li8ELi32ELi64ELi256ELi4ELi64ELi4ELi64ELi4ELc78ELc84ELb1ELb1ELb1EDF16_KDF16_DF16_EEviiiT16_PT17_ilS5_ilS3_S5_ilPT18_ili26rocblas_geam_ex_operation_.numbered_sgpr, 29
	.set _ZN12_GLOBAL__N_120geam_min_plus_kernelIDF16_Dv2_DF16_S1_Li8ELi32ELi64ELi256ELi4ELi64ELi4ELi64ELi4ELc78ELc84ELb1ELb1ELb1EDF16_KDF16_DF16_EEviiiT16_PT17_ilS5_ilS3_S5_ilPT18_ili26rocblas_geam_ex_operation_.num_named_barrier, 0
	.set _ZN12_GLOBAL__N_120geam_min_plus_kernelIDF16_Dv2_DF16_S1_Li8ELi32ELi64ELi256ELi4ELi64ELi4ELi64ELi4ELc78ELc84ELb1ELb1ELb1EDF16_KDF16_DF16_EEviiiT16_PT17_ilS5_ilS3_S5_ilPT18_ili26rocblas_geam_ex_operation_.private_seg_size, 0
	.set _ZN12_GLOBAL__N_120geam_min_plus_kernelIDF16_Dv2_DF16_S1_Li8ELi32ELi64ELi256ELi4ELi64ELi4ELi64ELi4ELc78ELc84ELb1ELb1ELb1EDF16_KDF16_DF16_EEviiiT16_PT17_ilS5_ilS3_S5_ilPT18_ili26rocblas_geam_ex_operation_.uses_vcc, 1
	.set _ZN12_GLOBAL__N_120geam_min_plus_kernelIDF16_Dv2_DF16_S1_Li8ELi32ELi64ELi256ELi4ELi64ELi4ELi64ELi4ELc78ELc84ELb1ELb1ELb1EDF16_KDF16_DF16_EEviiiT16_PT17_ilS5_ilS3_S5_ilPT18_ili26rocblas_geam_ex_operation_.uses_flat_scratch, 0
	.set _ZN12_GLOBAL__N_120geam_min_plus_kernelIDF16_Dv2_DF16_S1_Li8ELi32ELi64ELi256ELi4ELi64ELi4ELi64ELi4ELc78ELc84ELb1ELb1ELb1EDF16_KDF16_DF16_EEviiiT16_PT17_ilS5_ilS3_S5_ilPT18_ili26rocblas_geam_ex_operation_.has_dyn_sized_stack, 0
	.set _ZN12_GLOBAL__N_120geam_min_plus_kernelIDF16_Dv2_DF16_S1_Li8ELi32ELi64ELi256ELi4ELi64ELi4ELi64ELi4ELc78ELc84ELb1ELb1ELb1EDF16_KDF16_DF16_EEviiiT16_PT17_ilS5_ilS3_S5_ilPT18_ili26rocblas_geam_ex_operation_.has_recursion, 0
	.set _ZN12_GLOBAL__N_120geam_min_plus_kernelIDF16_Dv2_DF16_S1_Li8ELi32ELi64ELi256ELi4ELi64ELi4ELi64ELi4ELc78ELc84ELb1ELb1ELb1EDF16_KDF16_DF16_EEviiiT16_PT17_ilS5_ilS3_S5_ilPT18_ili26rocblas_geam_ex_operation_.has_indirect_call, 0
	.section	.AMDGPU.csdata,"",@progbits
; Kernel info:
; codeLenInByte = 22848
; TotalNumSgprs: 31
; NumVgprs: 160
; ScratchSize: 0
; MemoryBound: 0
; FloatMode: 240
; IeeeMode: 1
; LDSByteSize: 5120 bytes/workgroup (compile time only)
; SGPRBlocks: 0
; VGPRBlocks: 19
; NumSGPRsForWavesPerEU: 31
; NumVGPRsForWavesPerEU: 160
; Occupancy: 6
; WaveLimiterHint : 0
; COMPUTE_PGM_RSRC2:SCRATCH_EN: 0
; COMPUTE_PGM_RSRC2:USER_SGPR: 6
; COMPUTE_PGM_RSRC2:TRAP_HANDLER: 0
; COMPUTE_PGM_RSRC2:TGID_X_EN: 1
; COMPUTE_PGM_RSRC2:TGID_Y_EN: 0
; COMPUTE_PGM_RSRC2:TGID_Z_EN: 1
; COMPUTE_PGM_RSRC2:TIDIG_COMP_CNT: 1
	.section	.text._ZN12_GLOBAL__N_120geam_min_plus_kernelIDF16_Dv2_DF16_S1_Li8ELi32ELi64ELi256ELi4ELi64ELi4ELi64ELi4ELc78ELc84ELb0ELb1ELb1EDF16_KDF16_DF16_EEviiiT16_PT17_ilS5_ilS3_S5_ilPT18_ili26rocblas_geam_ex_operation_,"axG",@progbits,_ZN12_GLOBAL__N_120geam_min_plus_kernelIDF16_Dv2_DF16_S1_Li8ELi32ELi64ELi256ELi4ELi64ELi4ELi64ELi4ELc78ELc84ELb0ELb1ELb1EDF16_KDF16_DF16_EEviiiT16_PT17_ilS5_ilS3_S5_ilPT18_ili26rocblas_geam_ex_operation_,comdat
	.globl	_ZN12_GLOBAL__N_120geam_min_plus_kernelIDF16_Dv2_DF16_S1_Li8ELi32ELi64ELi256ELi4ELi64ELi4ELi64ELi4ELc78ELc84ELb0ELb1ELb1EDF16_KDF16_DF16_EEviiiT16_PT17_ilS5_ilS3_S5_ilPT18_ili26rocblas_geam_ex_operation_ ; -- Begin function _ZN12_GLOBAL__N_120geam_min_plus_kernelIDF16_Dv2_DF16_S1_Li8ELi32ELi64ELi256ELi4ELi64ELi4ELi64ELi4ELc78ELc84ELb0ELb1ELb1EDF16_KDF16_DF16_EEviiiT16_PT17_ilS5_ilS3_S5_ilPT18_ili26rocblas_geam_ex_operation_
	.p2align	8
	.type	_ZN12_GLOBAL__N_120geam_min_plus_kernelIDF16_Dv2_DF16_S1_Li8ELi32ELi64ELi256ELi4ELi64ELi4ELi64ELi4ELc78ELc84ELb0ELb1ELb1EDF16_KDF16_DF16_EEviiiT16_PT17_ilS5_ilS3_S5_ilPT18_ili26rocblas_geam_ex_operation_,@function
_ZN12_GLOBAL__N_120geam_min_plus_kernelIDF16_Dv2_DF16_S1_Li8ELi32ELi64ELi256ELi4ELi64ELi4ELi64ELi4ELc78ELc84ELb0ELb1ELb1EDF16_KDF16_DF16_EEviiiT16_PT17_ilS5_ilS3_S5_ilPT18_ili26rocblas_geam_ex_operation_: ; @_ZN12_GLOBAL__N_120geam_min_plus_kernelIDF16_Dv2_DF16_S1_Li8ELi32ELi64ELi256ELi4ELi64ELi4ELi64ELi4ELc78ELc84ELb0ELb1ELb1EDF16_KDF16_DF16_EEviiiT16_PT17_ilS5_ilS3_S5_ilPT18_ili26rocblas_geam_ex_operation_
; %bb.0:
	s_clause 0x1
	s_load_dwordx4 s[12:15], s[4:5], 0x0
	s_load_dwordx4 s[0:3], s[4:5], 0x20
	s_waitcnt lgkmcnt(0)
	v_cmp_eq_f16_e64 s8, s15, 0
	s_and_b32 vcc_lo, exec_lo, s8
	s_cbranch_vccnz .LBB275_61
; %bb.1:
	s_load_dwordx2 s[10:11], s[4:5], 0x10
	s_mul_i32 s1, s1, s7
	s_mul_hi_u32 s9, s0, s7
	s_mul_i32 s0, s0, s7
	s_add_i32 s1, s9, s1
	s_lshl_b64 s[0:1], s[0:1], 1
	s_waitcnt lgkmcnt(0)
	s_add_u32 s20, s10, s0
	s_addc_u32 s21, s11, s1
	s_andn2_b32 vcc_lo, exec_lo, s8
	s_mov_b32 s0, -1
	s_cbranch_vccnz .LBB275_3
.LBB275_2:
	s_mov_b32 s0, 0
.LBB275_3:
	s_mov_b64 s[16:17], 0
	s_andn2_b32 vcc_lo, exec_lo, s0
	s_mov_b64 s[18:19], 0
	s_cbranch_vccnz .LBB275_5
; %bb.4:
	s_load_dwordx2 s[0:1], s[4:5], 0x38
	s_waitcnt lgkmcnt(0)
	s_mul_i32 s1, s1, s7
	s_mul_hi_u32 s8, s0, s7
	s_mul_i32 s0, s0, s7
	s_add_i32 s1, s8, s1
	s_lshl_b64 s[0:1], s[0:1], 1
	s_add_u32 s18, s2, s0
	s_addc_u32 s19, s3, s1
.LBB275_5:
	s_clause 0x1
	s_load_dword s24, s[4:5], 0x40
	s_load_dwordx4 s[8:11], s[4:5], 0x58
	s_waitcnt lgkmcnt(0)
	v_cmp_eq_f16_e64 s0, s24, 0
	v_cmp_neq_f16_e64 s25, s24, 0
	s_and_b32 vcc_lo, exec_lo, s0
	s_cbranch_vccnz .LBB275_7
; %bb.6:
	s_load_dwordx2 s[0:1], s[4:5], 0x48
	s_mul_i32 s2, s9, s7
	s_mul_hi_u32 s3, s8, s7
	s_add_i32 s3, s3, s2
	s_mul_i32 s2, s8, s7
	s_lshl_b64 s[2:3], s[2:3], 1
	s_waitcnt lgkmcnt(0)
	s_add_u32 s16, s0, s2
	s_addc_u32 s17, s1, s3
.LBB275_7:
	s_add_i32 s0, s12, -1
	s_load_dword s22, s[4:5], 0x18
	s_ashr_i32 s1, s0, 31
	v_lshl_add_u32 v3, v1, 3, v0
	s_lshr_b32 s1, s1, 26
	v_cmp_eq_f16_e64 s9, s15, 0
	s_add_i32 s0, s0, s1
	v_lshrrev_b32_e32 v46, 6, v3
	s_ashr_i32 s0, s0, 6
	s_add_i32 s2, s0, 1
	s_not_b32 s0, s0
	v_cvt_f32_u32_e32 v2, s2
	v_rcp_iflag_f32_e32 v2, v2
	s_waitcnt lgkmcnt(0)
	s_ashr_i32 s23, s22, 31
	v_mul_f32_e32 v2, 0x4f7ffffe, v2
	v_cvt_u32_f32_e32 v2, v2
	v_readfirstlane_b32 s1, v2
	v_and_b32_e32 v2, 63, v3
                                        ; implicit-def: $vgpr3
	s_mul_i32 s0, s0, s1
	s_mul_hi_u32 s0, s1, s0
	s_add_i32 s1, s1, s0
	s_mul_hi_u32 s0, s6, s1
	s_mul_i32 s1, s0, s2
	s_add_i32 s3, s0, 1
	s_sub_i32 s1, s6, s1
	s_sub_i32 s8, s1, s2
	s_cmp_ge_u32 s1, s2
	s_cselect_b32 s0, s3, s0
	s_cselect_b32 s1, s8, s1
	s_add_i32 s3, s0, 1
	s_cmp_ge_u32 s1, s2
	s_cselect_b32 s1, s3, s0
                                        ; implicit-def: $sgpr3
	s_mul_i32 s0, s1, s2
	s_sub_i32 s0, s6, s0
	v_cmp_le_i32_e64 s6, s14, v46
	s_lshl_b32 s26, s0, 6
	v_or_b32_e32 v22, s26, v2
	v_cmp_le_i32_e32 vcc_lo, s12, v22
	v_ashrrev_i32_e32 v23, 31, v22
	s_or_b32 s2, vcc_lo, s6
	s_nor_b32 s0, s9, s2
	s_and_saveexec_b32 s8, s0
	s_xor_b32 s8, exec_lo, s8
	s_cbranch_execz .LBB275_9
; %bb.8:
	s_add_i32 s3, s14, -1
	v_lshlrev_b64 v[5:6], 1, v[22:23]
	v_min_u32_e32 v3, s3, v46
	v_mad_i64_i32 v[3:4], null, s22, v3, 0
	v_lshlrev_b64 v[3:4], 1, v[3:4]
	v_add_co_u32 v3, s0, s20, v3
	v_add_co_ci_u32_e64 v4, null, s21, v4, s0
	v_add_co_u32 v3, s0, v3, v5
	v_add_co_ci_u32_e64 v4, null, v4, v6, s0
	global_load_ushort v3, v[3:4], off
	s_waitcnt vmcnt(0)
	v_mul_f16_e32 v3, s15, v3
.LBB275_9:
	s_or_saveexec_b32 s0, s8
	v_mov_b32_e32 v4, s3
	s_xor_b32 exec_lo, exec_lo, s0
; %bb.10:
	s_add_i32 s3, s14, -1
	v_cndmask_b32_e64 v3, 0, 0x7c00, s2
	v_mov_b32_e32 v4, s3
; %bb.11:
	s_or_b32 exec_lo, exec_lo, s0
	s_load_dword s28, s[4:5], 0x30
	v_min_i32_e32 v4, v46, v4
	s_lshl_b32 s27, s1, 8
	v_or_b32_e32 v24, s27, v2
	v_cmp_le_i32_e64 s0, s13, v24
	v_ashrrev_i32_e32 v25, 31, v24
	s_or_b32 s2, s0, s6
	s_waitcnt lgkmcnt(0)
	v_mad_i64_i32 v[4:5], null, v4, s28, 0
	v_lshlrev_b64 v[5:6], 1, v[4:5]
	v_cndmask_b32_e64 v4, 0, 0x7c00, s2
	v_add_co_u32 v8, s1, s18, v5
	v_add_co_ci_u32_e64 v9, null, s19, v6, s1
	s_nor_b32 s1, s9, s2
	s_and_saveexec_b32 s2, s1
	s_cbranch_execz .LBB275_13
; %bb.12:
	v_lshlrev_b64 v[4:5], 1, v[24:25]
	v_add_co_u32 v4, s1, v8, v4
	v_add_co_ci_u32_e64 v5, null, v9, v5, s1
	global_load_ushort v4, v[4:5], off
	s_waitcnt vmcnt(0)
	v_mul_f16_e32 v4, s15, v4
.LBB275_13:
	s_or_b32 exec_lo, exec_lo, s2
	v_or_b32_e32 v5, 64, v24
	s_add_i32 s8, s13, -1
	v_cmp_le_i32_e64 s1, s13, v5
	v_min_i32_e32 v26, s8, v5
	s_or_b32 s2, s1, s6
	v_ashrrev_i32_e32 v27, 31, v26
	v_cndmask_b32_e64 v5, 0, 0x7c00, s2
	s_nor_b32 s2, s2, s9
	s_and_saveexec_b32 s3, s2
	s_cbranch_execz .LBB275_15
; %bb.14:
	v_lshlrev_b64 v[5:6], 1, v[26:27]
	v_add_co_u32 v5, s2, v8, v5
	v_add_co_ci_u32_e64 v6, null, v9, v6, s2
	global_load_ushort v5, v[5:6], off
	s_waitcnt vmcnt(0)
	v_mul_f16_e32 v5, s15, v5
.LBB275_15:
	s_or_b32 exec_lo, exec_lo, s3
	v_or_b32_e32 v6, 0x80, v24
	v_cmp_le_i32_e64 s2, s13, v6
	v_min_i32_e32 v28, s8, v6
	s_or_b32 s3, s2, s6
	v_ashrrev_i32_e32 v29, 31, v28
	v_cndmask_b32_e64 v6, 0, 0x7c00, s3
	s_nor_b32 s3, s3, s9
	s_and_saveexec_b32 s29, s3
	s_cbranch_execz .LBB275_17
; %bb.16:
	v_lshlrev_b64 v[6:7], 1, v[28:29]
	v_add_co_u32 v6, s3, v8, v6
	v_add_co_ci_u32_e64 v7, null, v9, v7, s3
	global_load_ushort v6, v[6:7], off
	s_waitcnt vmcnt(0)
	v_mul_f16_e32 v6, s15, v6
.LBB275_17:
	s_or_b32 exec_lo, exec_lo, s29
	v_or_b32_e32 v7, 0xc0, v24
	v_cmp_le_i32_e64 s3, s13, v7
	v_min_i32_e32 v30, s8, v7
	s_or_b32 s6, s3, s6
	v_ashrrev_i32_e32 v31, 31, v30
	v_cndmask_b32_e64 v7, 0, 0x7c00, s6
	s_nor_b32 s6, s6, s9
	s_and_saveexec_b32 s8, s6
	s_cbranch_execz .LBB275_19
; %bb.18:
	v_lshlrev_b64 v[10:11], 1, v[30:31]
	v_add_co_u32 v7, s6, v8, v10
	v_add_co_ci_u32_e64 v8, null, v9, v11, s6
	global_load_ushort v7, v[7:8], off
	s_waitcnt vmcnt(0)
	v_mul_f16_e32 v7, s15, v7
.LBB275_19:
	s_or_b32 exec_lo, exec_lo, s8
	v_add_nc_u32_e32 v8, 4, v46
                                        ; implicit-def: $vgpr32
                                        ; implicit-def: $sgpr30
	v_cmp_le_i32_e64 s6, s14, v8
	s_or_b32 s29, vcc_lo, s6
	s_nor_b32 s8, s9, s29
	s_and_saveexec_b32 s31, s8
	s_xor_b32 s31, exec_lo, s31
	s_cbranch_execz .LBB275_21
; %bb.20:
	s_add_i32 s30, s14, -1
	v_min_u32_e32 v11, s30, v8
	v_mad_u64_u32 v[9:10], null, s22, v11, 0
	v_mad_u64_u32 v[10:11], null, s23, v11, v[10:11]
	v_lshlrev_b64 v[11:12], 1, v[22:23]
	v_lshlrev_b64 v[9:10], 1, v[9:10]
	v_add_co_u32 v9, s8, s20, v9
	v_add_co_ci_u32_e64 v10, null, s21, v10, s8
	v_add_co_u32 v9, s8, v9, v11
	v_add_co_ci_u32_e64 v10, null, v10, v12, s8
	global_load_ushort v9, v[9:10], off
	s_waitcnt vmcnt(0)
	v_mul_f16_e32 v32, s15, v9
.LBB275_21:
	s_or_saveexec_b32 s8, s31
	v_mov_b32_e32 v9, s30
	s_xor_b32 exec_lo, exec_lo, s8
; %bb.22:
	s_add_i32 s30, s14, -1
	v_cndmask_b32_e64 v32, 0, 0x7c00, s29
	v_mov_b32_e32 v9, s30
; %bb.23:
	s_or_b32 exec_lo, exec_lo, s8
	v_min_i32_e32 v8, v8, v9
	v_mad_i64_i32 v[8:9], null, v8, s28, 0
	v_lshlrev_b64 v[8:9], 1, v[8:9]
	v_add_co_u32 v8, s8, s18, v8
	v_add_co_ci_u32_e64 v9, null, s19, v9, s8
	s_or_b32 s8, s0, s6
	v_cndmask_b32_e64 v33, 0, 0x7c00, s8
	s_nor_b32 s8, s9, s8
	s_and_saveexec_b32 s29, s8
	s_cbranch_execz .LBB275_25
; %bb.24:
	v_lshlrev_b64 v[10:11], 1, v[24:25]
	v_add_co_u32 v10, s8, v8, v10
	v_add_co_ci_u32_e64 v11, null, v9, v11, s8
	global_load_ushort v10, v[10:11], off
	s_waitcnt vmcnt(0)
	v_mul_f16_e32 v33, s15, v10
.LBB275_25:
	s_or_b32 exec_lo, exec_lo, s29
	s_or_b32 s8, s1, s6
	v_cndmask_b32_e64 v34, 0, 0x7c00, s8
	s_nor_b32 s8, s8, s9
	s_and_saveexec_b32 s29, s8
	s_cbranch_execz .LBB275_27
; %bb.26:
	v_lshlrev_b64 v[10:11], 1, v[26:27]
	v_add_co_u32 v10, s8, v8, v10
	v_add_co_ci_u32_e64 v11, null, v9, v11, s8
	global_load_ushort v10, v[10:11], off
	s_waitcnt vmcnt(0)
	v_mul_f16_e32 v34, s15, v10
.LBB275_27:
	s_or_b32 exec_lo, exec_lo, s29
	;; [unrolled: 14-line block ×4, first 2 shown]
	v_lshlrev_b32_e32 v2, 3, v2
	v_lshlrev_b32_e32 v75, 3, v0
	;; [unrolled: 1-line block ×3, first 2 shown]
	s_cmp_lt_i32 s14, 9
	v_lshl_add_u32 v83, v46, 1, v2
	v_add_nc_u32_e32 v2, 0x1000, v75
	ds_write_b16 v83, v3 offset:4096
	ds_write_b16 v83, v4
	ds_write_b16 v83, v5 offset:512
	ds_write_b16 v83, v6 offset:1024
	;; [unrolled: 1-line block ×3, first 2 shown]
	s_waitcnt lgkmcnt(0)
	s_barrier
	buffer_gl0_inv
	ds_read2_b64 v[18:21], v2 offset1:8
	ds_read2_b64 v[37:40], v47 offset1:32
	ds_read2_b64 v[14:17], v2 offset0:16 offset1:24
	ds_read2_b64 v[10:13], v2 offset0:32 offset1:40
	;; [unrolled: 1-line block ×6, first 2 shown]
	ds_write_b16 v83, v32 offset:4608
	ds_write_b16 v83, v33 offset:2048
	;; [unrolled: 1-line block ×5, first 2 shown]
	s_waitcnt lgkmcnt(0)
	s_barrier
	buffer_gl0_inv
	v_pk_add_f16 v45, v18, v37
	v_pk_add_f16 v52, v20, v37
	;; [unrolled: 1-line block ×64, first 2 shown]
	v_pk_min_f16 v45, 0x7c00, v45 op_sel_hi:[0,1]
	v_pk_add_f16 v84, v21, v38
	v_pk_min_f16 v52, 0x7c00, v52 op_sel_hi:[0,1]
	v_pk_add_f16 v85, v15, v38
	;; [unrolled: 2-line block ×3, first 2 shown]
	v_pk_add_f16 v4, v11, v38
	v_pk_min_f16 v8, 0x7c00, v55 op_sel_hi:[0,1]
	v_pk_add_f16 v86, v17, v38
	v_pk_min_f16 v54, 0x7c00, v54 op_sel_hi:[0,1]
	v_pk_min_f16 v113, v45, v82
	v_pk_min_f16 v112, v52, v84
	;; [unrolled: 1-line block ×3, first 2 shown]
	v_pk_add_f16 v45, v13, v38
	v_pk_min_f16 v52, 0x7c00, v56 op_sel_hi:[0,1]
	v_pk_add_f16 v53, v3, v38
	v_pk_add_f16 v38, v5, v38
	v_pk_min_f16 v37, 0x7c00, v37 op_sel_hi:[0,1]
	v_pk_min_f16 v109, v8, v4
	v_pk_add_f16 v4, v21, v40
	v_pk_min_f16 v8, 0x7c00, v59 op_sel_hi:[0,1]
	v_pk_min_f16 v110, v54, v86
	v_pk_min_f16 v54, 0x7c00, v57 op_sel_hi:[0,1]
	v_pk_add_f16 v55, v19, v40
	v_pk_min_f16 v56, 0x7c00, v58 op_sel_hi:[0,1]
	v_pk_min_f16 v108, v52, v45
	v_pk_min_f16 v106, v37, v38
	v_pk_add_f16 v37, v15, v40
	v_pk_min_f16 v38, 0x7c00, v60 op_sel_hi:[0,1]
	v_pk_add_f16 v45, v17, v40
	v_pk_min_f16 v52, 0x7c00, v61 op_sel_hi:[0,1]
	v_pk_min_f16 v104, v8, v4
	v_pk_add_f16 v4, v3, v40
	v_pk_min_f16 v8, 0x7c00, v64 op_sel_hi:[0,1]
	v_pk_min_f16 v107, v54, v53
	v_pk_min_f16 v105, v56, v55
	v_pk_add_f16 v53, v11, v40
	v_pk_min_f16 v54, 0x7c00, v62 op_sel_hi:[0,1]
	v_pk_add_f16 v55, v13, v40
	v_pk_min_f16 v103, v38, v37
	v_pk_min_f16 v102, v52, v45
	v_pk_add_f16 v37, v5, v40
	v_pk_min_f16 v38, 0x7c00, v39 op_sel_hi:[0,1]
	v_pk_add_f16 v39, v19, v42
	v_pk_min_f16 v40, 0x7c00, v65 op_sel_hi:[0,1]
	;; [unrolled: 2-line block ×3, first 2 shown]
	v_pk_min_f16 v99, v8, v4
	v_pk_add_f16 v4, v17, v42
	v_pk_min_f16 v8, 0x7c00, v68 op_sel_hi:[0,1]
	v_pk_min_f16 v101, v54, v53
	v_pk_add_f16 v53, v15, v42
	v_pk_min_f16 v98, v38, v37
	v_pk_min_f16 v97, v40, v39
	;; [unrolled: 1-line block ×3, first 2 shown]
	v_pk_add_f16 v37, v11, v42
	v_pk_min_f16 v38, 0x7c00, v69 op_sel_hi:[0,1]
	v_pk_add_f16 v39, v13, v42
	v_pk_min_f16 v40, 0x7c00, v70 op_sel_hi:[0,1]
	v_pk_add_f16 v45, v3, v42
	v_pk_add_f16 v42, v5, v42
	v_pk_min_f16 v41, 0x7c00, v41 op_sel_hi:[0,1]
	v_pk_min_f16 v94, v8, v4
	v_pk_add_f16 v4, v19, v44
	v_pk_min_f16 v8, 0x7c00, v72 op_sel_hi:[0,1]
	v_pk_min_f16 v52, 0x7c00, v71 op_sel_hi:[0,1]
	v_pk_min_f16 v93, v38, v37
	v_pk_min_f16 v92, v40, v39
	;; [unrolled: 1-line block ×3, first 2 shown]
	v_pk_add_f16 v37, v21, v44
	v_pk_min_f16 v38, 0x7c00, v73 op_sel_hi:[0,1]
	v_pk_add_f16 v39, v15, v44
	v_pk_min_f16 v40, 0x7c00, v74 op_sel_hi:[0,1]
	;; [unrolled: 2-line block ×3, first 2 shown]
	v_pk_min_f16 v89, v8, v4
	v_pk_add_f16 v4, v13, v44
	v_pk_min_f16 v8, 0x7c00, v78 op_sel_hi:[0,1]
	v_pk_min_f16 v91, v52, v45
	v_pk_add_f16 v45, v11, v44
	v_pk_min_f16 v88, v38, v37
	v_pk_min_f16 v87, v40, v39
	v_pk_min_f16 v86, v42, v41
	v_pk_add_f16 v37, v3, v44
	v_pk_min_f16 v38, 0x7c00, v79 op_sel_hi:[0,1]
	v_pk_add_f16 v39, v5, v44
	v_pk_min_f16 v40, 0x7c00, v43 op_sel_hi:[0,1]
	;; [unrolled: 2-line block ×4, first 2 shown]
	v_pk_min_f16 v84, v8, v4
	v_pk_add_f16 v4, v15, v49
	v_pk_min_f16 v8, 0x7c00, v114 op_sel_hi:[0,1]
	v_pk_min_f16 v82, v38, v37
	v_pk_min_f16 v81, v40, v39
	v_pk_min_f16 v80, v42, v41
	v_pk_min_f16 v79, v44, v43
	v_pk_add_f16 v37, v17, v49
	v_pk_min_f16 v38, 0x7c00, v115 op_sel_hi:[0,1]
	v_pk_add_f16 v39, v11, v49
	v_pk_min_f16 v40, 0x7c00, v116 op_sel_hi:[0,1]
	v_pk_add_f16 v41, v13, v49
	v_pk_min_f16 v42, 0x7c00, v117 op_sel_hi:[0,1]
	v_pk_add_f16 v43, v3, v49
	v_pk_min_f16 v44, 0x7c00, v118 op_sel_hi:[0,1]
	v_pk_min_f16 v78, v8, v4
	v_pk_add_f16 v4, v5, v49
	v_pk_min_f16 v8, 0x7c00, v48 op_sel_hi:[0,1]
	v_pk_min_f16 v52, 0x7c00, v77 op_sel_hi:[0,1]
	v_pk_min_f16 v77, v38, v37
	v_pk_min_f16 v76, v40, v39
	v_pk_min_f16 v74, v42, v41
	v_pk_min_f16 v73, v44, v43
	v_pk_add_f16 v37, v19, v51
	v_pk_min_f16 v38, 0x7c00, v119 op_sel_hi:[0,1]
	v_pk_add_f16 v39, v21, v51
	v_pk_min_f16 v40, 0x7c00, v120 op_sel_hi:[0,1]
	v_pk_add_f16 v41, v15, v51
	v_pk_min_f16 v42, 0x7c00, v121 op_sel_hi:[0,1]
	v_pk_add_f16 v43, v17, v51
	v_pk_min_f16 v44, 0x7c00, v122 op_sel_hi:[0,1]
	v_pk_min_f16 v72, v8, v4
	v_pk_add_f16 v4, v11, v51
	v_pk_min_f16 v8, 0x7c00, v123 op_sel_hi:[0,1]
	;; [unrolled: 16-line block ×3, first 2 shown]
	v_pk_min_f16 v56, 0x7c00, v63 op_sel_hi:[0,1]
	v_pk_min_f16 v66, v38, v37
	v_pk_min_f16 v65, v40, v39
	;; [unrolled: 1-line block ×4, first 2 shown]
	v_pk_add_f16 v37, v15, v7
	v_pk_add_f16 v39, v17, v7
	;; [unrolled: 1-line block ×4, first 2 shown]
	v_pk_min_f16 v62, v8, v4
	v_pk_add_f16 v4, v3, v7
	v_pk_min_f16 v8, 0x7c00, v132 op_sel_hi:[0,1]
	v_pk_add_f16 v7, v5, v7
	v_pk_min_f16 v6, 0x7c00, v6 op_sel_hi:[0,1]
	v_pk_min_f16 v100, v56, v55
	v_pk_min_f16 v38, 0x7c00, v128 op_sel_hi:[0,1]
	v_pk_min_f16 v40, 0x7c00, v129 op_sel_hi:[0,1]
	;; [unrolled: 1-line block ×4, first 2 shown]
	v_pk_add_f16 v19, v19, v9
	v_pk_min_f16 v18, 0x7c00, v18 op_sel_hi:[0,1]
	v_pk_add_f16 v21, v21, v9
	v_pk_min_f16 v20, 0x7c00, v20 op_sel_hi:[0,1]
	;; [unrolled: 2-line block ×3, first 2 shown]
	v_pk_min_f16 v57, v8, v4
	v_pk_min_f16 v56, v6, v7
	v_pk_add_f16 v4, v17, v9
	v_pk_min_f16 v6, 0x7c00, v16 op_sel_hi:[0,1]
	v_pk_add_f16 v7, v11, v9
	v_pk_min_f16 v8, 0x7c00, v10 op_sel_hi:[0,1]
	;; [unrolled: 2-line block ×5, first 2 shown]
	v_pk_min_f16 v95, v54, v53
	v_pk_min_f16 v85, v52, v45
	;; [unrolled: 1-line block ×14, first 2 shown]
	s_cbranch_scc1 .LBB275_58
; %bb.32:
	v_add_nc_u32_e32 v2, v47, v0
	v_lshlrev_b64 v[34:35], 1, v[24:25]
	v_lshlrev_b64 v[36:37], 1, v[26:27]
	;; [unrolled: 1-line block ×4, first 2 shown]
	v_lshrrev_b32_e32 v4, 6, v2
	v_lshlrev_b64 v[2:3], 1, v[22:23]
	v_or_b32_e32 v114, 0x1000, v75
	v_add_nc_u32_e32 v115, 0x1200, v83
	v_or_b32_e32 v116, 0x800, v83
	v_add_nc_u32_e32 v5, 12, v4
	v_add_nc_u32_e32 v6, 8, v4
	v_add_co_u32 v118, s6, s20, v2
	v_lshl_add_u32 v117, v0, 3, 0x1200
	v_mad_i64_i32 v[4:5], null, v5, s22, 0
	v_mad_i64_i32 v[6:7], null, v6, s22, 0
	v_add_co_ci_u32_e64 v119, null, s21, v3, s6
	v_or_b32_e32 v120, 0x800, v47
	s_add_i32 s29, s14, -8
	v_lshlrev_b64 v[40:41], 1, v[4:5]
	s_add_i32 s30, s14, -1
	v_lshlrev_b64 v[42:43], 1, v[6:7]
	s_lshl_b64 s[20:21], s[22:23], 4
	s_mov_b32 s22, 0
	s_branch .LBB275_34
.LBB275_33:                             ;   in Loop: Header=BB275_34 Depth=1
	s_or_b32 exec_lo, exec_lo, s8
	v_pk_add_f16 v126, v18, v30
	v_pk_max_f16 v113, v113, v113
	v_pk_add_f16 v127, v20, v30
	v_pk_max_f16 v112, v112, v112
	;; [unrolled: 2-line block ×3, first 2 shown]
	v_pk_min_f16 v113, v113, v126
	v_pk_add_f16 v126, v12, v30
	v_pk_max_f16 v110, v110, v110
	v_pk_add_f16 v129, v2, v30
	v_pk_max_f16 v109, v109, v109
	v_pk_add_f16 v130, v4, v30
	v_pk_min_f16 v112, v112, v127
	v_pk_min_f16 v111, v111, v128
	;; [unrolled: 1-line block ×3, first 2 shown]
	v_pk_add_f16 v126, v6, v30
	v_pk_max_f16 v107, v107, v107
	v_pk_add_f16 v30, v8, v30
	v_pk_max_f16 v106, v106, v106
	;; [unrolled: 2-line block ×4, first 2 shown]
	v_pk_min_f16 v109, v109, v129
	v_pk_add_f16 v129, v10, v32
	v_pk_min_f16 v107, v107, v126
	v_pk_min_f16 v30, v106, v30
	;; [unrolled: 1-line block ×4, first 2 shown]
	v_pk_add_f16 v106, v12, v32
	v_pk_max_f16 v102, v102, v102
	v_pk_add_f16 v126, v2, v32
	v_pk_add_f16 v127, v4, v32
	;; [unrolled: 1-line block ×4, first 2 shown]
	v_pk_max_f16 v98, v98, v98
	v_pk_max_f16 v101, v101, v101
	;; [unrolled: 1-line block ×4, first 2 shown]
	v_pk_min_f16 v102, v102, v106
	v_pk_min_f16 v32, v98, v32
	v_pk_add_f16 v98, v18, v26
	v_pk_max_f16 v97, v97, v97
	v_pk_add_f16 v106, v20, v26
	v_pk_max_f16 v96, v96, v96
	v_pk_min_f16 v101, v101, v126
	v_pk_min_f16 v100, v100, v127
	v_pk_min_f16 v99, v99, v128
	v_pk_add_f16 v126, v10, v26
	v_pk_max_f16 v95, v95, v95
	v_pk_add_f16 v127, v12, v26
	v_pk_max_f16 v94, v94, v94
	v_pk_add_f16 v128, v2, v26
	v_pk_min_f16 v97, v97, v98
	v_pk_min_f16 v96, v96, v106
	v_pk_add_f16 v98, v4, v26
	v_pk_max_f16 v92, v92, v92
	v_pk_add_f16 v106, v6, v26
	v_pk_add_f16 v26, v8, v26
	v_pk_max_f16 v90, v90, v90
	v_pk_min_f16 v95, v95, v126
	v_pk_min_f16 v94, v94, v127
	v_pk_max_f16 v91, v91, v91
	v_pk_add_f16 v126, v18, v28
	v_pk_max_f16 v89, v89, v89
	v_pk_add_f16 v127, v20, v28
	v_pk_max_f16 v88, v88, v88
	v_pk_min_f16 v92, v92, v98
	v_pk_min_f16 v26, v90, v26
	v_pk_add_f16 v90, v10, v28
	v_pk_max_f16 v87, v87, v87
	v_pk_add_f16 v98, v12, v28
	v_pk_max_f16 v86, v86, v86
	v_pk_min_f16 v91, v91, v106
	v_pk_min_f16 v89, v89, v126
	;; [unrolled: 1-line block ×3, first 2 shown]
	v_pk_add_f16 v106, v2, v28
	v_pk_max_f16 v85, v85, v85
	v_pk_add_f16 v126, v4, v28
	v_pk_max_f16 v84, v84, v84
	v_pk_add_f16 v127, v6, v28
	v_pk_min_f16 v87, v87, v90
	v_pk_min_f16 v86, v86, v98
	v_pk_add_f16 v28, v8, v28
	v_pk_max_f16 v81, v81, v81
	v_pk_add_f16 v90, v18, v22
	v_pk_max_f16 v80, v80, v80
	;; [unrolled: 2-line block ×3, first 2 shown]
	v_pk_min_f16 v85, v85, v106
	v_pk_min_f16 v84, v84, v126
	v_pk_add_f16 v106, v10, v22
	v_pk_max_f16 v78, v78, v78
	v_pk_add_f16 v126, v12, v22
	v_pk_min_f16 v28, v81, v28
	v_pk_min_f16 v80, v80, v90
	;; [unrolled: 1-line block ×3, first 2 shown]
	v_pk_add_f16 v81, v2, v22
	v_pk_max_f16 v76, v76, v76
	v_pk_add_f16 v90, v4, v22
	v_pk_max_f16 v74, v74, v74
	v_pk_add_f16 v98, v6, v22
	v_pk_add_f16 v22, v8, v22
	v_pk_max_f16 v72, v72, v72
	v_pk_min_f16 v78, v78, v106
	v_pk_max_f16 v73, v73, v73
	v_pk_add_f16 v106, v18, v24
	v_pk_max_f16 v71, v71, v71
	v_pk_min_f16 v76, v76, v81
	v_pk_min_f16 v74, v74, v90
	;; [unrolled: 1-line block ×3, first 2 shown]
	v_pk_add_f16 v72, v20, v24
	v_pk_max_f16 v70, v70, v70
	v_pk_add_f16 v81, v10, v24
	v_pk_max_f16 v69, v69, v69
	;; [unrolled: 2-line block ×3, first 2 shown]
	v_pk_min_f16 v73, v73, v98
	v_pk_min_f16 v71, v71, v106
	v_pk_add_f16 v98, v2, v24
	v_pk_max_f16 v67, v67, v67
	v_pk_add_f16 v106, v4, v24
	v_pk_min_f16 v70, v70, v72
	v_pk_min_f16 v69, v69, v81
	;; [unrolled: 1-line block ×3, first 2 shown]
	v_pk_add_f16 v72, v6, v24
	v_pk_max_f16 v65, v65, v65
	v_pk_add_f16 v24, v8, v24
	v_pk_max_f16 v64, v64, v64
	;; [unrolled: 2-line block ×4, first 2 shown]
	v_pk_min_f16 v67, v67, v98
	v_pk_add_f16 v98, v10, v14
	v_pk_min_f16 v65, v65, v72
	v_pk_min_f16 v24, v64, v24
	;; [unrolled: 1-line block ×4, first 2 shown]
	v_pk_add_f16 v64, v12, v14
	v_pk_add_f16 v72, v2, v14
	v_pk_max_f16 v59, v59, v59
	v_pk_add_f16 v81, v4, v14
	v_pk_add_f16 v90, v6, v14
	v_pk_add_f16 v14, v8, v14
	v_pk_max_f16 v56, v56, v56
	v_pk_add_f16 v18, v18, v16
	;; [unrolled: 4-line block ×3, first 2 shown]
	v_pk_max_f16 v55, v55, v55
	v_pk_add_f16 v2, v2, v16
	v_pk_add_f16 v4, v4, v16
	;; [unrolled: 1-line block ×4, first 2 shown]
	v_pk_max_f16 v16, v48, v48
	v_pk_max_f16 v108, v108, v108
	;; [unrolled: 1-line block ×4, first 2 shown]
	v_pk_min_f16 v59, v59, v72
	v_pk_min_f16 v14, v56, v14
	;; [unrolled: 1-line block ×4, first 2 shown]
	v_pk_max_f16 v10, v51, v51
	v_pk_max_f16 v12, v49, v49
	v_pk_min_f16 v72, v16, v8
	v_pk_add_f16 v8, v13, v31
	v_pk_min_f16 v108, v108, v130
	v_pk_max_f16 v103, v103, v103
	v_pk_min_f16 v66, v66, v106
	v_pk_max_f16 v61, v61, v61
	v_pk_min_f16 v60, v60, v64
	v_pk_min_f16 v4, v10, v4
	;; [unrolled: 1-line block ×3, first 2 shown]
	v_pk_add_f16 v6, v11, v31
	v_pk_add_f16 v10, v3, v31
	;; [unrolled: 1-line block ×3, first 2 shown]
	v_pk_min_f16 v106, v110, v8
	v_pk_add_f16 v8, v19, v33
	v_pk_min_f16 v103, v103, v129
	v_pk_max_f16 v77, v77, v77
	v_pk_min_f16 v61, v61, v98
	v_pk_add_f16 v16, v7, v31
	v_pk_min_f16 v98, v111, v6
	v_pk_min_f16 v109, v109, v10
	;; [unrolled: 1-line block ×3, first 2 shown]
	v_pk_add_f16 v6, v9, v31
	v_pk_add_f16 v10, v21, v33
	;; [unrolled: 1-line block ×3, first 2 shown]
	v_pk_min_f16 v105, v105, v8
	v_pk_add_f16 v8, v5, v33
	v_pk_max_f16 v93, v93, v93
	v_pk_max_f16 v82, v82, v82
	v_pk_min_f16 v77, v77, v126
	v_pk_min_f16 v107, v107, v16
	v_pk_add_f16 v16, v13, v33
	v_pk_min_f16 v126, v30, v6
	v_pk_min_f16 v104, v104, v10
	;; [unrolled: 1-line block ×3, first 2 shown]
	v_pk_add_f16 v6, v3, v33
	v_pk_add_f16 v10, v7, v33
	;; [unrolled: 1-line block ×3, first 2 shown]
	v_pk_min_f16 v100, v100, v8
	v_pk_add_f16 v8, v11, v27
	v_pk_min_f16 v93, v93, v128
	v_pk_min_f16 v82, v82, v127
	;; [unrolled: 1-line block ×3, first 2 shown]
	v_pk_add_f16 v16, v19, v27
	v_pk_min_f16 v101, v101, v6
	v_pk_min_f16 v99, v99, v10
	v_pk_min_f16 v127, v32, v12
	v_pk_add_f16 v6, v21, v27
	v_pk_add_f16 v10, v13, v27
	v_pk_add_f16 v12, v3, v27
	v_pk_min_f16 v95, v95, v8
	v_pk_add_f16 v8, v9, v27
	v_pk_min_f16 v97, v97, v16
	v_pk_add_f16 v16, v5, v27
	v_pk_min_f16 v96, v96, v6
	v_pk_min_f16 v94, v94, v10
	v_pk_min_f16 v93, v93, v12
	v_pk_add_f16 v6, v7, v27
	v_pk_add_f16 v10, v19, v29
	v_pk_add_f16 v12, v21, v29
	v_pk_min_f16 v128, v26, v8
	v_pk_add_f16 v8, v3, v29
	v_pk_min_f16 v92, v92, v16
	;; [unrolled: 10-line block ×4, first 2 shown]
	v_pk_add_f16 v16, v3, v23
	v_pk_min_f16 v80, v80, v6
	v_pk_min_f16 v78, v78, v10
	;; [unrolled: 1-line block ×3, first 2 shown]
	v_pk_add_f16 v6, v5, v23
	v_pk_add_f16 v10, v9, v23
	;; [unrolled: 1-line block ×3, first 2 shown]
	v_pk_min_f16 v73, v73, v8
	v_pk_add_f16 v8, v13, v25
	v_pk_max_f16 v58, v58, v58
	v_pk_min_f16 v76, v76, v16
	v_pk_add_f16 v16, v21, v25
	v_pk_min_f16 v74, v74, v6
	v_pk_min_f16 v130, v22, v10
	;; [unrolled: 1-line block ×3, first 2 shown]
	v_pk_add_f16 v6, v11, v25
	v_pk_add_f16 v10, v3, v25
	;; [unrolled: 1-line block ×3, first 2 shown]
	v_pk_min_f16 v68, v68, v8
	v_pk_add_f16 v8, v19, v15
	v_pk_min_f16 v58, v58, v81
	v_pk_max_f16 v54, v54, v54
	v_pk_max_f16 v52, v52, v52
	;; [unrolled: 1-line block ×3, first 2 shown]
	v_pk_min_f16 v70, v70, v16
	v_pk_add_f16 v16, v7, v25
	v_pk_min_f16 v69, v69, v6
	v_pk_min_f16 v67, v67, v10
	;; [unrolled: 1-line block ×3, first 2 shown]
	v_pk_add_f16 v6, v9, v25
	v_pk_add_f16 v10, v21, v15
	;; [unrolled: 1-line block ×3, first 2 shown]
	v_pk_min_f16 v63, v63, v8
	v_pk_add_f16 v8, v5, v15
	v_pk_max_f16 v57, v57, v57
	v_pk_min_f16 v18, v54, v18
	v_pk_min_f16 v20, v52, v20
	;; [unrolled: 1-line block ×3, first 2 shown]
	v_pk_add_f16 v48, v19, v31
	v_pk_add_f16 v49, v21, v31
	v_pk_min_f16 v65, v65, v16
	v_pk_add_f16 v16, v13, v15
	v_pk_min_f16 v131, v24, v6
	v_pk_min_f16 v132, v62, v10
	;; [unrolled: 1-line block ×3, first 2 shown]
	v_pk_add_f16 v6, v3, v15
	v_pk_add_f16 v10, v7, v15
	;; [unrolled: 1-line block ×4, first 2 shown]
	v_pk_min_f16 v31, v58, v8
	v_pk_add_f16 v8, v21, v17
	ds_read2_b64 v[26:29], v114 offset1:8
	ds_read2_b64 v[51:54], v47 offset1:32
	v_pk_min_f16 v57, v57, v90
	v_pk_min_f16 v90, v112, v49
	;; [unrolled: 1-line block ×4, first 2 shown]
	v_pk_add_f16 v15, v11, v17
	ds_read2_b64 v[22:25], v114 offset0:16 offset1:24
	v_pk_min_f16 v49, v20, v8
	v_pk_add_f16 v8, v13, v17
	v_pk_min_f16 v81, v113, v48
	v_pk_min_f16 v32, v60, v16
	;; [unrolled: 1-line block ×4, first 2 shown]
	ds_read2_b64 v[18:21], v114 offset0:32 offset1:40
	ds_read2_b64 v[10:13], v114 offset0:48 offset1:56
	v_pk_min_f16 v48, v56, v15
	v_pk_min_f16 v30, v55, v8
	ds_read2_b64 v[55:58], v47 offset0:64 offset1:96
	v_pk_add_f16 v3, v3, v17
	v_pk_add_f16 v5, v5, v17
	;; [unrolled: 1-line block ×4, first 2 shown]
	v_pk_max_f16 v81, v81, v81
	s_waitcnt lgkmcnt(4)
	v_pk_add_f16 v111, v27, v52
	v_pk_max_f16 v90, v90, v90
	v_pk_min_f16 v8, v64, v7
	v_pk_min_f16 v7, v72, v17
	v_pk_add_f16 v17, v26, v51
	v_pk_add_f16 v64, v28, v51
	s_waitcnt lgkmcnt(3)
	v_pk_add_f16 v72, v22, v51
	v_pk_max_f16 v98, v98, v98
	v_pk_add_f16 v110, v24, v51
	v_pk_min_f16 v17, v81, v17
	s_waitcnt lgkmcnt(2)
	v_pk_add_f16 v134, v20, v51
	v_pk_min_f16 v64, v90, v64
	v_pk_add_f16 v148, v21, v52
	v_pk_add_f16 v133, v18, v51
	s_waitcnt lgkmcnt(0)
	v_pk_add_f16 v143, v26, v55
	v_pk_add_f16 v144, v28, v55
	;; [unrolled: 1-line block ×7, first 2 shown]
	v_pk_min_f16 v113, v17, v111
	v_pk_add_f16 v17, v12, v55
	v_pk_min_f16 v55, v98, v72
	v_pk_max_f16 v98, v108, v108
	v_pk_add_f16 v135, v10, v51
	v_pk_add_f16 v51, v12, v51
	;; [unrolled: 1-line block ×3, first 2 shown]
	v_pk_max_f16 v105, v105, v105
	v_pk_min_f16 v98, v98, v134
	v_pk_add_f16 v150, v27, v54
	v_pk_add_f16 v138, v22, v53
	;; [unrolled: 1-line block ×4, first 2 shown]
	v_pk_min_f16 v108, v98, v148
	v_pk_max_f16 v98, v126, v126
	v_pk_add_f16 v137, v28, v53
	v_pk_add_f16 v139, v24, v53
	;; [unrolled: 1-line block ×4, first 2 shown]
	v_pk_min_f16 v51, v98, v51
	v_pk_min_f16 v98, v105, v136
	v_pk_add_f16 v53, v12, v53
	v_pk_add_f16 v154, v19, v54
	v_pk_max_f16 v99, v99, v99
	v_pk_max_f16 v127, v127, v127
	v_pk_min_f16 v105, v98, v150
	v_pk_max_f16 v98, v103, v103
	v_pk_add_f16 v151, v29, v54
	v_pk_add_f16 v153, v25, v54
	;; [unrolled: 1-line block ×4, first 2 shown]
	v_pk_min_f16 v98, v98, v138
	v_pk_add_f16 v54, v13, v54
	v_pk_min_f16 v53, v127, v53
	v_pk_max_f16 v96, v96, v96
	v_pk_max_f16 v95, v95, v95
	v_pk_min_f16 v103, v98, v152
	v_pk_max_f16 v98, v101, v101
	v_pk_add_f16 v145, v23, v52
	v_pk_max_f16 v93, v93, v93
	v_pk_add_f16 v152, v25, v56
	v_pk_min_f16 v15, v2, v3
	v_pk_min_f16 v98, v98, v140
	;; [unrolled: 1-line block ×3, first 2 shown]
	ds_read2_b64 v[59:62], v47 offset0:128 offset1:160
	ds_read2_b64 v[2:5], v47 offset0:192 offset1:224
	v_pk_min_f16 v111, v55, v145
	v_pk_max_f16 v55, v109, v109
	v_pk_min_f16 v101, v98, v154
	v_pk_min_f16 v98, v99, v142
	;; [unrolled: 1-line block ×3, first 2 shown]
	v_pk_add_f16 v112, v29, v52
	v_pk_add_f16 v146, v25, v52
	v_pk_add_f16 v147, v19, v52
	v_pk_min_f16 v99, v98, v156
	v_pk_min_f16 v98, v53, v54
	v_pk_add_f16 v53, v29, v56
	v_pk_min_f16 v54, v96, v144
	v_pk_add_f16 v149, v11, v52
	v_pk_add_f16 v52, v13, v52
	v_pk_min_f16 v55, v55, v133
	v_pk_min_f16 v112, v64, v112
	;; [unrolled: 1-line block ×3, first 2 shown]
	v_pk_max_f16 v53, v94, v94
	v_pk_add_f16 v54, v23, v56
	v_pk_min_f16 v94, v95, v157
	v_pk_max_f16 v64, v106, v106
	v_pk_min_f16 v109, v55, v147
	v_pk_min_f16 v53, v53, v158
	v_pk_max_f16 v55, v107, v107
	v_pk_min_f16 v95, v94, v54
	v_pk_add_f16 v54, v19, v56
	v_pk_min_f16 v106, v51, v52
	v_pk_min_f16 v94, v53, v152
	v_pk_max_f16 v53, v92, v92
	v_pk_max_f16 v51, v104, v104
	v_pk_min_f16 v93, v93, v54
	v_pk_max_f16 v54, v91, v91
	v_pk_add_f16 v91, v21, v56
	v_pk_min_f16 v53, v53, v81
	v_pk_max_f16 v81, v128, v128
	v_pk_max_f16 v97, v97, v97
	v_pk_min_f16 v54, v54, v90
	v_pk_add_f16 v90, v11, v56
	v_pk_min_f16 v92, v53, v91
	v_pk_add_f16 v53, v13, v56
	;; [unrolled: 2-line block ×3, first 2 shown]
	v_pk_add_f16 v160, v28, v57
	v_pk_min_f16 v64, v64, v110
	v_pk_min_f16 v55, v55, v135
	;; [unrolled: 1-line block ×3, first 2 shown]
	v_pk_max_f16 v102, v102, v102
	v_pk_max_f16 v100, v100, v100
	v_pk_min_f16 v97, v97, v143
	v_pk_add_f16 v143, v27, v56
	v_pk_min_f16 v91, v54, v90
	v_pk_max_f16 v54, v89, v89
	v_pk_min_f16 v90, v17, v53
	v_pk_max_f16 v17, v88, v88
	v_pk_add_f16 v145, v22, v57
	v_pk_add_f16 v161, v24, v57
	;; [unrolled: 1-line block ×3, first 2 shown]
	v_pk_min_f16 v110, v64, v146
	v_pk_add_f16 v64, v20, v57
	v_pk_add_f16 v134, v10, v57
	;; [unrolled: 1-line block ×3, first 2 shown]
	s_waitcnt lgkmcnt(1)
	v_pk_add_f16 v126, v26, v59
	v_pk_add_f16 v135, v28, v59
	v_pk_add_f16 v146, v22, v59
	v_pk_min_f16 v107, v55, v149
	v_pk_add_f16 v55, v24, v59
	v_pk_add_f16 v136, v18, v59
	;; [unrolled: 1-line block ×6, first 2 shown]
	v_pk_min_f16 v104, v51, v151
	v_pk_add_f16 v51, v28, v61
	v_pk_min_f16 v102, v102, v139
	v_pk_add_f16 v138, v22, v61
	v_pk_add_f16 v139, v24, v61
	;; [unrolled: 1-line block ×4, first 2 shown]
	v_pk_min_f16 v100, v100, v141
	v_pk_add_f16 v141, v10, v61
	v_pk_add_f16 v61, v12, v61
	s_waitcnt lgkmcnt(0)
	v_pk_add_f16 v142, v26, v2
	v_pk_add_f16 v149, v28, v2
	;; [unrolled: 1-line block ×5, first 2 shown]
	v_pk_min_f16 v97, v97, v143
	v_pk_add_f16 v143, v20, v2
	v_pk_add_f16 v151, v10, v2
	;; [unrolled: 1-line block ×8, first 2 shown]
	v_pk_min_f16 v54, v54, v72
	v_pk_add_f16 v18, v18, v4
	v_pk_max_f16 v56, v87, v87
	v_pk_min_f16 v17, v17, v160
	v_pk_add_f16 v72, v29, v58
	v_pk_add_f16 v20, v20, v4
	;; [unrolled: 1-line block ×4, first 2 shown]
	v_pk_max_f16 v12, v85, v85
	v_pk_min_f16 v89, v54, v53
	v_pk_add_f16 v53, v23, v58
	v_pk_min_f16 v54, v56, v145
	v_pk_min_f16 v88, v17, v72
	v_pk_max_f16 v17, v86, v86
	v_pk_min_f16 v12, v12, v133
	v_pk_add_f16 v72, v19, v58
	v_pk_min_f16 v87, v54, v53
	v_pk_add_f16 v54, v25, v58
	v_pk_min_f16 v17, v17, v161
	v_pk_max_f16 v56, v82, v82
	v_pk_min_f16 v85, v12, v72
	v_pk_max_f16 v12, v129, v129
	v_pk_max_f16 v53, v84, v84
	v_pk_add_f16 v81, v11, v58
	v_pk_min_f16 v56, v56, v134
	v_pk_min_f16 v86, v17, v54
	v_pk_add_f16 v17, v13, v58
	v_pk_min_f16 v12, v12, v57
	v_pk_min_f16 v53, v53, v64
	v_pk_add_f16 v64, v21, v58
	v_pk_min_f16 v82, v56, v81
	v_pk_max_f16 v54, v79, v79
	v_pk_min_f16 v81, v12, v17
	v_pk_max_f16 v12, v77, v77
	;; [unrolled: 2-line block ×3, first 2 shown]
	v_pk_add_f16 v17, v25, v60
	v_pk_add_f16 v56, v27, v60
	v_pk_min_f16 v12, v12, v55
	v_pk_max_f16 v57, v78, v78
	v_pk_min_f16 v53, v53, v126
	v_pk_add_f16 v58, v29, v60
	v_pk_min_f16 v54, v54, v135
	v_pk_min_f16 v77, v12, v17
	v_pk_max_f16 v12, v130, v130
	v_pk_min_f16 v80, v53, v56
	v_pk_max_f16 v53, v76, v76
	v_pk_add_f16 v17, v13, v60
	v_pk_add_f16 v64, v23, v60
	v_pk_min_f16 v12, v12, v59
	v_pk_min_f16 v57, v57, v146
	;; [unrolled: 1-line block ×3, first 2 shown]
	v_pk_max_f16 v54, v74, v74
	v_pk_add_f16 v55, v19, v60
	v_pk_max_f16 v56, v73, v73
	v_pk_min_f16 v53, v53, v136
	v_pk_min_f16 v72, v12, v17
	v_pk_max_f16 v12, v68, v68
	v_pk_min_f16 v78, v57, v64
	v_pk_add_f16 v57, v21, v60
	v_pk_min_f16 v52, v54, v52
	v_pk_add_f16 v54, v11, v60
	v_pk_min_f16 v56, v56, v147
	v_pk_min_f16 v76, v53, v55
	v_pk_max_f16 v53, v70, v70
	v_pk_add_f16 v17, v25, v62
	v_pk_min_f16 v12, v12, v139
	v_pk_min_f16 v74, v52, v57
	;; [unrolled: 1-line block ×3, first 2 shown]
	v_pk_max_f16 v52, v71, v71
	v_pk_max_f16 v55, v69, v69
	v_pk_add_f16 v56, v29, v62
	v_pk_min_f16 v51, v53, v51
	v_pk_min_f16 v68, v12, v17
	v_pk_max_f16 v12, v131, v131
	v_pk_add_f16 v54, v27, v62
	v_pk_min_f16 v52, v52, v137
	v_pk_add_f16 v53, v23, v62
	v_pk_min_f16 v55, v55, v138
	v_pk_min_f16 v70, v51, v56
	v_pk_max_f16 v51, v67, v67
	v_pk_add_f16 v17, v13, v62
	v_pk_min_f16 v12, v12, v61
	v_pk_min_f16 v71, v52, v54
	;; [unrolled: 1-line block ×3, first 2 shown]
	v_pk_max_f16 v52, v66, v66
	v_pk_add_f16 v53, v19, v62
	v_pk_min_f16 v51, v51, v148
	v_pk_min_f16 v64, v12, v17
	v_pk_max_f16 v12, v32, v32
	v_pk_max_f16 v54, v65, v65
	v_pk_add_f16 v55, v21, v62
	v_pk_min_f16 v52, v52, v140
	v_pk_min_f16 v67, v51, v53
	v_pk_max_f16 v51, v63, v63
	v_pk_max_f16 v50, v50, v50
	v_pk_add_f16 v17, v25, v3
	v_pk_min_f16 v12, v12, v127
	v_pk_add_f16 v56, v11, v62
	v_pk_min_f16 v54, v54, v141
	v_pk_min_f16 v66, v52, v55
	v_pk_add_f16 v53, v27, v3
	v_pk_min_f16 v51, v51, v142
	v_pk_add_f16 v55, v23, v3
	v_pk_min_f16 v50, v50, v150
	v_pk_max_f16 v16, v16, v16
	v_pk_min_f16 v60, v12, v17
	v_pk_max_f16 v12, v14, v14
	v_pk_min_f16 v65, v54, v56
	v_pk_max_f16 v52, v132, v132
	v_pk_add_f16 v54, v29, v3
	v_pk_min_f16 v63, v51, v53
	v_pk_min_f16 v61, v50, v55
	v_pk_max_f16 v32, v33, v33
	v_pk_add_f16 v33, v19, v3
	v_pk_add_f16 v50, v21, v3
	;; [unrolled: 1-line block ×3, first 2 shown]
	v_pk_min_f16 v16, v16, v151
	v_pk_add_f16 v3, v13, v3
	v_pk_max_f16 v6, v6, v6
	v_pk_min_f16 v2, v12, v2
	v_pk_max_f16 v12, v49, v49
	v_pk_min_f16 v52, v52, v149
	;; [unrolled: 2-line block ×3, first 2 shown]
	v_pk_add_f16 v14, v27, v5
	v_pk_max_f16 v16, v48, v48
	v_pk_min_f16 v6, v6, v26
	v_pk_add_f16 v17, v29, v5
	v_pk_min_f16 v12, v12, v28
	v_pk_min_f16 v56, v2, v3
	v_pk_max_f16 v2, v30, v30
	v_pk_max_f16 v3, v15, v15
	;; [unrolled: 1-line block ×5, first 2 shown]
	v_pk_min_f16 v62, v52, v54
	v_pk_min_f16 v32, v32, v144
	v_pk_min_f16 v31, v31, v143
	v_pk_add_f16 v23, v23, v5
	v_pk_min_f16 v16, v16, v22
	v_pk_min_f16 v54, v6, v14
	;; [unrolled: 1-line block ×3, first 2 shown]
	v_pk_add_f16 v6, v25, v5
	v_pk_min_f16 v2, v2, v24
	v_pk_add_f16 v12, v19, v5
	v_pk_min_f16 v3, v3, v18
	;; [unrolled: 2-line block ×5, first 2 shown]
	v_add_co_u32 v118, s6, v118, s20
	v_pk_min_f16 v102, v102, v153
	v_pk_min_f16 v100, v100, v155
	;; [unrolled: 1-line block ×10, first 2 shown]
	v_add_co_ci_u32_e64 v119, null, s21, v119, s6
	s_add_i32 s22, s22, 8
	ds_write_b16 v115, v121
	ds_write_b16 v116, v122
	ds_write_b16 v116, v123 offset:512
	ds_write_b16 v116, v124 offset:1024
	;; [unrolled: 1-line block ×3, first 2 shown]
	s_cmp_ge_i32 s22, s29
	s_waitcnt lgkmcnt(0)
	s_barrier
	buffer_gl0_inv
	s_cbranch_scc1 .LBB275_58
.LBB275_34:                             ; =>This Inner Loop Header: Depth=1
	v_add_nc_u32_e32 v121, s22, v46
                                        ; implicit-def: $vgpr122
	v_add_nc_u32_e32 v2, 8, v121
	v_cmp_le_i32_e64 s6, s14, v2
	s_or_b32 s23, vcc_lo, s6
	s_nor_b32 s8, s9, s23
	s_and_saveexec_b32 s31, s8
	s_xor_b32 s31, exec_lo, s31
	s_cbranch_execz .LBB275_36
; %bb.35:                               ;   in Loop: Header=BB275_34 Depth=1
	v_add_co_u32 v3, s8, v118, v42
	v_add_co_ci_u32_e64 v4, null, v119, v43, s8
	global_load_ushort v3, v[3:4], off
	s_waitcnt vmcnt(0)
	v_mul_f16_e32 v122, s15, v3
.LBB275_36:                             ;   in Loop: Header=BB275_34 Depth=1
	s_andn2_saveexec_b32 s8, s31
; %bb.37:                               ;   in Loop: Header=BB275_34 Depth=1
	v_cndmask_b32_e64 v122, 0, 0x7c00, s23
; %bb.38:                               ;   in Loop: Header=BB275_34 Depth=1
	s_or_b32 exec_lo, exec_lo, s8
	v_min_i32_e32 v2, s30, v2
	v_mad_i64_i32 v[2:3], null, v2, s28, 0
	v_lshlrev_b64 v[2:3], 1, v[2:3]
	v_add_co_u32 v2, s8, s18, v2
	v_add_co_ci_u32_e64 v3, null, s19, v3, s8
	s_or_b32 s8, s0, s6
	v_cndmask_b32_e64 v123, 0, 0x7c00, s8
	s_nor_b32 s8, s9, s8
	s_and_saveexec_b32 s23, s8
	s_cbranch_execz .LBB275_40
; %bb.39:                               ;   in Loop: Header=BB275_34 Depth=1
	v_add_co_u32 v4, s8, v2, v34
	v_add_co_ci_u32_e64 v5, null, v3, v35, s8
	global_load_ushort v4, v[4:5], off
	s_waitcnt vmcnt(0)
	v_mul_f16_e32 v123, s15, v4
.LBB275_40:                             ;   in Loop: Header=BB275_34 Depth=1
	s_or_b32 exec_lo, exec_lo, s23
	s_or_b32 s8, s1, s6
	v_cndmask_b32_e64 v124, 0, 0x7c00, s8
	s_nor_b32 s8, s8, s9
	s_and_saveexec_b32 s23, s8
	s_cbranch_execz .LBB275_42
; %bb.41:                               ;   in Loop: Header=BB275_34 Depth=1
	v_add_co_u32 v4, s8, v2, v36
	v_add_co_ci_u32_e64 v5, null, v3, v37, s8
	global_load_ushort v4, v[4:5], off
	s_waitcnt vmcnt(0)
	v_mul_f16_e32 v124, s15, v4
.LBB275_42:                             ;   in Loop: Header=BB275_34 Depth=1
	s_or_b32 exec_lo, exec_lo, s23
	;; [unrolled: 13-line block ×4, first 2 shown]
	ds_read2_b64 v[18:21], v117 offset1:8
	ds_read2_b64 v[10:13], v117 offset0:16 offset1:24
	ds_read2_b64 v[2:5], v117 offset0:32 offset1:40
	;; [unrolled: 1-line block ×3, first 2 shown]
	ds_read2_b64 v[30:33], v120 offset1:32
	ds_read2_b64 v[26:29], v120 offset0:64 offset1:96
	ds_read2_b64 v[22:25], v120 offset0:128 offset1:160
	;; [unrolled: 1-line block ×3, first 2 shown]
	v_or_b32_e32 v127, 0x1000, v83
	ds_write_b16 v127, v122
	ds_write_b16 v83, v123
	ds_write_b16 v83, v124 offset:512
	ds_write_b16 v83, v125 offset:1024
	;; [unrolled: 1-line block ×3, first 2 shown]
	v_add_nc_u32_e32 v122, 12, v121
	s_waitcnt lgkmcnt(0)
	s_barrier
	buffer_gl0_inv
                                        ; implicit-def: $vgpr121
	v_cmp_le_i32_e64 s6, s14, v122
	s_or_b32 s23, vcc_lo, s6
	s_nor_b32 s8, s9, s23
	s_and_saveexec_b32 s31, s8
	s_xor_b32 s31, exec_lo, s31
	s_cbranch_execz .LBB275_48
; %bb.47:                               ;   in Loop: Header=BB275_34 Depth=1
	v_add_co_u32 v123, s8, v118, v40
	v_add_co_ci_u32_e64 v124, null, v119, v41, s8
	global_load_ushort v121, v[123:124], off
	s_waitcnt vmcnt(0)
	v_mul_f16_e32 v121, s15, v121
.LBB275_48:                             ;   in Loop: Header=BB275_34 Depth=1
	s_andn2_saveexec_b32 s8, s31
; %bb.49:                               ;   in Loop: Header=BB275_34 Depth=1
	v_cndmask_b32_e64 v121, 0, 0x7c00, s23
; %bb.50:                               ;   in Loop: Header=BB275_34 Depth=1
	s_or_b32 exec_lo, exec_lo, s8
	v_min_i32_e32 v122, s30, v122
	v_mad_i64_i32 v[122:123], null, v122, s28, 0
	v_lshlrev_b64 v[122:123], 1, v[122:123]
	v_add_co_u32 v126, s8, s18, v122
	v_add_co_ci_u32_e64 v127, null, s19, v123, s8
	s_or_b32 s8, s0, s6
	v_cndmask_b32_e64 v122, 0, 0x7c00, s8
	s_nor_b32 s8, s9, s8
	s_and_saveexec_b32 s23, s8
	s_cbranch_execz .LBB275_52
; %bb.51:                               ;   in Loop: Header=BB275_34 Depth=1
	v_add_co_u32 v122, s8, v126, v34
	v_add_co_ci_u32_e64 v123, null, v127, v35, s8
	global_load_ushort v122, v[122:123], off
	s_waitcnt vmcnt(0)
	v_mul_f16_e32 v122, s15, v122
.LBB275_52:                             ;   in Loop: Header=BB275_34 Depth=1
	s_or_b32 exec_lo, exec_lo, s23
	s_or_b32 s8, s1, s6
	v_cndmask_b32_e64 v123, 0, 0x7c00, s8
	s_nor_b32 s8, s8, s9
	s_and_saveexec_b32 s23, s8
	s_cbranch_execz .LBB275_54
; %bb.53:                               ;   in Loop: Header=BB275_34 Depth=1
	v_add_co_u32 v123, s8, v126, v36
	v_add_co_ci_u32_e64 v124, null, v127, v37, s8
	global_load_ushort v123, v[123:124], off
	s_waitcnt vmcnt(0)
	v_mul_f16_e32 v123, s15, v123
.LBB275_54:                             ;   in Loop: Header=BB275_34 Depth=1
	s_or_b32 exec_lo, exec_lo, s23
	;; [unrolled: 13-line block ×3, first 2 shown]
	s_or_b32 s6, s3, s6
	v_cndmask_b32_e64 v125, 0, 0x7c00, s6
	s_nor_b32 s6, s6, s9
	s_and_saveexec_b32 s8, s6
	s_cbranch_execz .LBB275_33
; %bb.57:                               ;   in Loop: Header=BB275_34 Depth=1
	v_add_co_u32 v125, s6, v126, v44
	v_add_co_ci_u32_e64 v126, null, v127, v45, s6
	global_load_ushort v125, v[125:126], off
	s_waitcnt vmcnt(0)
	v_mul_f16_e32 v125, s15, v125
	s_branch .LBB275_33
.LBB275_58:
	s_clause 0x2
	s_load_dwordx2 s[2:3], s[4:5], 0x70
	s_load_dword s14, s[4:5], 0x50
	s_load_dword s9, s[4:5], 0x68
	v_add_nc_u32_e32 v2, 0x1000, v75
	v_add_nc_u32_e32 v83, s27, v1
	;; [unrolled: 1-line block ×4, first 2 shown]
	ds_read2_b64 v[16:19], v2 offset0:64 offset1:72
	ds_read2_b64 v[12:15], v2 offset0:80 offset1:88
	;; [unrolled: 1-line block ×4, first 2 shown]
	ds_read2_b64 v[28:31], v4 offset1:32
	ds_read2_b64 v[24:27], v4 offset0:64 offset1:96
	ds_read2_b64 v[20:23], v4 offset0:128 offset1:160
	;; [unrolled: 1-line block ×3, first 2 shown]
	v_cmp_gt_i32_e64 s8, s13, v83
	v_cndmask_b32_e64 v75, 0, 1, s25
	v_cmp_gt_i32_e64 s0, s12, v32
	v_ashrrev_i32_e32 v33, 31, v32
	s_waitcnt lgkmcnt(0)
	s_mul_i32 s1, s3, s7
	v_mad_i64_i32 v[34:35], null, v83, s14, 0
	v_mad_i64_i32 v[36:37], null, v83, s9, 0
	s_mul_hi_u32 s3, s2, s7
	s_mul_i32 s2, s2, s7
	s_add_i32 s3, s3, s1
	s_lshl_b64 s[2:3], s[2:3], 1
	v_lshlrev_b64 v[34:35], 1, v[34:35]
	v_lshlrev_b64 v[36:37], 1, v[36:37]
	s_add_u32 s10, s10, s2
	s_addc_u32 s11, s11, s3
	s_and_b32 s2, s0, s8
	v_add_co_u32 v116, vcc_lo, s16, v34
	v_add_co_ci_u32_e64 v117, null, s17, v35, vcc_lo
	v_add_co_u32 v114, vcc_lo, s10, v36
	v_add_co_ci_u32_e64 v115, null, s11, v37, vcc_lo
	s_and_saveexec_b32 s1, s2
	s_cbranch_execz .LBB275_64
; %bb.59:
	s_andn2_b32 vcc_lo, exec_lo, s25
	s_cbranch_vccnz .LBB275_62
; %bb.60:
	v_lshlrev_b64 v[34:35], 1, v[32:33]
	v_add_co_u32 v34, vcc_lo, v116, v34
	v_add_co_ci_u32_e64 v35, null, v117, v35, vcc_lo
	global_load_ushort v34, v[34:35], off
	s_waitcnt vmcnt(0)
	v_mul_f16_e32 v34, s24, v34
	v_cvt_f32_f16_e32 v34, v34
	s_branch .LBB275_63
.LBB275_61:
	s_mov_b64 s[20:21], 0
	s_andn2_b32 vcc_lo, exec_lo, s8
	s_mov_b32 s0, -1
	s_cbranch_vccz .LBB275_2
	s_branch .LBB275_3
.LBB275_62:
	v_mov_b32_e32 v34, 0
.LBB275_63:
	v_pk_add_f16 v35, v16, v28
	v_pk_add_f16 v36, v17, v29
	v_max_f16_e32 v37, v113, v113
	v_lshrrev_b32_e32 v38, 16, v113
	v_max_f32_e32 v34, v34, v34
	v_lshrrev_b32_e32 v39, 16, v35
	v_lshrrev_b32_e32 v40, 16, v36
	v_min_f16_e32 v35, v37, v35
	v_min3_f16 v37, v38, v39, v40
	v_min3_f16 v35, v35, v36, v37
	v_cvt_f32_f16_e32 v35, v35
	v_min_f32_e32 v36, v34, v35
	v_lshlrev_b64 v[34:35], 1, v[32:33]
	v_cvt_f16_f32_e32 v36, v36
	v_add_co_u32 v34, vcc_lo, v114, v34
	v_add_co_ci_u32_e64 v35, null, v115, v35, vcc_lo
	global_store_short v[34:35], v36, off
.LBB275_64:
	s_or_b32 exec_lo, exec_lo, s1
	v_add_nc_u32_e32 v34, 8, v32
	v_cmp_gt_i32_e64 s1, s12, v34
	v_ashrrev_i32_e32 v35, 31, v34
	s_and_b32 s3, s1, s8
	s_and_saveexec_b32 s2, s3
	s_cbranch_execz .LBB275_69
; %bb.65:
	v_cmp_ne_u32_e32 vcc_lo, 1, v75
	s_cbranch_vccnz .LBB275_67
; %bb.66:
	v_lshlrev_b64 v[36:37], 1, v[34:35]
	v_add_co_u32 v36, vcc_lo, v116, v36
	v_add_co_ci_u32_e64 v37, null, v117, v37, vcc_lo
	global_load_ushort v36, v[36:37], off
	s_waitcnt vmcnt(0)
	v_mul_f16_e32 v36, s24, v36
	v_cvt_f32_f16_e32 v36, v36
	s_branch .LBB275_68
.LBB275_67:
	v_mov_b32_e32 v36, 0
.LBB275_68:
	v_pk_add_f16 v37, v18, v28
	v_pk_add_f16 v38, v19, v29
	v_max_f16_e32 v39, v112, v112
	v_lshrrev_b32_e32 v40, 16, v112
	v_max_f32_e32 v36, v36, v36
	v_lshrrev_b32_e32 v41, 16, v37
	v_lshrrev_b32_e32 v42, 16, v38
	v_min_f16_e32 v37, v39, v37
	v_min3_f16 v39, v40, v41, v42
	v_min3_f16 v37, v37, v38, v39
	v_cvt_f32_f16_e32 v37, v37
	v_min_f32_e32 v38, v36, v37
	v_lshlrev_b64 v[36:37], 1, v[34:35]
	v_cvt_f16_f32_e32 v38, v38
	v_add_co_u32 v36, vcc_lo, v114, v36
	v_add_co_ci_u32_e64 v37, null, v115, v37, vcc_lo
	global_store_short v[36:37], v38, off
.LBB275_69:
	s_or_b32 exec_lo, exec_lo, s2
	v_add_nc_u32_e32 v36, 16, v32
	v_cmp_gt_i32_e64 s2, s12, v36
	v_ashrrev_i32_e32 v37, 31, v36
	s_and_b32 s4, s2, s8
	s_and_saveexec_b32 s3, s4
	s_cbranch_execz .LBB275_74
; %bb.70:
	v_cmp_ne_u32_e32 vcc_lo, 1, v75
	s_cbranch_vccnz .LBB275_72
; %bb.71:
	v_lshlrev_b64 v[38:39], 1, v[36:37]
	v_add_co_u32 v38, vcc_lo, v116, v38
	v_add_co_ci_u32_e64 v39, null, v117, v39, vcc_lo
	global_load_ushort v38, v[38:39], off
	s_waitcnt vmcnt(0)
	v_mul_f16_e32 v38, s24, v38
	v_cvt_f32_f16_e32 v38, v38
	s_branch .LBB275_73
.LBB275_72:
	v_mov_b32_e32 v38, 0
.LBB275_73:
	v_pk_add_f16 v39, v12, v28
	v_pk_add_f16 v40, v13, v29
	v_max_f16_e32 v41, v111, v111
	v_lshrrev_b32_e32 v42, 16, v111
	v_max_f32_e32 v38, v38, v38
	v_lshrrev_b32_e32 v43, 16, v39
	v_lshrrev_b32_e32 v44, 16, v40
	v_min_f16_e32 v39, v41, v39
	v_min3_f16 v41, v42, v43, v44
	v_min3_f16 v39, v39, v40, v41
	v_cvt_f32_f16_e32 v39, v39
	v_min_f32_e32 v40, v38, v39
	v_lshlrev_b64 v[38:39], 1, v[36:37]
	v_cvt_f16_f32_e32 v40, v40
	v_add_co_u32 v38, vcc_lo, v114, v38
	v_add_co_ci_u32_e64 v39, null, v115, v39, vcc_lo
	global_store_short v[38:39], v40, off
.LBB275_74:
	;; [unrolled: 40-line block ×6, first 2 shown]
	s_or_b32 exec_lo, exec_lo, s7
	v_add_nc_u32_e32 v46, 56, v32
	v_cmp_gt_i32_e64 s7, s12, v46
	v_ashrrev_i32_e32 v47, 31, v46
	s_and_b32 s12, s7, s8
	s_and_saveexec_b32 s8, s12
	s_cbranch_execz .LBB275_99
; %bb.95:
	v_cmp_ne_u32_e32 vcc_lo, 1, v75
	s_cbranch_vccnz .LBB275_97
; %bb.96:
	v_lshlrev_b64 v[107:108], 1, v[46:47]
	v_add_co_u32 v107, vcc_lo, v116, v107
	v_add_co_ci_u32_e64 v108, null, v117, v108, vcc_lo
	global_load_ushort v107, v[107:108], off
	s_waitcnt vmcnt(0)
	v_mul_f16_e32 v107, s24, v107
	v_cvt_f32_f16_e32 v107, v107
	s_branch .LBB275_98
.LBB275_97:
	v_mov_b32_e32 v107, 0
.LBB275_98:
	v_pk_add_f16 v28, v2, v28
	v_pk_add_f16 v29, v3, v29
	v_max_f16_e32 v108, v106, v106
	v_lshrrev_b32_e32 v106, 16, v106
	v_lshrrev_b32_e32 v109, 16, v28
	;; [unrolled: 1-line block ×3, first 2 shown]
	v_min_f16_e32 v28, v108, v28
	v_min3_f16 v106, v106, v109, v110
	v_min3_f16 v28, v28, v29, v106
	v_max_f32_e32 v29, v107, v107
	v_cvt_f32_f16_e32 v28, v28
	v_min_f32_e32 v106, v29, v28
	v_lshlrev_b64 v[28:29], 1, v[46:47]
	v_cvt_f16_f32_e32 v106, v106
	v_add_co_u32 v28, vcc_lo, v114, v28
	v_add_co_ci_u32_e64 v29, null, v115, v29, vcc_lo
	global_store_short v[28:29], v106, off
.LBB275_99:
	s_or_b32 exec_lo, exec_lo, s8
	v_add_nc_u32_e32 v108, 32, v83
	v_mad_i64_i32 v[28:29], null, v108, s14, 0
	v_mad_i64_i32 v[106:107], null, v108, s9, 0
	v_cmp_gt_i32_e64 s8, s13, v108
	v_lshlrev_b64 v[28:29], 1, v[28:29]
	s_and_b32 s15, s0, s8
	v_lshlrev_b64 v[108:109], 1, v[106:107]
	v_add_co_u32 v106, vcc_lo, s16, v28
	v_add_co_ci_u32_e64 v107, null, s17, v29, vcc_lo
	v_add_co_u32 v28, vcc_lo, s10, v108
	v_add_co_ci_u32_e64 v29, null, s11, v109, vcc_lo
	s_and_saveexec_b32 s12, s15
	s_cbranch_execnz .LBB275_107
; %bb.100:
	s_or_b32 exec_lo, exec_lo, s12
	s_and_b32 s15, s1, s8
	s_and_saveexec_b32 s12, s15
	s_cbranch_execnz .LBB275_111
.LBB275_101:
	s_or_b32 exec_lo, exec_lo, s12
	s_and_b32 s15, s2, s8
	s_and_saveexec_b32 s12, s15
	s_cbranch_execnz .LBB275_115
.LBB275_102:
	s_or_b32 exec_lo, exec_lo, s12
	s_and_b32 s15, s3, s8
	s_and_saveexec_b32 s12, s15
	s_cbranch_execnz .LBB275_119
.LBB275_103:
	s_or_b32 exec_lo, exec_lo, s12
	s_and_b32 s15, s4, s8
	s_and_saveexec_b32 s12, s15
	s_cbranch_execnz .LBB275_123
.LBB275_104:
	s_or_b32 exec_lo, exec_lo, s12
	s_and_b32 s15, s5, s8
	s_and_saveexec_b32 s12, s15
	s_cbranch_execnz .LBB275_127
.LBB275_105:
	s_or_b32 exec_lo, exec_lo, s12
	s_and_b32 s15, s6, s8
	s_and_saveexec_b32 s12, s15
	s_cbranch_execnz .LBB275_131
.LBB275_106:
	s_or_b32 exec_lo, exec_lo, s12
	s_and_b32 s12, s7, s8
	s_and_saveexec_b32 s8, s12
	s_cbranch_execnz .LBB275_135
	s_branch .LBB275_139
.LBB275_107:
	v_cmp_ne_u32_e32 vcc_lo, 1, v75
	s_cbranch_vccnz .LBB275_109
; %bb.108:
	v_lshlrev_b64 v[108:109], 1, v[32:33]
	v_add_co_u32 v108, vcc_lo, v106, v108
	v_add_co_ci_u32_e64 v109, null, v107, v109, vcc_lo
	global_load_ushort v108, v[108:109], off
	s_waitcnt vmcnt(0)
	v_mul_f16_e32 v108, s24, v108
	v_cvt_f32_f16_e32 v108, v108
	s_branch .LBB275_110
.LBB275_109:
	v_mov_b32_e32 v108, 0
.LBB275_110:
	v_pk_add_f16 v109, v16, v30
	v_pk_add_f16 v110, v17, v31
	v_max_f16_e32 v111, v105, v105
	v_lshrrev_b32_e32 v105, 16, v105
	v_max_f32_e32 v108, v108, v108
	v_lshrrev_b32_e32 v112, 16, v109
	v_lshrrev_b32_e32 v113, 16, v110
	v_min_f16_e32 v109, v111, v109
	v_min3_f16 v105, v105, v112, v113
	v_min3_f16 v105, v109, v110, v105
	v_cvt_f32_f16_e32 v105, v105
	v_min_f32_e32 v105, v108, v105
	v_lshlrev_b64 v[108:109], 1, v[32:33]
	v_cvt_f16_f32_e32 v105, v105
	v_add_co_u32 v108, vcc_lo, v28, v108
	v_add_co_ci_u32_e64 v109, null, v29, v109, vcc_lo
	global_store_short v[108:109], v105, off
	s_or_b32 exec_lo, exec_lo, s12
	s_and_b32 s15, s1, s8
	s_and_saveexec_b32 s12, s15
	s_cbranch_execz .LBB275_101
.LBB275_111:
	v_cmp_ne_u32_e32 vcc_lo, 1, v75
	s_cbranch_vccnz .LBB275_113
; %bb.112:
	v_lshlrev_b64 v[108:109], 1, v[34:35]
	v_add_co_u32 v108, vcc_lo, v106, v108
	v_add_co_ci_u32_e64 v109, null, v107, v109, vcc_lo
	global_load_ushort v105, v[108:109], off
	s_waitcnt vmcnt(0)
	v_mul_f16_e32 v105, s24, v105
	v_cvt_f32_f16_e32 v105, v105
	s_branch .LBB275_114
.LBB275_113:
	v_mov_b32_e32 v105, 0
.LBB275_114:
	v_pk_add_f16 v108, v18, v30
	v_pk_add_f16 v109, v19, v31
	v_max_f16_e32 v110, v104, v104
	v_lshrrev_b32_e32 v104, 16, v104
	v_max_f32_e32 v105, v105, v105
	v_lshrrev_b32_e32 v111, 16, v108
	v_lshrrev_b32_e32 v112, 16, v109
	v_min_f16_e32 v108, v110, v108
	v_min3_f16 v104, v104, v111, v112
	v_min3_f16 v104, v108, v109, v104
	v_cvt_f32_f16_e32 v104, v104
	v_min_f32_e32 v108, v105, v104
	v_lshlrev_b64 v[104:105], 1, v[34:35]
	v_cvt_f16_f32_e32 v108, v108
	v_add_co_u32 v104, vcc_lo, v28, v104
	v_add_co_ci_u32_e64 v105, null, v29, v105, vcc_lo
	global_store_short v[104:105], v108, off
	s_or_b32 exec_lo, exec_lo, s12
	s_and_b32 s15, s2, s8
	s_and_saveexec_b32 s12, s15
	s_cbranch_execz .LBB275_102
.LBB275_115:
	v_cmp_ne_u32_e32 vcc_lo, 1, v75
	s_cbranch_vccnz .LBB275_117
; %bb.116:
	v_lshlrev_b64 v[104:105], 1, v[36:37]
	v_add_co_u32 v104, vcc_lo, v106, v104
	v_add_co_ci_u32_e64 v105, null, v107, v105, vcc_lo
	global_load_ushort v104, v[104:105], off
	s_waitcnt vmcnt(0)
	v_mul_f16_e32 v104, s24, v104
	v_cvt_f32_f16_e32 v104, v104
	s_branch .LBB275_118
.LBB275_117:
	v_mov_b32_e32 v104, 0
.LBB275_118:
	v_pk_add_f16 v105, v12, v30
	v_pk_add_f16 v108, v13, v31
	v_max_f16_e32 v109, v103, v103
	v_lshrrev_b32_e32 v103, 16, v103
	v_max_f32_e32 v104, v104, v104
	v_lshrrev_b32_e32 v110, 16, v105
	v_lshrrev_b32_e32 v111, 16, v108
	v_min_f16_e32 v105, v109, v105
	v_min3_f16 v103, v103, v110, v111
	v_min3_f16 v103, v105, v108, v103
	v_cvt_f32_f16_e32 v103, v103
	v_min_f32_e32 v105, v104, v103
	v_lshlrev_b64 v[103:104], 1, v[36:37]
	v_cvt_f16_f32_e32 v105, v105
	v_add_co_u32 v103, vcc_lo, v28, v103
	v_add_co_ci_u32_e64 v104, null, v29, v104, vcc_lo
	global_store_short v[103:104], v105, off
	s_or_b32 exec_lo, exec_lo, s12
	s_and_b32 s15, s3, s8
	s_and_saveexec_b32 s12, s15
	s_cbranch_execz .LBB275_103
.LBB275_119:
	v_cmp_ne_u32_e32 vcc_lo, 1, v75
	s_cbranch_vccnz .LBB275_121
; %bb.120:
	v_lshlrev_b64 v[103:104], 1, v[38:39]
	v_add_co_u32 v103, vcc_lo, v106, v103
	v_add_co_ci_u32_e64 v104, null, v107, v104, vcc_lo
	global_load_ushort v103, v[103:104], off
	s_waitcnt vmcnt(0)
	v_mul_f16_e32 v103, s24, v103
	v_cvt_f32_f16_e32 v103, v103
	s_branch .LBB275_122
.LBB275_121:
	v_mov_b32_e32 v103, 0
.LBB275_122:
	v_pk_add_f16 v104, v14, v30
	v_pk_add_f16 v105, v15, v31
	v_max_f16_e32 v108, v102, v102
	v_lshrrev_b32_e32 v102, 16, v102
	v_max_f32_e32 v103, v103, v103
	v_lshrrev_b32_e32 v109, 16, v104
	v_lshrrev_b32_e32 v110, 16, v105
	v_min_f16_e32 v104, v108, v104
	v_min3_f16 v102, v102, v109, v110
	v_min3_f16 v102, v104, v105, v102
	v_cvt_f32_f16_e32 v102, v102
	v_min_f32_e32 v104, v103, v102
	v_lshlrev_b64 v[102:103], 1, v[38:39]
	v_cvt_f16_f32_e32 v104, v104
	v_add_co_u32 v102, vcc_lo, v28, v102
	v_add_co_ci_u32_e64 v103, null, v29, v103, vcc_lo
	global_store_short v[102:103], v104, off
	s_or_b32 exec_lo, exec_lo, s12
	s_and_b32 s15, s4, s8
	s_and_saveexec_b32 s12, s15
	s_cbranch_execz .LBB275_104
.LBB275_123:
	v_cmp_ne_u32_e32 vcc_lo, 1, v75
	s_cbranch_vccnz .LBB275_125
; %bb.124:
	v_lshlrev_b64 v[102:103], 1, v[40:41]
	v_add_co_u32 v102, vcc_lo, v106, v102
	v_add_co_ci_u32_e64 v103, null, v107, v103, vcc_lo
	global_load_ushort v102, v[102:103], off
	s_waitcnt vmcnt(0)
	v_mul_f16_e32 v102, s24, v102
	v_cvt_f32_f16_e32 v102, v102
	s_branch .LBB275_126
.LBB275_125:
	v_mov_b32_e32 v102, 0
.LBB275_126:
	v_pk_add_f16 v103, v8, v30
	v_pk_add_f16 v104, v9, v31
	v_max_f16_e32 v105, v101, v101
	v_lshrrev_b32_e32 v101, 16, v101
	v_max_f32_e32 v102, v102, v102
	v_lshrrev_b32_e32 v108, 16, v103
	v_lshrrev_b32_e32 v109, 16, v104
	v_min_f16_e32 v103, v105, v103
	v_min3_f16 v101, v101, v108, v109
	v_min3_f16 v101, v103, v104, v101
	v_cvt_f32_f16_e32 v101, v101
	v_min_f32_e32 v103, v102, v101
	v_lshlrev_b64 v[101:102], 1, v[40:41]
	v_cvt_f16_f32_e32 v103, v103
	v_add_co_u32 v101, vcc_lo, v28, v101
	v_add_co_ci_u32_e64 v102, null, v29, v102, vcc_lo
	global_store_short v[101:102], v103, off
	s_or_b32 exec_lo, exec_lo, s12
	s_and_b32 s15, s5, s8
	s_and_saveexec_b32 s12, s15
	s_cbranch_execz .LBB275_105
.LBB275_127:
	v_cmp_ne_u32_e32 vcc_lo, 1, v75
	s_cbranch_vccnz .LBB275_129
; %bb.128:
	v_lshlrev_b64 v[101:102], 1, v[42:43]
	v_add_co_u32 v101, vcc_lo, v106, v101
	v_add_co_ci_u32_e64 v102, null, v107, v102, vcc_lo
	global_load_ushort v101, v[101:102], off
	s_waitcnt vmcnt(0)
	v_mul_f16_e32 v101, s24, v101
	v_cvt_f32_f16_e32 v101, v101
	s_branch .LBB275_130
.LBB275_129:
	v_mov_b32_e32 v101, 0
.LBB275_130:
	v_pk_add_f16 v102, v10, v30
	v_pk_add_f16 v103, v11, v31
	v_max_f16_e32 v104, v100, v100
	v_lshrrev_b32_e32 v100, 16, v100
	v_max_f32_e32 v101, v101, v101
	v_lshrrev_b32_e32 v105, 16, v102
	v_lshrrev_b32_e32 v108, 16, v103
	v_min_f16_e32 v102, v104, v102
	v_min3_f16 v100, v100, v105, v108
	v_min3_f16 v100, v102, v103, v100
	v_cvt_f32_f16_e32 v100, v100
	v_min_f32_e32 v102, v101, v100
	v_lshlrev_b64 v[100:101], 1, v[42:43]
	v_cvt_f16_f32_e32 v102, v102
	v_add_co_u32 v100, vcc_lo, v28, v100
	v_add_co_ci_u32_e64 v101, null, v29, v101, vcc_lo
	global_store_short v[100:101], v102, off
	s_or_b32 exec_lo, exec_lo, s12
	s_and_b32 s15, s6, s8
	s_and_saveexec_b32 s12, s15
	s_cbranch_execz .LBB275_106
.LBB275_131:
	v_cmp_ne_u32_e32 vcc_lo, 1, v75
	s_cbranch_vccnz .LBB275_133
; %bb.132:
	v_lshlrev_b64 v[100:101], 1, v[44:45]
	v_add_co_u32 v100, vcc_lo, v106, v100
	v_add_co_ci_u32_e64 v101, null, v107, v101, vcc_lo
	global_load_ushort v100, v[100:101], off
	s_waitcnt vmcnt(0)
	v_mul_f16_e32 v100, s24, v100
	v_cvt_f32_f16_e32 v100, v100
	s_branch .LBB275_134
.LBB275_133:
	v_mov_b32_e32 v100, 0
.LBB275_134:
	v_pk_add_f16 v101, v0, v30
	v_pk_add_f16 v102, v1, v31
	v_max_f16_e32 v103, v99, v99
	v_lshrrev_b32_e32 v99, 16, v99
	v_max_f32_e32 v100, v100, v100
	v_lshrrev_b32_e32 v104, 16, v101
	v_lshrrev_b32_e32 v105, 16, v102
	v_min_f16_e32 v101, v103, v101
	v_min3_f16 v99, v99, v104, v105
	v_min3_f16 v99, v101, v102, v99
	v_cvt_f32_f16_e32 v99, v99
	v_min_f32_e32 v101, v100, v99
	v_lshlrev_b64 v[99:100], 1, v[44:45]
	v_cvt_f16_f32_e32 v101, v101
	v_add_co_u32 v99, vcc_lo, v28, v99
	v_add_co_ci_u32_e64 v100, null, v29, v100, vcc_lo
	global_store_short v[99:100], v101, off
	s_or_b32 exec_lo, exec_lo, s12
	s_and_b32 s12, s7, s8
	s_and_saveexec_b32 s8, s12
	s_cbranch_execz .LBB275_139
.LBB275_135:
	v_cmp_ne_u32_e32 vcc_lo, 1, v75
	s_cbranch_vccnz .LBB275_137
; %bb.136:
	v_lshlrev_b64 v[99:100], 1, v[46:47]
	v_add_co_u32 v99, vcc_lo, v106, v99
	v_add_co_ci_u32_e64 v100, null, v107, v100, vcc_lo
	global_load_ushort v99, v[99:100], off
	s_waitcnt vmcnt(0)
	v_mul_f16_e32 v99, s24, v99
	v_cvt_f32_f16_e32 v99, v99
	s_branch .LBB275_138
.LBB275_137:
	v_mov_b32_e32 v99, 0
.LBB275_138:
	v_pk_add_f16 v30, v2, v30
	v_pk_add_f16 v31, v3, v31
	v_max_f16_e32 v100, v98, v98
	v_lshrrev_b32_e32 v98, 16, v98
	v_lshrrev_b32_e32 v101, 16, v30
	;; [unrolled: 1-line block ×3, first 2 shown]
	v_min_f16_e32 v30, v100, v30
	v_min3_f16 v98, v98, v101, v102
	v_min3_f16 v30, v30, v31, v98
	v_max_f32_e32 v31, v99, v99
	v_cvt_f32_f16_e32 v30, v30
	v_min_f32_e32 v98, v31, v30
	v_lshlrev_b64 v[30:31], 1, v[46:47]
	v_cvt_f16_f32_e32 v98, v98
	v_add_co_u32 v28, vcc_lo, v28, v30
	v_add_co_ci_u32_e64 v29, null, v29, v31, vcc_lo
	global_store_short v[28:29], v98, off
.LBB275_139:
	s_or_b32 exec_lo, exec_lo, s8
	v_add_nc_u32_e32 v98, 64, v83
	v_mad_i64_i32 v[28:29], null, v98, s14, 0
	v_mad_i64_i32 v[30:31], null, v98, s9, 0
	v_cmp_gt_i32_e64 s8, s13, v98
	v_lshlrev_b64 v[28:29], 1, v[28:29]
	s_and_b32 s15, s0, s8
	v_lshlrev_b64 v[98:99], 1, v[30:31]
	v_add_co_u32 v30, vcc_lo, s16, v28
	v_add_co_ci_u32_e64 v31, null, s17, v29, vcc_lo
	v_add_co_u32 v28, vcc_lo, s10, v98
	v_add_co_ci_u32_e64 v29, null, s11, v99, vcc_lo
	s_and_saveexec_b32 s12, s15
	s_cbranch_execnz .LBB275_147
; %bb.140:
	s_or_b32 exec_lo, exec_lo, s12
	s_and_b32 s15, s1, s8
	s_and_saveexec_b32 s12, s15
	s_cbranch_execnz .LBB275_151
.LBB275_141:
	s_or_b32 exec_lo, exec_lo, s12
	s_and_b32 s15, s2, s8
	s_and_saveexec_b32 s12, s15
	s_cbranch_execnz .LBB275_155
.LBB275_142:
	s_or_b32 exec_lo, exec_lo, s12
	s_and_b32 s15, s3, s8
	s_and_saveexec_b32 s12, s15
	s_cbranch_execnz .LBB275_159
.LBB275_143:
	s_or_b32 exec_lo, exec_lo, s12
	s_and_b32 s15, s4, s8
	s_and_saveexec_b32 s12, s15
	s_cbranch_execnz .LBB275_163
.LBB275_144:
	s_or_b32 exec_lo, exec_lo, s12
	s_and_b32 s15, s5, s8
	s_and_saveexec_b32 s12, s15
	s_cbranch_execnz .LBB275_167
.LBB275_145:
	s_or_b32 exec_lo, exec_lo, s12
	s_and_b32 s15, s6, s8
	s_and_saveexec_b32 s12, s15
	s_cbranch_execnz .LBB275_171
.LBB275_146:
	s_or_b32 exec_lo, exec_lo, s12
	s_and_b32 s12, s7, s8
	s_and_saveexec_b32 s8, s12
	s_cbranch_execnz .LBB275_175
	s_branch .LBB275_179
.LBB275_147:
	v_cmp_ne_u32_e32 vcc_lo, 1, v75
	s_cbranch_vccnz .LBB275_149
; %bb.148:
	v_lshlrev_b64 v[98:99], 1, v[32:33]
	v_add_co_u32 v98, vcc_lo, v30, v98
	v_add_co_ci_u32_e64 v99, null, v31, v99, vcc_lo
	global_load_ushort v98, v[98:99], off
	s_waitcnt vmcnt(0)
	v_mul_f16_e32 v98, s24, v98
	v_cvt_f32_f16_e32 v98, v98
	s_branch .LBB275_150
.LBB275_149:
	v_mov_b32_e32 v98, 0
.LBB275_150:
	v_pk_add_f16 v99, v16, v24
	v_pk_add_f16 v100, v17, v25
	v_max_f16_e32 v101, v97, v97
	v_lshrrev_b32_e32 v97, 16, v97
	v_max_f32_e32 v98, v98, v98
	v_lshrrev_b32_e32 v102, 16, v99
	v_lshrrev_b32_e32 v103, 16, v100
	v_min_f16_e32 v99, v101, v99
	v_min3_f16 v97, v97, v102, v103
	v_min3_f16 v97, v99, v100, v97
	v_cvt_f32_f16_e32 v97, v97
	v_min_f32_e32 v99, v98, v97
	v_lshlrev_b64 v[97:98], 1, v[32:33]
	v_cvt_f16_f32_e32 v99, v99
	v_add_co_u32 v97, vcc_lo, v28, v97
	v_add_co_ci_u32_e64 v98, null, v29, v98, vcc_lo
	global_store_short v[97:98], v99, off
	s_or_b32 exec_lo, exec_lo, s12
	s_and_b32 s15, s1, s8
	s_and_saveexec_b32 s12, s15
	s_cbranch_execz .LBB275_141
.LBB275_151:
	v_cmp_ne_u32_e32 vcc_lo, 1, v75
	s_cbranch_vccnz .LBB275_153
; %bb.152:
	v_lshlrev_b64 v[97:98], 1, v[34:35]
	v_add_co_u32 v97, vcc_lo, v30, v97
	v_add_co_ci_u32_e64 v98, null, v31, v98, vcc_lo
	global_load_ushort v97, v[97:98], off
	s_waitcnt vmcnt(0)
	v_mul_f16_e32 v97, s24, v97
	v_cvt_f32_f16_e32 v97, v97
	s_branch .LBB275_154
.LBB275_153:
	v_mov_b32_e32 v97, 0
.LBB275_154:
	v_pk_add_f16 v98, v18, v24
	v_pk_add_f16 v99, v19, v25
	v_max_f16_e32 v100, v96, v96
	v_lshrrev_b32_e32 v96, 16, v96
	v_max_f32_e32 v97, v97, v97
	v_lshrrev_b32_e32 v101, 16, v98
	v_lshrrev_b32_e32 v102, 16, v99
	v_min_f16_e32 v98, v100, v98
	v_min3_f16 v96, v96, v101, v102
	v_min3_f16 v96, v98, v99, v96
	v_cvt_f32_f16_e32 v96, v96
	v_min_f32_e32 v98, v97, v96
	v_lshlrev_b64 v[96:97], 1, v[34:35]
	v_cvt_f16_f32_e32 v98, v98
	v_add_co_u32 v96, vcc_lo, v28, v96
	v_add_co_ci_u32_e64 v97, null, v29, v97, vcc_lo
	global_store_short v[96:97], v98, off
	s_or_b32 exec_lo, exec_lo, s12
	s_and_b32 s15, s2, s8
	s_and_saveexec_b32 s12, s15
	s_cbranch_execz .LBB275_142
.LBB275_155:
	v_cmp_ne_u32_e32 vcc_lo, 1, v75
	s_cbranch_vccnz .LBB275_157
; %bb.156:
	v_lshlrev_b64 v[96:97], 1, v[36:37]
	v_add_co_u32 v96, vcc_lo, v30, v96
	v_add_co_ci_u32_e64 v97, null, v31, v97, vcc_lo
	global_load_ushort v96, v[96:97], off
	s_waitcnt vmcnt(0)
	v_mul_f16_e32 v96, s24, v96
	v_cvt_f32_f16_e32 v96, v96
	s_branch .LBB275_158
.LBB275_157:
	v_mov_b32_e32 v96, 0
.LBB275_158:
	v_pk_add_f16 v97, v12, v24
	v_pk_add_f16 v98, v13, v25
	v_max_f16_e32 v99, v95, v95
	v_lshrrev_b32_e32 v95, 16, v95
	v_max_f32_e32 v96, v96, v96
	v_lshrrev_b32_e32 v100, 16, v97
	v_lshrrev_b32_e32 v101, 16, v98
	v_min_f16_e32 v97, v99, v97
	v_min3_f16 v95, v95, v100, v101
	v_min3_f16 v95, v97, v98, v95
	v_cvt_f32_f16_e32 v95, v95
	v_min_f32_e32 v97, v96, v95
	v_lshlrev_b64 v[95:96], 1, v[36:37]
	v_cvt_f16_f32_e32 v97, v97
	v_add_co_u32 v95, vcc_lo, v28, v95
	v_add_co_ci_u32_e64 v96, null, v29, v96, vcc_lo
	global_store_short v[95:96], v97, off
	s_or_b32 exec_lo, exec_lo, s12
	s_and_b32 s15, s3, s8
	s_and_saveexec_b32 s12, s15
	s_cbranch_execz .LBB275_143
.LBB275_159:
	v_cmp_ne_u32_e32 vcc_lo, 1, v75
	s_cbranch_vccnz .LBB275_161
; %bb.160:
	v_lshlrev_b64 v[95:96], 1, v[38:39]
	v_add_co_u32 v95, vcc_lo, v30, v95
	v_add_co_ci_u32_e64 v96, null, v31, v96, vcc_lo
	global_load_ushort v95, v[95:96], off
	s_waitcnt vmcnt(0)
	v_mul_f16_e32 v95, s24, v95
	v_cvt_f32_f16_e32 v95, v95
	s_branch .LBB275_162
.LBB275_161:
	v_mov_b32_e32 v95, 0
.LBB275_162:
	v_pk_add_f16 v96, v14, v24
	v_pk_add_f16 v97, v15, v25
	v_max_f16_e32 v98, v94, v94
	v_lshrrev_b32_e32 v94, 16, v94
	v_max_f32_e32 v95, v95, v95
	v_lshrrev_b32_e32 v99, 16, v96
	v_lshrrev_b32_e32 v100, 16, v97
	v_min_f16_e32 v96, v98, v96
	v_min3_f16 v94, v94, v99, v100
	v_min3_f16 v94, v96, v97, v94
	v_cvt_f32_f16_e32 v94, v94
	v_min_f32_e32 v96, v95, v94
	v_lshlrev_b64 v[94:95], 1, v[38:39]
	v_cvt_f16_f32_e32 v96, v96
	v_add_co_u32 v94, vcc_lo, v28, v94
	v_add_co_ci_u32_e64 v95, null, v29, v95, vcc_lo
	global_store_short v[94:95], v96, off
	s_or_b32 exec_lo, exec_lo, s12
	s_and_b32 s15, s4, s8
	s_and_saveexec_b32 s12, s15
	s_cbranch_execz .LBB275_144
.LBB275_163:
	v_cmp_ne_u32_e32 vcc_lo, 1, v75
	s_cbranch_vccnz .LBB275_165
; %bb.164:
	v_lshlrev_b64 v[94:95], 1, v[40:41]
	v_add_co_u32 v94, vcc_lo, v30, v94
	v_add_co_ci_u32_e64 v95, null, v31, v95, vcc_lo
	global_load_ushort v94, v[94:95], off
	s_waitcnt vmcnt(0)
	v_mul_f16_e32 v94, s24, v94
	v_cvt_f32_f16_e32 v94, v94
	s_branch .LBB275_166
.LBB275_165:
	v_mov_b32_e32 v94, 0
.LBB275_166:
	v_pk_add_f16 v95, v8, v24
	v_pk_add_f16 v96, v9, v25
	v_max_f16_e32 v97, v93, v93
	v_lshrrev_b32_e32 v93, 16, v93
	v_max_f32_e32 v94, v94, v94
	v_lshrrev_b32_e32 v98, 16, v95
	v_lshrrev_b32_e32 v99, 16, v96
	v_min_f16_e32 v95, v97, v95
	v_min3_f16 v93, v93, v98, v99
	v_min3_f16 v93, v95, v96, v93
	v_cvt_f32_f16_e32 v93, v93
	v_min_f32_e32 v95, v94, v93
	v_lshlrev_b64 v[93:94], 1, v[40:41]
	v_cvt_f16_f32_e32 v95, v95
	v_add_co_u32 v93, vcc_lo, v28, v93
	v_add_co_ci_u32_e64 v94, null, v29, v94, vcc_lo
	global_store_short v[93:94], v95, off
	s_or_b32 exec_lo, exec_lo, s12
	s_and_b32 s15, s5, s8
	s_and_saveexec_b32 s12, s15
	s_cbranch_execz .LBB275_145
.LBB275_167:
	v_cmp_ne_u32_e32 vcc_lo, 1, v75
	s_cbranch_vccnz .LBB275_169
; %bb.168:
	v_lshlrev_b64 v[93:94], 1, v[42:43]
	v_add_co_u32 v93, vcc_lo, v30, v93
	v_add_co_ci_u32_e64 v94, null, v31, v94, vcc_lo
	global_load_ushort v93, v[93:94], off
	s_waitcnt vmcnt(0)
	v_mul_f16_e32 v93, s24, v93
	v_cvt_f32_f16_e32 v93, v93
	s_branch .LBB275_170
.LBB275_169:
	v_mov_b32_e32 v93, 0
.LBB275_170:
	v_pk_add_f16 v94, v10, v24
	v_pk_add_f16 v95, v11, v25
	v_max_f16_e32 v96, v92, v92
	v_lshrrev_b32_e32 v92, 16, v92
	v_max_f32_e32 v93, v93, v93
	v_lshrrev_b32_e32 v97, 16, v94
	v_lshrrev_b32_e32 v98, 16, v95
	v_min_f16_e32 v94, v96, v94
	v_min3_f16 v92, v92, v97, v98
	v_min3_f16 v92, v94, v95, v92
	v_cvt_f32_f16_e32 v92, v92
	v_min_f32_e32 v94, v93, v92
	v_lshlrev_b64 v[92:93], 1, v[42:43]
	v_cvt_f16_f32_e32 v94, v94
	v_add_co_u32 v92, vcc_lo, v28, v92
	v_add_co_ci_u32_e64 v93, null, v29, v93, vcc_lo
	global_store_short v[92:93], v94, off
	s_or_b32 exec_lo, exec_lo, s12
	s_and_b32 s15, s6, s8
	s_and_saveexec_b32 s12, s15
	s_cbranch_execz .LBB275_146
.LBB275_171:
	v_cmp_ne_u32_e32 vcc_lo, 1, v75
	s_cbranch_vccnz .LBB275_173
; %bb.172:
	v_lshlrev_b64 v[92:93], 1, v[44:45]
	v_add_co_u32 v92, vcc_lo, v30, v92
	v_add_co_ci_u32_e64 v93, null, v31, v93, vcc_lo
	global_load_ushort v92, v[92:93], off
	s_waitcnt vmcnt(0)
	v_mul_f16_e32 v92, s24, v92
	v_cvt_f32_f16_e32 v92, v92
	s_branch .LBB275_174
.LBB275_173:
	v_mov_b32_e32 v92, 0
.LBB275_174:
	v_pk_add_f16 v93, v0, v24
	v_pk_add_f16 v94, v1, v25
	v_max_f16_e32 v95, v91, v91
	v_lshrrev_b32_e32 v91, 16, v91
	v_max_f32_e32 v92, v92, v92
	v_lshrrev_b32_e32 v96, 16, v93
	v_lshrrev_b32_e32 v97, 16, v94
	v_min_f16_e32 v93, v95, v93
	v_min3_f16 v91, v91, v96, v97
	v_min3_f16 v91, v93, v94, v91
	v_cvt_f32_f16_e32 v91, v91
	v_min_f32_e32 v93, v92, v91
	v_lshlrev_b64 v[91:92], 1, v[44:45]
	v_cvt_f16_f32_e32 v93, v93
	v_add_co_u32 v91, vcc_lo, v28, v91
	v_add_co_ci_u32_e64 v92, null, v29, v92, vcc_lo
	global_store_short v[91:92], v93, off
	s_or_b32 exec_lo, exec_lo, s12
	s_and_b32 s12, s7, s8
	s_and_saveexec_b32 s8, s12
	s_cbranch_execz .LBB275_179
.LBB275_175:
	v_cmp_ne_u32_e32 vcc_lo, 1, v75
	s_cbranch_vccnz .LBB275_177
; %bb.176:
	v_lshlrev_b64 v[91:92], 1, v[46:47]
	v_add_co_u32 v30, vcc_lo, v30, v91
	v_add_co_ci_u32_e64 v31, null, v31, v92, vcc_lo
	global_load_ushort v30, v[30:31], off
	s_waitcnt vmcnt(0)
	v_mul_f16_e32 v30, s24, v30
	v_cvt_f32_f16_e32 v30, v30
	s_branch .LBB275_178
.LBB275_177:
	v_mov_b32_e32 v30, 0
.LBB275_178:
	v_pk_add_f16 v24, v2, v24
	v_pk_add_f16 v25, v3, v25
	v_max_f16_e32 v31, v90, v90
	v_lshrrev_b32_e32 v90, 16, v90
	v_lshrrev_b32_e32 v91, 16, v24
	v_lshrrev_b32_e32 v92, 16, v25
	v_min_f16_e32 v24, v31, v24
	v_min3_f16 v31, v90, v91, v92
	v_min3_f16 v24, v24, v25, v31
	v_max_f32_e32 v25, v30, v30
	v_cvt_f32_f16_e32 v24, v24
	v_min_f32_e32 v30, v25, v24
	v_lshlrev_b64 v[24:25], 1, v[46:47]
	v_cvt_f16_f32_e32 v30, v30
	v_add_co_u32 v24, vcc_lo, v28, v24
	v_add_co_ci_u32_e64 v25, null, v29, v25, vcc_lo
	global_store_short v[24:25], v30, off
.LBB275_179:
	s_or_b32 exec_lo, exec_lo, s8
	v_add_nc_u32_e32 v30, 0x60, v83
	v_mad_i64_i32 v[24:25], null, v30, s14, 0
	v_mad_i64_i32 v[28:29], null, v30, s9, 0
	v_cmp_gt_i32_e64 s8, s13, v30
	v_lshlrev_b64 v[24:25], 1, v[24:25]
	s_and_b32 s15, s0, s8
	v_lshlrev_b64 v[30:31], 1, v[28:29]
	v_add_co_u32 v28, vcc_lo, s16, v24
	v_add_co_ci_u32_e64 v29, null, s17, v25, vcc_lo
	v_add_co_u32 v24, vcc_lo, s10, v30
	v_add_co_ci_u32_e64 v25, null, s11, v31, vcc_lo
	s_and_saveexec_b32 s12, s15
	s_cbranch_execnz .LBB275_187
; %bb.180:
	s_or_b32 exec_lo, exec_lo, s12
	s_and_b32 s15, s1, s8
	s_and_saveexec_b32 s12, s15
	s_cbranch_execnz .LBB275_191
.LBB275_181:
	s_or_b32 exec_lo, exec_lo, s12
	s_and_b32 s15, s2, s8
	s_and_saveexec_b32 s12, s15
	s_cbranch_execnz .LBB275_195
.LBB275_182:
	s_or_b32 exec_lo, exec_lo, s12
	s_and_b32 s15, s3, s8
	s_and_saveexec_b32 s12, s15
	s_cbranch_execnz .LBB275_199
.LBB275_183:
	s_or_b32 exec_lo, exec_lo, s12
	s_and_b32 s15, s4, s8
	s_and_saveexec_b32 s12, s15
	s_cbranch_execnz .LBB275_203
.LBB275_184:
	s_or_b32 exec_lo, exec_lo, s12
	s_and_b32 s15, s5, s8
	s_and_saveexec_b32 s12, s15
	s_cbranch_execnz .LBB275_207
.LBB275_185:
	s_or_b32 exec_lo, exec_lo, s12
	s_and_b32 s15, s6, s8
	s_and_saveexec_b32 s12, s15
	s_cbranch_execnz .LBB275_211
.LBB275_186:
	s_or_b32 exec_lo, exec_lo, s12
	s_and_b32 s12, s7, s8
	s_and_saveexec_b32 s8, s12
	s_cbranch_execnz .LBB275_215
	s_branch .LBB275_219
.LBB275_187:
	v_cmp_ne_u32_e32 vcc_lo, 1, v75
	s_cbranch_vccnz .LBB275_189
; %bb.188:
	v_lshlrev_b64 v[30:31], 1, v[32:33]
	v_add_co_u32 v30, vcc_lo, v28, v30
	v_add_co_ci_u32_e64 v31, null, v29, v31, vcc_lo
	global_load_ushort v30, v[30:31], off
	s_waitcnt vmcnt(0)
	v_mul_f16_e32 v30, s24, v30
	v_cvt_f32_f16_e32 v30, v30
	s_branch .LBB275_190
.LBB275_189:
	v_mov_b32_e32 v30, 0
.LBB275_190:
	v_pk_add_f16 v31, v16, v26
	v_pk_add_f16 v90, v17, v27
	v_max_f16_e32 v91, v89, v89
	v_lshrrev_b32_e32 v89, 16, v89
	v_max_f32_e32 v30, v30, v30
	v_lshrrev_b32_e32 v92, 16, v31
	v_lshrrev_b32_e32 v93, 16, v90
	v_min_f16_e32 v31, v91, v31
	v_min3_f16 v89, v89, v92, v93
	v_min3_f16 v31, v31, v90, v89
	v_cvt_f32_f16_e32 v31, v31
	v_min_f32_e32 v89, v30, v31
	v_lshlrev_b64 v[30:31], 1, v[32:33]
	v_cvt_f16_f32_e32 v89, v89
	v_add_co_u32 v30, vcc_lo, v24, v30
	v_add_co_ci_u32_e64 v31, null, v25, v31, vcc_lo
	global_store_short v[30:31], v89, off
	s_or_b32 exec_lo, exec_lo, s12
	s_and_b32 s15, s1, s8
	s_and_saveexec_b32 s12, s15
	s_cbranch_execz .LBB275_181
.LBB275_191:
	v_cmp_ne_u32_e32 vcc_lo, 1, v75
	s_cbranch_vccnz .LBB275_193
; %bb.192:
	v_lshlrev_b64 v[30:31], 1, v[34:35]
	v_add_co_u32 v30, vcc_lo, v28, v30
	v_add_co_ci_u32_e64 v31, null, v29, v31, vcc_lo
	global_load_ushort v30, v[30:31], off
	s_waitcnt vmcnt(0)
	v_mul_f16_e32 v30, s24, v30
	v_cvt_f32_f16_e32 v30, v30
	s_branch .LBB275_194
.LBB275_193:
	v_mov_b32_e32 v30, 0
.LBB275_194:
	v_pk_add_f16 v31, v18, v26
	v_pk_add_f16 v89, v19, v27
	v_max_f16_e32 v90, v88, v88
	v_lshrrev_b32_e32 v88, 16, v88
	v_max_f32_e32 v30, v30, v30
	v_lshrrev_b32_e32 v91, 16, v31
	v_lshrrev_b32_e32 v92, 16, v89
	v_min_f16_e32 v31, v90, v31
	v_min3_f16 v88, v88, v91, v92
	v_min3_f16 v31, v31, v89, v88
	v_cvt_f32_f16_e32 v31, v31
	v_min_f32_e32 v88, v30, v31
	v_lshlrev_b64 v[30:31], 1, v[34:35]
	v_cvt_f16_f32_e32 v88, v88
	v_add_co_u32 v30, vcc_lo, v24, v30
	v_add_co_ci_u32_e64 v31, null, v25, v31, vcc_lo
	global_store_short v[30:31], v88, off
	s_or_b32 exec_lo, exec_lo, s12
	s_and_b32 s15, s2, s8
	s_and_saveexec_b32 s12, s15
	s_cbranch_execz .LBB275_182
.LBB275_195:
	v_cmp_ne_u32_e32 vcc_lo, 1, v75
	s_cbranch_vccnz .LBB275_197
; %bb.196:
	v_lshlrev_b64 v[30:31], 1, v[36:37]
	v_add_co_u32 v30, vcc_lo, v28, v30
	v_add_co_ci_u32_e64 v31, null, v29, v31, vcc_lo
	global_load_ushort v30, v[30:31], off
	s_waitcnt vmcnt(0)
	v_mul_f16_e32 v30, s24, v30
	v_cvt_f32_f16_e32 v30, v30
	s_branch .LBB275_198
.LBB275_197:
	v_mov_b32_e32 v30, 0
.LBB275_198:
	v_pk_add_f16 v31, v12, v26
	v_pk_add_f16 v88, v13, v27
	v_max_f16_e32 v89, v87, v87
	v_lshrrev_b32_e32 v87, 16, v87
	v_max_f32_e32 v30, v30, v30
	v_lshrrev_b32_e32 v90, 16, v31
	v_lshrrev_b32_e32 v91, 16, v88
	v_min_f16_e32 v31, v89, v31
	v_min3_f16 v87, v87, v90, v91
	v_min3_f16 v31, v31, v88, v87
	v_cvt_f32_f16_e32 v31, v31
	v_min_f32_e32 v87, v30, v31
	v_lshlrev_b64 v[30:31], 1, v[36:37]
	v_cvt_f16_f32_e32 v87, v87
	v_add_co_u32 v30, vcc_lo, v24, v30
	v_add_co_ci_u32_e64 v31, null, v25, v31, vcc_lo
	global_store_short v[30:31], v87, off
	s_or_b32 exec_lo, exec_lo, s12
	s_and_b32 s15, s3, s8
	s_and_saveexec_b32 s12, s15
	s_cbranch_execz .LBB275_183
.LBB275_199:
	v_cmp_ne_u32_e32 vcc_lo, 1, v75
	s_cbranch_vccnz .LBB275_201
; %bb.200:
	v_lshlrev_b64 v[30:31], 1, v[38:39]
	v_add_co_u32 v30, vcc_lo, v28, v30
	v_add_co_ci_u32_e64 v31, null, v29, v31, vcc_lo
	global_load_ushort v30, v[30:31], off
	s_waitcnt vmcnt(0)
	v_mul_f16_e32 v30, s24, v30
	v_cvt_f32_f16_e32 v30, v30
	s_branch .LBB275_202
.LBB275_201:
	v_mov_b32_e32 v30, 0
.LBB275_202:
	v_pk_add_f16 v31, v14, v26
	v_pk_add_f16 v87, v15, v27
	v_max_f16_e32 v88, v86, v86
	v_lshrrev_b32_e32 v86, 16, v86
	v_max_f32_e32 v30, v30, v30
	v_lshrrev_b32_e32 v89, 16, v31
	v_lshrrev_b32_e32 v90, 16, v87
	v_min_f16_e32 v31, v88, v31
	v_min3_f16 v86, v86, v89, v90
	v_min3_f16 v31, v31, v87, v86
	v_cvt_f32_f16_e32 v31, v31
	v_min_f32_e32 v86, v30, v31
	v_lshlrev_b64 v[30:31], 1, v[38:39]
	v_cvt_f16_f32_e32 v86, v86
	v_add_co_u32 v30, vcc_lo, v24, v30
	v_add_co_ci_u32_e64 v31, null, v25, v31, vcc_lo
	global_store_short v[30:31], v86, off
	s_or_b32 exec_lo, exec_lo, s12
	s_and_b32 s15, s4, s8
	s_and_saveexec_b32 s12, s15
	s_cbranch_execz .LBB275_184
.LBB275_203:
	v_cmp_ne_u32_e32 vcc_lo, 1, v75
	s_cbranch_vccnz .LBB275_205
; %bb.204:
	v_lshlrev_b64 v[30:31], 1, v[40:41]
	v_add_co_u32 v30, vcc_lo, v28, v30
	v_add_co_ci_u32_e64 v31, null, v29, v31, vcc_lo
	global_load_ushort v30, v[30:31], off
	s_waitcnt vmcnt(0)
	v_mul_f16_e32 v30, s24, v30
	v_cvt_f32_f16_e32 v30, v30
	s_branch .LBB275_206
.LBB275_205:
	v_mov_b32_e32 v30, 0
.LBB275_206:
	v_pk_add_f16 v31, v8, v26
	v_pk_add_f16 v86, v9, v27
	v_max_f16_e32 v87, v85, v85
	v_lshrrev_b32_e32 v85, 16, v85
	v_max_f32_e32 v30, v30, v30
	v_lshrrev_b32_e32 v88, 16, v31
	v_lshrrev_b32_e32 v89, 16, v86
	v_min_f16_e32 v31, v87, v31
	v_min3_f16 v85, v85, v88, v89
	v_min3_f16 v31, v31, v86, v85
	v_cvt_f32_f16_e32 v31, v31
	v_min_f32_e32 v85, v30, v31
	v_lshlrev_b64 v[30:31], 1, v[40:41]
	v_cvt_f16_f32_e32 v85, v85
	v_add_co_u32 v30, vcc_lo, v24, v30
	v_add_co_ci_u32_e64 v31, null, v25, v31, vcc_lo
	global_store_short v[30:31], v85, off
	s_or_b32 exec_lo, exec_lo, s12
	s_and_b32 s15, s5, s8
	s_and_saveexec_b32 s12, s15
	s_cbranch_execz .LBB275_185
.LBB275_207:
	v_cmp_ne_u32_e32 vcc_lo, 1, v75
	s_cbranch_vccnz .LBB275_209
; %bb.208:
	v_lshlrev_b64 v[30:31], 1, v[42:43]
	v_add_co_u32 v30, vcc_lo, v28, v30
	v_add_co_ci_u32_e64 v31, null, v29, v31, vcc_lo
	global_load_ushort v30, v[30:31], off
	s_waitcnt vmcnt(0)
	v_mul_f16_e32 v30, s24, v30
	v_cvt_f32_f16_e32 v30, v30
	s_branch .LBB275_210
.LBB275_209:
	v_mov_b32_e32 v30, 0
.LBB275_210:
	v_pk_add_f16 v31, v10, v26
	v_pk_add_f16 v85, v11, v27
	v_max_f16_e32 v86, v84, v84
	v_lshrrev_b32_e32 v84, 16, v84
	v_max_f32_e32 v30, v30, v30
	v_lshrrev_b32_e32 v87, 16, v31
	v_lshrrev_b32_e32 v88, 16, v85
	v_min_f16_e32 v31, v86, v31
	v_min3_f16 v84, v84, v87, v88
	v_min3_f16 v31, v31, v85, v84
	v_cvt_f32_f16_e32 v31, v31
	v_min_f32_e32 v84, v30, v31
	v_lshlrev_b64 v[30:31], 1, v[42:43]
	v_cvt_f16_f32_e32 v84, v84
	v_add_co_u32 v30, vcc_lo, v24, v30
	v_add_co_ci_u32_e64 v31, null, v25, v31, vcc_lo
	global_store_short v[30:31], v84, off
	s_or_b32 exec_lo, exec_lo, s12
	s_and_b32 s15, s6, s8
	s_and_saveexec_b32 s12, s15
	s_cbranch_execz .LBB275_186
.LBB275_211:
	v_cmp_ne_u32_e32 vcc_lo, 1, v75
	s_cbranch_vccnz .LBB275_213
; %bb.212:
	v_lshlrev_b64 v[30:31], 1, v[44:45]
	v_add_co_u32 v30, vcc_lo, v28, v30
	v_add_co_ci_u32_e64 v31, null, v29, v31, vcc_lo
	global_load_ushort v30, v[30:31], off
	s_waitcnt vmcnt(0)
	v_mul_f16_e32 v30, s24, v30
	v_cvt_f32_f16_e32 v30, v30
	s_branch .LBB275_214
.LBB275_213:
	v_mov_b32_e32 v30, 0
.LBB275_214:
	v_pk_add_f16 v31, v0, v26
	v_pk_add_f16 v84, v1, v27
	v_max_f16_e32 v85, v82, v82
	v_lshrrev_b32_e32 v82, 16, v82
	v_max_f32_e32 v30, v30, v30
	v_lshrrev_b32_e32 v86, 16, v31
	v_lshrrev_b32_e32 v87, 16, v84
	v_min_f16_e32 v31, v85, v31
	v_min3_f16 v82, v82, v86, v87
	v_min3_f16 v31, v31, v84, v82
	v_cvt_f32_f16_e32 v31, v31
	v_min_f32_e32 v82, v30, v31
	v_lshlrev_b64 v[30:31], 1, v[44:45]
	v_cvt_f16_f32_e32 v82, v82
	v_add_co_u32 v30, vcc_lo, v24, v30
	v_add_co_ci_u32_e64 v31, null, v25, v31, vcc_lo
	global_store_short v[30:31], v82, off
	s_or_b32 exec_lo, exec_lo, s12
	s_and_b32 s12, s7, s8
	s_and_saveexec_b32 s8, s12
	s_cbranch_execz .LBB275_219
.LBB275_215:
	v_cmp_ne_u32_e32 vcc_lo, 1, v75
	s_cbranch_vccnz .LBB275_217
; %bb.216:
	v_lshlrev_b64 v[30:31], 1, v[46:47]
	v_add_co_u32 v28, vcc_lo, v28, v30
	v_add_co_ci_u32_e64 v29, null, v29, v31, vcc_lo
	global_load_ushort v28, v[28:29], off
	s_waitcnt vmcnt(0)
	v_mul_f16_e32 v28, s24, v28
	v_cvt_f32_f16_e32 v28, v28
	s_branch .LBB275_218
.LBB275_217:
	v_mov_b32_e32 v28, 0
.LBB275_218:
	v_pk_add_f16 v26, v2, v26
	v_pk_add_f16 v27, v3, v27
	v_max_f16_e32 v29, v81, v81
	v_lshrrev_b32_e32 v30, 16, v81
	v_lshrrev_b32_e32 v31, 16, v26
	;; [unrolled: 1-line block ×3, first 2 shown]
	v_min_f16_e32 v26, v29, v26
	v_min3_f16 v29, v30, v31, v81
	v_min3_f16 v26, v26, v27, v29
	v_max_f32_e32 v27, v28, v28
	v_cvt_f32_f16_e32 v26, v26
	v_min_f32_e32 v28, v27, v26
	v_lshlrev_b64 v[26:27], 1, v[46:47]
	v_cvt_f16_f32_e32 v28, v28
	v_add_co_u32 v24, vcc_lo, v24, v26
	v_add_co_ci_u32_e64 v25, null, v25, v27, vcc_lo
	global_store_short v[24:25], v28, off
.LBB275_219:
	s_or_b32 exec_lo, exec_lo, s8
	v_add_nc_u32_e32 v28, 0x80, v83
	v_mad_i64_i32 v[24:25], null, v28, s14, 0
	v_mad_i64_i32 v[26:27], null, v28, s9, 0
	v_cmp_gt_i32_e64 s8, s13, v28
	v_lshlrev_b64 v[24:25], 1, v[24:25]
	s_and_b32 s15, s0, s8
	v_lshlrev_b64 v[28:29], 1, v[26:27]
	v_add_co_u32 v26, vcc_lo, s16, v24
	v_add_co_ci_u32_e64 v27, null, s17, v25, vcc_lo
	v_add_co_u32 v24, vcc_lo, s10, v28
	v_add_co_ci_u32_e64 v25, null, s11, v29, vcc_lo
	s_and_saveexec_b32 s12, s15
	s_cbranch_execnz .LBB275_227
; %bb.220:
	s_or_b32 exec_lo, exec_lo, s12
	s_and_b32 s15, s1, s8
	s_and_saveexec_b32 s12, s15
	s_cbranch_execnz .LBB275_231
.LBB275_221:
	s_or_b32 exec_lo, exec_lo, s12
	s_and_b32 s15, s2, s8
	s_and_saveexec_b32 s12, s15
	s_cbranch_execnz .LBB275_235
.LBB275_222:
	s_or_b32 exec_lo, exec_lo, s12
	s_and_b32 s15, s3, s8
	s_and_saveexec_b32 s12, s15
	s_cbranch_execnz .LBB275_239
.LBB275_223:
	s_or_b32 exec_lo, exec_lo, s12
	s_and_b32 s15, s4, s8
	s_and_saveexec_b32 s12, s15
	s_cbranch_execnz .LBB275_243
.LBB275_224:
	s_or_b32 exec_lo, exec_lo, s12
	s_and_b32 s15, s5, s8
	s_and_saveexec_b32 s12, s15
	s_cbranch_execnz .LBB275_247
.LBB275_225:
	s_or_b32 exec_lo, exec_lo, s12
	s_and_b32 s15, s6, s8
	s_and_saveexec_b32 s12, s15
	s_cbranch_execnz .LBB275_251
.LBB275_226:
	s_or_b32 exec_lo, exec_lo, s12
	s_and_b32 s12, s7, s8
	s_and_saveexec_b32 s8, s12
	s_cbranch_execnz .LBB275_255
	s_branch .LBB275_259
.LBB275_227:
	v_cmp_ne_u32_e32 vcc_lo, 1, v75
	s_cbranch_vccnz .LBB275_229
; %bb.228:
	v_lshlrev_b64 v[28:29], 1, v[32:33]
	v_add_co_u32 v28, vcc_lo, v26, v28
	v_add_co_ci_u32_e64 v29, null, v27, v29, vcc_lo
	global_load_ushort v28, v[28:29], off
	s_waitcnt vmcnt(0)
	v_mul_f16_e32 v28, s24, v28
	v_cvt_f32_f16_e32 v28, v28
	s_branch .LBB275_230
.LBB275_229:
	v_mov_b32_e32 v28, 0
.LBB275_230:
	v_pk_add_f16 v29, v16, v20
	v_pk_add_f16 v30, v17, v21
	v_max_f16_e32 v31, v80, v80
	v_lshrrev_b32_e32 v80, 16, v80
	v_max_f32_e32 v28, v28, v28
	v_lshrrev_b32_e32 v81, 16, v29
	v_lshrrev_b32_e32 v82, 16, v30
	v_min_f16_e32 v29, v31, v29
	v_min3_f16 v31, v80, v81, v82
	v_min3_f16 v29, v29, v30, v31
	v_cvt_f32_f16_e32 v29, v29
	v_min_f32_e32 v30, v28, v29
	v_lshlrev_b64 v[28:29], 1, v[32:33]
	v_cvt_f16_f32_e32 v30, v30
	v_add_co_u32 v28, vcc_lo, v24, v28
	v_add_co_ci_u32_e64 v29, null, v25, v29, vcc_lo
	global_store_short v[28:29], v30, off
	s_or_b32 exec_lo, exec_lo, s12
	s_and_b32 s15, s1, s8
	s_and_saveexec_b32 s12, s15
	s_cbranch_execz .LBB275_221
.LBB275_231:
	v_cmp_ne_u32_e32 vcc_lo, 1, v75
	s_cbranch_vccnz .LBB275_233
; %bb.232:
	v_lshlrev_b64 v[28:29], 1, v[34:35]
	v_add_co_u32 v28, vcc_lo, v26, v28
	v_add_co_ci_u32_e64 v29, null, v27, v29, vcc_lo
	global_load_ushort v28, v[28:29], off
	s_waitcnt vmcnt(0)
	v_mul_f16_e32 v28, s24, v28
	v_cvt_f32_f16_e32 v28, v28
	s_branch .LBB275_234
.LBB275_233:
	v_mov_b32_e32 v28, 0
.LBB275_234:
	v_pk_add_f16 v29, v18, v20
	v_pk_add_f16 v30, v19, v21
	v_max_f16_e32 v31, v79, v79
	v_lshrrev_b32_e32 v79, 16, v79
	v_max_f32_e32 v28, v28, v28
	v_lshrrev_b32_e32 v80, 16, v29
	v_lshrrev_b32_e32 v81, 16, v30
	v_min_f16_e32 v29, v31, v29
	v_min3_f16 v31, v79, v80, v81
	v_min3_f16 v29, v29, v30, v31
	v_cvt_f32_f16_e32 v29, v29
	v_min_f32_e32 v30, v28, v29
	v_lshlrev_b64 v[28:29], 1, v[34:35]
	v_cvt_f16_f32_e32 v30, v30
	v_add_co_u32 v28, vcc_lo, v24, v28
	v_add_co_ci_u32_e64 v29, null, v25, v29, vcc_lo
	global_store_short v[28:29], v30, off
	s_or_b32 exec_lo, exec_lo, s12
	s_and_b32 s15, s2, s8
	s_and_saveexec_b32 s12, s15
	s_cbranch_execz .LBB275_222
.LBB275_235:
	v_cmp_ne_u32_e32 vcc_lo, 1, v75
	s_cbranch_vccnz .LBB275_237
; %bb.236:
	v_lshlrev_b64 v[28:29], 1, v[36:37]
	v_add_co_u32 v28, vcc_lo, v26, v28
	v_add_co_ci_u32_e64 v29, null, v27, v29, vcc_lo
	global_load_ushort v28, v[28:29], off
	s_waitcnt vmcnt(0)
	v_mul_f16_e32 v28, s24, v28
	v_cvt_f32_f16_e32 v28, v28
	s_branch .LBB275_238
.LBB275_237:
	v_mov_b32_e32 v28, 0
.LBB275_238:
	v_pk_add_f16 v29, v12, v20
	v_pk_add_f16 v30, v13, v21
	v_max_f16_e32 v31, v78, v78
	v_lshrrev_b32_e32 v78, 16, v78
	v_max_f32_e32 v28, v28, v28
	v_lshrrev_b32_e32 v79, 16, v29
	v_lshrrev_b32_e32 v80, 16, v30
	v_min_f16_e32 v29, v31, v29
	v_min3_f16 v31, v78, v79, v80
	v_min3_f16 v29, v29, v30, v31
	v_cvt_f32_f16_e32 v29, v29
	v_min_f32_e32 v30, v28, v29
	v_lshlrev_b64 v[28:29], 1, v[36:37]
	v_cvt_f16_f32_e32 v30, v30
	v_add_co_u32 v28, vcc_lo, v24, v28
	v_add_co_ci_u32_e64 v29, null, v25, v29, vcc_lo
	global_store_short v[28:29], v30, off
	s_or_b32 exec_lo, exec_lo, s12
	s_and_b32 s15, s3, s8
	s_and_saveexec_b32 s12, s15
	s_cbranch_execz .LBB275_223
.LBB275_239:
	v_cmp_ne_u32_e32 vcc_lo, 1, v75
	s_cbranch_vccnz .LBB275_241
; %bb.240:
	v_lshlrev_b64 v[28:29], 1, v[38:39]
	v_add_co_u32 v28, vcc_lo, v26, v28
	v_add_co_ci_u32_e64 v29, null, v27, v29, vcc_lo
	global_load_ushort v28, v[28:29], off
	s_waitcnt vmcnt(0)
	v_mul_f16_e32 v28, s24, v28
	v_cvt_f32_f16_e32 v28, v28
	s_branch .LBB275_242
.LBB275_241:
	v_mov_b32_e32 v28, 0
.LBB275_242:
	v_pk_add_f16 v29, v14, v20
	v_pk_add_f16 v30, v15, v21
	v_max_f16_e32 v31, v77, v77
	v_lshrrev_b32_e32 v77, 16, v77
	v_max_f32_e32 v28, v28, v28
	v_lshrrev_b32_e32 v78, 16, v29
	v_lshrrev_b32_e32 v79, 16, v30
	v_min_f16_e32 v29, v31, v29
	v_min3_f16 v31, v77, v78, v79
	v_min3_f16 v29, v29, v30, v31
	v_cvt_f32_f16_e32 v29, v29
	v_min_f32_e32 v30, v28, v29
	v_lshlrev_b64 v[28:29], 1, v[38:39]
	v_cvt_f16_f32_e32 v30, v30
	v_add_co_u32 v28, vcc_lo, v24, v28
	v_add_co_ci_u32_e64 v29, null, v25, v29, vcc_lo
	global_store_short v[28:29], v30, off
	s_or_b32 exec_lo, exec_lo, s12
	s_and_b32 s15, s4, s8
	s_and_saveexec_b32 s12, s15
	s_cbranch_execz .LBB275_224
.LBB275_243:
	v_cmp_ne_u32_e32 vcc_lo, 1, v75
	s_cbranch_vccnz .LBB275_245
; %bb.244:
	v_lshlrev_b64 v[28:29], 1, v[40:41]
	v_add_co_u32 v28, vcc_lo, v26, v28
	v_add_co_ci_u32_e64 v29, null, v27, v29, vcc_lo
	global_load_ushort v28, v[28:29], off
	s_waitcnt vmcnt(0)
	v_mul_f16_e32 v28, s24, v28
	v_cvt_f32_f16_e32 v28, v28
	s_branch .LBB275_246
.LBB275_245:
	v_mov_b32_e32 v28, 0
.LBB275_246:
	v_pk_add_f16 v29, v8, v20
	v_pk_add_f16 v30, v9, v21
	v_max_f16_e32 v31, v76, v76
	v_lshrrev_b32_e32 v76, 16, v76
	v_max_f32_e32 v28, v28, v28
	v_lshrrev_b32_e32 v77, 16, v29
	v_lshrrev_b32_e32 v78, 16, v30
	v_min_f16_e32 v29, v31, v29
	v_min3_f16 v31, v76, v77, v78
	v_min3_f16 v29, v29, v30, v31
	v_cvt_f32_f16_e32 v29, v29
	v_min_f32_e32 v30, v28, v29
	v_lshlrev_b64 v[28:29], 1, v[40:41]
	v_cvt_f16_f32_e32 v30, v30
	v_add_co_u32 v28, vcc_lo, v24, v28
	v_add_co_ci_u32_e64 v29, null, v25, v29, vcc_lo
	global_store_short v[28:29], v30, off
	s_or_b32 exec_lo, exec_lo, s12
	s_and_b32 s15, s5, s8
	s_and_saveexec_b32 s12, s15
	s_cbranch_execz .LBB275_225
.LBB275_247:
	v_cmp_ne_u32_e32 vcc_lo, 1, v75
	s_cbranch_vccnz .LBB275_249
; %bb.248:
	v_lshlrev_b64 v[28:29], 1, v[42:43]
	v_add_co_u32 v28, vcc_lo, v26, v28
	v_add_co_ci_u32_e64 v29, null, v27, v29, vcc_lo
	global_load_ushort v28, v[28:29], off
	s_waitcnt vmcnt(0)
	v_mul_f16_e32 v28, s24, v28
	v_cvt_f32_f16_e32 v28, v28
	s_branch .LBB275_250
.LBB275_249:
	v_mov_b32_e32 v28, 0
.LBB275_250:
	v_pk_add_f16 v29, v10, v20
	v_pk_add_f16 v30, v11, v21
	v_max_f16_e32 v31, v74, v74
	v_lshrrev_b32_e32 v74, 16, v74
	v_max_f32_e32 v28, v28, v28
	v_lshrrev_b32_e32 v76, 16, v29
	v_lshrrev_b32_e32 v77, 16, v30
	v_min_f16_e32 v29, v31, v29
	v_min3_f16 v31, v74, v76, v77
	v_min3_f16 v29, v29, v30, v31
	v_cvt_f32_f16_e32 v29, v29
	v_min_f32_e32 v30, v28, v29
	v_lshlrev_b64 v[28:29], 1, v[42:43]
	v_cvt_f16_f32_e32 v30, v30
	v_add_co_u32 v28, vcc_lo, v24, v28
	v_add_co_ci_u32_e64 v29, null, v25, v29, vcc_lo
	global_store_short v[28:29], v30, off
	s_or_b32 exec_lo, exec_lo, s12
	s_and_b32 s15, s6, s8
	s_and_saveexec_b32 s12, s15
	s_cbranch_execz .LBB275_226
.LBB275_251:
	v_cmp_ne_u32_e32 vcc_lo, 1, v75
	s_cbranch_vccnz .LBB275_253
; %bb.252:
	v_lshlrev_b64 v[28:29], 1, v[44:45]
	v_add_co_u32 v28, vcc_lo, v26, v28
	v_add_co_ci_u32_e64 v29, null, v27, v29, vcc_lo
	global_load_ushort v28, v[28:29], off
	s_waitcnt vmcnt(0)
	v_mul_f16_e32 v28, s24, v28
	v_cvt_f32_f16_e32 v28, v28
	s_branch .LBB275_254
.LBB275_253:
	v_mov_b32_e32 v28, 0
.LBB275_254:
	v_pk_add_f16 v29, v0, v20
	v_pk_add_f16 v30, v1, v21
	v_max_f16_e32 v31, v73, v73
	v_lshrrev_b32_e32 v73, 16, v73
	v_max_f32_e32 v28, v28, v28
	v_lshrrev_b32_e32 v74, 16, v29
	v_lshrrev_b32_e32 v76, 16, v30
	v_min_f16_e32 v29, v31, v29
	v_min3_f16 v31, v73, v74, v76
	v_min3_f16 v29, v29, v30, v31
	v_cvt_f32_f16_e32 v29, v29
	v_min_f32_e32 v30, v28, v29
	v_lshlrev_b64 v[28:29], 1, v[44:45]
	v_cvt_f16_f32_e32 v30, v30
	v_add_co_u32 v28, vcc_lo, v24, v28
	v_add_co_ci_u32_e64 v29, null, v25, v29, vcc_lo
	global_store_short v[28:29], v30, off
	s_or_b32 exec_lo, exec_lo, s12
	s_and_b32 s12, s7, s8
	s_and_saveexec_b32 s8, s12
	s_cbranch_execz .LBB275_259
.LBB275_255:
	v_cmp_ne_u32_e32 vcc_lo, 1, v75
	s_cbranch_vccnz .LBB275_257
; %bb.256:
	v_lshlrev_b64 v[28:29], 1, v[46:47]
	v_add_co_u32 v26, vcc_lo, v26, v28
	v_add_co_ci_u32_e64 v27, null, v27, v29, vcc_lo
	global_load_ushort v26, v[26:27], off
	s_waitcnt vmcnt(0)
	v_mul_f16_e32 v26, s24, v26
	v_cvt_f32_f16_e32 v26, v26
	s_branch .LBB275_258
.LBB275_257:
	v_mov_b32_e32 v26, 0
.LBB275_258:
	v_pk_add_f16 v20, v2, v20
	v_pk_add_f16 v21, v3, v21
	v_max_f16_e32 v27, v72, v72
	v_lshrrev_b32_e32 v28, 16, v72
	v_lshrrev_b32_e32 v29, 16, v20
	;; [unrolled: 1-line block ×3, first 2 shown]
	v_min_f16_e32 v20, v27, v20
	v_min3_f16 v27, v28, v29, v30
	v_min3_f16 v20, v20, v21, v27
	v_max_f32_e32 v21, v26, v26
	v_cvt_f32_f16_e32 v20, v20
	v_min_f32_e32 v26, v21, v20
	v_lshlrev_b64 v[20:21], 1, v[46:47]
	v_cvt_f16_f32_e32 v26, v26
	v_add_co_u32 v20, vcc_lo, v24, v20
	v_add_co_ci_u32_e64 v21, null, v25, v21, vcc_lo
	global_store_short v[20:21], v26, off
.LBB275_259:
	s_or_b32 exec_lo, exec_lo, s8
	v_add_nc_u32_e32 v26, 0xa0, v83
	v_mad_i64_i32 v[20:21], null, v26, s14, 0
	v_mad_i64_i32 v[24:25], null, v26, s9, 0
	v_cmp_gt_i32_e64 s8, s13, v26
	v_lshlrev_b64 v[20:21], 1, v[20:21]
	s_and_b32 s15, s0, s8
	v_lshlrev_b64 v[26:27], 1, v[24:25]
	v_add_co_u32 v24, vcc_lo, s16, v20
	v_add_co_ci_u32_e64 v25, null, s17, v21, vcc_lo
	v_add_co_u32 v20, vcc_lo, s10, v26
	v_add_co_ci_u32_e64 v21, null, s11, v27, vcc_lo
	s_and_saveexec_b32 s12, s15
	s_cbranch_execnz .LBB275_267
; %bb.260:
	s_or_b32 exec_lo, exec_lo, s12
	s_and_b32 s15, s1, s8
	s_and_saveexec_b32 s12, s15
	s_cbranch_execnz .LBB275_271
.LBB275_261:
	s_or_b32 exec_lo, exec_lo, s12
	s_and_b32 s15, s2, s8
	s_and_saveexec_b32 s12, s15
	s_cbranch_execnz .LBB275_275
.LBB275_262:
	s_or_b32 exec_lo, exec_lo, s12
	s_and_b32 s15, s3, s8
	s_and_saveexec_b32 s12, s15
	s_cbranch_execnz .LBB275_279
.LBB275_263:
	s_or_b32 exec_lo, exec_lo, s12
	s_and_b32 s15, s4, s8
	s_and_saveexec_b32 s12, s15
	s_cbranch_execnz .LBB275_283
.LBB275_264:
	s_or_b32 exec_lo, exec_lo, s12
	s_and_b32 s15, s5, s8
	s_and_saveexec_b32 s12, s15
	s_cbranch_execnz .LBB275_287
.LBB275_265:
	s_or_b32 exec_lo, exec_lo, s12
	s_and_b32 s15, s6, s8
	s_and_saveexec_b32 s12, s15
	s_cbranch_execnz .LBB275_291
.LBB275_266:
	s_or_b32 exec_lo, exec_lo, s12
	s_and_b32 s12, s7, s8
	s_and_saveexec_b32 s8, s12
	s_cbranch_execnz .LBB275_295
	s_branch .LBB275_299
.LBB275_267:
	v_cmp_ne_u32_e32 vcc_lo, 1, v75
	s_cbranch_vccnz .LBB275_269
; %bb.268:
	v_lshlrev_b64 v[26:27], 1, v[32:33]
	v_add_co_u32 v26, vcc_lo, v24, v26
	v_add_co_ci_u32_e64 v27, null, v25, v27, vcc_lo
	global_load_ushort v26, v[26:27], off
	s_waitcnt vmcnt(0)
	v_mul_f16_e32 v26, s24, v26
	v_cvt_f32_f16_e32 v26, v26
	s_branch .LBB275_270
.LBB275_269:
	v_mov_b32_e32 v26, 0
.LBB275_270:
	v_pk_add_f16 v27, v16, v22
	v_pk_add_f16 v28, v17, v23
	v_max_f16_e32 v29, v71, v71
	v_lshrrev_b32_e32 v30, 16, v71
	v_max_f32_e32 v26, v26, v26
	v_lshrrev_b32_e32 v31, 16, v27
	v_lshrrev_b32_e32 v71, 16, v28
	v_min_f16_e32 v27, v29, v27
	v_min3_f16 v29, v30, v31, v71
	v_min3_f16 v27, v27, v28, v29
	v_cvt_f32_f16_e32 v27, v27
	v_min_f32_e32 v28, v26, v27
	v_lshlrev_b64 v[26:27], 1, v[32:33]
	v_cvt_f16_f32_e32 v28, v28
	v_add_co_u32 v26, vcc_lo, v20, v26
	v_add_co_ci_u32_e64 v27, null, v21, v27, vcc_lo
	global_store_short v[26:27], v28, off
	s_or_b32 exec_lo, exec_lo, s12
	s_and_b32 s15, s1, s8
	s_and_saveexec_b32 s12, s15
	s_cbranch_execz .LBB275_261
.LBB275_271:
	v_cmp_ne_u32_e32 vcc_lo, 1, v75
	s_cbranch_vccnz .LBB275_273
; %bb.272:
	v_lshlrev_b64 v[26:27], 1, v[34:35]
	v_add_co_u32 v26, vcc_lo, v24, v26
	v_add_co_ci_u32_e64 v27, null, v25, v27, vcc_lo
	global_load_ushort v26, v[26:27], off
	s_waitcnt vmcnt(0)
	v_mul_f16_e32 v26, s24, v26
	v_cvt_f32_f16_e32 v26, v26
	s_branch .LBB275_274
.LBB275_273:
	v_mov_b32_e32 v26, 0
.LBB275_274:
	v_pk_add_f16 v27, v18, v22
	v_pk_add_f16 v28, v19, v23
	v_max_f16_e32 v29, v70, v70
	v_lshrrev_b32_e32 v30, 16, v70
	v_max_f32_e32 v26, v26, v26
	v_lshrrev_b32_e32 v31, 16, v27
	v_lshrrev_b32_e32 v70, 16, v28
	v_min_f16_e32 v27, v29, v27
	v_min3_f16 v29, v30, v31, v70
	v_min3_f16 v27, v27, v28, v29
	v_cvt_f32_f16_e32 v27, v27
	v_min_f32_e32 v28, v26, v27
	v_lshlrev_b64 v[26:27], 1, v[34:35]
	v_cvt_f16_f32_e32 v28, v28
	v_add_co_u32 v26, vcc_lo, v20, v26
	v_add_co_ci_u32_e64 v27, null, v21, v27, vcc_lo
	global_store_short v[26:27], v28, off
	s_or_b32 exec_lo, exec_lo, s12
	s_and_b32 s15, s2, s8
	s_and_saveexec_b32 s12, s15
	s_cbranch_execz .LBB275_262
.LBB275_275:
	v_cmp_ne_u32_e32 vcc_lo, 1, v75
	s_cbranch_vccnz .LBB275_277
; %bb.276:
	v_lshlrev_b64 v[26:27], 1, v[36:37]
	v_add_co_u32 v26, vcc_lo, v24, v26
	v_add_co_ci_u32_e64 v27, null, v25, v27, vcc_lo
	global_load_ushort v26, v[26:27], off
	s_waitcnt vmcnt(0)
	v_mul_f16_e32 v26, s24, v26
	v_cvt_f32_f16_e32 v26, v26
	s_branch .LBB275_278
.LBB275_277:
	v_mov_b32_e32 v26, 0
.LBB275_278:
	v_pk_add_f16 v27, v12, v22
	v_pk_add_f16 v28, v13, v23
	v_max_f16_e32 v29, v69, v69
	v_lshrrev_b32_e32 v30, 16, v69
	v_max_f32_e32 v26, v26, v26
	v_lshrrev_b32_e32 v31, 16, v27
	v_lshrrev_b32_e32 v69, 16, v28
	v_min_f16_e32 v27, v29, v27
	v_min3_f16 v29, v30, v31, v69
	v_min3_f16 v27, v27, v28, v29
	v_cvt_f32_f16_e32 v27, v27
	v_min_f32_e32 v28, v26, v27
	v_lshlrev_b64 v[26:27], 1, v[36:37]
	v_cvt_f16_f32_e32 v28, v28
	v_add_co_u32 v26, vcc_lo, v20, v26
	v_add_co_ci_u32_e64 v27, null, v21, v27, vcc_lo
	global_store_short v[26:27], v28, off
	s_or_b32 exec_lo, exec_lo, s12
	s_and_b32 s15, s3, s8
	s_and_saveexec_b32 s12, s15
	s_cbranch_execz .LBB275_263
.LBB275_279:
	v_cmp_ne_u32_e32 vcc_lo, 1, v75
	s_cbranch_vccnz .LBB275_281
; %bb.280:
	v_lshlrev_b64 v[26:27], 1, v[38:39]
	v_add_co_u32 v26, vcc_lo, v24, v26
	v_add_co_ci_u32_e64 v27, null, v25, v27, vcc_lo
	global_load_ushort v26, v[26:27], off
	s_waitcnt vmcnt(0)
	v_mul_f16_e32 v26, s24, v26
	v_cvt_f32_f16_e32 v26, v26
	s_branch .LBB275_282
.LBB275_281:
	v_mov_b32_e32 v26, 0
.LBB275_282:
	v_pk_add_f16 v27, v14, v22
	v_pk_add_f16 v28, v15, v23
	v_max_f16_e32 v29, v68, v68
	v_lshrrev_b32_e32 v30, 16, v68
	v_max_f32_e32 v26, v26, v26
	v_lshrrev_b32_e32 v31, 16, v27
	v_lshrrev_b32_e32 v68, 16, v28
	v_min_f16_e32 v27, v29, v27
	v_min3_f16 v29, v30, v31, v68
	v_min3_f16 v27, v27, v28, v29
	v_cvt_f32_f16_e32 v27, v27
	v_min_f32_e32 v28, v26, v27
	v_lshlrev_b64 v[26:27], 1, v[38:39]
	v_cvt_f16_f32_e32 v28, v28
	v_add_co_u32 v26, vcc_lo, v20, v26
	v_add_co_ci_u32_e64 v27, null, v21, v27, vcc_lo
	global_store_short v[26:27], v28, off
	s_or_b32 exec_lo, exec_lo, s12
	s_and_b32 s15, s4, s8
	s_and_saveexec_b32 s12, s15
	s_cbranch_execz .LBB275_264
.LBB275_283:
	v_cmp_ne_u32_e32 vcc_lo, 1, v75
	s_cbranch_vccnz .LBB275_285
; %bb.284:
	v_lshlrev_b64 v[26:27], 1, v[40:41]
	v_add_co_u32 v26, vcc_lo, v24, v26
	v_add_co_ci_u32_e64 v27, null, v25, v27, vcc_lo
	global_load_ushort v26, v[26:27], off
	s_waitcnt vmcnt(0)
	v_mul_f16_e32 v26, s24, v26
	v_cvt_f32_f16_e32 v26, v26
	s_branch .LBB275_286
.LBB275_285:
	v_mov_b32_e32 v26, 0
.LBB275_286:
	v_pk_add_f16 v27, v8, v22
	v_pk_add_f16 v28, v9, v23
	v_max_f16_e32 v29, v67, v67
	v_lshrrev_b32_e32 v30, 16, v67
	v_max_f32_e32 v26, v26, v26
	v_lshrrev_b32_e32 v31, 16, v27
	v_lshrrev_b32_e32 v67, 16, v28
	v_min_f16_e32 v27, v29, v27
	v_min3_f16 v29, v30, v31, v67
	v_min3_f16 v27, v27, v28, v29
	v_cvt_f32_f16_e32 v27, v27
	v_min_f32_e32 v28, v26, v27
	v_lshlrev_b64 v[26:27], 1, v[40:41]
	v_cvt_f16_f32_e32 v28, v28
	v_add_co_u32 v26, vcc_lo, v20, v26
	v_add_co_ci_u32_e64 v27, null, v21, v27, vcc_lo
	global_store_short v[26:27], v28, off
	s_or_b32 exec_lo, exec_lo, s12
	s_and_b32 s15, s5, s8
	s_and_saveexec_b32 s12, s15
	s_cbranch_execz .LBB275_265
.LBB275_287:
	v_cmp_ne_u32_e32 vcc_lo, 1, v75
	s_cbranch_vccnz .LBB275_289
; %bb.288:
	v_lshlrev_b64 v[26:27], 1, v[42:43]
	v_add_co_u32 v26, vcc_lo, v24, v26
	v_add_co_ci_u32_e64 v27, null, v25, v27, vcc_lo
	global_load_ushort v26, v[26:27], off
	s_waitcnt vmcnt(0)
	v_mul_f16_e32 v26, s24, v26
	v_cvt_f32_f16_e32 v26, v26
	s_branch .LBB275_290
.LBB275_289:
	v_mov_b32_e32 v26, 0
.LBB275_290:
	v_pk_add_f16 v27, v10, v22
	v_pk_add_f16 v28, v11, v23
	v_max_f16_e32 v29, v66, v66
	v_lshrrev_b32_e32 v30, 16, v66
	v_max_f32_e32 v26, v26, v26
	v_lshrrev_b32_e32 v31, 16, v27
	v_lshrrev_b32_e32 v66, 16, v28
	v_min_f16_e32 v27, v29, v27
	v_min3_f16 v29, v30, v31, v66
	v_min3_f16 v27, v27, v28, v29
	v_cvt_f32_f16_e32 v27, v27
	v_min_f32_e32 v28, v26, v27
	v_lshlrev_b64 v[26:27], 1, v[42:43]
	v_cvt_f16_f32_e32 v28, v28
	v_add_co_u32 v26, vcc_lo, v20, v26
	v_add_co_ci_u32_e64 v27, null, v21, v27, vcc_lo
	global_store_short v[26:27], v28, off
	s_or_b32 exec_lo, exec_lo, s12
	s_and_b32 s15, s6, s8
	s_and_saveexec_b32 s12, s15
	s_cbranch_execz .LBB275_266
.LBB275_291:
	v_cmp_ne_u32_e32 vcc_lo, 1, v75
	s_cbranch_vccnz .LBB275_293
; %bb.292:
	v_lshlrev_b64 v[26:27], 1, v[44:45]
	v_add_co_u32 v26, vcc_lo, v24, v26
	v_add_co_ci_u32_e64 v27, null, v25, v27, vcc_lo
	global_load_ushort v26, v[26:27], off
	s_waitcnt vmcnt(0)
	v_mul_f16_e32 v26, s24, v26
	v_cvt_f32_f16_e32 v26, v26
	s_branch .LBB275_294
.LBB275_293:
	v_mov_b32_e32 v26, 0
.LBB275_294:
	v_pk_add_f16 v27, v0, v22
	v_pk_add_f16 v28, v1, v23
	v_max_f16_e32 v29, v65, v65
	v_lshrrev_b32_e32 v30, 16, v65
	v_max_f32_e32 v26, v26, v26
	v_lshrrev_b32_e32 v31, 16, v27
	v_lshrrev_b32_e32 v65, 16, v28
	v_min_f16_e32 v27, v29, v27
	v_min3_f16 v29, v30, v31, v65
	v_min3_f16 v27, v27, v28, v29
	v_cvt_f32_f16_e32 v27, v27
	v_min_f32_e32 v28, v26, v27
	v_lshlrev_b64 v[26:27], 1, v[44:45]
	v_cvt_f16_f32_e32 v28, v28
	v_add_co_u32 v26, vcc_lo, v20, v26
	v_add_co_ci_u32_e64 v27, null, v21, v27, vcc_lo
	global_store_short v[26:27], v28, off
	s_or_b32 exec_lo, exec_lo, s12
	s_and_b32 s12, s7, s8
	s_and_saveexec_b32 s8, s12
	s_cbranch_execz .LBB275_299
.LBB275_295:
	v_cmp_ne_u32_e32 vcc_lo, 1, v75
	s_cbranch_vccnz .LBB275_297
; %bb.296:
	v_lshlrev_b64 v[26:27], 1, v[46:47]
	v_add_co_u32 v24, vcc_lo, v24, v26
	v_add_co_ci_u32_e64 v25, null, v25, v27, vcc_lo
	global_load_ushort v24, v[24:25], off
	s_waitcnt vmcnt(0)
	v_mul_f16_e32 v24, s24, v24
	v_cvt_f32_f16_e32 v24, v24
	s_branch .LBB275_298
.LBB275_297:
	v_mov_b32_e32 v24, 0
.LBB275_298:
	v_pk_add_f16 v22, v2, v22
	v_pk_add_f16 v23, v3, v23
	v_max_f16_e32 v25, v64, v64
	v_lshrrev_b32_e32 v26, 16, v64
	v_lshrrev_b32_e32 v27, 16, v22
	;; [unrolled: 1-line block ×3, first 2 shown]
	v_min_f16_e32 v22, v25, v22
	v_min3_f16 v25, v26, v27, v28
	v_min3_f16 v22, v22, v23, v25
	v_max_f32_e32 v23, v24, v24
	v_cvt_f32_f16_e32 v22, v22
	v_min_f32_e32 v24, v23, v22
	v_lshlrev_b64 v[22:23], 1, v[46:47]
	v_cvt_f16_f32_e32 v24, v24
	v_add_co_u32 v20, vcc_lo, v20, v22
	v_add_co_ci_u32_e64 v21, null, v21, v23, vcc_lo
	global_store_short v[20:21], v24, off
.LBB275_299:
	s_or_b32 exec_lo, exec_lo, s8
	v_add_nc_u32_e32 v24, 0xc0, v83
	v_mad_i64_i32 v[20:21], null, v24, s14, 0
	v_mad_i64_i32 v[22:23], null, v24, s9, 0
	v_cmp_gt_i32_e64 s8, s13, v24
	v_lshlrev_b64 v[20:21], 1, v[20:21]
	s_and_b32 s15, s0, s8
	v_lshlrev_b64 v[24:25], 1, v[22:23]
	v_add_co_u32 v22, vcc_lo, s16, v20
	v_add_co_ci_u32_e64 v23, null, s17, v21, vcc_lo
	v_add_co_u32 v20, vcc_lo, s10, v24
	v_add_co_ci_u32_e64 v21, null, s11, v25, vcc_lo
	s_and_saveexec_b32 s12, s15
	s_cbranch_execnz .LBB275_307
; %bb.300:
	s_or_b32 exec_lo, exec_lo, s12
	s_and_b32 s15, s1, s8
	s_and_saveexec_b32 s12, s15
	s_cbranch_execnz .LBB275_311
.LBB275_301:
	s_or_b32 exec_lo, exec_lo, s12
	s_and_b32 s15, s2, s8
	s_and_saveexec_b32 s12, s15
	s_cbranch_execnz .LBB275_315
.LBB275_302:
	s_or_b32 exec_lo, exec_lo, s12
	s_and_b32 s15, s3, s8
	s_and_saveexec_b32 s12, s15
	s_cbranch_execnz .LBB275_319
.LBB275_303:
	s_or_b32 exec_lo, exec_lo, s12
	s_and_b32 s15, s4, s8
	s_and_saveexec_b32 s12, s15
	s_cbranch_execnz .LBB275_323
.LBB275_304:
	s_or_b32 exec_lo, exec_lo, s12
	s_and_b32 s15, s5, s8
	s_and_saveexec_b32 s12, s15
	s_cbranch_execnz .LBB275_327
.LBB275_305:
	s_or_b32 exec_lo, exec_lo, s12
	s_and_b32 s15, s6, s8
	s_and_saveexec_b32 s12, s15
	s_cbranch_execnz .LBB275_331
.LBB275_306:
	s_or_b32 exec_lo, exec_lo, s12
	s_and_b32 s12, s7, s8
	s_and_saveexec_b32 s8, s12
	s_cbranch_execnz .LBB275_335
	s_branch .LBB275_339
.LBB275_307:
	v_cmp_ne_u32_e32 vcc_lo, 1, v75
	s_cbranch_vccnz .LBB275_309
; %bb.308:
	v_lshlrev_b64 v[24:25], 1, v[32:33]
	v_add_co_u32 v24, vcc_lo, v22, v24
	v_add_co_ci_u32_e64 v25, null, v23, v25, vcc_lo
	global_load_ushort v24, v[24:25], off
	s_waitcnt vmcnt(0)
	v_mul_f16_e32 v24, s24, v24
	v_cvt_f32_f16_e32 v24, v24
	s_branch .LBB275_310
.LBB275_309:
	v_mov_b32_e32 v24, 0
.LBB275_310:
	v_pk_add_f16 v25, v16, v4
	v_pk_add_f16 v26, v17, v5
	v_max_f16_e32 v27, v63, v63
	v_lshrrev_b32_e32 v28, 16, v63
	v_max_f32_e32 v24, v24, v24
	v_lshrrev_b32_e32 v29, 16, v25
	v_lshrrev_b32_e32 v30, 16, v26
	v_min_f16_e32 v25, v27, v25
	v_min3_f16 v27, v28, v29, v30
	v_min3_f16 v25, v25, v26, v27
	v_cvt_f32_f16_e32 v25, v25
	v_min_f32_e32 v26, v24, v25
	v_lshlrev_b64 v[24:25], 1, v[32:33]
	v_cvt_f16_f32_e32 v26, v26
	v_add_co_u32 v24, vcc_lo, v20, v24
	v_add_co_ci_u32_e64 v25, null, v21, v25, vcc_lo
	global_store_short v[24:25], v26, off
	s_or_b32 exec_lo, exec_lo, s12
	s_and_b32 s15, s1, s8
	s_and_saveexec_b32 s12, s15
	s_cbranch_execz .LBB275_301
.LBB275_311:
	v_cmp_ne_u32_e32 vcc_lo, 1, v75
	s_cbranch_vccnz .LBB275_313
; %bb.312:
	v_lshlrev_b64 v[24:25], 1, v[34:35]
	v_add_co_u32 v24, vcc_lo, v22, v24
	v_add_co_ci_u32_e64 v25, null, v23, v25, vcc_lo
	global_load_ushort v24, v[24:25], off
	s_waitcnt vmcnt(0)
	v_mul_f16_e32 v24, s24, v24
	v_cvt_f32_f16_e32 v24, v24
	s_branch .LBB275_314
.LBB275_313:
	v_mov_b32_e32 v24, 0
.LBB275_314:
	v_pk_add_f16 v25, v18, v4
	v_pk_add_f16 v26, v19, v5
	v_max_f16_e32 v27, v62, v62
	v_lshrrev_b32_e32 v28, 16, v62
	v_max_f32_e32 v24, v24, v24
	v_lshrrev_b32_e32 v29, 16, v25
	v_lshrrev_b32_e32 v30, 16, v26
	v_min_f16_e32 v25, v27, v25
	v_min3_f16 v27, v28, v29, v30
	v_min3_f16 v25, v25, v26, v27
	v_cvt_f32_f16_e32 v25, v25
	v_min_f32_e32 v26, v24, v25
	v_lshlrev_b64 v[24:25], 1, v[34:35]
	v_cvt_f16_f32_e32 v26, v26
	v_add_co_u32 v24, vcc_lo, v20, v24
	v_add_co_ci_u32_e64 v25, null, v21, v25, vcc_lo
	global_store_short v[24:25], v26, off
	s_or_b32 exec_lo, exec_lo, s12
	s_and_b32 s15, s2, s8
	s_and_saveexec_b32 s12, s15
	s_cbranch_execz .LBB275_302
.LBB275_315:
	v_cmp_ne_u32_e32 vcc_lo, 1, v75
	s_cbranch_vccnz .LBB275_317
; %bb.316:
	v_lshlrev_b64 v[24:25], 1, v[36:37]
	v_add_co_u32 v24, vcc_lo, v22, v24
	v_add_co_ci_u32_e64 v25, null, v23, v25, vcc_lo
	global_load_ushort v24, v[24:25], off
	s_waitcnt vmcnt(0)
	v_mul_f16_e32 v24, s24, v24
	v_cvt_f32_f16_e32 v24, v24
	s_branch .LBB275_318
.LBB275_317:
	v_mov_b32_e32 v24, 0
.LBB275_318:
	v_pk_add_f16 v25, v12, v4
	v_pk_add_f16 v26, v13, v5
	v_max_f16_e32 v27, v61, v61
	v_lshrrev_b32_e32 v28, 16, v61
	v_max_f32_e32 v24, v24, v24
	v_lshrrev_b32_e32 v29, 16, v25
	v_lshrrev_b32_e32 v30, 16, v26
	v_min_f16_e32 v25, v27, v25
	v_min3_f16 v27, v28, v29, v30
	v_min3_f16 v25, v25, v26, v27
	v_cvt_f32_f16_e32 v25, v25
	v_min_f32_e32 v26, v24, v25
	v_lshlrev_b64 v[24:25], 1, v[36:37]
	v_cvt_f16_f32_e32 v26, v26
	v_add_co_u32 v24, vcc_lo, v20, v24
	v_add_co_ci_u32_e64 v25, null, v21, v25, vcc_lo
	global_store_short v[24:25], v26, off
	s_or_b32 exec_lo, exec_lo, s12
	s_and_b32 s15, s3, s8
	s_and_saveexec_b32 s12, s15
	s_cbranch_execz .LBB275_303
.LBB275_319:
	v_cmp_ne_u32_e32 vcc_lo, 1, v75
	s_cbranch_vccnz .LBB275_321
; %bb.320:
	v_lshlrev_b64 v[24:25], 1, v[38:39]
	v_add_co_u32 v24, vcc_lo, v22, v24
	v_add_co_ci_u32_e64 v25, null, v23, v25, vcc_lo
	global_load_ushort v24, v[24:25], off
	s_waitcnt vmcnt(0)
	v_mul_f16_e32 v24, s24, v24
	v_cvt_f32_f16_e32 v24, v24
	s_branch .LBB275_322
.LBB275_321:
	v_mov_b32_e32 v24, 0
.LBB275_322:
	v_pk_add_f16 v25, v14, v4
	v_pk_add_f16 v26, v15, v5
	v_max_f16_e32 v27, v60, v60
	v_lshrrev_b32_e32 v28, 16, v60
	v_max_f32_e32 v24, v24, v24
	v_lshrrev_b32_e32 v29, 16, v25
	v_lshrrev_b32_e32 v30, 16, v26
	v_min_f16_e32 v25, v27, v25
	v_min3_f16 v27, v28, v29, v30
	v_min3_f16 v25, v25, v26, v27
	v_cvt_f32_f16_e32 v25, v25
	v_min_f32_e32 v26, v24, v25
	v_lshlrev_b64 v[24:25], 1, v[38:39]
	v_cvt_f16_f32_e32 v26, v26
	v_add_co_u32 v24, vcc_lo, v20, v24
	v_add_co_ci_u32_e64 v25, null, v21, v25, vcc_lo
	global_store_short v[24:25], v26, off
	s_or_b32 exec_lo, exec_lo, s12
	s_and_b32 s15, s4, s8
	s_and_saveexec_b32 s12, s15
	s_cbranch_execz .LBB275_304
.LBB275_323:
	v_cmp_ne_u32_e32 vcc_lo, 1, v75
	s_cbranch_vccnz .LBB275_325
; %bb.324:
	v_lshlrev_b64 v[24:25], 1, v[40:41]
	v_add_co_u32 v24, vcc_lo, v22, v24
	v_add_co_ci_u32_e64 v25, null, v23, v25, vcc_lo
	global_load_ushort v24, v[24:25], off
	s_waitcnt vmcnt(0)
	v_mul_f16_e32 v24, s24, v24
	v_cvt_f32_f16_e32 v24, v24
	s_branch .LBB275_326
.LBB275_325:
	v_mov_b32_e32 v24, 0
.LBB275_326:
	v_pk_add_f16 v25, v8, v4
	v_pk_add_f16 v26, v9, v5
	v_max_f16_e32 v27, v59, v59
	v_lshrrev_b32_e32 v28, 16, v59
	v_max_f32_e32 v24, v24, v24
	v_lshrrev_b32_e32 v29, 16, v25
	v_lshrrev_b32_e32 v30, 16, v26
	v_min_f16_e32 v25, v27, v25
	v_min3_f16 v27, v28, v29, v30
	v_min3_f16 v25, v25, v26, v27
	v_cvt_f32_f16_e32 v25, v25
	v_min_f32_e32 v26, v24, v25
	v_lshlrev_b64 v[24:25], 1, v[40:41]
	v_cvt_f16_f32_e32 v26, v26
	v_add_co_u32 v24, vcc_lo, v20, v24
	v_add_co_ci_u32_e64 v25, null, v21, v25, vcc_lo
	global_store_short v[24:25], v26, off
	s_or_b32 exec_lo, exec_lo, s12
	s_and_b32 s15, s5, s8
	s_and_saveexec_b32 s12, s15
	s_cbranch_execz .LBB275_305
.LBB275_327:
	v_cmp_ne_u32_e32 vcc_lo, 1, v75
	s_cbranch_vccnz .LBB275_329
; %bb.328:
	v_lshlrev_b64 v[24:25], 1, v[42:43]
	v_add_co_u32 v24, vcc_lo, v22, v24
	v_add_co_ci_u32_e64 v25, null, v23, v25, vcc_lo
	global_load_ushort v24, v[24:25], off
	s_waitcnt vmcnt(0)
	v_mul_f16_e32 v24, s24, v24
	v_cvt_f32_f16_e32 v24, v24
	s_branch .LBB275_330
.LBB275_329:
	v_mov_b32_e32 v24, 0
.LBB275_330:
	v_pk_add_f16 v25, v10, v4
	v_pk_add_f16 v26, v11, v5
	v_max_f16_e32 v27, v58, v58
	v_lshrrev_b32_e32 v28, 16, v58
	v_max_f32_e32 v24, v24, v24
	v_lshrrev_b32_e32 v29, 16, v25
	v_lshrrev_b32_e32 v30, 16, v26
	v_min_f16_e32 v25, v27, v25
	v_min3_f16 v27, v28, v29, v30
	v_min3_f16 v25, v25, v26, v27
	v_cvt_f32_f16_e32 v25, v25
	v_min_f32_e32 v26, v24, v25
	v_lshlrev_b64 v[24:25], 1, v[42:43]
	v_cvt_f16_f32_e32 v26, v26
	v_add_co_u32 v24, vcc_lo, v20, v24
	v_add_co_ci_u32_e64 v25, null, v21, v25, vcc_lo
	global_store_short v[24:25], v26, off
	s_or_b32 exec_lo, exec_lo, s12
	s_and_b32 s15, s6, s8
	s_and_saveexec_b32 s12, s15
	s_cbranch_execz .LBB275_306
.LBB275_331:
	v_cmp_ne_u32_e32 vcc_lo, 1, v75
	s_cbranch_vccnz .LBB275_333
; %bb.332:
	v_lshlrev_b64 v[24:25], 1, v[44:45]
	v_add_co_u32 v24, vcc_lo, v22, v24
	v_add_co_ci_u32_e64 v25, null, v23, v25, vcc_lo
	global_load_ushort v24, v[24:25], off
	s_waitcnt vmcnt(0)
	v_mul_f16_e32 v24, s24, v24
	v_cvt_f32_f16_e32 v24, v24
	s_branch .LBB275_334
.LBB275_333:
	v_mov_b32_e32 v24, 0
.LBB275_334:
	v_pk_add_f16 v25, v0, v4
	v_pk_add_f16 v26, v1, v5
	v_max_f16_e32 v27, v57, v57
	v_lshrrev_b32_e32 v28, 16, v57
	v_max_f32_e32 v24, v24, v24
	v_lshrrev_b32_e32 v29, 16, v25
	v_lshrrev_b32_e32 v30, 16, v26
	v_min_f16_e32 v25, v27, v25
	v_min3_f16 v27, v28, v29, v30
	v_min3_f16 v25, v25, v26, v27
	v_cvt_f32_f16_e32 v25, v25
	v_min_f32_e32 v26, v24, v25
	v_lshlrev_b64 v[24:25], 1, v[44:45]
	v_cvt_f16_f32_e32 v26, v26
	v_add_co_u32 v24, vcc_lo, v20, v24
	v_add_co_ci_u32_e64 v25, null, v21, v25, vcc_lo
	global_store_short v[24:25], v26, off
	s_or_b32 exec_lo, exec_lo, s12
	s_and_b32 s12, s7, s8
	s_and_saveexec_b32 s8, s12
	s_cbranch_execz .LBB275_339
.LBB275_335:
	v_cmp_ne_u32_e32 vcc_lo, 1, v75
	s_cbranch_vccnz .LBB275_337
; %bb.336:
	v_lshlrev_b64 v[24:25], 1, v[46:47]
	v_add_co_u32 v22, vcc_lo, v22, v24
	v_add_co_ci_u32_e64 v23, null, v23, v25, vcc_lo
	global_load_ushort v22, v[22:23], off
	s_waitcnt vmcnt(0)
	v_mul_f16_e32 v22, s24, v22
	v_cvt_f32_f16_e32 v22, v22
	s_branch .LBB275_338
.LBB275_337:
	v_mov_b32_e32 v22, 0
.LBB275_338:
	v_pk_add_f16 v4, v2, v4
	v_pk_add_f16 v5, v3, v5
	v_max_f16_e32 v23, v56, v56
	v_lshrrev_b32_e32 v24, 16, v56
	v_lshrrev_b32_e32 v25, 16, v4
	;; [unrolled: 1-line block ×3, first 2 shown]
	v_min_f16_e32 v4, v23, v4
	v_min3_f16 v23, v24, v25, v26
	v_min3_f16 v4, v4, v5, v23
	v_max_f32_e32 v5, v22, v22
	v_cvt_f32_f16_e32 v4, v4
	v_min_f32_e32 v22, v5, v4
	v_lshlrev_b64 v[4:5], 1, v[46:47]
	v_cvt_f16_f32_e32 v22, v22
	v_add_co_u32 v4, vcc_lo, v20, v4
	v_add_co_ci_u32_e64 v5, null, v21, v5, vcc_lo
	global_store_short v[4:5], v22, off
.LBB275_339:
	s_or_b32 exec_lo, exec_lo, s8
	v_add_nc_u32_e32 v22, 0xe0, v83
	v_mad_i64_i32 v[4:5], null, v22, s14, 0
	v_mad_i64_i32 v[20:21], null, v22, s9, 0
	v_cmp_gt_i32_e64 s8, s13, v22
	v_lshlrev_b64 v[4:5], 1, v[4:5]
	s_and_b32 s9, s0, s8
	v_lshlrev_b64 v[20:21], 1, v[20:21]
	v_add_co_u32 v22, vcc_lo, s16, v4
	v_add_co_ci_u32_e64 v23, null, s17, v5, vcc_lo
	v_add_co_u32 v20, vcc_lo, s10, v20
	v_add_co_ci_u32_e64 v21, null, s11, v21, vcc_lo
	s_and_saveexec_b32 s0, s9
	s_cbranch_execnz .LBB275_348
; %bb.340:
	s_or_b32 exec_lo, exec_lo, s0
	s_and_b32 s1, s1, s8
	s_and_saveexec_b32 s0, s1
	s_cbranch_execnz .LBB275_352
.LBB275_341:
	s_or_b32 exec_lo, exec_lo, s0
	s_and_b32 s1, s2, s8
	s_and_saveexec_b32 s0, s1
	s_cbranch_execnz .LBB275_356
.LBB275_342:
	s_or_b32 exec_lo, exec_lo, s0
	s_and_b32 s1, s3, s8
	s_and_saveexec_b32 s0, s1
	s_cbranch_execnz .LBB275_360
.LBB275_343:
	s_or_b32 exec_lo, exec_lo, s0
	s_and_b32 s1, s4, s8
	s_and_saveexec_b32 s0, s1
	s_cbranch_execnz .LBB275_364
.LBB275_344:
	s_or_b32 exec_lo, exec_lo, s0
	s_and_b32 s1, s5, s8
	s_and_saveexec_b32 s0, s1
	s_cbranch_execnz .LBB275_368
.LBB275_345:
	s_or_b32 exec_lo, exec_lo, s0
	s_and_b32 s1, s6, s8
	s_and_saveexec_b32 s0, s1
	s_cbranch_execnz .LBB275_372
.LBB275_346:
	s_or_b32 exec_lo, exec_lo, s0
	s_and_b32 s0, s7, s8
	s_and_saveexec_b32 s1, s0
	s_cbranch_execnz .LBB275_376
.LBB275_347:
	s_endpgm
.LBB275_348:
	v_cmp_ne_u32_e32 vcc_lo, 1, v75
	v_lshlrev_b64 v[4:5], 1, v[32:33]
	s_cbranch_vccnz .LBB275_350
; %bb.349:
	v_add_co_u32 v24, vcc_lo, v22, v4
	v_add_co_ci_u32_e64 v25, null, v23, v5, vcc_lo
	global_load_ushort v24, v[24:25], off
	s_waitcnt vmcnt(0)
	v_mul_f16_e32 v24, s24, v24
	v_cvt_f32_f16_e32 v24, v24
	s_branch .LBB275_351
.LBB275_350:
	v_mov_b32_e32 v24, 0
.LBB275_351:
	v_pk_add_f16 v16, v16, v6
	v_pk_add_f16 v17, v17, v7
	v_max_f16_e32 v25, v54, v54
	v_lshrrev_b32_e32 v26, 16, v54
	v_add_co_u32 v4, vcc_lo, v20, v4
	v_lshrrev_b32_e32 v27, 16, v16
	v_lshrrev_b32_e32 v28, 16, v17
	v_min_f16_e32 v16, v25, v16
	v_add_co_ci_u32_e64 v5, null, v21, v5, vcc_lo
	v_min3_f16 v25, v26, v27, v28
	v_min3_f16 v16, v16, v17, v25
	v_max_f32_e32 v17, v24, v24
	v_cvt_f32_f16_e32 v16, v16
	v_min_f32_e32 v16, v17, v16
	v_cvt_f16_f32_e32 v16, v16
	global_store_short v[4:5], v16, off
	s_or_b32 exec_lo, exec_lo, s0
	s_and_b32 s1, s1, s8
	s_and_saveexec_b32 s0, s1
	s_cbranch_execz .LBB275_341
.LBB275_352:
	v_cmp_ne_u32_e32 vcc_lo, 1, v75
	v_lshlrev_b64 v[4:5], 1, v[34:35]
	s_cbranch_vccnz .LBB275_354
; %bb.353:
	v_add_co_u32 v16, vcc_lo, v22, v4
	v_add_co_ci_u32_e64 v17, null, v23, v5, vcc_lo
	global_load_ushort v16, v[16:17], off
	s_waitcnt vmcnt(0)
	v_mul_f16_e32 v16, s24, v16
	v_cvt_f32_f16_e32 v16, v16
	s_branch .LBB275_355
.LBB275_354:
	v_mov_b32_e32 v16, 0
.LBB275_355:
	v_pk_add_f16 v17, v18, v6
	v_pk_add_f16 v18, v19, v7
	v_max_f16_e32 v19, v52, v52
	v_lshrrev_b32_e32 v24, 16, v52
	v_max_f32_e32 v16, v16, v16
	v_lshrrev_b32_e32 v25, 16, v17
	v_lshrrev_b32_e32 v26, 16, v18
	v_min_f16_e32 v17, v19, v17
	v_add_co_u32 v4, vcc_lo, v20, v4
	v_add_co_ci_u32_e64 v5, null, v21, v5, vcc_lo
	v_min3_f16 v19, v24, v25, v26
	v_min3_f16 v17, v17, v18, v19
	v_cvt_f32_f16_e32 v17, v17
	v_min_f32_e32 v16, v16, v17
	v_cvt_f16_f32_e32 v16, v16
	global_store_short v[4:5], v16, off
	s_or_b32 exec_lo, exec_lo, s0
	s_and_b32 s1, s2, s8
	s_and_saveexec_b32 s0, s1
	s_cbranch_execz .LBB275_342
.LBB275_356:
	v_cmp_ne_u32_e32 vcc_lo, 1, v75
	v_lshlrev_b64 v[4:5], 1, v[36:37]
	s_cbranch_vccnz .LBB275_358
; %bb.357:
	v_add_co_u32 v16, vcc_lo, v22, v4
	v_add_co_ci_u32_e64 v17, null, v23, v5, vcc_lo
	global_load_ushort v16, v[16:17], off
	s_waitcnt vmcnt(0)
	v_mul_f16_e32 v16, s24, v16
	v_cvt_f32_f16_e32 v16, v16
	s_branch .LBB275_359
.LBB275_358:
	v_mov_b32_e32 v16, 0
.LBB275_359:
	v_pk_add_f16 v12, v12, v6
	v_pk_add_f16 v13, v13, v7
	v_max_f16_e32 v17, v50, v50
	v_lshrrev_b32_e32 v18, 16, v50
	v_add_co_u32 v4, vcc_lo, v20, v4
	v_lshrrev_b32_e32 v19, 16, v12
	v_lshrrev_b32_e32 v24, 16, v13
	v_min_f16_e32 v12, v17, v12
	v_add_co_ci_u32_e64 v5, null, v21, v5, vcc_lo
	v_min3_f16 v17, v18, v19, v24
	v_min3_f16 v12, v12, v13, v17
	v_max_f32_e32 v13, v16, v16
	v_cvt_f32_f16_e32 v12, v12
	v_min_f32_e32 v12, v13, v12
	v_cvt_f16_f32_e32 v12, v12
	global_store_short v[4:5], v12, off
	s_or_b32 exec_lo, exec_lo, s0
	s_and_b32 s1, s3, s8
	s_and_saveexec_b32 s0, s1
	s_cbranch_execz .LBB275_343
.LBB275_360:
	v_cmp_ne_u32_e32 vcc_lo, 1, v75
	v_lshlrev_b64 v[4:5], 1, v[38:39]
	s_cbranch_vccnz .LBB275_362
; %bb.361:
	v_add_co_u32 v12, vcc_lo, v22, v4
	v_add_co_ci_u32_e64 v13, null, v23, v5, vcc_lo
	global_load_ushort v12, v[12:13], off
	s_waitcnt vmcnt(0)
	v_mul_f16_e32 v12, s24, v12
	v_cvt_f32_f16_e32 v12, v12
	s_branch .LBB275_363
.LBB275_362:
	v_mov_b32_e32 v12, 0
.LBB275_363:
	v_pk_add_f16 v13, v14, v6
	v_pk_add_f16 v14, v15, v7
	v_max_f16_e32 v15, v55, v55
	v_lshrrev_b32_e32 v16, 16, v55
	v_max_f32_e32 v12, v12, v12
	v_lshrrev_b32_e32 v17, 16, v13
	v_lshrrev_b32_e32 v18, 16, v14
	v_min_f16_e32 v13, v15, v13
	v_add_co_u32 v4, vcc_lo, v20, v4
	v_add_co_ci_u32_e64 v5, null, v21, v5, vcc_lo
	v_min3_f16 v15, v16, v17, v18
	v_min3_f16 v13, v13, v14, v15
	v_cvt_f32_f16_e32 v13, v13
	v_min_f32_e32 v12, v12, v13
	v_cvt_f16_f32_e32 v12, v12
	global_store_short v[4:5], v12, off
	s_or_b32 exec_lo, exec_lo, s0
	s_and_b32 s1, s4, s8
	s_and_saveexec_b32 s0, s1
	s_cbranch_execz .LBB275_344
.LBB275_364:
	v_cmp_ne_u32_e32 vcc_lo, 1, v75
	v_lshlrev_b64 v[4:5], 1, v[40:41]
	s_cbranch_vccnz .LBB275_366
; %bb.365:
	v_add_co_u32 v12, vcc_lo, v22, v4
	v_add_co_ci_u32_e64 v13, null, v23, v5, vcc_lo
	global_load_ushort v12, v[12:13], off
	s_waitcnt vmcnt(0)
	v_mul_f16_e32 v12, s24, v12
	v_cvt_f32_f16_e32 v12, v12
	s_branch .LBB275_367
.LBB275_366:
	v_mov_b32_e32 v12, 0
.LBB275_367:
	v_pk_add_f16 v8, v8, v6
	v_pk_add_f16 v9, v9, v7
	v_max_f16_e32 v13, v53, v53
	v_lshrrev_b32_e32 v14, 16, v53
	v_add_co_u32 v4, vcc_lo, v20, v4
	v_lshrrev_b32_e32 v15, 16, v8
	v_lshrrev_b32_e32 v16, 16, v9
	v_min_f16_e32 v8, v13, v8
	v_add_co_ci_u32_e64 v5, null, v21, v5, vcc_lo
	v_min3_f16 v13, v14, v15, v16
	v_min3_f16 v8, v8, v9, v13
	v_max_f32_e32 v9, v12, v12
	v_cvt_f32_f16_e32 v8, v8
	v_min_f32_e32 v8, v9, v8
	v_cvt_f16_f32_e32 v8, v8
	global_store_short v[4:5], v8, off
	s_or_b32 exec_lo, exec_lo, s0
	s_and_b32 s1, s5, s8
	s_and_saveexec_b32 s0, s1
	s_cbranch_execz .LBB275_345
.LBB275_368:
	v_cmp_ne_u32_e32 vcc_lo, 1, v75
	v_lshlrev_b64 v[4:5], 1, v[42:43]
	s_cbranch_vccnz .LBB275_370
; %bb.369:
	v_add_co_u32 v8, vcc_lo, v22, v4
	v_add_co_ci_u32_e64 v9, null, v23, v5, vcc_lo
	global_load_ushort v8, v[8:9], off
	s_waitcnt vmcnt(0)
	v_mul_f16_e32 v8, s24, v8
	v_cvt_f32_f16_e32 v8, v8
	s_branch .LBB275_371
.LBB275_370:
	v_mov_b32_e32 v8, 0
.LBB275_371:
	v_pk_add_f16 v9, v10, v6
	v_pk_add_f16 v10, v11, v7
	v_max_f16_e32 v11, v51, v51
	v_lshrrev_b32_e32 v12, 16, v51
	v_max_f32_e32 v8, v8, v8
	v_lshrrev_b32_e32 v13, 16, v9
	v_lshrrev_b32_e32 v14, 16, v10
	v_min_f16_e32 v9, v11, v9
	v_add_co_u32 v4, vcc_lo, v20, v4
	v_add_co_ci_u32_e64 v5, null, v21, v5, vcc_lo
	v_min3_f16 v11, v12, v13, v14
	v_min3_f16 v9, v9, v10, v11
	v_cvt_f32_f16_e32 v9, v9
	v_min_f32_e32 v8, v8, v9
	v_cvt_f16_f32_e32 v8, v8
	global_store_short v[4:5], v8, off
	s_or_b32 exec_lo, exec_lo, s0
	s_and_b32 s1, s6, s8
	s_and_saveexec_b32 s0, s1
	s_cbranch_execz .LBB275_346
.LBB275_372:
	v_cmp_ne_u32_e32 vcc_lo, 1, v75
	v_lshlrev_b64 v[4:5], 1, v[44:45]
	s_cbranch_vccnz .LBB275_374
; %bb.373:
	v_add_co_u32 v8, vcc_lo, v22, v4
	v_add_co_ci_u32_e64 v9, null, v23, v5, vcc_lo
	global_load_ushort v8, v[8:9], off
	s_waitcnt vmcnt(0)
	v_mul_f16_e32 v8, s24, v8
	v_cvt_f32_f16_e32 v8, v8
	s_branch .LBB275_375
.LBB275_374:
	v_mov_b32_e32 v8, 0
.LBB275_375:
	v_pk_add_f16 v0, v0, v6
	v_pk_add_f16 v1, v1, v7
	v_max_f16_e32 v9, v49, v49
	v_lshrrev_b32_e32 v10, 16, v49
	v_lshrrev_b32_e32 v11, 16, v0
	;; [unrolled: 1-line block ×3, first 2 shown]
	v_min_f16_e32 v0, v9, v0
	v_min3_f16 v9, v10, v11, v12
	v_min3_f16 v0, v0, v1, v9
	v_max_f32_e32 v1, v8, v8
	v_cvt_f32_f16_e32 v0, v0
	v_min_f32_e32 v0, v1, v0
	v_cvt_f16_f32_e32 v8, v0
	v_add_co_u32 v0, vcc_lo, v20, v4
	v_add_co_ci_u32_e64 v1, null, v21, v5, vcc_lo
	global_store_short v[0:1], v8, off
	s_or_b32 exec_lo, exec_lo, s0
	s_and_b32 s0, s7, s8
	s_and_saveexec_b32 s1, s0
	s_cbranch_execz .LBB275_347
.LBB275_376:
	v_cmp_ne_u32_e32 vcc_lo, 1, v75
	v_lshlrev_b64 v[0:1], 1, v[46:47]
	s_cbranch_vccnz .LBB275_378
; %bb.377:
	v_add_co_u32 v4, vcc_lo, v22, v0
	v_add_co_ci_u32_e64 v5, null, v23, v1, vcc_lo
	global_load_ushort v4, v[4:5], off
	s_waitcnt vmcnt(0)
	v_mul_f16_e32 v4, s24, v4
	v_cvt_f32_f16_e32 v4, v4
	s_branch .LBB275_379
.LBB275_378:
	v_mov_b32_e32 v4, 0
.LBB275_379:
	v_pk_add_f16 v2, v2, v6
	v_pk_add_f16 v3, v3, v7
	v_max_f16_e32 v5, v48, v48
	v_lshrrev_b32_e32 v6, 16, v48
	v_add_co_u32 v0, vcc_lo, v20, v0
	v_lshrrev_b32_e32 v7, 16, v2
	v_lshrrev_b32_e32 v8, 16, v3
	v_min_f16_e32 v2, v5, v2
	v_add_co_ci_u32_e64 v1, null, v21, v1, vcc_lo
	v_min3_f16 v5, v6, v7, v8
	v_min3_f16 v2, v2, v3, v5
	v_max_f32_e32 v3, v4, v4
	v_cvt_f32_f16_e32 v2, v2
	v_min_f32_e32 v2, v3, v2
	v_cvt_f16_f32_e32 v2, v2
	global_store_short v[0:1], v2, off
	s_endpgm
	.section	.rodata,"a",@progbits
	.p2align	6, 0x0
	.amdhsa_kernel _ZN12_GLOBAL__N_120geam_min_plus_kernelIDF16_Dv2_DF16_S1_Li8ELi32ELi64ELi256ELi4ELi64ELi4ELi64ELi4ELc78ELc84ELb0ELb1ELb1EDF16_KDF16_DF16_EEviiiT16_PT17_ilS5_ilS3_S5_ilPT18_ili26rocblas_geam_ex_operation_
		.amdhsa_group_segment_fixed_size 5120
		.amdhsa_private_segment_fixed_size 0
		.amdhsa_kernarg_size 128
		.amdhsa_user_sgpr_count 6
		.amdhsa_user_sgpr_private_segment_buffer 1
		.amdhsa_user_sgpr_dispatch_ptr 0
		.amdhsa_user_sgpr_queue_ptr 0
		.amdhsa_user_sgpr_kernarg_segment_ptr 1
		.amdhsa_user_sgpr_dispatch_id 0
		.amdhsa_user_sgpr_flat_scratch_init 0
		.amdhsa_user_sgpr_private_segment_size 0
		.amdhsa_wavefront_size32 1
		.amdhsa_uses_dynamic_stack 0
		.amdhsa_system_sgpr_private_segment_wavefront_offset 0
		.amdhsa_system_sgpr_workgroup_id_x 1
		.amdhsa_system_sgpr_workgroup_id_y 0
		.amdhsa_system_sgpr_workgroup_id_z 1
		.amdhsa_system_sgpr_workgroup_info 0
		.amdhsa_system_vgpr_workitem_id 1
		.amdhsa_next_free_vgpr 162
		.amdhsa_next_free_sgpr 32
		.amdhsa_reserve_vcc 1
		.amdhsa_reserve_flat_scratch 0
		.amdhsa_float_round_mode_32 0
		.amdhsa_float_round_mode_16_64 0
		.amdhsa_float_denorm_mode_32 3
		.amdhsa_float_denorm_mode_16_64 3
		.amdhsa_dx10_clamp 1
		.amdhsa_ieee_mode 1
		.amdhsa_fp16_overflow 0
		.amdhsa_workgroup_processor_mode 1
		.amdhsa_memory_ordered 1
		.amdhsa_forward_progress 1
		.amdhsa_shared_vgpr_count 0
		.amdhsa_exception_fp_ieee_invalid_op 0
		.amdhsa_exception_fp_denorm_src 0
		.amdhsa_exception_fp_ieee_div_zero 0
		.amdhsa_exception_fp_ieee_overflow 0
		.amdhsa_exception_fp_ieee_underflow 0
		.amdhsa_exception_fp_ieee_inexact 0
		.amdhsa_exception_int_div_zero 0
	.end_amdhsa_kernel
	.section	.text._ZN12_GLOBAL__N_120geam_min_plus_kernelIDF16_Dv2_DF16_S1_Li8ELi32ELi64ELi256ELi4ELi64ELi4ELi64ELi4ELc78ELc84ELb0ELb1ELb1EDF16_KDF16_DF16_EEviiiT16_PT17_ilS5_ilS3_S5_ilPT18_ili26rocblas_geam_ex_operation_,"axG",@progbits,_ZN12_GLOBAL__N_120geam_min_plus_kernelIDF16_Dv2_DF16_S1_Li8ELi32ELi64ELi256ELi4ELi64ELi4ELi64ELi4ELc78ELc84ELb0ELb1ELb1EDF16_KDF16_DF16_EEviiiT16_PT17_ilS5_ilS3_S5_ilPT18_ili26rocblas_geam_ex_operation_,comdat
.Lfunc_end275:
	.size	_ZN12_GLOBAL__N_120geam_min_plus_kernelIDF16_Dv2_DF16_S1_Li8ELi32ELi64ELi256ELi4ELi64ELi4ELi64ELi4ELc78ELc84ELb0ELb1ELb1EDF16_KDF16_DF16_EEviiiT16_PT17_ilS5_ilS3_S5_ilPT18_ili26rocblas_geam_ex_operation_, .Lfunc_end275-_ZN12_GLOBAL__N_120geam_min_plus_kernelIDF16_Dv2_DF16_S1_Li8ELi32ELi64ELi256ELi4ELi64ELi4ELi64ELi4ELc78ELc84ELb0ELb1ELb1EDF16_KDF16_DF16_EEviiiT16_PT17_ilS5_ilS3_S5_ilPT18_ili26rocblas_geam_ex_operation_
                                        ; -- End function
	.set _ZN12_GLOBAL__N_120geam_min_plus_kernelIDF16_Dv2_DF16_S1_Li8ELi32ELi64ELi256ELi4ELi64ELi4ELi64ELi4ELc78ELc84ELb0ELb1ELb1EDF16_KDF16_DF16_EEviiiT16_PT17_ilS5_ilS3_S5_ilPT18_ili26rocblas_geam_ex_operation_.num_vgpr, 162
	.set _ZN12_GLOBAL__N_120geam_min_plus_kernelIDF16_Dv2_DF16_S1_Li8ELi32ELi64ELi256ELi4ELi64ELi4ELi64ELi4ELc78ELc84ELb0ELb1ELb1EDF16_KDF16_DF16_EEviiiT16_PT17_ilS5_ilS3_S5_ilPT18_ili26rocblas_geam_ex_operation_.num_agpr, 0
	.set _ZN12_GLOBAL__N_120geam_min_plus_kernelIDF16_Dv2_DF16_S1_Li8ELi32ELi64ELi256ELi4ELi64ELi4ELi64ELi4ELc78ELc84ELb0ELb1ELb1EDF16_KDF16_DF16_EEviiiT16_PT17_ilS5_ilS3_S5_ilPT18_ili26rocblas_geam_ex_operation_.numbered_sgpr, 32
	.set _ZN12_GLOBAL__N_120geam_min_plus_kernelIDF16_Dv2_DF16_S1_Li8ELi32ELi64ELi256ELi4ELi64ELi4ELi64ELi4ELc78ELc84ELb0ELb1ELb1EDF16_KDF16_DF16_EEviiiT16_PT17_ilS5_ilS3_S5_ilPT18_ili26rocblas_geam_ex_operation_.num_named_barrier, 0
	.set _ZN12_GLOBAL__N_120geam_min_plus_kernelIDF16_Dv2_DF16_S1_Li8ELi32ELi64ELi256ELi4ELi64ELi4ELi64ELi4ELc78ELc84ELb0ELb1ELb1EDF16_KDF16_DF16_EEviiiT16_PT17_ilS5_ilS3_S5_ilPT18_ili26rocblas_geam_ex_operation_.private_seg_size, 0
	.set _ZN12_GLOBAL__N_120geam_min_plus_kernelIDF16_Dv2_DF16_S1_Li8ELi32ELi64ELi256ELi4ELi64ELi4ELi64ELi4ELc78ELc84ELb0ELb1ELb1EDF16_KDF16_DF16_EEviiiT16_PT17_ilS5_ilS3_S5_ilPT18_ili26rocblas_geam_ex_operation_.uses_vcc, 1
	.set _ZN12_GLOBAL__N_120geam_min_plus_kernelIDF16_Dv2_DF16_S1_Li8ELi32ELi64ELi256ELi4ELi64ELi4ELi64ELi4ELc78ELc84ELb0ELb1ELb1EDF16_KDF16_DF16_EEviiiT16_PT17_ilS5_ilS3_S5_ilPT18_ili26rocblas_geam_ex_operation_.uses_flat_scratch, 0
	.set _ZN12_GLOBAL__N_120geam_min_plus_kernelIDF16_Dv2_DF16_S1_Li8ELi32ELi64ELi256ELi4ELi64ELi4ELi64ELi4ELc78ELc84ELb0ELb1ELb1EDF16_KDF16_DF16_EEviiiT16_PT17_ilS5_ilS3_S5_ilPT18_ili26rocblas_geam_ex_operation_.has_dyn_sized_stack, 0
	.set _ZN12_GLOBAL__N_120geam_min_plus_kernelIDF16_Dv2_DF16_S1_Li8ELi32ELi64ELi256ELi4ELi64ELi4ELi64ELi4ELc78ELc84ELb0ELb1ELb1EDF16_KDF16_DF16_EEviiiT16_PT17_ilS5_ilS3_S5_ilPT18_ili26rocblas_geam_ex_operation_.has_recursion, 0
	.set _ZN12_GLOBAL__N_120geam_min_plus_kernelIDF16_Dv2_DF16_S1_Li8ELi32ELi64ELi256ELi4ELi64ELi4ELi64ELi4ELc78ELc84ELb0ELb1ELb1EDF16_KDF16_DF16_EEviiiT16_PT17_ilS5_ilS3_S5_ilPT18_ili26rocblas_geam_ex_operation_.has_indirect_call, 0
	.section	.AMDGPU.csdata,"",@progbits
; Kernel info:
; codeLenInByte = 23264
; TotalNumSgprs: 34
; NumVgprs: 162
; ScratchSize: 0
; MemoryBound: 0
; FloatMode: 240
; IeeeMode: 1
; LDSByteSize: 5120 bytes/workgroup (compile time only)
; SGPRBlocks: 0
; VGPRBlocks: 20
; NumSGPRsForWavesPerEU: 34
; NumVGPRsForWavesPerEU: 162
; Occupancy: 5
; WaveLimiterHint : 0
; COMPUTE_PGM_RSRC2:SCRATCH_EN: 0
; COMPUTE_PGM_RSRC2:USER_SGPR: 6
; COMPUTE_PGM_RSRC2:TRAP_HANDLER: 0
; COMPUTE_PGM_RSRC2:TGID_X_EN: 1
; COMPUTE_PGM_RSRC2:TGID_Y_EN: 0
; COMPUTE_PGM_RSRC2:TGID_Z_EN: 1
; COMPUTE_PGM_RSRC2:TIDIG_COMP_CNT: 1
	.section	.text._ZN12_GLOBAL__N_120geam_min_plus_kernelIDF16_Dv2_DF16_S1_Li8ELi32ELi64ELi256ELi4ELi4ELi64ELi64ELi4ELc84ELc84ELb0ELb0ELb1EPKDF16_S2_DF16_EEviiiT16_PT17_ilS6_ilS4_S6_ilPT18_ili26rocblas_geam_ex_operation_,"axG",@progbits,_ZN12_GLOBAL__N_120geam_min_plus_kernelIDF16_Dv2_DF16_S1_Li8ELi32ELi64ELi256ELi4ELi4ELi64ELi64ELi4ELc84ELc84ELb0ELb0ELb1EPKDF16_S2_DF16_EEviiiT16_PT17_ilS6_ilS4_S6_ilPT18_ili26rocblas_geam_ex_operation_,comdat
	.globl	_ZN12_GLOBAL__N_120geam_min_plus_kernelIDF16_Dv2_DF16_S1_Li8ELi32ELi64ELi256ELi4ELi4ELi64ELi64ELi4ELc84ELc84ELb0ELb0ELb1EPKDF16_S2_DF16_EEviiiT16_PT17_ilS6_ilS4_S6_ilPT18_ili26rocblas_geam_ex_operation_ ; -- Begin function _ZN12_GLOBAL__N_120geam_min_plus_kernelIDF16_Dv2_DF16_S1_Li8ELi32ELi64ELi256ELi4ELi4ELi64ELi64ELi4ELc84ELc84ELb0ELb0ELb1EPKDF16_S2_DF16_EEviiiT16_PT17_ilS6_ilS4_S6_ilPT18_ili26rocblas_geam_ex_operation_
	.p2align	8
	.type	_ZN12_GLOBAL__N_120geam_min_plus_kernelIDF16_Dv2_DF16_S1_Li8ELi32ELi64ELi256ELi4ELi4ELi64ELi64ELi4ELc84ELc84ELb0ELb0ELb1EPKDF16_S2_DF16_EEviiiT16_PT17_ilS6_ilS4_S6_ilPT18_ili26rocblas_geam_ex_operation_,@function
_ZN12_GLOBAL__N_120geam_min_plus_kernelIDF16_Dv2_DF16_S1_Li8ELi32ELi64ELi256ELi4ELi4ELi64ELi64ELi4ELc84ELc84ELb0ELb0ELb1EPKDF16_S2_DF16_EEviiiT16_PT17_ilS6_ilS4_S6_ilPT18_ili26rocblas_geam_ex_operation_: ; @_ZN12_GLOBAL__N_120geam_min_plus_kernelIDF16_Dv2_DF16_S1_Li8ELi32ELi64ELi256ELi4ELi4ELi64ELi64ELi4ELc84ELc84ELb0ELb0ELb1EPKDF16_S2_DF16_EEviiiT16_PT17_ilS6_ilS4_S6_ilPT18_ili26rocblas_geam_ex_operation_
; %bb.0:
	s_clause 0x1
	s_load_dwordx4 s[0:3], s[4:5], 0x10
	s_load_dwordx4 s[8:11], s[4:5], 0x28
	s_mov_b32 s16, s7
	s_mov_b32 s17, 0
	v_mov_b32_e32 v2, 0
	s_lshl_b64 s[18:19], s[16:17], 1
	s_waitcnt lgkmcnt(0)
	s_add_u32 s0, s0, s18
	s_addc_u32 s1, s1, s19
	global_load_ushort v46, v2, s[0:1]
	s_clause 0x1
	s_load_dwordx4 s[12:15], s[4:5], 0x40
	s_load_dwordx2 s[20:21], s[4:5], 0x50
	s_waitcnt lgkmcnt(0)
	s_add_u32 s22, s14, s18
	s_addc_u32 s23, s15, s19
	s_mov_b64 s[14:15], 0
	s_mov_b64 s[18:19], 0
	s_waitcnt vmcnt(0)
	v_cmp_eq_f16_e32 vcc_lo, 0, v46
	v_cmp_neq_f16_e64 s0, 0, v46
	s_and_b32 s1, exec_lo, vcc_lo
	s_mov_b32 vcc_lo, s1
	s_cbranch_vccnz .LBB276_2
; %bb.1:
	s_mul_i32 s7, s9, s16
	s_mul_hi_u32 s9, s8, s16
	s_mul_i32 s8, s8, s16
	s_add_i32 s9, s9, s7
	s_lshl_b64 s[8:9], s[8:9], 1
	s_add_u32 s18, s2, s8
	s_addc_u32 s19, s3, s9
.LBB276_2:
	global_load_ushort v48, v2, s[22:23]
	v_cndmask_b32_e64 v2, 0, 1, s0
	s_andn2_b32 vcc_lo, exec_lo, s0
	v_cmp_ne_u32_e64 s2, 1, v2
	s_cbranch_vccnz .LBB276_4
; %bb.3:
	s_mul_i32 s0, s13, s16
	s_mul_hi_u32 s3, s12, s16
	s_mul_i32 s8, s12, s16
	s_add_i32 s9, s3, s0
	s_lshl_b64 s[8:9], s[8:9], 1
	s_add_u32 s14, s10, s8
	s_addc_u32 s15, s11, s9
.LBB276_4:
	s_load_dwordx4 s[8:11], s[4:5], 0x60
	s_waitcnt vmcnt(0)
	v_cmp_eq_f16_e32 vcc_lo, 0, v48
	s_and_b32 s0, exec_lo, vcc_lo
	s_mov_b32 vcc_lo, s0
	s_cbranch_vccnz .LBB276_6
; %bb.5:
	s_waitcnt lgkmcnt(0)
	s_mul_i32 s3, s9, s16
	s_mul_hi_u32 s7, s8, s16
	s_mul_i32 s8, s8, s16
	s_add_i32 s9, s7, s3
	s_lshl_b64 s[8:9], s[8:9], 1
	s_add_u32 s8, s20, s8
	s_addc_u32 s9, s21, s9
	s_branch .LBB276_7
.LBB276_6:
	s_waitcnt lgkmcnt(0)
	s_mov_b64 s[8:9], 0
.LBB276_7:
	s_clause 0x1
	s_load_dword s3, s[4:5], 0x0
	s_load_dword s7, s[4:5], 0x20
	v_and_b32_e32 v3, 3, v0
	v_mov_b32_e32 v10, 0
	v_mov_b32_e32 v13, 0
	v_lshlrev_b32_e32 v4, 1, v3
	s_waitcnt lgkmcnt(0)
	s_add_i32 s3, s3, -1
	s_ashr_i32 s12, s3, 31
	s_lshr_b32 s12, s12, 26
	s_add_i32 s3, s3, s12
	s_ashr_i32 s3, s3, 6
	s_add_i32 s12, s3, 1
	s_not_b32 s3, s3
	v_cvt_f32_u32_e32 v2, s12
	v_rcp_iflag_f32_e32 v2, v2
	v_mul_f32_e32 v2, 0x4f7ffffe, v2
	v_cvt_u32_f32_e32 v2, v2
	v_readfirstlane_b32 s13, v2
	v_lshl_add_u32 v2, v1, 3, v0
	s_mul_i32 s3, s3, s13
	v_lshrrev_b32_e32 v8, 2, v2
	s_mul_hi_u32 s3, s13, s3
	s_add_i32 s13, s13, s3
	s_mul_hi_u32 s3, s6, s13
	s_mul_i32 s13, s3, s12
	s_add_i32 s17, s3, 1
	s_sub_i32 s13, s6, s13
	s_sub_i32 s20, s13, s12
	s_cmp_ge_u32 s13, s12
	s_cselect_b32 s3, s17, s3
	s_cselect_b32 s13, s20, s13
	s_add_i32 s17, s3, 1
	s_cmp_ge_u32 s13, s12
	s_cselect_b32 s13, s17, s3
	s_and_b32 vcc_lo, exec_lo, s2
	s_mul_i32 s20, s13, s12
	s_sub_i32 s3, s6, s20
	s_lshl_b32 s3, s3, 6
	v_add_nc_u32_e32 v6, s3, v8
	s_cbranch_vccnz .LBB276_9
; %bb.8:
	v_mad_i64_i32 v[11:12], null, v6, s7, 0
	v_lshlrev_b64 v[11:12], 1, v[11:12]
	v_add_co_u32 v3, vcc_lo, s18, v11
	v_add_co_ci_u32_e64 v5, null, s19, v12, vcc_lo
	v_add_co_u32 v11, vcc_lo, v3, v4
	v_add_co_ci_u32_e64 v12, null, 0, v5, vcc_lo
	global_load_ushort v3, v[11:12], off
	s_waitcnt vmcnt(0)
	v_mul_f16_e32 v13, v46, v3
.LBB276_9:
	s_load_dword s12, s[4:5], 0x38
	v_lshrrev_b32_e32 v5, 6, v2
	v_and_b32_e32 v9, 63, v2
	s_lshl_b32 s17, s13, 8
	v_or_b32_e32 v2, s17, v9
	v_ashrrev_i32_e32 v3, 31, v2
	s_waitcnt lgkmcnt(0)
	v_mad_i64_i32 v[11:12], null, s12, v5, 0
	v_lshlrev_b64 v[11:12], 1, v[11:12]
	v_add_co_u32 v7, vcc_lo, s14, v11
	v_add_co_ci_u32_e64 v12, null, s15, v12, vcc_lo
	s_and_b32 vcc_lo, exec_lo, s2
	s_cbranch_vccnz .LBB276_11
; %bb.10:
	v_lshlrev_b64 v[10:11], 1, v[2:3]
	v_add_co_u32 v10, vcc_lo, v7, v10
	v_add_co_ci_u32_e64 v11, null, v12, v11, vcc_lo
	s_clause 0x1
	global_load_ushort v14, v[10:11], off
	global_load_ushort v10, v[10:11], off offset:128
	s_waitcnt vmcnt(1)
	v_mul_f16_e32 v11, v46, v14
	s_waitcnt vmcnt(0)
	v_mul_f16_e32 v10, v46, v10
	v_pack_b32_f16 v11, v11, 0
	s_branch .LBB276_12
.LBB276_11:
	v_mov_b32_e32 v11, 0
.LBB276_12:
	v_mov_b32_e32 v14, 0
	v_perm_b32 v38, v10, v11, 0x5040100
	s_ashr_i32 s13, s12, 31
	s_mov_b32 vcc_lo, s1
	s_cbranch_vccz .LBB276_14
; %bb.13:
	v_and_b32_e32 v39, 0xffff0000, v14
	v_mov_b32_e32 v11, 0
	v_mov_b32_e32 v10, 0
	s_cbranch_execz .LBB276_15
	s_branch .LBB276_16
.LBB276_14:
	v_mov_b32_e32 v11, 0
	v_mov_b32_e32 v10, 0
.LBB276_15:
	v_lshlrev_b64 v[15:16], 1, v[2:3]
	v_add_co_u32 v15, vcc_lo, v7, v15
	v_add_co_ci_u32_e64 v16, null, v12, v16, vcc_lo
	s_clause 0x1
	global_load_ushort v7, v[15:16], off offset:256
	global_load_ushort v10, v[15:16], off offset:384
	s_waitcnt vmcnt(1)
	v_mul_f16_e32 v7, v46, v7
	s_waitcnt vmcnt(0)
	v_mul_f16_e32 v10, v46, v10
	v_bfi_b32 v39, 0xffff, v7, v14
.LBB276_16:
	s_and_b32 vcc_lo, exec_lo, s2
	s_cbranch_vccnz .LBB276_18
; %bb.17:
	v_mad_i64_i32 v[6:7], null, v6, s7, 0
	v_lshlrev_b64 v[6:7], 1, v[6:7]
	v_add_co_u32 v6, vcc_lo, s18, v6
	v_add_co_ci_u32_e64 v7, null, s19, v7, vcc_lo
	v_add_co_u32 v6, vcc_lo, v6, v4
	v_add_co_ci_u32_e64 v7, null, 0, v7, vcc_lo
	global_load_ushort v6, v[6:7], off offset:8
	s_waitcnt vmcnt(0)
	v_mul_f16_e32 v11, v46, v6
.LBB276_18:
	v_add_nc_u32_e32 v6, 4, v5
	v_mad_i64_i32 v[6:7], null, s12, v6, 0
	v_lshlrev_b64 v[6:7], 1, v[6:7]
	v_add_co_u32 v14, vcc_lo, s14, v6
	v_add_co_ci_u32_e64 v15, null, s15, v7, vcc_lo
	s_and_b32 vcc_lo, exec_lo, s2
	s_cbranch_vccnz .LBB276_21
; %bb.19:
	v_lshlrev_b64 v[6:7], 1, v[2:3]
	v_add_co_u32 v6, vcc_lo, v14, v6
	v_add_co_ci_u32_e64 v7, null, v15, v7, vcc_lo
	s_clause 0x1
	global_load_ushort v12, v[6:7], off
	global_load_ushort v6, v[6:7], off offset:128
	s_waitcnt vmcnt(1)
	v_mul_f16_e32 v7, v46, v12
	s_waitcnt vmcnt(0)
	v_mul_f16_e32 v6, v46, v6
	v_pack_b32_f16 v7, v7, 0
	v_mov_b32_e32 v16, 0
	v_perm_b32 v6, v6, v7, 0x5040100
	s_mov_b32 vcc_lo, s1
	s_cbranch_vccz .LBB276_22
.LBB276_20:
	v_and_b32_e32 v7, 0xffff0000, v16
	v_mov_b32_e32 v12, 0
	s_cbranch_execz .LBB276_23
	s_branch .LBB276_24
.LBB276_21:
	v_mov_b32_e32 v7, 0
	v_mov_b32_e32 v6, 0
	;; [unrolled: 1-line block ×3, first 2 shown]
	v_perm_b32 v6, v6, v7, 0x5040100
	s_mov_b32 vcc_lo, s1
	s_cbranch_vccnz .LBB276_20
.LBB276_22:
	v_mov_b32_e32 v12, 0
.LBB276_23:
	v_lshlrev_b64 v[2:3], 1, v[2:3]
	v_add_co_u32 v2, vcc_lo, v14, v2
	v_add_co_ci_u32_e64 v3, null, v15, v3, vcc_lo
	s_clause 0x1
	global_load_ushort v7, v[2:3], off offset:256
	global_load_ushort v2, v[2:3], off offset:384
	s_waitcnt vmcnt(1)
	v_mul_f16_e32 v3, v46, v7
	s_waitcnt vmcnt(0)
	v_mul_f16_e32 v12, v46, v2
	v_bfi_b32 v7, 0xffff, v3, v16
.LBB276_24:
	v_lshlrev_b32_e32 v3, 3, v9
	v_lshlrev_b32_e32 v89, 3, v0
	v_lshl_or_b32 v2, v8, 3, v4
	v_lshlrev_b32_e32 v85, 3, v1
	s_load_dword s21, s[4:5], 0x8
	v_lshl_add_u32 v47, v5, 1, v3
	v_add_nc_u32_e32 v3, 0x1000, v89
	ds_write_b16 v2, v13 offset:4096
	ds_write_b16 v47, v38
	ds_write_b16_d16_hi v47, v38 offset:512
	ds_write_b16 v47, v39 offset:1024
	ds_write_b16 v47, v10 offset:1536
	s_waitcnt lgkmcnt(0)
	s_barrier
	buffer_gl0_inv
	ds_read2_b64 v[13:16], v3 offset1:8
	ds_read2_b64 v[17:20], v85 offset1:32
	ds_read2_b64 v[21:24], v3 offset0:16 offset1:24
	ds_read2_b64 v[25:28], v3 offset0:32 offset1:40
	;; [unrolled: 1-line block ×4, first 2 shown]
	s_cmp_lt_i32 s21, 9
	s_waitcnt lgkmcnt(4)
	v_pk_add_f16 v3, v13, v17
	v_pk_add_f16 v37, v15, v17
	s_waitcnt lgkmcnt(3)
	v_pk_add_f16 v40, v21, v17
	v_pk_add_f16 v41, v23, v17
	;; [unrolled: 3-line block ×4, first 2 shown]
	v_pk_add_f16 v49, v13, v19
	v_pk_add_f16 v50, v15, v19
	;; [unrolled: 1-line block ×24, first 2 shown]
	s_waitcnt lgkmcnt(0)
	v_pk_add_f16 v73, v13, v33
	v_pk_add_f16 v74, v15, v33
	;; [unrolled: 1-line block ×13, first 2 shown]
	ds_read2_b64 v[17:20], v85 offset0:128 offset1:160
	v_pk_add_f16 v87, v27, v35
	v_pk_add_f16 v88, v29, v35
	;; [unrolled: 1-line block ×19, first 2 shown]
	ds_read2_b64 v[33:36], v85 offset0:192 offset1:224
	v_pk_min_f16 v3, 0x7c00, v3 op_sel_hi:[0,1]
	s_waitcnt lgkmcnt(1)
	v_pk_add_f16 v128, v13, v17
	v_pk_add_f16 v129, v15, v17
	;; [unrolled: 1-line block ×32, first 2 shown]
	s_waitcnt lgkmcnt(0)
	v_pk_add_f16 v156, v13, v33
	v_pk_add_f16 v157, v15, v33
	;; [unrolled: 1-line block ×32, first 2 shown]
	v_pk_min_f16 v36, 0x7c00, v37 op_sel_hi:[0,1]
	v_pk_min_f16 v124, v3, v57
	v_pk_min_f16 v3, 0x7c00, v42 op_sel_hi:[0,1]
	v_pk_min_f16 v37, 0x7c00, v40 op_sel_hi:[0,1]
	;; [unrolled: 1-line block ×3, first 2 shown]
	v_pk_min_f16 v119, v36, v58
	v_pk_min_f16 v36, 0x7c00, v43 op_sel_hi:[0,1]
	v_pk_min_f16 v111, v3, v61
	v_pk_min_f16 v3, 0x7c00, v44 op_sel_hi:[0,1]
	;; [unrolled: 2-line block ×11, first 2 shown]
	v_pk_min_f16 v98, v37, v91
	v_pk_min_f16 v112, v40, v60
	;; [unrolled: 1-line block ×3, first 2 shown]
	v_pk_min_f16 v36, 0x7c00, v76 op_sel_hi:[0,1]
	v_pk_min_f16 v99, v3, v90
	v_pk_min_f16 v3, 0x7c00, v77 op_sel_hi:[0,1]
	v_pk_min_f16 v40, 0x7c00, v49 op_sel_hi:[0,1]
	;; [unrolled: 1-line block ×3, first 2 shown]
	v_pk_min_f16 v96, v36, v93
	v_pk_min_f16 v36, 0x7c00, v78 op_sel_hi:[0,1]
	v_pk_min_f16 v95, v3, v94
	v_pk_min_f16 v3, 0x7c00, v81 op_sel_hi:[0,1]
	v_pk_min_f16 v107, v40, v65
	v_pk_min_f16 v40, 0x7c00, v54 op_sel_hi:[0,1]
	v_pk_min_f16 v94, v36, v115
	v_pk_min_f16 v36, 0x7c00, v82 op_sel_hi:[0,1]
	v_pk_min_f16 v91, v3, v118
	v_pk_min_f16 v3, 0x7c00, v83 op_sel_hi:[0,1]
	v_pk_min_f16 v102, v40, v70
	v_pk_min_f16 v40, 0x7c00, v75 op_sel_hi:[0,1]
	v_pk_min_f16 v90, v36, v120
	v_pk_min_f16 v36, 0x7c00, v87 op_sel_hi:[0,1]
	v_pk_min_f16 v87, v3, v121
	v_pk_min_f16 v3, 0x7c00, v88 op_sel_hi:[0,1]
	v_pk_min_f16 v73, v17, v18
	v_pk_min_f16 v17, 0x7c00, v136 op_sel_hi:[0,1]
	v_pk_min_f16 v97, v40, v92
	v_pk_min_f16 v37, 0x7c00, v79 op_sel_hi:[0,1]
	v_pk_min_f16 v82, v3, v126
	v_pk_min_f16 v3, 0x7c00, v130 op_sel_hi:[0,1]
	v_pk_min_f16 v40, 0x7c00, v80 op_sel_hi:[0,1]
	v_pk_min_f16 v71, v17, v150
	v_pk_min_f16 v17, 0x7c00, v140 op_sel_hi:[0,1]
	v_pk_min_f16 v93, v37, v116
	v_pk_min_f16 v78, v3, v144
	v_pk_min_f16 v3, 0x7c00, v132 op_sel_hi:[0,1]
	v_pk_min_f16 v92, v40, v117
	v_pk_min_f16 v37, 0x7c00, v84 op_sel_hi:[0,1]
	v_pk_min_f16 v40, 0x7c00, v86 op_sel_hi:[0,1]
	v_pk_min_f16 v83, v36, v125
	v_pk_min_f16 v76, v3, v146
	v_pk_min_f16 v3, 0x7c00, v135 op_sel_hi:[0,1]
	v_pk_min_f16 v36, 0x7c00, v114 op_sel_hi:[0,1]
	;; [unrolled: 1-line block ×3, first 2 shown]
	v_pk_min_f16 v67, v17, v154
	v_pk_min_f16 v17, 0x7c00, v157 op_sel_hi:[0,1]
	v_pk_min_f16 v72, v3, v149
	v_pk_min_f16 v3, 0x7c00, v139 op_sel_hi:[0,1]
	v_pk_min_f16 v86, v37, v122
	v_pk_min_f16 v84, v40, v123
	v_pk_min_f16 v37, 0x7c00, v128 op_sel_hi:[0,1]
	v_pk_min_f16 v40, 0x7c00, v129 op_sel_hi:[0,1]
	v_pk_min_f16 v68, v3, v153
	v_pk_min_f16 v3, 0x7c00, v141 op_sel_hi:[0,1]
	v_pk_min_f16 v81, v36, v127
	v_pk_min_f16 v36, 0x7c00, v131 op_sel_hi:[0,1]
	v_pk_min_f16 v70, v18, v151
	v_pk_min_f16 v18, 0x7c00, v19 op_sel_hi:[0,1]
	v_pk_min_f16 v66, v3, v155
	v_pk_min_f16 v3, 0x7c00, v160 op_sel_hi:[0,1]
	v_pk_min_f16 v19, 0x7c00, v156 op_sel_hi:[0,1]
	v_pk_min_f16 v63, v17, v159
	v_pk_min_f16 v17, 0x7c00, v161 op_sel_hi:[0,1]
	v_pk_min_f16 v80, v37, v142
	v_pk_min_f16 v62, v3, v162
	v_pk_min_f16 v3, 0x7c00, v168 op_sel_hi:[0,1]
	v_pk_min_f16 v79, v40, v143
	v_pk_min_f16 v37, 0x7c00, v133 op_sel_hi:[0,1]
	v_pk_min_f16 v40, 0x7c00, v134 op_sel_hi:[0,1]
	v_pk_min_f16 v77, v36, v145
	v_pk_min_f16 v58, v3, v35
	v_pk_min_f16 v3, 0x7c00, v13 op_sel_hi:[0,1]
	v_pk_min_f16 v13, 0x7c00, v15 op_sel_hi:[0,1]
	;; [unrolled: 1-line block ×4, first 2 shown]
	v_pk_min_f16 v65, v18, v20
	v_pk_min_f16 v64, v19, v158
	v_pk_min_f16 v18, 0x7c00, v164 op_sel_hi:[0,1]
	v_pk_min_f16 v19, 0x7c00, v165 op_sel_hi:[0,1]
	v_pk_min_f16 v61, v17, v163
	v_pk_min_f16 v17, 0x7c00, v33 op_sel_hi:[0,1]
	v_pk_min_f16 v56, v3, v14
	v_pk_min_f16 v55, v13, v16
	;; [unrolled: 1-line block ×3, first 2 shown]
	v_pk_min_f16 v3, 0x7c00, v23 op_sel_hi:[0,1]
	v_pk_min_f16 v13, 0x7c00, v25 op_sel_hi:[0,1]
	;; [unrolled: 1-line block ×5, first 2 shown]
	v_pk_min_f16 v75, v37, v147
	v_pk_min_f16 v74, v40, v148
	;; [unrolled: 1-line block ×11, first 2 shown]
	ds_write_b16 v2, v11 offset:4608
	ds_write_b16 v47, v6 offset:2048
	ds_write_b16_d16_hi v47, v6 offset:2560
	ds_write_b16 v47, v7 offset:3072
	ds_write_b16 v47, v12 offset:3584
	s_waitcnt lgkmcnt(0)
	s_barrier
	buffer_gl0_inv
	s_cbranch_scc1 .LBB276_47
; %bb.25:
	v_lshl_add_u32 v3, s6, 6, v8
	s_lshl_b32 s6, s20, 6
	v_add_nc_u32_e32 v88, 0x1000, v2
	v_add_nc_u32_e32 v115, 0x1200, v2
	v_perm_b32 v39, v10, v39, 0x5040100
	v_subrev_nc_u32_e32 v3, s6, v3
	v_add_nc_u32_e32 v10, 8, v5
	v_add_nc_u32_e32 v5, 12, v5
	v_perm_b32 v7, v12, v7, 0x5040100
	v_add_nc_u32_e32 v8, s17, v9
	v_mad_i64_i32 v[2:3], null, s7, v3, 0
	v_mad_i64_i32 v[10:11], null, v10, s12, 0
	v_ashrrev_i32_e32 v9, 31, v8
	v_or_b32_e32 v114, 0x1000, v89
	v_or_b32_e32 v116, 0x800, v47
	v_lshl_add_u32 v117, v0, 3, 0x1200
	v_lshlrev_b64 v[2:3], 1, v[2:3]
	v_lshlrev_b64 v[42:43], 1, v[8:9]
	v_lshl_or_b32 v118, v1, 3, 0x800
	s_lshl_b64 s[6:7], s[12:13], 4
	v_add_co_u32 v4, vcc_lo, v2, v4
	v_add_co_ci_u32_e64 v12, null, 0, v3, vcc_lo
	v_mad_i64_i32 v[2:3], null, v5, s12, 0
	v_add_co_u32 v13, vcc_lo, s18, v4
	v_lshlrev_b64 v[4:5], 1, v[10:11]
	v_add_co_ci_u32_e64 v12, null, s19, v12, vcc_lo
	v_add_co_u32 v40, vcc_lo, v13, 16
	v_lshlrev_b64 v[2:3], 1, v[2:3]
	v_add_co_ci_u32_e64 v41, null, 0, v12, vcc_lo
	v_add_co_u32 v120, vcc_lo, s14, v4
	v_add_co_ci_u32_e64 v121, null, s15, v5, vcc_lo
	v_add_co_u32 v122, vcc_lo, s14, v2
	v_add_co_ci_u32_e64 v123, null, s15, v3, vcc_lo
	s_add_i32 s14, s21, -8
	s_mov_b32 s12, 0
	v_mov_b32_e32 v8, 0
	s_and_b32 vcc_lo, exec_lo, s2
	s_cbranch_vccz .LBB276_27
	s_branch .LBB276_28
.LBB276_26:                             ;   in Loop: Header=BB276_28 Depth=1
	v_mov_b32_e32 v6, v44
	v_mov_b32_e32 v8, 0
	s_and_b32 vcc_lo, exec_lo, s2
	s_cbranch_vccnz .LBB276_28
.LBB276_27:
	global_load_ushort v2, v[40:41], off
	s_waitcnt vmcnt(0)
	v_mul_f16_e32 v8, v46, v2
.LBB276_28:                             ; =>This Inner Loop Header: Depth=1
	s_mov_b32 s13, -1
	s_mov_b32 vcc_lo, s1
                                        ; implicit-def: $vgpr2_vgpr3
	s_cbranch_vccz .LBB276_32
; %bb.29:                               ;   in Loop: Header=BB276_28 Depth=1
	v_and_b32_e32 v2, 0xffff0000, v38
	v_mov_b32_e32 v3, v39
	v_mov_b32_e32 v4, 0
	s_cbranch_execz .LBB276_33
.LBB276_30:                             ;   in Loop: Header=BB276_28 Depth=1
	v_perm_b32 v38, v4, v2, 0x5040100
	s_mov_b32 s13, -1
	s_mov_b32 vcc_lo, s1
	s_cbranch_vccz .LBB276_34
.LBB276_31:                             ;   in Loop: Header=BB276_28 Depth=1
	v_and_b32_e32 v39, 0xffff0000, v3
	v_mov_b32_e32 v125, 0
	v_mov_b32_e32 v128, 0
	s_cbranch_execz .LBB276_35
	s_branch .LBB276_36
.LBB276_32:                             ;   in Loop: Header=BB276_28 Depth=1
	v_mov_b32_e32 v4, 0
	s_andn2_b32 vcc_lo, exec_lo, s13
	s_cbranch_vccnz .LBB276_30
.LBB276_33:                             ;   in Loop: Header=BB276_28 Depth=1
	v_add_co_u32 v2, vcc_lo, v120, v42
	v_add_co_ci_u32_e64 v3, null, v121, v43, vcc_lo
	s_clause 0x1
	global_load_ushort v4, v[2:3], off
	global_load_ushort v2, v[2:3], off offset:128
	s_waitcnt vmcnt(1)
	v_mul_f16_e32 v3, v46, v4
	s_waitcnt vmcnt(0)
	v_mul_f16_e32 v4, v46, v2
	v_bfi_b32 v38, 0xffff, v3, v38
	v_mov_b32_e32 v2, v38
	v_mov_b32_e32 v3, v39
	v_perm_b32 v38, v4, v2, 0x5040100
	s_mov_b32 s13, -1
	s_mov_b32 vcc_lo, s1
	s_cbranch_vccnz .LBB276_31
.LBB276_34:                             ;   in Loop: Header=BB276_28 Depth=1
	v_mov_b32_e32 v125, 0
	v_mov_b32_e32 v128, 0
	s_andn2_b32 vcc_lo, exec_lo, s13
	s_cbranch_vccnz .LBB276_36
.LBB276_35:                             ;   in Loop: Header=BB276_28 Depth=1
	v_add_co_u32 v4, vcc_lo, v120, v42
	v_add_co_ci_u32_e64 v5, null, v121, v43, vcc_lo
	s_clause 0x1
	global_load_ushort v2, v[4:5], off offset:256
	global_load_ushort v4, v[4:5], off offset:384
	s_waitcnt vmcnt(1)
	v_mul_f16_e32 v2, v46, v2
	s_waitcnt vmcnt(0)
	v_mul_f16_e32 v128, v46, v4
	v_bfi_b32 v39, 0xffff, v2, v3
.LBB276_36:                             ;   in Loop: Header=BB276_28 Depth=1
	ds_read2_b64 v[17:20], v117 offset1:8
	ds_read2_b64 v[2:5], v117 offset0:16 offset1:24
	ds_read2_b64 v[9:12], v117 offset0:32 offset1:40
	;; [unrolled: 1-line block ×3, first 2 shown]
	ds_read2_b64 v[34:37], v118 offset1:32
	ds_read2_b64 v[30:33], v118 offset0:64 offset1:96
	ds_read2_b64 v[26:29], v118 offset0:128 offset1:160
	;; [unrolled: 1-line block ×3, first 2 shown]
	s_and_b32 vcc_lo, exec_lo, s2
	ds_write_b16 v88, v8
	ds_write_b16 v47, v38
	ds_write_b16_d16_hi v47, v38 offset:512
	ds_write_b16 v47, v39 offset:1024
	ds_write_b16 v47, v128 offset:1536
	s_waitcnt lgkmcnt(0)
	s_barrier
	buffer_gl0_inv
	s_cbranch_vccnz .LBB276_38
; %bb.37:                               ;   in Loop: Header=BB276_28 Depth=1
	global_load_ushort v8, v[40:41], off offset:8
	s_waitcnt vmcnt(0)
	v_mul_f16_e32 v125, v46, v8
.LBB276_38:                             ;   in Loop: Header=BB276_28 Depth=1
	s_mov_b32 s13, -1
	s_mov_b32 vcc_lo, s1
                                        ; implicit-def: $vgpr44_vgpr45
	s_cbranch_vccz .LBB276_40
; %bb.39:                               ;   in Loop: Header=BB276_28 Depth=1
	v_and_b32_e32 v44, 0xffff0000, v6
	v_mov_b32_e32 v45, v7
	v_mov_b32_e32 v8, 0
	s_cbranch_execnz .LBB276_42
	s_branch .LBB276_41
.LBB276_40:                             ;   in Loop: Header=BB276_28 Depth=1
	v_mov_b32_e32 v8, 0
	s_andn2_b32 vcc_lo, exec_lo, s13
	s_cbranch_vccnz .LBB276_42
.LBB276_41:                             ;   in Loop: Header=BB276_28 Depth=1
	v_add_co_u32 v44, vcc_lo, v122, v42
	v_add_co_ci_u32_e64 v45, null, v123, v43, vcc_lo
	s_clause 0x1
	global_load_ushort v8, v[44:45], off
	global_load_ushort v21, v[44:45], off offset:128
	s_waitcnt vmcnt(1)
	v_mul_f16_e32 v8, v46, v8
	v_bfi_b32 v6, 0xffff, v8, v6
	v_mov_b32_e32 v45, v7
	s_waitcnt vmcnt(0)
	v_mul_f16_e32 v8, v46, v21
	v_mov_b32_e32 v44, v6
.LBB276_42:                             ;   in Loop: Header=BB276_28 Depth=1
	v_perm_b32 v44, v8, v44, 0x5040100
	s_mov_b32 s13, -1
	s_mov_b32 vcc_lo, s1
                                        ; implicit-def: $vgpr126
	s_cbranch_vccz .LBB276_44
; %bb.43:                               ;   in Loop: Header=BB276_28 Depth=1
	v_and_b32_e32 v126, 0xffff0000, v45
	v_mov_b32_e32 v127, 0
	s_cbranch_execz .LBB276_45
	s_branch .LBB276_46
.LBB276_44:                             ;   in Loop: Header=BB276_28 Depth=1
	v_mov_b32_e32 v127, 0
	s_andn2_b32 vcc_lo, exec_lo, s13
	s_cbranch_vccnz .LBB276_46
.LBB276_45:                             ;   in Loop: Header=BB276_28 Depth=1
	v_add_co_u32 v6, vcc_lo, v122, v42
	v_add_co_ci_u32_e64 v7, null, v123, v43, vcc_lo
	s_clause 0x1
	global_load_ushort v8, v[6:7], off offset:256
	global_load_ushort v6, v[6:7], off offset:384
	s_waitcnt vmcnt(1)
	v_mul_f16_e32 v7, v46, v8
	s_waitcnt vmcnt(0)
	v_mul_f16_e32 v127, v46, v6
	v_bfi_b32 v126, 0xffff, v7, v45
.LBB276_46:                             ;   in Loop: Header=BB276_28 Depth=1
	v_pk_add_f16 v6, v17, v34
	v_pk_max_f16 v7, v124, v124
	v_pk_add_f16 v8, v19, v34
	v_pk_max_f16 v21, v119, v119
	v_pk_add_f16 v45, v2, v34
	v_pk_max_f16 v112, v112, v112
	v_pk_min_f16 v6, v7, v6
	v_pk_max_f16 v7, v113, v113
	v_pk_add_f16 v113, v4, v34
	v_pk_add_f16 v119, v9, v34
	v_pk_max_f16 v111, v111, v111
	v_pk_add_f16 v124, v11, v34
	v_pk_min_f16 v8, v21, v8
	v_pk_min_f16 v7, v7, v45
	;; [unrolled: 1-line block ×4, first 2 shown]
	v_pk_add_f16 v111, v13, v34
	v_pk_max_f16 v109, v109, v109
	v_pk_add_f16 v34, v15, v34
	v_pk_max_f16 v108, v108, v108
	;; [unrolled: 2-line block ×4, first 2 shown]
	v_pk_add_f16 v119, v2, v36
	v_pk_min_f16 v109, v109, v111
	v_pk_min_f16 v34, v108, v34
	;; [unrolled: 1-line block ×4, first 2 shown]
	v_pk_add_f16 v108, v4, v36
	v_pk_max_f16 v104, v104, v104
	v_pk_add_f16 v111, v9, v36
	v_pk_add_f16 v112, v11, v36
	;; [unrolled: 1-line block ×4, first 2 shown]
	v_pk_max_f16 v100, v100, v100
	v_pk_max_f16 v103, v103, v103
	;; [unrolled: 1-line block ×4, first 2 shown]
	v_pk_min_f16 v104, v104, v108
	v_pk_min_f16 v36, v100, v36
	v_pk_add_f16 v100, v17, v30
	v_pk_max_f16 v99, v99, v99
	v_pk_add_f16 v108, v19, v30
	v_pk_max_f16 v98, v98, v98
	v_pk_min_f16 v103, v103, v111
	v_pk_min_f16 v102, v102, v112
	;; [unrolled: 1-line block ×3, first 2 shown]
	v_pk_add_f16 v111, v2, v30
	v_pk_max_f16 v97, v97, v97
	v_pk_add_f16 v112, v4, v30
	v_pk_max_f16 v96, v96, v96
	v_pk_add_f16 v113, v9, v30
	v_pk_min_f16 v99, v99, v100
	v_pk_min_f16 v98, v98, v108
	v_pk_add_f16 v100, v11, v30
	v_pk_max_f16 v94, v94, v94
	v_pk_add_f16 v108, v13, v30
	v_pk_add_f16 v30, v15, v30
	v_pk_max_f16 v92, v92, v92
	v_pk_min_f16 v97, v97, v111
	v_pk_min_f16 v96, v96, v112
	v_pk_max_f16 v93, v93, v93
	v_pk_add_f16 v111, v17, v32
	v_pk_max_f16 v91, v91, v91
	v_pk_add_f16 v112, v19, v32
	v_pk_max_f16 v90, v90, v90
	v_pk_min_f16 v94, v94, v100
	v_pk_min_f16 v30, v92, v30
	v_pk_add_f16 v92, v2, v32
	v_pk_max_f16 v87, v87, v87
	v_pk_add_f16 v100, v4, v32
	v_pk_max_f16 v86, v86, v86
	v_pk_min_f16 v93, v93, v108
	v_pk_min_f16 v91, v91, v111
	;; [unrolled: 1-line block ×3, first 2 shown]
	v_pk_add_f16 v108, v9, v32
	v_pk_max_f16 v84, v84, v84
	v_pk_add_f16 v111, v11, v32
	v_pk_max_f16 v83, v83, v83
	v_pk_add_f16 v112, v13, v32
	v_pk_min_f16 v87, v87, v92
	v_pk_min_f16 v86, v86, v100
	v_pk_add_f16 v32, v15, v32
	v_pk_max_f16 v81, v81, v81
	v_pk_add_f16 v92, v17, v26
	v_pk_max_f16 v80, v80, v80
	;; [unrolled: 2-line block ×3, first 2 shown]
	v_pk_min_f16 v84, v84, v108
	v_pk_min_f16 v83, v83, v111
	v_pk_add_f16 v108, v2, v26
	v_pk_max_f16 v78, v78, v78
	v_pk_add_f16 v111, v4, v26
	v_pk_min_f16 v32, v81, v32
	v_pk_min_f16 v80, v80, v92
	v_pk_min_f16 v79, v79, v100
	v_pk_add_f16 v81, v9, v26
	v_pk_max_f16 v76, v76, v76
	v_pk_add_f16 v92, v11, v26
	v_pk_max_f16 v75, v75, v75
	v_pk_add_f16 v100, v13, v26
	v_pk_add_f16 v26, v15, v26
	v_pk_max_f16 v73, v73, v73
	v_pk_min_f16 v78, v78, v108
	v_pk_max_f16 v74, v74, v74
	v_pk_add_f16 v108, v17, v28
	v_pk_max_f16 v72, v72, v72
	v_pk_min_f16 v76, v76, v81
	v_pk_min_f16 v75, v75, v92
	;; [unrolled: 1-line block ×3, first 2 shown]
	v_pk_add_f16 v73, v19, v28
	v_pk_max_f16 v71, v71, v71
	v_pk_add_f16 v81, v2, v28
	v_pk_max_f16 v70, v70, v70
	;; [unrolled: 2-line block ×3, first 2 shown]
	v_pk_min_f16 v74, v74, v100
	v_pk_min_f16 v72, v72, v108
	v_pk_add_f16 v100, v9, v28
	v_pk_add_f16 v108, v11, v28
	v_pk_min_f16 v71, v71, v73
	v_pk_min_f16 v70, v70, v81
	;; [unrolled: 1-line block ×3, first 2 shown]
	v_pk_add_f16 v73, v13, v28
	v_pk_max_f16 v66, v66, v66
	v_pk_add_f16 v28, v15, v28
	v_pk_max_f16 v65, v65, v65
	;; [unrolled: 2-line block ×4, first 2 shown]
	v_pk_max_f16 v68, v68, v68
	v_pk_min_f16 v66, v66, v73
	v_pk_min_f16 v28, v65, v28
	;; [unrolled: 1-line block ×4, first 2 shown]
	v_pk_add_f16 v65, v4, v22
	v_pk_max_f16 v61, v61, v61
	v_pk_add_f16 v73, v9, v22
	v_pk_max_f16 v60, v60, v60
	;; [unrolled: 2-line block ×6, first 2 shown]
	v_pk_max_f16 v67, v67, v67
	v_pk_min_f16 v68, v68, v100
	v_pk_add_f16 v100, v2, v22
	v_pk_max_f16 v62, v62, v62
	v_pk_add_f16 v22, v15, v22
	v_pk_min_f16 v61, v61, v65
	v_pk_min_f16 v60, v60, v73
	;; [unrolled: 1-line block ×4, first 2 shown]
	v_pk_add_f16 v17, v17, v24
	v_pk_add_f16 v19, v19, v24
	;; [unrolled: 1-line block ×3, first 2 shown]
	v_pk_min_f16 v81, v53, v4
	v_pk_min_f16 v92, v52, v9
	v_pk_add_f16 v4, v11, v24
	v_pk_max_f16 v9, v51, v51
	v_pk_add_f16 v11, v13, v24
	v_pk_add_f16 v15, v15, v24
	v_pk_max_f16 v24, v49, v49
	v_pk_add_f16 v49, v18, v35
	v_pk_max_f16 v82, v82, v82
	v_pk_max_f16 v77, v77, v77
	v_pk_min_f16 v67, v67, v108
	v_pk_min_f16 v62, v62, v100
	;; [unrolled: 1-line block ×3, first 2 shown]
	v_pk_add_f16 v4, v20, v35
	v_pk_min_f16 v108, v6, v49
	v_pk_add_f16 v6, v3, v35
	v_pk_max_f16 v95, v95, v95
	v_pk_min_f16 v82, v82, v112
	v_pk_min_f16 v77, v77, v111
	;; [unrolled: 1-line block ×3, first 2 shown]
	v_pk_add_f16 v4, v5, v35
	v_pk_min_f16 v112, v7, v6
	v_pk_add_f16 v6, v14, v35
	v_pk_min_f16 v95, v95, v113
	v_pk_max_f16 v105, v105, v105
	v_pk_min_f16 v113, v21, v4
	v_pk_add_f16 v4, v16, v35
	v_pk_min_f16 v109, v109, v6
	v_pk_add_f16 v6, v18, v37
	v_pk_add_f16 v8, v10, v35
	v_pk_min_f16 v105, v105, v119
	v_pk_min_f16 v133, v34, v4
	v_pk_add_f16 v4, v5, v37
	v_pk_min_f16 v107, v107, v6
	v_pk_add_f16 v6, v10, v37
	;; [unrolled: 2-line block ×5, first 2 shown]
	v_pk_add_f16 v7, v20, v37
	v_pk_min_f16 v105, v105, v8
	v_pk_min_f16 v102, v102, v4
	v_pk_add_f16 v4, v20, v31
	v_pk_min_f16 v99, v99, v6
	v_pk_add_f16 v6, v3, v31
	v_pk_add_f16 v8, v16, v37
	v_pk_min_f16 v106, v106, v7
	v_pk_min_f16 v98, v98, v4
	v_pk_add_f16 v4, v12, v31
	v_pk_min_f16 v97, v97, v6
	v_pk_add_f16 v6, v14, v31
	;; [unrolled: 6-line block ×4, first 2 shown]
	v_pk_add_f16 v7, v5, v31
	v_pk_min_f16 v95, v95, v8
	v_pk_add_f16 v8, v20, v33
	v_pk_min_f16 v86, v86, v4
	;; [unrolled: 2-line block ×3, first 2 shown]
	v_pk_add_f16 v6, v18, v27
	v_pk_max_f16 v57, v57, v57
	v_pk_min_f16 v96, v96, v7
	v_pk_add_f16 v7, v18, v33
	v_pk_min_f16 v90, v90, v8
	v_pk_add_f16 v8, v14, v33
	;; [unrolled: 2-line block ×4, first 2 shown]
	v_pk_min_f16 v22, v57, v22
	v_pk_min_f16 v91, v91, v7
	v_pk_add_f16 v7, v12, v33
	v_pk_min_f16 v82, v82, v8
	v_pk_add_f16 v8, v5, v27
	;; [unrolled: 2-line block ×4, first 2 shown]
	v_pk_max_f16 v55, v55, v55
	v_pk_max_f16 v54, v54, v54
	v_pk_min_f16 v83, v83, v7
	v_pk_add_f16 v7, v3, v27
	v_pk_min_f16 v77, v77, v8
	v_pk_add_f16 v8, v18, v29
	v_pk_min_f16 v59, v75, v4
	v_pk_add_f16 v4, v20, v29
	v_pk_min_f16 v58, v74, v6
	v_pk_add_f16 v6, v3, v29
	v_pk_max_f16 v56, v56, v56
	v_pk_min_f16 v19, v55, v19
	v_pk_min_f16 v2, v54, v2
	v_pk_min_f16 v78, v78, v7
	v_pk_add_f16 v7, v16, v27
	v_pk_min_f16 v54, v72, v8
	v_pk_min_f16 v53, v71, v4
	v_pk_add_f16 v4, v5, v29
	v_pk_add_f16 v8, v12, v29
	v_pk_min_f16 v55, v70, v6
	v_pk_add_f16 v6, v14, v29
	v_pk_min_f16 v17, v56, v17
	v_pk_max_f16 v13, v50, v50
	v_pk_min_f16 v56, v26, v7
	v_pk_add_f16 v7, v10, v29
	v_pk_min_f16 v52, v69, v4
	v_pk_min_f16 v50, v67, v8
	v_pk_add_f16 v4, v16, v29
	v_pk_min_f16 v49, v66, v6
	v_pk_add_f16 v6, v18, v23
	v_pk_add_f16 v8, v3, v23
	;; [unrolled: 1-line block ×3, first 2 shown]
	v_pk_min_f16 v51, v68, v7
	v_pk_add_f16 v7, v20, v23
	v_pk_min_f16 v45, v28, v4
	v_pk_add_f16 v4, v5, v23
	v_pk_min_f16 v37, v64, v6
	v_pk_min_f16 v35, v62, v8
	v_pk_add_f16 v6, v10, v23
	v_pk_add_f16 v8, v16, v23
	v_pk_min_f16 v11, v13, v11
	v_pk_min_f16 v13, v24, v15
	;; [unrolled: 1-line block ×4, first 2 shown]
	v_pk_add_f16 v4, v12, v23
	v_pk_add_f16 v7, v14, v23
	v_pk_min_f16 v31, v60, v6
	v_pk_min_f16 v26, v22, v8
	ds_read2_b64 v[21:24], v114 offset1:8
	ds_read2_b64 v[60:63], v85 offset1:32
	v_pk_min_f16 v29, v65, v4
	v_pk_add_f16 v4, v20, v25
	v_pk_add_f16 v3, v3, v25
	v_pk_add_f16 v28, v5, v25
	v_pk_add_f16 v6, v18, v25
	v_pk_max_f16 v110, v110, v110
	v_pk_min_f16 v34, v19, v4
	v_pk_min_f16 v33, v2, v3
	ds_read2_b64 v[2:5], v114 offset0:48 offset1:56
	v_pk_min_f16 v15, v17, v6
	ds_read2_b64 v[17:20], v114 offset0:16 offset1:24
	v_pk_max_f16 v108, v108, v108
	v_pk_max_f16 v111, v111, v111
	v_pk_min_f16 v110, v110, v124
	v_pk_min_f16 v27, v73, v7
	v_pk_add_f16 v12, v12, v25
	v_pk_add_f16 v14, v14, v25
	;; [unrolled: 1-line block ×3, first 2 shown]
	v_pk_min_f16 v110, v110, v9
	s_waitcnt lgkmcnt(2)
	v_pk_add_f16 v68, v21, v60
	v_pk_add_f16 v69, v23, v60
	;; [unrolled: 1-line block ×3, first 2 shown]
	ds_read2_b64 v[6:9], v114 offset0:32 offset1:40
	v_pk_add_f16 v75, v21, v62
	v_pk_min_f16 v68, v108, v68
	v_pk_add_f16 v108, v24, v61
	v_pk_min_f16 v69, v111, v69
	v_pk_max_f16 v111, v113, v113
	s_waitcnt lgkmcnt(2)
	v_pk_add_f16 v74, v2, v60
	v_pk_min_f16 v124, v68, v119
	v_pk_add_f16 v150, v3, v61
	v_pk_min_f16 v119, v69, v108
	v_pk_max_f16 v108, v109, v109
	s_waitcnt lgkmcnt(1)
	v_pk_add_f16 v71, v19, v60
	v_pk_add_f16 v147, v20, v61
	;; [unrolled: 1-line block ×3, first 2 shown]
	v_pk_min_f16 v32, v81, v28
	v_pk_min_f16 v74, v108, v74
	v_pk_min_f16 v71, v111, v71
	v_pk_add_f16 v81, v17, v62
	v_pk_max_f16 v68, v112, v112
	v_pk_add_f16 v10, v10, v25
	v_pk_min_f16 v109, v74, v150
	v_pk_max_f16 v74, v107, v107
	s_waitcnt lgkmcnt(0)
	v_pk_add_f16 v73, v8, v60
	v_pk_min_f16 v112, v71, v147
	v_pk_max_f16 v71, v110, v110
	v_pk_min_f16 v25, v100, v12
	v_pk_min_f16 v74, v74, v75
	;; [unrolled: 1-line block ×4, first 2 shown]
	ds_read2_b64 v[64:67], v85 offset0:64 offset1:96
	v_pk_add_f16 v100, v6, v62
	v_pk_min_f16 v107, v74, v151
	v_pk_max_f16 v74, v105, v105
	v_pk_add_f16 v149, v9, v61
	v_pk_add_f16 v153, v18, v63
	v_pk_min_f16 v71, v71, v73
	v_pk_max_f16 v75, v103, v103
	v_pk_min_f16 v74, v74, v81
	v_pk_add_f16 v70, v17, v60
	v_pk_add_f16 v72, v6, v60
	v_pk_add_f16 v60, v4, v60
	v_pk_add_f16 v155, v7, v63
	v_pk_min_f16 v110, v71, v149
	v_pk_max_f16 v71, v133, v133
	v_pk_min_f16 v105, v74, v153
	v_pk_min_f16 v74, v75, v100
	v_pk_add_f16 v76, v23, v62
	v_pk_add_f16 v138, v2, v62
	;; [unrolled: 1-line block ×5, first 2 shown]
	v_pk_min_f16 v60, v71, v60
	v_pk_max_f16 v106, v106, v106
	v_pk_min_f16 v103, v74, v155
	v_pk_max_f16 v74, v101, v101
	v_pk_min_f16 v28, v92, v10
	v_pk_add_f16 v92, v19, v62
	v_pk_add_f16 v137, v8, v62
	v_pk_add_f16 v62, v4, v62
	v_pk_add_f16 v152, v24, v63
	v_pk_add_f16 v157, v3, v63
	v_pk_min_f16 v108, v60, v61
	v_pk_min_f16 v61, v106, v76
	v_pk_max_f16 v75, v134, v134
	v_pk_min_f16 v74, v74, v138
	v_perm_b32 v39, v128, v39, 0x5040100
	ds_read2_b64 v[128:131], v85 offset0:128 offset1:160
	ds_read2_b64 v[10:13], v85 offset0:192 offset1:224
	s_waitcnt lgkmcnt(2)
	v_pk_add_f16 v139, v21, v64
	v_pk_add_f16 v154, v20, v63
	;; [unrolled: 1-line block ×4, first 2 shown]
	v_pk_min_f16 v106, v61, v152
	v_pk_max_f16 v61, v104, v104
	v_pk_min_f16 v62, v75, v62
	v_pk_min_f16 v101, v74, v157
	v_pk_max_f16 v74, v99, v99
	v_pk_add_f16 v140, v23, v64
	v_pk_add_f16 v141, v17, v64
	v_pk_min_f16 v68, v68, v70
	v_pk_min_f16 v61, v61, v92
	;; [unrolled: 1-line block ×3, first 2 shown]
	v_pk_max_f16 v62, v98, v98
	v_pk_max_f16 v63, v97, v97
	v_pk_min_f16 v74, v74, v139
	v_pk_add_f16 v75, v22, v65
	v_pk_add_f16 v142, v19, v64
	v_pk_min_f16 v113, v68, v146
	v_pk_max_f16 v68, v132, v132
	v_pk_min_f16 v104, v61, v154
	v_pk_max_f16 v61, v102, v102
	v_pk_min_f16 v62, v62, v140
	v_pk_add_f16 v76, v24, v65
	v_pk_min_f16 v63, v63, v141
	v_pk_add_f16 v81, v18, v65
	v_pk_min_f16 v99, v74, v75
	v_pk_max_f16 v74, v96, v96
	v_pk_add_f16 v143, v6, v64
	v_pk_add_f16 v144, v8, v64
	v_pk_min_f16 v68, v68, v72
	v_pk_min_f16 v61, v61, v137
	;; [unrolled: 1-line block ×4, first 2 shown]
	v_pk_max_f16 v62, v95, v95
	v_pk_min_f16 v63, v74, v142
	v_pk_max_f16 v74, v94, v94
	v_pk_add_f16 v145, v2, v64
	v_pk_add_f16 v64, v4, v64
	;; [unrolled: 1-line block ×10, first 2 shown]
	s_waitcnt lgkmcnt(1)
	v_pk_add_f16 v132, v21, v128
	v_pk_add_f16 v72, v23, v128
	;; [unrolled: 1-line block ×3, first 2 shown]
	v_pk_min_f16 v111, v68, v148
	v_pk_add_f16 v68, v19, v128
	v_pk_add_f16 v146, v6, v128
	v_pk_add_f16 v133, v8, v128
	v_pk_add_f16 v147, v2, v128
	v_pk_add_f16 v71, v4, v128
	v_pk_add_f16 v128, v21, v130
	v_pk_add_f16 v60, v23, v130
	v_pk_add_f16 v148, v17, v130
	v_pk_add_f16 v149, v19, v130
	v_pk_add_f16 v150, v6, v130
	v_pk_add_f16 v151, v8, v130
	v_pk_add_f16 v152, v2, v130
	v_pk_add_f16 v130, v4, v130
	s_waitcnt lgkmcnt(0)
	v_pk_add_f16 v153, v21, v10
	v_pk_add_f16 v154, v23, v10
	;; [unrolled: 1-line block ×5, first 2 shown]
	v_pk_min_f16 v102, v61, v156
	v_pk_add_f16 v61, v8, v10
	v_pk_add_f16 v138, v2, v10
	;; [unrolled: 1-line block ×8, first 2 shown]
	v_pk_min_f16 v62, v62, v143
	v_pk_min_f16 v74, v74, v144
	v_pk_add_f16 v81, v7, v65
	v_pk_add_f16 v92, v9, v65
	;; [unrolled: 1-line block ×5, first 2 shown]
	v_pk_max_f16 v12, v91, v91
	v_pk_min_f16 v95, v62, v81
	v_pk_max_f16 v62, v135, v135
	v_pk_min_f16 v94, v74, v92
	v_pk_add_f16 v74, v22, v67
	v_pk_min_f16 v12, v12, v158
	v_pk_max_f16 v75, v93, v93
	v_pk_min_f16 v62, v62, v64
	v_pk_add_f16 v64, v5, v65
	v_pk_add_f16 v76, v20, v65
	v_pk_min_f16 v91, v12, v74
	v_pk_max_f16 v12, v86, v86
	v_pk_min_f16 v75, v75, v145
	v_pk_min_f16 v92, v62, v64
	v_pk_add_f16 v62, v20, v67
	v_pk_min_f16 v96, v63, v76
	v_pk_min_f16 v12, v12, v161
	v_pk_add_f16 v63, v3, v65
	v_pk_max_f16 v65, v87, v87
	v_pk_add_f16 v76, v18, v67
	v_pk_max_f16 v64, v83, v83
	v_pk_min_f16 v86, v12, v62
	v_pk_max_f16 v12, v136, v136
	v_pk_add_f16 v62, v5, v67
	v_pk_min_f16 v93, v75, v63
	v_pk_max_f16 v63, v90, v90
	v_pk_add_f16 v75, v24, v67
	v_pk_min_f16 v12, v12, v66
	v_pk_min_f16 v65, v65, v160
	v_pk_max_f16 v74, v82, v82
	v_pk_min_f16 v63, v63, v159
	v_pk_max_f16 v66, v78, v78
	;; [unrolled: 2-line block ×3, first 2 shown]
	v_pk_add_f16 v62, v20, v129
	v_pk_min_f16 v90, v63, v75
	v_pk_max_f16 v63, v84, v84
	v_pk_min_f16 v87, v65, v76
	v_pk_min_f16 v12, v12, v68
	v_pk_add_f16 v65, v7, v67
	v_pk_min_f16 v64, v64, v69
	v_pk_min_f16 v63, v63, v70
	v_pk_add_f16 v70, v9, v67
	v_pk_min_f16 v77, v12, v62
	v_pk_max_f16 v12, v56, v56
	v_pk_add_f16 v56, v5, v129
	v_pk_add_f16 v69, v3, v67
	v_pk_min_f16 v74, v74, v162
	v_pk_min_f16 v66, v66, v73
	;; [unrolled: 1-line block ×6, first 2 shown]
	v_pk_max_f16 v63, v80, v80
	v_pk_min_f16 v73, v12, v56
	v_pk_max_f16 v12, v52, v52
	v_pk_max_f16 v64, v79, v79
	v_pk_add_f16 v69, v18, v129
	v_pk_add_f16 v52, v20, v131
	v_pk_add_f16 v65, v22, v129
	v_pk_min_f16 v12, v12, v149
	v_pk_min_f16 v63, v63, v132
	v_pk_add_f16 v67, v24, v129
	v_pk_min_f16 v64, v64, v72
	v_pk_min_f16 v78, v66, v69
	v_pk_max_f16 v57, v57, v57
	v_pk_max_f16 v59, v59, v59
	;; [unrolled: 1-line block ×3, first 2 shown]
	v_pk_min_f16 v69, v12, v52
	v_pk_max_f16 v12, v45, v45
	v_pk_min_f16 v80, v63, v65
	v_pk_min_f16 v79, v64, v67
	v_pk_add_f16 v63, v7, v129
	v_pk_min_f16 v57, v57, v146
	v_pk_add_f16 v64, v9, v129
	;; [unrolled: 2-line block ×3, first 2 shown]
	v_pk_min_f16 v58, v58, v147
	v_pk_max_f16 v54, v54, v54
	v_pk_max_f16 v53, v53, v53
	;; [unrolled: 1-line block ×3, first 2 shown]
	v_pk_add_f16 v45, v5, v131
	v_pk_min_f16 v12, v12, v130
	v_pk_min_f16 v76, v57, v63
	;; [unrolled: 1-line block ×4, first 2 shown]
	v_pk_add_f16 v57, v22, v131
	v_pk_min_f16 v54, v54, v128
	v_pk_add_f16 v58, v24, v131
	v_pk_min_f16 v53, v53, v60
	;; [unrolled: 2-line block ×3, first 2 shown]
	v_pk_max_f16 v51, v51, v51
	v_pk_max_f16 v50, v50, v50
	;; [unrolled: 1-line block ×3, first 2 shown]
	v_pk_min_f16 v65, v12, v45
	v_pk_max_f16 v12, v30, v30
	v_pk_min_f16 v72, v54, v57
	v_pk_min_f16 v71, v53, v58
	;; [unrolled: 1-line block ×3, first 2 shown]
	v_pk_add_f16 v53, v7, v131
	v_pk_min_f16 v51, v51, v150
	v_pk_add_f16 v54, v9, v131
	v_pk_min_f16 v50, v50, v151
	;; [unrolled: 2-line block ×3, first 2 shown]
	v_pk_max_f16 v37, v37, v37
	v_pk_max_f16 v36, v36, v36
	;; [unrolled: 1-line block ×3, first 2 shown]
	v_pk_add_f16 v30, v20, v11
	v_pk_min_f16 v12, v12, v137
	v_pk_max_f16 v29, v29, v29
	v_pk_min_f16 v68, v51, v53
	v_pk_min_f16 v67, v50, v54
	;; [unrolled: 1-line block ×3, first 2 shown]
	v_pk_add_f16 v49, v22, v11
	v_pk_min_f16 v37, v37, v153
	v_pk_add_f16 v50, v24, v11
	v_pk_min_f16 v36, v36, v154
	v_pk_add_f16 v51, v18, v11
	v_pk_min_f16 v35, v35, v155
	v_pk_min_f16 v29, v29, v61
	v_pk_min_f16 v61, v12, v30
	v_pk_max_f16 v12, v26, v26
	v_pk_min_f16 v64, v37, v49
	v_pk_min_f16 v63, v36, v50
	v_pk_min_f16 v62, v35, v51
	v_pk_add_f16 v35, v7, v11
	v_pk_add_f16 v36, v9, v11
	;; [unrolled: 1-line block ×4, first 2 shown]
	v_pk_max_f16 v15, v15, v15
	v_pk_min_f16 v10, v12, v10
	v_pk_max_f16 v12, v34, v34
	v_pk_add_f16 v22, v22, v13
	v_pk_max_f16 v31, v31, v31
	v_pk_min_f16 v15, v15, v21
	v_pk_min_f16 v57, v10, v11
	v_pk_max_f16 v11, v28, v28
	v_pk_max_f16 v27, v27, v27
	;; [unrolled: 1-line block ×3, first 2 shown]
	v_pk_add_f16 v21, v24, v13
	v_pk_min_f16 v12, v12, v23
	v_pk_min_f16 v56, v15, v22
	v_pk_max_f16 v10, v32, v32
	v_pk_max_f16 v15, v25, v25
	v_pk_min_f16 v6, v11, v6
	v_pk_max_f16 v11, v16, v16
	v_pk_max_f16 v14, v14, v14
	v_add_co_u32 v40, vcc_lo, v40, 16
	v_pk_min_f16 v31, v31, v134
	v_pk_min_f16 v27, v27, v138
	v_pk_add_f16 v18, v18, v13
	v_pk_min_f16 v17, v26, v17
	v_pk_min_f16 v55, v12, v21
	v_pk_add_f16 v12, v20, v13
	v_pk_min_f16 v10, v10, v19
	v_pk_add_f16 v7, v7, v13
	v_pk_add_f16 v9, v9, v13
	v_pk_min_f16 v8, v15, v8
	v_pk_add_f16 v3, v3, v13
	v_pk_min_f16 v2, v11, v2
	;; [unrolled: 2-line block ×3, first 2 shown]
	v_add_co_ci_u32_e64 v41, null, 0, v41, vcc_lo
	v_add_co_u32 v120, vcc_lo, v120, s6
	v_add_co_ci_u32_e64 v121, null, s7, v121, vcc_lo
	v_add_co_u32 v122, vcc_lo, v122, s6
	v_pk_min_f16 v60, v31, v35
	v_pk_min_f16 v59, v29, v36
	;; [unrolled: 1-line block ×9, first 2 shown]
	v_perm_b32 v7, v127, v126, 0x5040100
	v_add_co_ci_u32_e64 v123, null, s7, v123, vcc_lo
	s_add_i32 s12, s12, 8
	ds_write_b16 v115, v125
	ds_write_b16 v116, v44
	ds_write_b16_d16_hi v116, v44 offset:512
	ds_write_b16 v116, v126 offset:1024
	ds_write_b16 v116, v127 offset:1536
	s_cmp_ge_i32 s12, s14
	s_waitcnt lgkmcnt(0)
	s_barrier
	buffer_gl0_inv
	s_cbranch_scc0 .LBB276_26
.LBB276_47:
	s_load_dword s6, s[4:5], 0x58
	v_add_nc_u32_e32 v88, s17, v1
	ds_read_b64 v[30:31], v89 offset:4608
	ds_read_b64 v[46:47], v85 offset:2048
	v_add_nc_u32_e32 v44, s3, v0
	v_cmp_neq_f16_e64 s2, 0, v48
	v_mov_b32_e32 v34, 0
	v_mov_b32_e32 v32, 0
	v_ashrrev_i32_e32 v45, 31, v44
	s_and_b32 vcc_lo, exec_lo, s2
	v_lshlrev_b64 v[28:29], 1, v[44:45]
	s_waitcnt lgkmcnt(0)
	v_mad_i64_i32 v[1:2], null, v88, s6, 0
	v_lshlrev_b64 v[0:1], 1, v[1:2]
	v_add_co_u32 v114, s1, s8, v0
	v_add_co_ci_u32_e64 v115, null, s9, v1, s1
	s_cbranch_vccz .LBB276_49
; %bb.48:
	v_add_co_u32 v0, vcc_lo, v114, v28
	v_add_co_ci_u32_e64 v1, null, v115, v29, vcc_lo
	global_load_ushort v0, v[0:1], off
	s_waitcnt vmcnt(0)
	v_mul_f16_e32 v0, v48, v0
	v_cvt_f32_f16_e32 v32, v0
.LBB276_49:
	s_clause 0x1
	s_load_dwordx2 s[12:13], s[4:5], 0x78
	s_load_dword s3, s[4:5], 0x70
	v_pk_add_f16 v13, v30, v46
	v_pk_add_f16 v26, v31, v47
	v_max_f16_e32 v14, v124, v124
	v_lshrrev_b32_e32 v15, 16, v124
	v_add_nc_u32_e32 v0, 0x1000, v89
	v_lshrrev_b32_e32 v27, 16, v13
	v_lshrrev_b32_e32 v33, 16, v26
	v_min_f16_e32 v37, v14, v13
	v_add_nc_u32_e32 v12, 0x800, v85
	ds_read_b64 v[24:25], v89 offset:5056
	ds_read2_b64 v[8:11], v0 offset0:72 offset1:80
	ds_read2_b64 v[4:7], v0 offset0:88 offset1:96
	v_min3_f16 v27, v15, v27, v33
	ds_read2_b64 v[0:3], v0 offset0:104 offset1:112
	ds_read2_b64 v[20:23], v12 offset0:32 offset1:64
	;; [unrolled: 1-line block ×4, first 2 shown]
	v_max_f32_e32 v40, v32, v32
	v_min3_f16 v33, v37, v26, v27
	ds_read_b64 v[26:27], v85 offset:3840
	s_waitcnt lgkmcnt(0)
	s_mul_i32 s1, s13, s16
	v_mad_i64_i32 v[35:36], null, v88, s3, 0
	s_mul_hi_u32 s4, s12, s16
	v_cvt_f32_f16_e32 v39, v33
	s_add_i32 s5, s4, s1
	s_mul_i32 s4, s12, s16
	v_add_nc_u32_e32 v37, 8, v44
	s_lshl_b64 s[4:5], s[4:5], 1
	v_lshlrev_b64 v[32:33], 1, v[35:36]
	s_add_u32 s4, s10, s4
	s_addc_u32 s5, s11, s5
	v_min_f32_e32 v35, v40, v39
	v_ashrrev_i32_e32 v38, 31, v37
	v_cndmask_b32_e64 v36, 0, 1, s2
	v_add_co_u32 v85, vcc_lo, s4, v32
	v_add_co_ci_u32_e64 v89, null, s5, v33, vcc_lo
	v_cvt_f16_f32_e32 v39, v35
	v_add_co_u32 v35, vcc_lo, v85, v28
	v_lshlrev_b64 v[32:33], 1, v[37:38]
	v_cmp_ne_u32_e64 s1, 1, v36
	v_add_co_ci_u32_e64 v36, null, v89, v29, vcc_lo
	s_andn2_b32 vcc_lo, exec_lo, s2
	global_store_short v[35:36], v39, off
	s_cbranch_vccnz .LBB276_51
; %bb.50:
	v_add_co_u32 v34, vcc_lo, v114, v32
	v_add_co_ci_u32_e64 v35, null, v115, v33, vcc_lo
	global_load_ushort v34, v[34:35], off
	s_waitcnt vmcnt(0)
	v_mul_f16_e32 v34, v48, v34
	v_cvt_f32_f16_e32 v34, v34
.LBB276_51:
	v_pk_add_f16 v35, v8, v46
	v_pk_add_f16 v36, v9, v47
	v_max_f16_e32 v37, v119, v119
	v_lshrrev_b32_e32 v38, 16, v119
	v_max_f32_e32 v34, v34, v34
	v_lshrrev_b32_e32 v39, 16, v35
	v_lshrrev_b32_e32 v40, 16, v36
	v_min_f16_e32 v35, v37, v35
	v_min3_f16 v37, v38, v39, v40
	v_add_co_u32 v39, vcc_lo, v85, v32
	v_add_co_ci_u32_e64 v40, null, v89, v33, vcc_lo
	v_min3_f16 v36, v35, v36, v37
	v_add_nc_u32_e32 v35, 16, v44
	v_mov_b32_e32 v38, 0
	s_and_b32 vcc_lo, exec_lo, s1
	v_cvt_f32_f16_e32 v37, v36
	v_ashrrev_i32_e32 v36, 31, v35
	v_min_f32_e32 v34, v34, v37
	v_cvt_f16_f32_e32 v37, v34
	v_lshlrev_b64 v[34:35], 1, v[35:36]
	v_mov_b32_e32 v36, 0
	global_store_short v[39:40], v37, off
	s_cbranch_vccnz .LBB276_53
; %bb.52:
	v_add_co_u32 v36, vcc_lo, v114, v34
	v_add_co_ci_u32_e64 v37, null, v115, v35, vcc_lo
	global_load_ushort v36, v[36:37], off
	s_waitcnt vmcnt(0)
	v_mul_f16_e32 v36, v48, v36
	v_cvt_f32_f16_e32 v36, v36
.LBB276_53:
	v_pk_add_f16 v37, v10, v46
	v_pk_add_f16 v39, v11, v47
	v_max_f16_e32 v40, v113, v113
	v_lshrrev_b32_e32 v41, 16, v113
	v_max_f32_e32 v36, v36, v36
	v_lshrrev_b32_e32 v42, 16, v37
	v_lshrrev_b32_e32 v43, 16, v39
	v_min_f16_e32 v37, v40, v37
	v_min3_f16 v40, v41, v42, v43
	v_add_co_u32 v41, vcc_lo, v85, v34
	v_add_co_ci_u32_e64 v42, null, v89, v35, vcc_lo
	v_min3_f16 v37, v37, v39, v40
	v_add_nc_u32_e32 v39, 24, v44
	s_and_b32 vcc_lo, exec_lo, s1
	v_cvt_f32_f16_e32 v37, v37
	v_ashrrev_i32_e32 v40, 31, v39
	v_min_f32_e32 v36, v36, v37
	v_cvt_f16_f32_e32 v43, v36
	v_lshlrev_b64 v[36:37], 1, v[39:40]
	global_store_short v[41:42], v43, off
	s_cbranch_vccnz .LBB276_55
; %bb.54:
	v_add_co_u32 v38, vcc_lo, v114, v36
	v_add_co_ci_u32_e64 v39, null, v115, v37, vcc_lo
	global_load_ushort v38, v[38:39], off
	s_waitcnt vmcnt(0)
	v_mul_f16_e32 v38, v48, v38
	v_cvt_f32_f16_e32 v38, v38
.LBB276_55:
	v_pk_add_f16 v39, v4, v46
	v_pk_add_f16 v40, v5, v47
	v_max_f16_e32 v41, v112, v112
	v_lshrrev_b32_e32 v42, 16, v112
	v_max_f32_e32 v38, v38, v38
	v_lshrrev_b32_e32 v43, 16, v39
	v_lshrrev_b32_e32 v45, 16, v40
	v_min_f16_e32 v39, v41, v39
	v_add_co_u32 v112, vcc_lo, v85, v36
	v_add_co_ci_u32_e64 v113, null, v89, v37, vcc_lo
	v_min3_f16 v41, v42, v43, v45
	s_and_b32 vcc_lo, exec_lo, s1
	v_min3_f16 v40, v39, v40, v41
	v_add_nc_u32_e32 v39, 32, v44
	v_cvt_f32_f16_e32 v41, v40
	v_ashrrev_i32_e32 v40, 31, v39
	v_min_f32_e32 v41, v38, v41
	v_lshlrev_b64 v[42:43], 1, v[39:40]
	v_mov_b32_e32 v38, 0
	v_mov_b32_e32 v39, 0
	v_cvt_f16_f32_e32 v41, v41
	global_store_short v[112:113], v41, off
	s_cbranch_vccnz .LBB276_57
; %bb.56:
	v_add_co_u32 v39, vcc_lo, v114, v42
	v_add_co_ci_u32_e64 v40, null, v115, v43, vcc_lo
	global_load_ushort v39, v[39:40], off
	s_waitcnt vmcnt(0)
	v_mul_f16_e32 v39, v48, v39
	v_cvt_f32_f16_e32 v39, v39
.LBB276_57:
	v_pk_add_f16 v40, v6, v46
	v_pk_add_f16 v41, v7, v47
	v_max_f16_e32 v45, v111, v111
	v_lshrrev_b32_e32 v111, 16, v111
	v_max_f32_e32 v39, v39, v39
	v_lshrrev_b32_e32 v112, 16, v40
	v_lshrrev_b32_e32 v113, 16, v41
	v_min_f16_e32 v40, v45, v40
	v_min3_f16 v45, v111, v112, v113
	v_add_co_u32 v111, vcc_lo, v85, v42
	v_add_co_ci_u32_e64 v112, null, v89, v43, vcc_lo
	v_min3_f16 v41, v40, v41, v45
	v_add_nc_u32_e32 v40, 40, v44
	s_and_b32 vcc_lo, exec_lo, s1
	v_cvt_f32_f16_e32 v45, v41
	v_ashrrev_i32_e32 v41, 31, v40
	v_min_f32_e32 v39, v39, v45
	v_lshlrev_b64 v[40:41], 1, v[40:41]
	v_cvt_f16_f32_e32 v39, v39
	global_store_short v[111:112], v39, off
	s_cbranch_vccnz .LBB276_59
; %bb.58:
	v_add_co_u32 v38, vcc_lo, v114, v40
	v_add_co_ci_u32_e64 v39, null, v115, v41, vcc_lo
	global_load_ushort v38, v[38:39], off
	s_waitcnt vmcnt(0)
	v_mul_f16_e32 v38, v48, v38
	v_cvt_f32_f16_e32 v38, v38
.LBB276_59:
	v_pk_add_f16 v39, v0, v46
	v_pk_add_f16 v45, v1, v47
	v_max_f16_e32 v111, v110, v110
	v_lshrrev_b32_e32 v110, 16, v110
	v_max_f32_e32 v38, v38, v38
	v_lshrrev_b32_e32 v112, 16, v39
	v_lshrrev_b32_e32 v113, 16, v45
	v_min_f16_e32 v39, v111, v39
	v_add_nc_u32_e32 v111, 48, v44
	v_add_co_u32 v116, vcc_lo, v85, v40
	v_min3_f16 v110, v110, v112, v113
	v_add_co_ci_u32_e64 v117, null, v89, v41, vcc_lo
	v_ashrrev_i32_e32 v112, 31, v111
	s_and_b32 vcc_lo, exec_lo, s1
	v_min3_f16 v39, v39, v45, v110
	v_mov_b32_e32 v110, 0
	v_mov_b32_e32 v45, 0
	v_cvt_f32_f16_e32 v39, v39
	v_min_f32_e32 v38, v38, v39
	v_cvt_f16_f32_e32 v113, v38
	v_lshlrev_b64 v[38:39], 1, v[111:112]
	global_store_short v[116:117], v113, off
	s_cbranch_vccnz .LBB276_61
; %bb.60:
	v_add_co_u32 v111, vcc_lo, v114, v38
	v_add_co_ci_u32_e64 v112, null, v115, v39, vcc_lo
	global_load_ushort v45, v[111:112], off
	s_waitcnt vmcnt(0)
	v_mul_f16_e32 v45, v48, v45
	v_cvt_f32_f16_e32 v45, v45
.LBB276_61:
	v_pk_add_f16 v111, v2, v46
	v_pk_add_f16 v112, v3, v47
	v_max_f16_e32 v113, v109, v109
	v_lshrrev_b32_e32 v109, 16, v109
	v_add_nc_u32_e32 v44, 56, v44
	v_lshrrev_b32_e32 v116, 16, v111
	v_lshrrev_b32_e32 v117, 16, v112
	v_min_f16_e32 v111, v113, v111
	v_min3_f16 v109, v109, v116, v117
	v_min3_f16 v109, v111, v112, v109
	v_max_f32_e32 v111, v45, v45
	v_ashrrev_i32_e32 v45, 31, v44
	v_cvt_f32_f16_e32 v109, v109
	v_lshlrev_b64 v[44:45], 1, v[44:45]
	v_min_f32_e32 v109, v111, v109
	v_add_co_u32 v111, vcc_lo, v85, v38
	v_add_co_ci_u32_e64 v112, null, v89, v39, vcc_lo
	v_cvt_f16_f32_e32 v109, v109
	s_and_b32 vcc_lo, exec_lo, s1
	global_store_short v[111:112], v109, off
	s_cbranch_vccnz .LBB276_63
; %bb.62:
	v_add_co_u32 v109, vcc_lo, v114, v44
	v_add_co_ci_u32_e64 v110, null, v115, v45, vcc_lo
	global_load_ushort v109, v[109:110], off
	s_waitcnt vmcnt(0)
	v_mul_f16_e32 v109, v48, v109
	v_cvt_f32_f16_e32 v110, v109
.LBB276_63:
	v_pk_add_f16 v46, v24, v46
	v_pk_add_f16 v111, v25, v47
	v_max_f16_e32 v47, v108, v108
	v_lshrrev_b32_e32 v108, 16, v108
	v_add_nc_u32_e32 v109, 32, v88
	v_lshrrev_b32_e32 v112, 16, v46
	v_lshrrev_b32_e32 v113, 16, v111
	v_min_f16_e32 v114, v47, v46
	v_mad_i64_i32 v[46:47], null, v109, s6, 0
	v_min3_f16 v108, v108, v112, v113
	v_max_f32_e32 v112, v110, v110
	v_add_co_u32 v110, vcc_lo, v85, v44
	v_min3_f16 v108, v114, v111, v108
	v_lshlrev_b64 v[46:47], 1, v[46:47]
	v_add_co_ci_u32_e64 v111, null, v89, v45, vcc_lo
	v_cvt_f32_f16_e32 v108, v108
	v_add_co_u32 v46, vcc_lo, s8, v46
	v_add_co_ci_u32_e64 v47, null, s9, v47, vcc_lo
	v_min_f32_e32 v85, v112, v108
	v_mov_b32_e32 v108, 0
	s_and_b32 vcc_lo, exec_lo, s1
	v_cvt_f16_f32_e32 v89, v85
	v_mov_b32_e32 v85, 0
	global_store_short v[110:111], v89, off
	s_cbranch_vccnz .LBB276_65
; %bb.64:
	v_add_co_u32 v110, vcc_lo, v46, v28
	v_add_co_ci_u32_e64 v111, null, v47, v29, vcc_lo
	global_load_ushort v85, v[110:111], off
	s_waitcnt vmcnt(0)
	v_mul_f16_e32 v85, v48, v85
	v_cvt_f32_f16_e32 v85, v85
.LBB276_65:
	v_pk_add_f16 v89, v30, v20
	v_pk_add_f16 v111, v31, v21
	v_max_f16_e32 v110, v107, v107
	v_lshrrev_b32_e32 v107, 16, v107
	v_max_f32_e32 v85, v85, v85
	v_lshrrev_b32_e32 v112, 16, v89
	v_lshrrev_b32_e32 v113, 16, v111
	v_min_f16_e32 v89, v110, v89
	v_mad_i64_i32 v[109:110], null, v109, s3, 0
	v_min3_f16 v107, v107, v112, v113
	v_lshlrev_b64 v[109:110], 1, v[109:110]
	v_min3_f16 v89, v89, v111, v107
	v_cvt_f32_f16_e32 v89, v89
	v_min_f32_e32 v107, v85, v89
	v_add_co_u32 v85, vcc_lo, s4, v109
	v_add_co_ci_u32_e64 v89, null, s5, v110, vcc_lo
	v_cvt_f16_f32_e32 v107, v107
	v_add_co_u32 v109, vcc_lo, v85, v28
	v_add_co_ci_u32_e64 v110, null, v89, v29, vcc_lo
	s_and_b32 vcc_lo, exec_lo, s1
	global_store_short v[109:110], v107, off
	s_cbranch_vccnz .LBB276_67
; %bb.66:
	v_add_co_u32 v107, vcc_lo, v46, v32
	v_add_co_ci_u32_e64 v108, null, v47, v33, vcc_lo
	global_load_ushort v107, v[107:108], off
	s_waitcnt vmcnt(0)
	v_mul_f16_e32 v107, v48, v107
	v_cvt_f32_f16_e32 v108, v107
.LBB276_67:
	v_pk_add_f16 v107, v8, v20
	v_pk_add_f16 v109, v9, v21
	v_max_f16_e32 v110, v106, v106
	v_lshrrev_b32_e32 v106, 16, v106
	v_lshrrev_b32_e32 v111, 16, v107
	v_lshrrev_b32_e32 v112, 16, v109
	v_min_f16_e32 v107, v110, v107
	v_min3_f16 v106, v106, v111, v112
	v_min3_f16 v106, v107, v109, v106
	v_max_f32_e32 v107, v108, v108
	v_add_co_u32 v108, vcc_lo, v85, v32
	v_add_co_ci_u32_e64 v109, null, v89, v33, vcc_lo
	v_cvt_f32_f16_e32 v106, v106
	s_and_b32 vcc_lo, exec_lo, s1
	v_min_f32_e32 v106, v107, v106
	v_mov_b32_e32 v107, 0
	v_cvt_f16_f32_e32 v110, v106
	v_mov_b32_e32 v106, 0
	global_store_short v[108:109], v110, off
	s_cbranch_vccnz .LBB276_69
; %bb.68:
	v_add_co_u32 v107, vcc_lo, v46, v34
	v_add_co_ci_u32_e64 v108, null, v47, v35, vcc_lo
	global_load_ushort v107, v[107:108], off
	s_waitcnt vmcnt(0)
	v_mul_f16_e32 v107, v48, v107
	v_cvt_f32_f16_e32 v107, v107
.LBB276_69:
	v_pk_add_f16 v108, v10, v20
	v_pk_add_f16 v109, v11, v21
	v_max_f16_e32 v110, v105, v105
	v_lshrrev_b32_e32 v105, 16, v105
	v_max_f32_e32 v107, v107, v107
	v_lshrrev_b32_e32 v111, 16, v108
	v_lshrrev_b32_e32 v112, 16, v109
	v_min_f16_e32 v108, v110, v108
	v_min3_f16 v105, v105, v111, v112
	v_min3_f16 v105, v108, v109, v105
	v_cvt_f32_f16_e32 v105, v105
	v_min_f32_e32 v105, v107, v105
	v_add_co_u32 v107, vcc_lo, v85, v34
	v_add_co_ci_u32_e64 v108, null, v89, v35, vcc_lo
	v_cvt_f16_f32_e32 v105, v105
	s_and_b32 vcc_lo, exec_lo, s1
	global_store_short v[107:108], v105, off
	s_cbranch_vccnz .LBB276_71
; %bb.70:
	v_add_co_u32 v105, vcc_lo, v46, v36
	v_add_co_ci_u32_e64 v106, null, v47, v37, vcc_lo
	global_load_ushort v105, v[105:106], off
	s_waitcnt vmcnt(0)
	v_mul_f16_e32 v105, v48, v105
	v_cvt_f32_f16_e32 v106, v105
.LBB276_71:
	v_pk_add_f16 v105, v4, v20
	v_pk_add_f16 v107, v5, v21
	v_max_f16_e32 v108, v104, v104
	v_lshrrev_b32_e32 v104, 16, v104
	v_lshrrev_b32_e32 v109, 16, v105
	v_lshrrev_b32_e32 v110, 16, v107
	v_min_f16_e32 v105, v108, v105
	v_min3_f16 v104, v104, v109, v110
	v_min3_f16 v104, v105, v107, v104
	v_max_f32_e32 v105, v106, v106
	v_add_co_u32 v106, vcc_lo, v85, v36
	v_add_co_ci_u32_e64 v107, null, v89, v37, vcc_lo
	v_cvt_f32_f16_e32 v104, v104
	s_and_b32 vcc_lo, exec_lo, s1
	v_min_f32_e32 v104, v105, v104
	v_mov_b32_e32 v105, 0
	v_cvt_f16_f32_e32 v108, v104
	v_mov_b32_e32 v104, 0
	global_store_short v[106:107], v108, off
	s_cbranch_vccnz .LBB276_73
; %bb.72:
	v_add_co_u32 v105, vcc_lo, v46, v42
	v_add_co_ci_u32_e64 v106, null, v47, v43, vcc_lo
	global_load_ushort v105, v[105:106], off
	s_waitcnt vmcnt(0)
	v_mul_f16_e32 v105, v48, v105
	v_cvt_f32_f16_e32 v105, v105
.LBB276_73:
	v_pk_add_f16 v106, v6, v20
	v_pk_add_f16 v107, v7, v21
	v_max_f16_e32 v108, v103, v103
	v_lshrrev_b32_e32 v103, 16, v103
	v_max_f32_e32 v105, v105, v105
	v_lshrrev_b32_e32 v109, 16, v106
	v_lshrrev_b32_e32 v110, 16, v107
	v_min_f16_e32 v106, v108, v106
	v_min3_f16 v103, v103, v109, v110
	v_min3_f16 v103, v106, v107, v103
	v_cvt_f32_f16_e32 v103, v103
	v_min_f32_e32 v103, v105, v103
	v_add_co_u32 v105, vcc_lo, v85, v42
	v_add_co_ci_u32_e64 v106, null, v89, v43, vcc_lo
	v_cvt_f16_f32_e32 v103, v103
	;; [unrolled: 54-line block ×3, first 2 shown]
	s_and_b32 vcc_lo, exec_lo, s1
	global_store_short v[103:104], v101, off
	s_cbranch_vccnz .LBB276_79
; %bb.78:
	v_add_co_u32 v46, vcc_lo, v46, v44
	v_add_co_ci_u32_e64 v47, null, v47, v45, vcc_lo
	global_load_ushort v46, v[46:47], off
	s_waitcnt vmcnt(0)
	v_mul_f16_e32 v46, v48, v46
	v_cvt_f32_f16_e32 v102, v46
.LBB276_79:
	v_pk_add_f16 v20, v24, v20
	v_pk_add_f16 v47, v25, v21
	v_max_f16_e32 v21, v100, v100
	v_lshrrev_b32_e32 v100, 16, v100
	v_add_nc_u32_e32 v46, 64, v88
	v_lshrrev_b32_e32 v101, 16, v20
	v_lshrrev_b32_e32 v103, 16, v47
	v_min_f16_e32 v104, v21, v20
	v_max_f32_e32 v102, v102, v102
	v_mad_i64_i32 v[20:21], null, v46, s6, 0
	v_min3_f16 v100, v100, v101, v103
	v_min3_f16 v47, v104, v47, v100
	v_lshlrev_b64 v[20:21], 1, v[20:21]
	v_add_co_u32 v100, vcc_lo, v85, v44
	v_add_co_ci_u32_e64 v101, null, v89, v45, vcc_lo
	v_cvt_f32_f16_e32 v47, v47
	v_add_co_u32 v20, vcc_lo, s8, v20
	v_add_co_ci_u32_e64 v21, null, s9, v21, vcc_lo
	v_min_f32_e32 v47, v102, v47
	v_mov_b32_e32 v85, 0
	s_and_b32 vcc_lo, exec_lo, s1
	v_cvt_f16_f32_e32 v89, v47
	v_mov_b32_e32 v47, 0
	global_store_short v[100:101], v89, off
	s_cbranch_vccnz .LBB276_81
; %bb.80:
	v_add_co_u32 v100, vcc_lo, v20, v28
	v_add_co_ci_u32_e64 v101, null, v21, v29, vcc_lo
	global_load_ushort v47, v[100:101], off
	s_waitcnt vmcnt(0)
	v_mul_f16_e32 v47, v48, v47
	v_cvt_f32_f16_e32 v47, v47
.LBB276_81:
	v_pk_add_f16 v89, v30, v22
	v_pk_add_f16 v101, v31, v23
	v_max_f16_e32 v100, v99, v99
	v_lshrrev_b32_e32 v99, 16, v99
	v_lshrrev_b32_e32 v102, 16, v89
	;; [unrolled: 1-line block ×3, first 2 shown]
	v_min_f16_e32 v89, v100, v89
	v_min3_f16 v102, v99, v102, v103
	v_mad_i64_i32 v[99:100], null, v46, s3, 0
	v_min3_f16 v46, v89, v101, v102
	v_max_f32_e32 v89, v47, v47
	v_cvt_f32_f16_e32 v101, v46
	v_lshlrev_b64 v[46:47], 1, v[99:100]
	v_min_f32_e32 v89, v89, v101
	v_add_co_u32 v46, vcc_lo, s4, v46
	v_add_co_ci_u32_e64 v47, null, s5, v47, vcc_lo
	v_cvt_f16_f32_e32 v89, v89
	v_add_co_u32 v99, vcc_lo, v46, v28
	v_add_co_ci_u32_e64 v100, null, v47, v29, vcc_lo
	s_and_b32 vcc_lo, exec_lo, s1
	global_store_short v[99:100], v89, off
	s_cbranch_vccnz .LBB276_83
; %bb.82:
	v_add_co_u32 v99, vcc_lo, v20, v32
	v_add_co_ci_u32_e64 v100, null, v21, v33, vcc_lo
	global_load_ushort v85, v[99:100], off
	s_waitcnt vmcnt(0)
	v_mul_f16_e32 v85, v48, v85
	v_cvt_f32_f16_e32 v85, v85
.LBB276_83:
	v_pk_add_f16 v89, v8, v22
	v_pk_add_f16 v99, v9, v23
	v_max_f16_e32 v100, v98, v98
	v_lshrrev_b32_e32 v98, 16, v98
	v_max_f32_e32 v85, v85, v85
	v_lshrrev_b32_e32 v101, 16, v89
	v_lshrrev_b32_e32 v102, 16, v99
	v_min_f16_e32 v89, v100, v89
	v_min3_f16 v98, v98, v101, v102
	v_min3_f16 v89, v89, v99, v98
	v_add_co_u32 v98, vcc_lo, v46, v32
	v_add_co_ci_u32_e64 v99, null, v47, v33, vcc_lo
	v_cvt_f32_f16_e32 v89, v89
	s_and_b32 vcc_lo, exec_lo, s1
	v_min_f32_e32 v85, v85, v89
	v_mov_b32_e32 v89, 0
	v_cvt_f16_f32_e32 v100, v85
	v_mov_b32_e32 v85, 0
	global_store_short v[98:99], v100, off
	s_cbranch_vccnz .LBB276_85
; %bb.84:
	v_add_co_u32 v98, vcc_lo, v20, v34
	v_add_co_ci_u32_e64 v99, null, v21, v35, vcc_lo
	global_load_ushort v89, v[98:99], off
	s_waitcnt vmcnt(0)
	v_mul_f16_e32 v89, v48, v89
	v_cvt_f32_f16_e32 v89, v89
.LBB276_85:
	v_pk_add_f16 v98, v10, v22
	v_pk_add_f16 v99, v11, v23
	v_max_f16_e32 v100, v97, v97
	v_lshrrev_b32_e32 v97, 16, v97
	v_max_f32_e32 v89, v89, v89
	v_lshrrev_b32_e32 v101, 16, v98
	v_lshrrev_b32_e32 v102, 16, v99
	v_min_f16_e32 v98, v100, v98
	v_min3_f16 v97, v97, v101, v102
	v_min3_f16 v97, v98, v99, v97
	v_cvt_f32_f16_e32 v97, v97
	v_min_f32_e32 v89, v89, v97
	v_add_co_u32 v97, vcc_lo, v46, v34
	v_add_co_ci_u32_e64 v98, null, v47, v35, vcc_lo
	v_cvt_f16_f32_e32 v89, v89
	s_and_b32 vcc_lo, exec_lo, s1
	global_store_short v[97:98], v89, off
	s_cbranch_vccnz .LBB276_87
; %bb.86:
	v_add_co_u32 v97, vcc_lo, v20, v36
	v_add_co_ci_u32_e64 v98, null, v21, v37, vcc_lo
	global_load_ushort v85, v[97:98], off
	s_waitcnt vmcnt(0)
	v_mul_f16_e32 v85, v48, v85
	v_cvt_f32_f16_e32 v85, v85
.LBB276_87:
	v_pk_add_f16 v89, v4, v22
	v_pk_add_f16 v97, v5, v23
	v_max_f16_e32 v98, v96, v96
	v_lshrrev_b32_e32 v96, 16, v96
	v_max_f32_e32 v85, v85, v85
	v_lshrrev_b32_e32 v99, 16, v89
	v_lshrrev_b32_e32 v100, 16, v97
	v_min_f16_e32 v89, v98, v89
	v_min3_f16 v96, v96, v99, v100
	v_min3_f16 v89, v89, v97, v96
	v_add_co_u32 v96, vcc_lo, v46, v36
	v_add_co_ci_u32_e64 v97, null, v47, v37, vcc_lo
	v_cvt_f32_f16_e32 v89, v89
	s_and_b32 vcc_lo, exec_lo, s1
	v_min_f32_e32 v85, v85, v89
	v_mov_b32_e32 v89, 0
	v_cvt_f16_f32_e32 v98, v85
	v_mov_b32_e32 v85, 0
	global_store_short v[96:97], v98, off
	s_cbranch_vccnz .LBB276_89
; %bb.88:
	v_add_co_u32 v96, vcc_lo, v20, v42
	v_add_co_ci_u32_e64 v97, null, v21, v43, vcc_lo
	global_load_ushort v89, v[96:97], off
	s_waitcnt vmcnt(0)
	v_mul_f16_e32 v89, v48, v89
	v_cvt_f32_f16_e32 v89, v89
.LBB276_89:
	v_pk_add_f16 v96, v6, v22
	v_pk_add_f16 v97, v7, v23
	v_max_f16_e32 v98, v95, v95
	v_lshrrev_b32_e32 v95, 16, v95
	v_max_f32_e32 v89, v89, v89
	v_lshrrev_b32_e32 v99, 16, v96
	v_lshrrev_b32_e32 v100, 16, v97
	v_min_f16_e32 v96, v98, v96
	v_min3_f16 v95, v95, v99, v100
	v_min3_f16 v95, v96, v97, v95
	v_cvt_f32_f16_e32 v95, v95
	v_min_f32_e32 v89, v89, v95
	v_add_co_u32 v95, vcc_lo, v46, v42
	v_add_co_ci_u32_e64 v96, null, v47, v43, vcc_lo
	v_cvt_f16_f32_e32 v89, v89
	;; [unrolled: 54-line block ×3, first 2 shown]
	s_and_b32 vcc_lo, exec_lo, s1
	global_store_short v[93:94], v89, off
	s_cbranch_vccnz .LBB276_95
; %bb.94:
	v_add_co_u32 v20, vcc_lo, v20, v44
	v_add_co_ci_u32_e64 v21, null, v21, v45, vcc_lo
	global_load_ushort v20, v[20:21], off
	s_waitcnt vmcnt(0)
	v_mul_f16_e32 v20, v48, v20
	v_cvt_f32_f16_e32 v85, v20
.LBB276_95:
	v_pk_add_f16 v20, v24, v22
	v_pk_add_f16 v23, v25, v23
	v_max_f16_e32 v21, v92, v92
	v_lshrrev_b32_e32 v89, 16, v92
	v_add_nc_u32_e32 v22, 0x60, v88
	v_lshrrev_b32_e32 v92, 16, v20
	v_lshrrev_b32_e32 v93, 16, v23
	v_min_f16_e32 v94, v21, v20
	v_max_f32_e32 v85, v85, v85
	v_mad_i64_i32 v[20:21], null, v22, s6, 0
	v_min3_f16 v89, v89, v92, v93
	v_add_co_u32 v92, vcc_lo, v46, v44
	v_add_co_ci_u32_e64 v93, null, v47, v45, vcc_lo
	v_min3_f16 v23, v94, v23, v89
	v_lshlrev_b64 v[20:21], 1, v[20:21]
	v_mov_b32_e32 v46, 0
	v_cvt_f32_f16_e32 v23, v23
	v_add_co_u32 v20, vcc_lo, s8, v20
	v_add_co_ci_u32_e64 v21, null, s9, v21, vcc_lo
	v_min_f32_e32 v23, v85, v23
	s_and_b32 vcc_lo, exec_lo, s1
	v_cvt_f16_f32_e32 v47, v23
	v_mov_b32_e32 v23, 0
	global_store_short v[92:93], v47, off
	s_cbranch_vccnz .LBB276_97
; %bb.96:
	v_add_co_u32 v92, vcc_lo, v20, v28
	v_add_co_ci_u32_e64 v93, null, v21, v29, vcc_lo
	global_load_ushort v23, v[92:93], off
	s_waitcnt vmcnt(0)
	v_mul_f16_e32 v23, v48, v23
	v_cvt_f32_f16_e32 v23, v23
.LBB276_97:
	v_pk_add_f16 v47, v30, v16
	v_pk_add_f16 v85, v31, v17
	v_max_f16_e32 v89, v91, v91
	v_lshrrev_b32_e32 v91, 16, v91
	v_lshrrev_b32_e32 v92, 16, v47
	;; [unrolled: 1-line block ×3, first 2 shown]
	v_min_f16_e32 v47, v89, v47
	v_min3_f16 v89, v91, v92, v93
	v_mad_i64_i32 v[91:92], null, v22, s3, 0
	v_min3_f16 v22, v47, v85, v89
	v_max_f32_e32 v47, v23, v23
	v_cvt_f32_f16_e32 v85, v22
	v_lshlrev_b64 v[22:23], 1, v[91:92]
	v_min_f32_e32 v47, v47, v85
	v_add_co_u32 v22, vcc_lo, s4, v22
	v_add_co_ci_u32_e64 v23, null, s5, v23, vcc_lo
	v_cvt_f16_f32_e32 v47, v47
	v_add_co_u32 v91, vcc_lo, v22, v28
	v_add_co_ci_u32_e64 v92, null, v23, v29, vcc_lo
	s_and_b32 vcc_lo, exec_lo, s1
	global_store_short v[91:92], v47, off
	s_cbranch_vccnz .LBB276_99
; %bb.98:
	v_add_co_u32 v46, vcc_lo, v20, v32
	v_add_co_ci_u32_e64 v47, null, v21, v33, vcc_lo
	global_load_ushort v46, v[46:47], off
	s_waitcnt vmcnt(0)
	v_mul_f16_e32 v46, v48, v46
	v_cvt_f32_f16_e32 v46, v46
.LBB276_99:
	v_pk_add_f16 v47, v8, v16
	v_pk_add_f16 v85, v9, v17
	v_max_f16_e32 v89, v90, v90
	v_lshrrev_b32_e32 v90, 16, v90
	v_max_f32_e32 v46, v46, v46
	v_lshrrev_b32_e32 v91, 16, v47
	v_lshrrev_b32_e32 v92, 16, v85
	v_min_f16_e32 v47, v89, v47
	v_min3_f16 v89, v90, v91, v92
	v_min3_f16 v47, v47, v85, v89
	v_add_co_u32 v89, vcc_lo, v22, v32
	v_add_co_ci_u32_e64 v90, null, v23, v33, vcc_lo
	v_cvt_f32_f16_e32 v47, v47
	s_and_b32 vcc_lo, exec_lo, s1
	v_min_f32_e32 v46, v46, v47
	v_mov_b32_e32 v47, 0
	v_cvt_f16_f32_e32 v85, v46
	v_mov_b32_e32 v46, 0
	global_store_short v[89:90], v85, off
	s_cbranch_vccnz .LBB276_101
; %bb.100:
	v_add_co_u32 v89, vcc_lo, v20, v34
	v_add_co_ci_u32_e64 v90, null, v21, v35, vcc_lo
	global_load_ushort v47, v[89:90], off
	s_waitcnt vmcnt(0)
	v_mul_f16_e32 v47, v48, v47
	v_cvt_f32_f16_e32 v47, v47
.LBB276_101:
	v_pk_add_f16 v85, v10, v16
	v_pk_add_f16 v89, v11, v17
	v_max_f16_e32 v90, v87, v87
	v_lshrrev_b32_e32 v87, 16, v87
	v_max_f32_e32 v47, v47, v47
	v_lshrrev_b32_e32 v91, 16, v85
	v_lshrrev_b32_e32 v92, 16, v89
	v_min_f16_e32 v85, v90, v85
	v_min3_f16 v87, v87, v91, v92
	v_min3_f16 v85, v85, v89, v87
	v_add_co_u32 v89, vcc_lo, v22, v34
	v_add_co_ci_u32_e64 v90, null, v23, v35, vcc_lo
	v_cvt_f32_f16_e32 v85, v85
	s_and_b32 vcc_lo, exec_lo, s1
	v_min_f32_e32 v47, v47, v85
	v_cvt_f16_f32_e32 v47, v47
	global_store_short v[89:90], v47, off
	s_cbranch_vccnz .LBB276_103
; %bb.102:
	v_add_co_u32 v46, vcc_lo, v20, v36
	v_add_co_ci_u32_e64 v47, null, v21, v37, vcc_lo
	global_load_ushort v46, v[46:47], off
	s_waitcnt vmcnt(0)
	v_mul_f16_e32 v46, v48, v46
	v_cvt_f32_f16_e32 v46, v46
.LBB276_103:
	v_pk_add_f16 v47, v4, v16
	v_pk_add_f16 v85, v5, v17
	v_max_f16_e32 v87, v86, v86
	v_lshrrev_b32_e32 v86, 16, v86
	v_max_f32_e32 v46, v46, v46
	v_lshrrev_b32_e32 v89, 16, v47
	v_lshrrev_b32_e32 v90, 16, v85
	v_min_f16_e32 v47, v87, v47
	v_min3_f16 v86, v86, v89, v90
	v_min3_f16 v47, v47, v85, v86
	v_add_co_u32 v85, vcc_lo, v22, v36
	v_add_co_ci_u32_e64 v86, null, v23, v37, vcc_lo
	v_cvt_f32_f16_e32 v47, v47
	s_and_b32 vcc_lo, exec_lo, s1
	v_min_f32_e32 v46, v46, v47
	v_mov_b32_e32 v47, 0
	v_cvt_f16_f32_e32 v87, v46
	v_mov_b32_e32 v46, 0
	global_store_short v[85:86], v87, off
	s_cbranch_vccnz .LBB276_105
; %bb.104:
	v_add_co_u32 v85, vcc_lo, v20, v42
	v_add_co_ci_u32_e64 v86, null, v21, v43, vcc_lo
	global_load_ushort v47, v[85:86], off
	s_waitcnt vmcnt(0)
	v_mul_f16_e32 v47, v48, v47
	v_cvt_f32_f16_e32 v47, v47
.LBB276_105:
	v_pk_add_f16 v85, v6, v16
	v_pk_add_f16 v86, v7, v17
	v_max_f16_e32 v87, v84, v84
	v_lshrrev_b32_e32 v84, 16, v84
	v_max_f32_e32 v47, v47, v47
	v_lshrrev_b32_e32 v89, 16, v85
	v_lshrrev_b32_e32 v90, 16, v86
	v_min_f16_e32 v85, v87, v85
	v_min3_f16 v84, v84, v89, v90
	v_min3_f16 v84, v85, v86, v84
	v_cvt_f32_f16_e32 v84, v84
	v_min_f32_e32 v47, v47, v84
	v_add_co_u32 v84, vcc_lo, v22, v42
	v_add_co_ci_u32_e64 v85, null, v23, v43, vcc_lo
	v_cvt_f16_f32_e32 v47, v47
	s_and_b32 vcc_lo, exec_lo, s1
	global_store_short v[84:85], v47, off
	s_cbranch_vccnz .LBB276_107
; %bb.106:
	v_add_co_u32 v46, vcc_lo, v20, v40
	v_add_co_ci_u32_e64 v47, null, v21, v41, vcc_lo
	global_load_ushort v46, v[46:47], off
	s_waitcnt vmcnt(0)
	v_mul_f16_e32 v46, v48, v46
	v_cvt_f32_f16_e32 v46, v46
.LBB276_107:
	v_pk_add_f16 v47, v0, v16
	v_pk_add_f16 v84, v1, v17
	v_max_f16_e32 v85, v83, v83
	v_lshrrev_b32_e32 v83, 16, v83
	v_max_f32_e32 v46, v46, v46
	v_lshrrev_b32_e32 v86, 16, v47
	v_lshrrev_b32_e32 v87, 16, v84
	v_min_f16_e32 v47, v85, v47
	v_min3_f16 v83, v83, v86, v87
	v_min3_f16 v47, v47, v84, v83
	v_add_co_u32 v83, vcc_lo, v22, v40
	v_add_co_ci_u32_e64 v84, null, v23, v41, vcc_lo
	v_cvt_f32_f16_e32 v47, v47
	s_and_b32 vcc_lo, exec_lo, s1
	v_min_f32_e32 v46, v46, v47
	v_mov_b32_e32 v47, 0
	v_cvt_f16_f32_e32 v85, v46
	v_mov_b32_e32 v46, 0
	global_store_short v[83:84], v85, off
	s_cbranch_vccnz .LBB276_109
; %bb.108:
	v_add_co_u32 v83, vcc_lo, v20, v38
	v_add_co_ci_u32_e64 v84, null, v21, v39, vcc_lo
	global_load_ushort v47, v[83:84], off
	s_waitcnt vmcnt(0)
	v_mul_f16_e32 v47, v48, v47
	v_cvt_f32_f16_e32 v47, v47
.LBB276_109:
	v_pk_add_f16 v83, v2, v16
	v_pk_add_f16 v84, v3, v17
	v_max_f16_e32 v85, v82, v82
	v_lshrrev_b32_e32 v82, 16, v82
	v_max_f32_e32 v47, v47, v47
	v_lshrrev_b32_e32 v86, 16, v83
	v_lshrrev_b32_e32 v87, 16, v84
	v_min_f16_e32 v83, v85, v83
	v_min3_f16 v82, v82, v86, v87
	v_min3_f16 v82, v83, v84, v82
	v_cvt_f32_f16_e32 v82, v82
	v_min_f32_e32 v47, v47, v82
	v_add_co_u32 v82, vcc_lo, v22, v38
	v_add_co_ci_u32_e64 v83, null, v23, v39, vcc_lo
	v_cvt_f16_f32_e32 v47, v47
	s_and_b32 vcc_lo, exec_lo, s1
	global_store_short v[82:83], v47, off
	s_cbranch_vccnz .LBB276_111
; %bb.110:
	v_add_co_u32 v20, vcc_lo, v20, v44
	v_add_co_ci_u32_e64 v21, null, v21, v45, vcc_lo
	global_load_ushort v20, v[20:21], off
	s_waitcnt vmcnt(0)
	v_mul_f16_e32 v20, v48, v20
	v_cvt_f32_f16_e32 v46, v20
.LBB276_111:
	v_pk_add_f16 v16, v24, v16
	v_pk_add_f16 v21, v25, v17
	v_max_f16_e32 v17, v81, v81
	v_lshrrev_b32_e32 v47, 16, v81
	v_add_nc_u32_e32 v20, 0x80, v88
	v_lshrrev_b32_e32 v81, 16, v16
	v_lshrrev_b32_e32 v82, 16, v21
	v_min_f16_e32 v83, v17, v16
	v_mad_i64_i32 v[16:17], null, v20, s6, 0
	v_min3_f16 v47, v47, v81, v82
	v_max_f32_e32 v81, v46, v46
	v_add_co_u32 v46, vcc_lo, v22, v44
	v_mov_b32_e32 v22, 0
	v_min3_f16 v21, v83, v21, v47
	v_lshlrev_b64 v[16:17], 1, v[16:17]
	v_add_co_ci_u32_e64 v47, null, v23, v45, vcc_lo
	v_cvt_f32_f16_e32 v21, v21
	v_add_co_u32 v16, vcc_lo, s8, v16
	v_add_co_ci_u32_e64 v17, null, s9, v17, vcc_lo
	v_min_f32_e32 v21, v81, v21
	s_and_b32 vcc_lo, exec_lo, s1
	v_cvt_f16_f32_e32 v23, v21
	v_mov_b32_e32 v21, 0
	global_store_short v[46:47], v23, off
	s_cbranch_vccnz .LBB276_113
; %bb.112:
	v_add_co_u32 v46, vcc_lo, v16, v28
	v_add_co_ci_u32_e64 v47, null, v17, v29, vcc_lo
	global_load_ushort v21, v[46:47], off
	s_waitcnt vmcnt(0)
	v_mul_f16_e32 v21, v48, v21
	v_cvt_f32_f16_e32 v21, v21
.LBB276_113:
	v_pk_add_f16 v23, v30, v18
	v_pk_add_f16 v81, v31, v19
	v_max_f16_e32 v46, v80, v80
	v_lshrrev_b32_e32 v47, 16, v80
	v_lshrrev_b32_e32 v80, 16, v23
	;; [unrolled: 1-line block ×3, first 2 shown]
	v_min_f16_e32 v23, v46, v23
	v_min3_f16 v80, v47, v80, v82
	v_mad_i64_i32 v[46:47], null, v20, s3, 0
	v_min3_f16 v20, v23, v81, v80
	v_max_f32_e32 v23, v21, v21
	v_cvt_f32_f16_e32 v80, v20
	v_lshlrev_b64 v[20:21], 1, v[46:47]
	v_min_f32_e32 v23, v23, v80
	v_add_co_u32 v20, vcc_lo, s4, v20
	v_add_co_ci_u32_e64 v21, null, s5, v21, vcc_lo
	v_cvt_f16_f32_e32 v23, v23
	v_add_co_u32 v46, vcc_lo, v20, v28
	v_add_co_ci_u32_e64 v47, null, v21, v29, vcc_lo
	s_and_b32 vcc_lo, exec_lo, s1
	global_store_short v[46:47], v23, off
	s_cbranch_vccnz .LBB276_115
; %bb.114:
	v_add_co_u32 v22, vcc_lo, v16, v32
	v_add_co_ci_u32_e64 v23, null, v17, v33, vcc_lo
	global_load_ushort v22, v[22:23], off
	s_waitcnt vmcnt(0)
	v_mul_f16_e32 v22, v48, v22
	v_cvt_f32_f16_e32 v22, v22
.LBB276_115:
	v_pk_add_f16 v23, v8, v18
	v_pk_add_f16 v46, v9, v19
	v_max_f16_e32 v47, v79, v79
	v_lshrrev_b32_e32 v79, 16, v79
	v_max_f32_e32 v22, v22, v22
	v_lshrrev_b32_e32 v80, 16, v23
	v_lshrrev_b32_e32 v81, 16, v46
	v_min_f16_e32 v23, v47, v23
	v_min3_f16 v47, v79, v80, v81
	v_min3_f16 v23, v23, v46, v47
	v_add_co_u32 v46, vcc_lo, v20, v32
	v_add_co_ci_u32_e64 v47, null, v21, v33, vcc_lo
	v_cvt_f32_f16_e32 v23, v23
	s_and_b32 vcc_lo, exec_lo, s1
	v_min_f32_e32 v22, v22, v23
	v_mov_b32_e32 v23, 0
	v_cvt_f16_f32_e32 v79, v22
	v_mov_b32_e32 v22, 0
	global_store_short v[46:47], v79, off
	s_cbranch_vccnz .LBB276_117
; %bb.116:
	v_add_co_u32 v46, vcc_lo, v16, v34
	v_add_co_ci_u32_e64 v47, null, v17, v35, vcc_lo
	global_load_ushort v23, v[46:47], off
	s_waitcnt vmcnt(0)
	v_mul_f16_e32 v23, v48, v23
	v_cvt_f32_f16_e32 v23, v23
.LBB276_117:
	v_pk_add_f16 v46, v10, v18
	v_pk_add_f16 v47, v11, v19
	v_max_f16_e32 v79, v78, v78
	v_lshrrev_b32_e32 v78, 16, v78
	v_max_f32_e32 v23, v23, v23
	v_lshrrev_b32_e32 v80, 16, v46
	v_lshrrev_b32_e32 v81, 16, v47
	v_min_f16_e32 v46, v79, v46
	v_min3_f16 v78, v78, v80, v81
	v_min3_f16 v46, v46, v47, v78
	v_cvt_f32_f16_e32 v46, v46
	v_min_f32_e32 v23, v23, v46
	v_add_co_u32 v46, vcc_lo, v20, v34
	v_add_co_ci_u32_e64 v47, null, v21, v35, vcc_lo
	v_cvt_f16_f32_e32 v23, v23
	s_and_b32 vcc_lo, exec_lo, s1
	global_store_short v[46:47], v23, off
	s_cbranch_vccnz .LBB276_119
; %bb.118:
	v_add_co_u32 v22, vcc_lo, v16, v36
	v_add_co_ci_u32_e64 v23, null, v17, v37, vcc_lo
	global_load_ushort v22, v[22:23], off
	s_waitcnt vmcnt(0)
	v_mul_f16_e32 v22, v48, v22
	v_cvt_f32_f16_e32 v22, v22
.LBB276_119:
	v_pk_add_f16 v23, v4, v18
	v_pk_add_f16 v46, v5, v19
	v_max_f16_e32 v47, v77, v77
	v_lshrrev_b32_e32 v77, 16, v77
	v_max_f32_e32 v22, v22, v22
	v_lshrrev_b32_e32 v78, 16, v23
	v_lshrrev_b32_e32 v79, 16, v46
	v_min_f16_e32 v23, v47, v23
	v_min3_f16 v47, v77, v78, v79
	v_min3_f16 v23, v23, v46, v47
	v_add_co_u32 v46, vcc_lo, v20, v36
	v_add_co_ci_u32_e64 v47, null, v21, v37, vcc_lo
	v_cvt_f32_f16_e32 v23, v23
	s_and_b32 vcc_lo, exec_lo, s1
	v_min_f32_e32 v22, v22, v23
	v_mov_b32_e32 v23, 0
	v_cvt_f16_f32_e32 v77, v22
	v_mov_b32_e32 v22, 0
	global_store_short v[46:47], v77, off
	s_cbranch_vccnz .LBB276_121
; %bb.120:
	v_add_co_u32 v46, vcc_lo, v16, v42
	v_add_co_ci_u32_e64 v47, null, v17, v43, vcc_lo
	global_load_ushort v23, v[46:47], off
	s_waitcnt vmcnt(0)
	v_mul_f16_e32 v23, v48, v23
	v_cvt_f32_f16_e32 v23, v23
.LBB276_121:
	v_pk_add_f16 v46, v6, v18
	v_pk_add_f16 v47, v7, v19
	v_max_f16_e32 v77, v76, v76
	v_lshrrev_b32_e32 v76, 16, v76
	v_max_f32_e32 v23, v23, v23
	v_lshrrev_b32_e32 v78, 16, v46
	v_lshrrev_b32_e32 v79, 16, v47
	v_min_f16_e32 v46, v77, v46
	v_min3_f16 v76, v76, v78, v79
	v_min3_f16 v46, v46, v47, v76
	v_cvt_f32_f16_e32 v46, v46
	v_min_f32_e32 v23, v23, v46
	v_add_co_u32 v46, vcc_lo, v20, v42
	v_add_co_ci_u32_e64 v47, null, v21, v43, vcc_lo
	v_cvt_f16_f32_e32 v23, v23
	;; [unrolled: 54-line block ×3, first 2 shown]
	s_and_b32 vcc_lo, exec_lo, s1
	global_store_short v[46:47], v23, off
	s_cbranch_vccnz .LBB276_127
; %bb.126:
	v_add_co_u32 v16, vcc_lo, v16, v44
	v_add_co_ci_u32_e64 v17, null, v17, v45, vcc_lo
	global_load_ushort v16, v[16:17], off
	s_waitcnt vmcnt(0)
	v_mul_f16_e32 v16, v48, v16
	v_cvt_f32_f16_e32 v22, v16
.LBB276_127:
	v_pk_add_f16 v16, v24, v18
	v_pk_add_f16 v19, v25, v19
	v_max_f16_e32 v17, v73, v73
	v_lshrrev_b32_e32 v23, 16, v73
	v_add_nc_u32_e32 v18, 0xa0, v88
	v_lshrrev_b32_e32 v46, 16, v16
	v_lshrrev_b32_e32 v47, 16, v19
	v_min_f16_e32 v73, v17, v16
	v_mad_i64_i32 v[16:17], null, v18, s6, 0
	v_min3_f16 v23, v23, v46, v47
	v_max_f32_e32 v46, v22, v22
	v_add_co_u32 v22, vcc_lo, v20, v44
	v_mov_b32_e32 v20, 0
	v_min3_f16 v19, v73, v19, v23
	v_lshlrev_b64 v[16:17], 1, v[16:17]
	v_add_co_ci_u32_e64 v23, null, v21, v45, vcc_lo
	v_cvt_f32_f16_e32 v19, v19
	v_add_co_u32 v16, vcc_lo, s8, v16
	v_add_co_ci_u32_e64 v17, null, s9, v17, vcc_lo
	v_min_f32_e32 v19, v46, v19
	s_and_b32 vcc_lo, exec_lo, s1
	v_cvt_f16_f32_e32 v21, v19
	v_mov_b32_e32 v19, 0
	global_store_short v[22:23], v21, off
	s_cbranch_vccnz .LBB276_129
; %bb.128:
	v_add_co_u32 v21, vcc_lo, v16, v28
	v_add_co_ci_u32_e64 v22, null, v17, v29, vcc_lo
	global_load_ushort v19, v[21:22], off
	s_waitcnt vmcnt(0)
	v_mul_f16_e32 v19, v48, v19
	v_cvt_f32_f16_e32 v19, v19
.LBB276_129:
	v_pk_add_f16 v21, v30, v12
	v_pk_add_f16 v23, v31, v13
	v_max_f16_e32 v22, v72, v72
	v_lshrrev_b32_e32 v46, 16, v72
	v_lshrrev_b32_e32 v47, 16, v21
	;; [unrolled: 1-line block ×3, first 2 shown]
	v_min_f16_e32 v73, v22, v21
	v_mad_i64_i32 v[21:22], null, v18, s3, 0
	v_min3_f16 v46, v46, v47, v72
	v_min3_f16 v18, v73, v23, v46
	v_max_f32_e32 v23, v19, v19
	v_cvt_f32_f16_e32 v46, v18
	v_lshlrev_b64 v[18:19], 1, v[21:22]
	v_min_f32_e32 v21, v23, v46
	v_add_co_u32 v18, vcc_lo, s4, v18
	v_add_co_ci_u32_e64 v19, null, s5, v19, vcc_lo
	v_cvt_f16_f32_e32 v23, v21
	v_add_co_u32 v21, vcc_lo, v18, v28
	v_add_co_ci_u32_e64 v22, null, v19, v29, vcc_lo
	s_and_b32 vcc_lo, exec_lo, s1
	global_store_short v[21:22], v23, off
	s_cbranch_vccnz .LBB276_131
; %bb.130:
	v_add_co_u32 v20, vcc_lo, v16, v32
	v_add_co_ci_u32_e64 v21, null, v17, v33, vcc_lo
	global_load_ushort v20, v[20:21], off
	s_waitcnt vmcnt(0)
	v_mul_f16_e32 v20, v48, v20
	v_cvt_f32_f16_e32 v20, v20
.LBB276_131:
	v_pk_add_f16 v21, v8, v12
	v_pk_add_f16 v22, v9, v13
	v_max_f16_e32 v23, v71, v71
	v_lshrrev_b32_e32 v46, 16, v71
	v_max_f32_e32 v20, v20, v20
	v_lshrrev_b32_e32 v47, 16, v21
	v_lshrrev_b32_e32 v71, 16, v22
	v_min_f16_e32 v21, v23, v21
	v_min3_f16 v23, v46, v47, v71
	v_min3_f16 v21, v21, v22, v23
	v_add_co_u32 v22, vcc_lo, v18, v32
	v_add_co_ci_u32_e64 v23, null, v19, v33, vcc_lo
	v_cvt_f32_f16_e32 v21, v21
	s_and_b32 vcc_lo, exec_lo, s1
	v_min_f32_e32 v20, v20, v21
	v_mov_b32_e32 v21, 0
	v_cvt_f16_f32_e32 v46, v20
	v_mov_b32_e32 v20, 0
	global_store_short v[22:23], v46, off
	s_cbranch_vccnz .LBB276_133
; %bb.132:
	v_add_co_u32 v21, vcc_lo, v16, v34
	v_add_co_ci_u32_e64 v22, null, v17, v35, vcc_lo
	global_load_ushort v21, v[21:22], off
	s_waitcnt vmcnt(0)
	v_mul_f16_e32 v21, v48, v21
	v_cvt_f32_f16_e32 v21, v21
.LBB276_133:
	v_pk_add_f16 v22, v10, v12
	v_pk_add_f16 v23, v11, v13
	v_max_f16_e32 v46, v70, v70
	v_lshrrev_b32_e32 v47, 16, v70
	v_max_f32_e32 v21, v21, v21
	v_lshrrev_b32_e32 v70, 16, v22
	v_lshrrev_b32_e32 v71, 16, v23
	v_min_f16_e32 v22, v46, v22
	v_min3_f16 v46, v47, v70, v71
	v_min3_f16 v22, v22, v23, v46
	v_cvt_f32_f16_e32 v22, v22
	v_min_f32_e32 v21, v21, v22
	v_cvt_f16_f32_e32 v23, v21
	v_add_co_u32 v21, vcc_lo, v18, v34
	v_add_co_ci_u32_e64 v22, null, v19, v35, vcc_lo
	s_and_b32 vcc_lo, exec_lo, s1
	global_store_short v[21:22], v23, off
	s_cbranch_vccnz .LBB276_135
; %bb.134:
	v_add_co_u32 v20, vcc_lo, v16, v36
	v_add_co_ci_u32_e64 v21, null, v17, v37, vcc_lo
	global_load_ushort v20, v[20:21], off
	s_waitcnt vmcnt(0)
	v_mul_f16_e32 v20, v48, v20
	v_cvt_f32_f16_e32 v20, v20
.LBB276_135:
	v_pk_add_f16 v21, v4, v12
	v_pk_add_f16 v22, v5, v13
	v_max_f16_e32 v23, v69, v69
	v_lshrrev_b32_e32 v46, 16, v69
	v_max_f32_e32 v20, v20, v20
	v_lshrrev_b32_e32 v47, 16, v21
	v_lshrrev_b32_e32 v69, 16, v22
	v_min_f16_e32 v21, v23, v21
	v_min3_f16 v23, v46, v47, v69
	v_min3_f16 v21, v21, v22, v23
	v_add_co_u32 v22, vcc_lo, v18, v36
	v_add_co_ci_u32_e64 v23, null, v19, v37, vcc_lo
	v_cvt_f32_f16_e32 v21, v21
	s_and_b32 vcc_lo, exec_lo, s1
	v_min_f32_e32 v20, v20, v21
	v_mov_b32_e32 v21, 0
	v_cvt_f16_f32_e32 v46, v20
	v_mov_b32_e32 v20, 0
	global_store_short v[22:23], v46, off
	s_cbranch_vccnz .LBB276_137
; %bb.136:
	v_add_co_u32 v21, vcc_lo, v16, v42
	v_add_co_ci_u32_e64 v22, null, v17, v43, vcc_lo
	global_load_ushort v21, v[21:22], off
	s_waitcnt vmcnt(0)
	v_mul_f16_e32 v21, v48, v21
	v_cvt_f32_f16_e32 v21, v21
.LBB276_137:
	v_pk_add_f16 v22, v6, v12
	v_pk_add_f16 v23, v7, v13
	v_max_f16_e32 v46, v68, v68
	v_lshrrev_b32_e32 v47, 16, v68
	v_max_f32_e32 v21, v21, v21
	v_lshrrev_b32_e32 v68, 16, v22
	v_lshrrev_b32_e32 v69, 16, v23
	v_min_f16_e32 v22, v46, v22
	v_min3_f16 v46, v47, v68, v69
	v_min3_f16 v22, v22, v23, v46
	v_cvt_f32_f16_e32 v22, v22
	v_min_f32_e32 v21, v21, v22
	;; [unrolled: 54-line block ×3, first 2 shown]
	v_cvt_f16_f32_e32 v23, v21
	v_add_co_u32 v21, vcc_lo, v18, v38
	v_add_co_ci_u32_e64 v22, null, v19, v39, vcc_lo
	s_and_b32 vcc_lo, exec_lo, s1
	global_store_short v[21:22], v23, off
	s_cbranch_vccnz .LBB276_143
; %bb.142:
	v_add_co_u32 v16, vcc_lo, v16, v44
	v_add_co_ci_u32_e64 v17, null, v17, v45, vcc_lo
	global_load_ushort v16, v[16:17], off
	s_waitcnt vmcnt(0)
	v_mul_f16_e32 v16, v48, v16
	v_cvt_f32_f16_e32 v20, v16
.LBB276_143:
	v_pk_add_f16 v12, v24, v12
	v_pk_add_f16 v17, v25, v13
	v_max_f16_e32 v13, v65, v65
	v_lshrrev_b32_e32 v21, 16, v65
	v_add_nc_u32_e32 v16, 0xc0, v88
	v_lshrrev_b32_e32 v22, 16, v12
	v_lshrrev_b32_e32 v23, 16, v17
	v_min_f16_e32 v46, v13, v12
	v_mad_i64_i32 v[12:13], null, v16, s6, 0
	v_min3_f16 v21, v21, v22, v23
	v_max_f32_e32 v22, v20, v20
	v_add_co_u32 v20, vcc_lo, v18, v44
	v_mov_b32_e32 v18, 0
	v_min3_f16 v17, v46, v17, v21
	v_lshlrev_b64 v[12:13], 1, v[12:13]
	v_add_co_ci_u32_e64 v21, null, v19, v45, vcc_lo
	v_cvt_f32_f16_e32 v17, v17
	v_add_co_u32 v12, vcc_lo, s8, v12
	v_add_co_ci_u32_e64 v13, null, s9, v13, vcc_lo
	v_min_f32_e32 v17, v22, v17
	s_and_b32 vcc_lo, exec_lo, s1
	v_cvt_f16_f32_e32 v19, v17
	v_mov_b32_e32 v17, 0
	global_store_short v[20:21], v19, off
	s_cbranch_vccnz .LBB276_145
; %bb.144:
	v_add_co_u32 v19, vcc_lo, v12, v28
	v_add_co_ci_u32_e64 v20, null, v13, v29, vcc_lo
	global_load_ushort v17, v[19:20], off
	s_waitcnt vmcnt(0)
	v_mul_f16_e32 v17, v48, v17
	v_cvt_f32_f16_e32 v17, v17
.LBB276_145:
	v_pk_add_f16 v19, v30, v14
	v_pk_add_f16 v21, v31, v15
	v_max_f16_e32 v20, v64, v64
	v_lshrrev_b32_e32 v22, 16, v64
	v_lshrrev_b32_e32 v23, 16, v19
	;; [unrolled: 1-line block ×3, first 2 shown]
	v_min_f16_e32 v47, v20, v19
	v_mad_i64_i32 v[19:20], null, v16, s3, 0
	v_min3_f16 v22, v22, v23, v46
	v_min3_f16 v16, v47, v21, v22
	v_max_f32_e32 v21, v17, v17
	v_cvt_f32_f16_e32 v22, v16
	v_lshlrev_b64 v[16:17], 1, v[19:20]
	v_min_f32_e32 v19, v21, v22
	v_add_co_u32 v16, vcc_lo, s4, v16
	v_add_co_ci_u32_e64 v17, null, s5, v17, vcc_lo
	v_cvt_f16_f32_e32 v21, v19
	v_add_co_u32 v19, vcc_lo, v16, v28
	v_add_co_ci_u32_e64 v20, null, v17, v29, vcc_lo
	s_and_b32 vcc_lo, exec_lo, s1
	global_store_short v[19:20], v21, off
	s_cbranch_vccnz .LBB276_147
; %bb.146:
	v_add_co_u32 v18, vcc_lo, v12, v32
	v_add_co_ci_u32_e64 v19, null, v13, v33, vcc_lo
	global_load_ushort v18, v[18:19], off
	s_waitcnt vmcnt(0)
	v_mul_f16_e32 v18, v48, v18
	v_cvt_f32_f16_e32 v18, v18
.LBB276_147:
	v_pk_add_f16 v19, v8, v14
	v_pk_add_f16 v20, v9, v15
	v_max_f16_e32 v21, v63, v63
	v_lshrrev_b32_e32 v22, 16, v63
	v_max_f32_e32 v18, v18, v18
	v_lshrrev_b32_e32 v23, 16, v19
	v_lshrrev_b32_e32 v46, 16, v20
	v_min_f16_e32 v19, v21, v19
	v_min3_f16 v21, v22, v23, v46
	v_min3_f16 v19, v19, v20, v21
	v_add_co_u32 v20, vcc_lo, v16, v32
	v_add_co_ci_u32_e64 v21, null, v17, v33, vcc_lo
	v_cvt_f32_f16_e32 v19, v19
	s_and_b32 vcc_lo, exec_lo, s1
	v_min_f32_e32 v18, v18, v19
	v_mov_b32_e32 v19, 0
	v_cvt_f16_f32_e32 v22, v18
	v_mov_b32_e32 v18, 0
	global_store_short v[20:21], v22, off
	s_cbranch_vccnz .LBB276_149
; %bb.148:
	v_add_co_u32 v19, vcc_lo, v12, v34
	v_add_co_ci_u32_e64 v20, null, v13, v35, vcc_lo
	global_load_ushort v19, v[19:20], off
	s_waitcnt vmcnt(0)
	v_mul_f16_e32 v19, v48, v19
	v_cvt_f32_f16_e32 v19, v19
.LBB276_149:
	v_pk_add_f16 v20, v10, v14
	v_pk_add_f16 v21, v11, v15
	v_max_f16_e32 v22, v62, v62
	v_lshrrev_b32_e32 v23, 16, v62
	v_max_f32_e32 v19, v19, v19
	v_lshrrev_b32_e32 v46, 16, v20
	v_lshrrev_b32_e32 v47, 16, v21
	v_min_f16_e32 v20, v22, v20
	v_min3_f16 v22, v23, v46, v47
	v_min3_f16 v20, v20, v21, v22
	v_cvt_f32_f16_e32 v20, v20
	v_min_f32_e32 v19, v19, v20
	v_cvt_f16_f32_e32 v21, v19
	v_add_co_u32 v19, vcc_lo, v16, v34
	v_add_co_ci_u32_e64 v20, null, v17, v35, vcc_lo
	s_and_b32 vcc_lo, exec_lo, s1
	global_store_short v[19:20], v21, off
	s_cbranch_vccnz .LBB276_151
; %bb.150:
	v_add_co_u32 v18, vcc_lo, v12, v36
	v_add_co_ci_u32_e64 v19, null, v13, v37, vcc_lo
	global_load_ushort v18, v[18:19], off
	s_waitcnt vmcnt(0)
	v_mul_f16_e32 v18, v48, v18
	v_cvt_f32_f16_e32 v18, v18
.LBB276_151:
	v_pk_add_f16 v19, v4, v14
	v_pk_add_f16 v20, v5, v15
	v_max_f16_e32 v21, v61, v61
	v_lshrrev_b32_e32 v22, 16, v61
	v_max_f32_e32 v18, v18, v18
	v_lshrrev_b32_e32 v23, 16, v19
	v_lshrrev_b32_e32 v46, 16, v20
	v_min_f16_e32 v19, v21, v19
	v_min3_f16 v21, v22, v23, v46
	v_min3_f16 v19, v19, v20, v21
	v_add_co_u32 v20, vcc_lo, v16, v36
	v_add_co_ci_u32_e64 v21, null, v17, v37, vcc_lo
	v_cvt_f32_f16_e32 v19, v19
	s_and_b32 vcc_lo, exec_lo, s1
	v_min_f32_e32 v18, v18, v19
	v_mov_b32_e32 v19, 0
	v_cvt_f16_f32_e32 v22, v18
	v_mov_b32_e32 v18, 0
	global_store_short v[20:21], v22, off
	s_cbranch_vccnz .LBB276_153
; %bb.152:
	v_add_co_u32 v19, vcc_lo, v12, v42
	v_add_co_ci_u32_e64 v20, null, v13, v43, vcc_lo
	global_load_ushort v19, v[19:20], off
	s_waitcnt vmcnt(0)
	v_mul_f16_e32 v19, v48, v19
	v_cvt_f32_f16_e32 v19, v19
.LBB276_153:
	v_pk_add_f16 v20, v6, v14
	v_pk_add_f16 v21, v7, v15
	v_max_f16_e32 v22, v60, v60
	v_lshrrev_b32_e32 v23, 16, v60
	v_max_f32_e32 v19, v19, v19
	v_lshrrev_b32_e32 v46, 16, v20
	v_lshrrev_b32_e32 v47, 16, v21
	v_min_f16_e32 v20, v22, v20
	v_min3_f16 v22, v23, v46, v47
	v_min3_f16 v20, v20, v21, v22
	v_cvt_f32_f16_e32 v20, v20
	v_min_f32_e32 v19, v19, v20
	;; [unrolled: 54-line block ×3, first 2 shown]
	v_cvt_f16_f32_e32 v21, v19
	v_add_co_u32 v19, vcc_lo, v16, v38
	v_add_co_ci_u32_e64 v20, null, v17, v39, vcc_lo
	s_and_b32 vcc_lo, exec_lo, s1
	global_store_short v[19:20], v21, off
	s_cbranch_vccnz .LBB276_159
; %bb.158:
	v_add_co_u32 v12, vcc_lo, v12, v44
	v_add_co_ci_u32_e64 v13, null, v13, v45, vcc_lo
	global_load_ushort v12, v[12:13], off
	s_waitcnt vmcnt(0)
	v_mul_f16_e32 v12, v48, v12
	v_cvt_f32_f16_e32 v18, v12
.LBB276_159:
	v_pk_add_f16 v12, v24, v14
	v_pk_add_f16 v15, v25, v15
	v_max_f16_e32 v13, v57, v57
	v_lshrrev_b32_e32 v19, 16, v57
	v_add_nc_u32_e32 v14, 0xe0, v88
	v_lshrrev_b32_e32 v20, 16, v12
	v_lshrrev_b32_e32 v21, 16, v15
	v_min_f16_e32 v22, v13, v12
	v_mad_i64_i32 v[12:13], null, v14, s6, 0
	v_min3_f16 v19, v19, v20, v21
	v_max_f32_e32 v20, v18, v18
	v_add_co_u32 v18, vcc_lo, v16, v44
	v_mov_b32_e32 v16, 0
	v_min3_f16 v15, v22, v15, v19
	v_lshlrev_b64 v[12:13], 1, v[12:13]
	v_add_co_ci_u32_e64 v19, null, v17, v45, vcc_lo
	v_cvt_f32_f16_e32 v15, v15
	v_add_co_u32 v12, vcc_lo, s8, v12
	v_add_co_ci_u32_e64 v13, null, s9, v13, vcc_lo
	v_min_f32_e32 v15, v20, v15
	s_and_b32 vcc_lo, exec_lo, s1
	v_cvt_f16_f32_e32 v17, v15
	v_mov_b32_e32 v15, 0
	global_store_short v[18:19], v17, off
	s_cbranch_vccnz .LBB276_161
; %bb.160:
	v_add_co_u32 v17, vcc_lo, v12, v28
	v_add_co_ci_u32_e64 v18, null, v13, v29, vcc_lo
	global_load_ushort v15, v[17:18], off
	s_waitcnt vmcnt(0)
	v_mul_f16_e32 v15, v48, v15
	v_cvt_f32_f16_e32 v15, v15
.LBB276_161:
	v_pk_add_f16 v17, v30, v26
	v_pk_add_f16 v19, v31, v27
	v_max_f16_e32 v18, v56, v56
	v_lshrrev_b32_e32 v20, 16, v56
	v_lshrrev_b32_e32 v21, 16, v17
	;; [unrolled: 1-line block ×3, first 2 shown]
	v_min_f16_e32 v23, v18, v17
	v_mad_i64_i32 v[17:18], null, v14, s3, 0
	v_min3_f16 v20, v20, v21, v22
	v_min3_f16 v14, v23, v19, v20
	v_max_f32_e32 v19, v15, v15
	v_cvt_f32_f16_e32 v20, v14
	v_lshlrev_b64 v[14:15], 1, v[17:18]
	v_min_f32_e32 v17, v19, v20
	v_add_co_u32 v14, vcc_lo, s4, v14
	v_add_co_ci_u32_e64 v15, null, s5, v15, vcc_lo
	v_cvt_f16_f32_e32 v19, v17
	v_add_co_u32 v17, vcc_lo, v14, v28
	v_add_co_ci_u32_e64 v18, null, v15, v29, vcc_lo
	s_and_b32 vcc_lo, exec_lo, s1
	global_store_short v[17:18], v19, off
	s_cbranch_vccnz .LBB276_163
; %bb.162:
	v_add_co_u32 v16, vcc_lo, v12, v32
	v_add_co_ci_u32_e64 v17, null, v13, v33, vcc_lo
	global_load_ushort v16, v[16:17], off
	s_waitcnt vmcnt(0)
	v_mul_f16_e32 v16, v48, v16
	v_cvt_f32_f16_e32 v16, v16
.LBB276_163:
	v_pk_add_f16 v8, v8, v26
	v_pk_add_f16 v9, v9, v27
	v_max_f16_e32 v17, v55, v55
	v_lshrrev_b32_e32 v18, 16, v55
	v_lshrrev_b32_e32 v19, 16, v8
	;; [unrolled: 1-line block ×3, first 2 shown]
	v_min_f16_e32 v8, v17, v8
	v_min3_f16 v17, v18, v19, v20
	v_min3_f16 v8, v8, v9, v17
	v_max_f32_e32 v9, v16, v16
	v_add_co_u32 v16, vcc_lo, v14, v32
	v_add_co_ci_u32_e64 v17, null, v15, v33, vcc_lo
	v_cvt_f32_f16_e32 v8, v8
	s_and_b32 vcc_lo, exec_lo, s1
	v_min_f32_e32 v8, v9, v8
	v_mov_b32_e32 v9, 0
	v_cvt_f16_f32_e32 v18, v8
	v_mov_b32_e32 v8, 0
	global_store_short v[16:17], v18, off
	s_cbranch_vccnz .LBB276_165
; %bb.164:
	v_add_co_u32 v16, vcc_lo, v12, v34
	v_add_co_ci_u32_e64 v17, null, v13, v35, vcc_lo
	global_load_ushort v9, v[16:17], off
	s_waitcnt vmcnt(0)
	v_mul_f16_e32 v9, v48, v9
	v_cvt_f32_f16_e32 v9, v9
.LBB276_165:
	v_pk_add_f16 v10, v10, v26
	v_pk_add_f16 v11, v11, v27
	v_max_f16_e32 v16, v54, v54
	v_lshrrev_b32_e32 v17, 16, v54
	v_max_f32_e32 v9, v9, v9
	v_lshrrev_b32_e32 v18, 16, v10
	v_lshrrev_b32_e32 v19, 16, v11
	v_min_f16_e32 v10, v16, v10
	v_min3_f16 v16, v17, v18, v19
	v_min3_f16 v10, v10, v11, v16
	v_cvt_f32_f16_e32 v10, v10
	v_min_f32_e32 v9, v9, v10
	v_cvt_f16_f32_e32 v11, v9
	v_add_co_u32 v9, vcc_lo, v14, v34
	v_add_co_ci_u32_e64 v10, null, v15, v35, vcc_lo
	s_and_b32 vcc_lo, exec_lo, s1
	global_store_short v[9:10], v11, off
	s_cbranch_vccnz .LBB276_167
; %bb.166:
	v_add_co_u32 v8, vcc_lo, v12, v36
	v_add_co_ci_u32_e64 v9, null, v13, v37, vcc_lo
	global_load_ushort v8, v[8:9], off
	s_waitcnt vmcnt(0)
	v_mul_f16_e32 v8, v48, v8
	v_cvt_f32_f16_e32 v8, v8
.LBB276_167:
	v_pk_add_f16 v4, v4, v26
	v_pk_add_f16 v5, v5, v27
	v_max_f16_e32 v9, v53, v53
	v_lshrrev_b32_e32 v10, 16, v53
	v_lshrrev_b32_e32 v11, 16, v4
	v_lshrrev_b32_e32 v16, 16, v5
	v_min_f16_e32 v4, v9, v4
	v_min3_f16 v9, v10, v11, v16
	v_min3_f16 v4, v4, v5, v9
	v_max_f32_e32 v5, v8, v8
	v_add_co_u32 v8, vcc_lo, v14, v36
	v_add_co_ci_u32_e64 v9, null, v15, v37, vcc_lo
	v_cvt_f32_f16_e32 v4, v4
	s_and_b32 vcc_lo, exec_lo, s1
	v_min_f32_e32 v4, v5, v4
	v_mov_b32_e32 v5, 0
	v_cvt_f16_f32_e32 v10, v4
	v_mov_b32_e32 v4, 0
	global_store_short v[8:9], v10, off
	s_cbranch_vccnz .LBB276_169
; %bb.168:
	v_add_co_u32 v8, vcc_lo, v12, v42
	v_add_co_ci_u32_e64 v9, null, v13, v43, vcc_lo
	global_load_ushort v5, v[8:9], off
	s_waitcnt vmcnt(0)
	v_mul_f16_e32 v5, v48, v5
	v_cvt_f32_f16_e32 v5, v5
.LBB276_169:
	v_pk_add_f16 v6, v6, v26
	v_pk_add_f16 v7, v7, v27
	v_max_f16_e32 v8, v52, v52
	v_lshrrev_b32_e32 v9, 16, v52
	v_max_f32_e32 v5, v5, v5
	v_lshrrev_b32_e32 v10, 16, v6
	v_lshrrev_b32_e32 v11, 16, v7
	v_min_f16_e32 v6, v8, v6
	v_min3_f16 v8, v9, v10, v11
	v_min3_f16 v6, v6, v7, v8
	v_cvt_f32_f16_e32 v6, v6
	v_min_f32_e32 v5, v5, v6
	v_cvt_f16_f32_e32 v7, v5
	v_add_co_u32 v5, vcc_lo, v14, v42
	v_add_co_ci_u32_e64 v6, null, v15, v43, vcc_lo
	s_and_b32 vcc_lo, exec_lo, s1
	global_store_short v[5:6], v7, off
	s_cbranch_vccnz .LBB276_171
; %bb.170:
	v_add_co_u32 v4, vcc_lo, v12, v40
	v_add_co_ci_u32_e64 v5, null, v13, v41, vcc_lo
	global_load_ushort v4, v[4:5], off
	s_waitcnt vmcnt(0)
	v_mul_f16_e32 v4, v48, v4
	v_cvt_f32_f16_e32 v4, v4
.LBB276_171:
	v_pk_add_f16 v0, v0, v26
	v_pk_add_f16 v1, v1, v27
	v_max_f16_e32 v5, v51, v51
	v_lshrrev_b32_e32 v6, 16, v51
	v_pk_add_f16 v3, v3, v27
	v_lshrrev_b32_e32 v7, 16, v0
	v_lshrrev_b32_e32 v8, 16, v1
	v_min_f16_e32 v0, v5, v0
	s_mov_b32 s1, -1
	v_min3_f16 v5, v6, v7, v8
	v_lshrrev_b32_e32 v6, 16, v50
	v_lshrrev_b32_e32 v8, 16, v3
	v_min3_f16 v0, v0, v1, v5
	v_pk_add_f16 v5, v2, v26
	v_max_f32_e32 v1, v4, v4
	v_max_f16_e32 v4, v50, v50
	v_cvt_f32_f16_e32 v0, v0
	v_lshrrev_b32_e32 v7, 16, v5
	v_min_f16_e32 v4, v4, v5
	v_min_f32_e32 v0, v1, v0
	v_min3_f16 v5, v6, v7, v8
	v_add_co_u32 v1, vcc_lo, v14, v40
	v_add_co_ci_u32_e64 v2, null, v15, v41, vcc_lo
	v_cvt_f16_f32_e32 v6, v0
	v_min3_f16 v0, v4, v3, v5
	s_mov_b32 vcc_lo, s0
	global_store_short v[1:2], v6, off
	s_cbranch_vccz .LBB276_173
; %bb.172:
	v_cvt_f32_f16_e32 v1, v0
	s_mov_b32 s1, 0
	v_min_f32_e32 v1, 0, v1
	v_cvt_f16_f32_e32 v3, v1
	v_add_co_u32 v1, vcc_lo, v14, v38
	v_add_co_ci_u32_e64 v2, null, v15, v39, vcc_lo
	global_store_short v[1:2], v3, off
.LBB276_173:
	v_mov_b32_e32 v1, 0
	s_andn2_b32 vcc_lo, exec_lo, s1
	s_cbranch_vccnz .LBB276_175
; %bb.174:
	v_add_co_u32 v1, vcc_lo, v12, v38
	v_add_co_ci_u32_e64 v2, null, v13, v39, vcc_lo
	global_load_ushort v1, v[1:2], off
	v_max_f16_e32 v2, v0, v0
	v_add_co_u32 v0, vcc_lo, v14, v38
	s_waitcnt vmcnt(0)
	v_mul_f16_e32 v3, v48, v1
	v_add_co_ci_u32_e64 v1, null, v15, v39, vcc_lo
	v_min_f16_e32 v4, v3, v2
	v_add_co_u32 v2, vcc_lo, v12, v44
	v_add_co_ci_u32_e64 v3, null, v13, v45, vcc_lo
	global_store_short v[0:1], v4, off
	global_load_ushort v0, v[2:3], off
	s_waitcnt vmcnt(0)
	v_mul_f16_e32 v0, v48, v0
	v_cvt_f32_f16_e32 v1, v0
.LBB276_175:
	v_pk_add_f16 v0, v24, v26
	v_pk_add_f16 v2, v25, v27
	v_max_f16_e32 v3, v49, v49
	v_lshrrev_b32_e32 v4, 16, v49
	v_max_f32_e32 v1, v1, v1
	v_lshrrev_b32_e32 v5, 16, v0
	v_lshrrev_b32_e32 v6, 16, v2
	v_min_f16_e32 v0, v3, v0
	v_min3_f16 v3, v4, v5, v6
	v_min3_f16 v0, v0, v2, v3
	v_cvt_f32_f16_e32 v0, v0
	v_min_f32_e32 v0, v1, v0
	v_cvt_f16_f32_e32 v2, v0
	v_add_co_u32 v0, vcc_lo, v14, v44
	v_add_co_ci_u32_e64 v1, null, v15, v45, vcc_lo
	global_store_short v[0:1], v2, off
	s_endpgm
	.section	.rodata,"a",@progbits
	.p2align	6, 0x0
	.amdhsa_kernel _ZN12_GLOBAL__N_120geam_min_plus_kernelIDF16_Dv2_DF16_S1_Li8ELi32ELi64ELi256ELi4ELi4ELi64ELi64ELi4ELc84ELc84ELb0ELb0ELb1EPKDF16_S2_DF16_EEviiiT16_PT17_ilS6_ilS4_S6_ilPT18_ili26rocblas_geam_ex_operation_
		.amdhsa_group_segment_fixed_size 5120
		.amdhsa_private_segment_fixed_size 0
		.amdhsa_kernarg_size 136
		.amdhsa_user_sgpr_count 6
		.amdhsa_user_sgpr_private_segment_buffer 1
		.amdhsa_user_sgpr_dispatch_ptr 0
		.amdhsa_user_sgpr_queue_ptr 0
		.amdhsa_user_sgpr_kernarg_segment_ptr 1
		.amdhsa_user_sgpr_dispatch_id 0
		.amdhsa_user_sgpr_flat_scratch_init 0
		.amdhsa_user_sgpr_private_segment_size 0
		.amdhsa_wavefront_size32 1
		.amdhsa_uses_dynamic_stack 0
		.amdhsa_system_sgpr_private_segment_wavefront_offset 0
		.amdhsa_system_sgpr_workgroup_id_x 1
		.amdhsa_system_sgpr_workgroup_id_y 0
		.amdhsa_system_sgpr_workgroup_id_z 1
		.amdhsa_system_sgpr_workgroup_info 0
		.amdhsa_system_vgpr_workitem_id 1
		.amdhsa_next_free_vgpr 169
		.amdhsa_next_free_sgpr 24
		.amdhsa_reserve_vcc 1
		.amdhsa_reserve_flat_scratch 0
		.amdhsa_float_round_mode_32 0
		.amdhsa_float_round_mode_16_64 0
		.amdhsa_float_denorm_mode_32 3
		.amdhsa_float_denorm_mode_16_64 3
		.amdhsa_dx10_clamp 1
		.amdhsa_ieee_mode 1
		.amdhsa_fp16_overflow 0
		.amdhsa_workgroup_processor_mode 1
		.amdhsa_memory_ordered 1
		.amdhsa_forward_progress 1
		.amdhsa_shared_vgpr_count 0
		.amdhsa_exception_fp_ieee_invalid_op 0
		.amdhsa_exception_fp_denorm_src 0
		.amdhsa_exception_fp_ieee_div_zero 0
		.amdhsa_exception_fp_ieee_overflow 0
		.amdhsa_exception_fp_ieee_underflow 0
		.amdhsa_exception_fp_ieee_inexact 0
		.amdhsa_exception_int_div_zero 0
	.end_amdhsa_kernel
	.section	.text._ZN12_GLOBAL__N_120geam_min_plus_kernelIDF16_Dv2_DF16_S1_Li8ELi32ELi64ELi256ELi4ELi4ELi64ELi64ELi4ELc84ELc84ELb0ELb0ELb1EPKDF16_S2_DF16_EEviiiT16_PT17_ilS6_ilS4_S6_ilPT18_ili26rocblas_geam_ex_operation_,"axG",@progbits,_ZN12_GLOBAL__N_120geam_min_plus_kernelIDF16_Dv2_DF16_S1_Li8ELi32ELi64ELi256ELi4ELi4ELi64ELi64ELi4ELc84ELc84ELb0ELb0ELb1EPKDF16_S2_DF16_EEviiiT16_PT17_ilS6_ilS4_S6_ilPT18_ili26rocblas_geam_ex_operation_,comdat
.Lfunc_end276:
	.size	_ZN12_GLOBAL__N_120geam_min_plus_kernelIDF16_Dv2_DF16_S1_Li8ELi32ELi64ELi256ELi4ELi4ELi64ELi64ELi4ELc84ELc84ELb0ELb0ELb1EPKDF16_S2_DF16_EEviiiT16_PT17_ilS6_ilS4_S6_ilPT18_ili26rocblas_geam_ex_operation_, .Lfunc_end276-_ZN12_GLOBAL__N_120geam_min_plus_kernelIDF16_Dv2_DF16_S1_Li8ELi32ELi64ELi256ELi4ELi4ELi64ELi64ELi4ELc84ELc84ELb0ELb0ELb1EPKDF16_S2_DF16_EEviiiT16_PT17_ilS6_ilS4_S6_ilPT18_ili26rocblas_geam_ex_operation_
                                        ; -- End function
	.set _ZN12_GLOBAL__N_120geam_min_plus_kernelIDF16_Dv2_DF16_S1_Li8ELi32ELi64ELi256ELi4ELi4ELi64ELi64ELi4ELc84ELc84ELb0ELb0ELb1EPKDF16_S2_DF16_EEviiiT16_PT17_ilS6_ilS4_S6_ilPT18_ili26rocblas_geam_ex_operation_.num_vgpr, 169
	.set _ZN12_GLOBAL__N_120geam_min_plus_kernelIDF16_Dv2_DF16_S1_Li8ELi32ELi64ELi256ELi4ELi4ELi64ELi64ELi4ELc84ELc84ELb0ELb0ELb1EPKDF16_S2_DF16_EEviiiT16_PT17_ilS6_ilS4_S6_ilPT18_ili26rocblas_geam_ex_operation_.num_agpr, 0
	.set _ZN12_GLOBAL__N_120geam_min_plus_kernelIDF16_Dv2_DF16_S1_Li8ELi32ELi64ELi256ELi4ELi4ELi64ELi64ELi4ELc84ELc84ELb0ELb0ELb1EPKDF16_S2_DF16_EEviiiT16_PT17_ilS6_ilS4_S6_ilPT18_ili26rocblas_geam_ex_operation_.numbered_sgpr, 24
	.set _ZN12_GLOBAL__N_120geam_min_plus_kernelIDF16_Dv2_DF16_S1_Li8ELi32ELi64ELi256ELi4ELi4ELi64ELi64ELi4ELc84ELc84ELb0ELb0ELb1EPKDF16_S2_DF16_EEviiiT16_PT17_ilS6_ilS4_S6_ilPT18_ili26rocblas_geam_ex_operation_.num_named_barrier, 0
	.set _ZN12_GLOBAL__N_120geam_min_plus_kernelIDF16_Dv2_DF16_S1_Li8ELi32ELi64ELi256ELi4ELi4ELi64ELi64ELi4ELc84ELc84ELb0ELb0ELb1EPKDF16_S2_DF16_EEviiiT16_PT17_ilS6_ilS4_S6_ilPT18_ili26rocblas_geam_ex_operation_.private_seg_size, 0
	.set _ZN12_GLOBAL__N_120geam_min_plus_kernelIDF16_Dv2_DF16_S1_Li8ELi32ELi64ELi256ELi4ELi4ELi64ELi64ELi4ELc84ELc84ELb0ELb0ELb1EPKDF16_S2_DF16_EEviiiT16_PT17_ilS6_ilS4_S6_ilPT18_ili26rocblas_geam_ex_operation_.uses_vcc, 1
	.set _ZN12_GLOBAL__N_120geam_min_plus_kernelIDF16_Dv2_DF16_S1_Li8ELi32ELi64ELi256ELi4ELi4ELi64ELi64ELi4ELc84ELc84ELb0ELb0ELb1EPKDF16_S2_DF16_EEviiiT16_PT17_ilS6_ilS4_S6_ilPT18_ili26rocblas_geam_ex_operation_.uses_flat_scratch, 0
	.set _ZN12_GLOBAL__N_120geam_min_plus_kernelIDF16_Dv2_DF16_S1_Li8ELi32ELi64ELi256ELi4ELi4ELi64ELi64ELi4ELc84ELc84ELb0ELb0ELb1EPKDF16_S2_DF16_EEviiiT16_PT17_ilS6_ilS4_S6_ilPT18_ili26rocblas_geam_ex_operation_.has_dyn_sized_stack, 0
	.set _ZN12_GLOBAL__N_120geam_min_plus_kernelIDF16_Dv2_DF16_S1_Li8ELi32ELi64ELi256ELi4ELi4ELi64ELi64ELi4ELc84ELc84ELb0ELb0ELb1EPKDF16_S2_DF16_EEviiiT16_PT17_ilS6_ilS4_S6_ilPT18_ili26rocblas_geam_ex_operation_.has_recursion, 0
	.set _ZN12_GLOBAL__N_120geam_min_plus_kernelIDF16_Dv2_DF16_S1_Li8ELi32ELi64ELi256ELi4ELi4ELi64ELi64ELi4ELc84ELc84ELb0ELb0ELb1EPKDF16_S2_DF16_EEviiiT16_PT17_ilS6_ilS4_S6_ilPT18_ili26rocblas_geam_ex_operation_.has_indirect_call, 0
	.section	.AMDGPU.csdata,"",@progbits
; Kernel info:
; codeLenInByte = 19888
; TotalNumSgprs: 26
; NumVgprs: 169
; ScratchSize: 0
; MemoryBound: 0
; FloatMode: 240
; IeeeMode: 1
; LDSByteSize: 5120 bytes/workgroup (compile time only)
; SGPRBlocks: 0
; VGPRBlocks: 21
; NumSGPRsForWavesPerEU: 26
; NumVGPRsForWavesPerEU: 169
; Occupancy: 5
; WaveLimiterHint : 1
; COMPUTE_PGM_RSRC2:SCRATCH_EN: 0
; COMPUTE_PGM_RSRC2:USER_SGPR: 6
; COMPUTE_PGM_RSRC2:TRAP_HANDLER: 0
; COMPUTE_PGM_RSRC2:TGID_X_EN: 1
; COMPUTE_PGM_RSRC2:TGID_Y_EN: 0
; COMPUTE_PGM_RSRC2:TGID_Z_EN: 1
; COMPUTE_PGM_RSRC2:TIDIG_COMP_CNT: 1
	.section	.text._ZN12_GLOBAL__N_120geam_min_plus_kernelIDF16_Dv2_DF16_S1_Li8ELi32ELi64ELi256ELi4ELi4ELi64ELi64ELi4ELc84ELc84ELb1ELb0ELb1EDF16_KDF16_DF16_EEviiiT16_PT17_ilS5_ilS3_S5_ilPT18_ili26rocblas_geam_ex_operation_,"axG",@progbits,_ZN12_GLOBAL__N_120geam_min_plus_kernelIDF16_Dv2_DF16_S1_Li8ELi32ELi64ELi256ELi4ELi4ELi64ELi64ELi4ELc84ELc84ELb1ELb0ELb1EDF16_KDF16_DF16_EEviiiT16_PT17_ilS5_ilS3_S5_ilPT18_ili26rocblas_geam_ex_operation_,comdat
	.globl	_ZN12_GLOBAL__N_120geam_min_plus_kernelIDF16_Dv2_DF16_S1_Li8ELi32ELi64ELi256ELi4ELi4ELi64ELi64ELi4ELc84ELc84ELb1ELb0ELb1EDF16_KDF16_DF16_EEviiiT16_PT17_ilS5_ilS3_S5_ilPT18_ili26rocblas_geam_ex_operation_ ; -- Begin function _ZN12_GLOBAL__N_120geam_min_plus_kernelIDF16_Dv2_DF16_S1_Li8ELi32ELi64ELi256ELi4ELi4ELi64ELi64ELi4ELc84ELc84ELb1ELb0ELb1EDF16_KDF16_DF16_EEviiiT16_PT17_ilS5_ilS3_S5_ilPT18_ili26rocblas_geam_ex_operation_
	.p2align	8
	.type	_ZN12_GLOBAL__N_120geam_min_plus_kernelIDF16_Dv2_DF16_S1_Li8ELi32ELi64ELi256ELi4ELi4ELi64ELi64ELi4ELc84ELc84ELb1ELb0ELb1EDF16_KDF16_DF16_EEviiiT16_PT17_ilS5_ilS3_S5_ilPT18_ili26rocblas_geam_ex_operation_,@function
_ZN12_GLOBAL__N_120geam_min_plus_kernelIDF16_Dv2_DF16_S1_Li8ELi32ELi64ELi256ELi4ELi4ELi64ELi64ELi4ELc84ELc84ELb1ELb0ELb1EDF16_KDF16_DF16_EEviiiT16_PT17_ilS5_ilS3_S5_ilPT18_ili26rocblas_geam_ex_operation_: ; @_ZN12_GLOBAL__N_120geam_min_plus_kernelIDF16_Dv2_DF16_S1_Li8ELi32ELi64ELi256ELi4ELi4ELi64ELi64ELi4ELc84ELc84ELb1ELb0ELb1EDF16_KDF16_DF16_EEviiiT16_PT17_ilS5_ilS3_S5_ilPT18_ili26rocblas_geam_ex_operation_
; %bb.0:
	s_mov_b64 s[26:27], s[2:3]
	s_mov_b64 s[24:25], s[0:1]
	s_clause 0x1
	s_load_dwordx2 s[14:15], s[4:5], 0x8
	s_load_dwordx4 s[0:3], s[4:5], 0x20
	s_add_u32 s24, s24, s8
	s_addc_u32 s25, s25, 0
	s_waitcnt lgkmcnt(0)
	v_cmp_eq_f16_e64 s8, s15, 0
	s_and_b32 vcc_lo, exec_lo, s8
	s_cbranch_vccnz .LBB277_140
; %bb.1:
	s_load_dwordx2 s[10:11], s[4:5], 0x10
	s_mul_i32 s1, s1, s7
	s_mul_hi_u32 s9, s0, s7
	s_mul_i32 s0, s0, s7
	s_add_i32 s1, s9, s1
	s_lshl_b64 s[0:1], s[0:1], 1
	s_waitcnt lgkmcnt(0)
	s_add_u32 s16, s10, s0
	s_addc_u32 s17, s11, s1
	s_andn2_b32 vcc_lo, exec_lo, s8
	s_mov_b32 s0, -1
	s_cbranch_vccnz .LBB277_3
.LBB277_2:
	s_mov_b32 s0, 0
.LBB277_3:
	s_mov_b64 s[12:13], 0
	s_andn2_b32 vcc_lo, exec_lo, s0
	s_mov_b64 s[18:19], 0
	s_cbranch_vccnz .LBB277_5
; %bb.4:
	s_load_dwordx2 s[0:1], s[4:5], 0x38
	s_waitcnt lgkmcnt(0)
	s_mul_i32 s1, s1, s7
	s_mul_hi_u32 s8, s0, s7
	s_mul_i32 s0, s0, s7
	s_add_i32 s1, s8, s1
	s_lshl_b64 s[0:1], s[0:1], 1
	s_add_u32 s18, s2, s0
	s_addc_u32 s19, s3, s1
.LBB277_5:
	s_clause 0x1
	s_load_dword s15, s[4:5], 0x40
	s_load_dwordx4 s[8:11], s[4:5], 0x58
	s_waitcnt lgkmcnt(0)
	v_cmp_eq_f16_e64 s0, s15, 0
	s_and_b32 s0, exec_lo, s0
	s_mov_b32 vcc_lo, s0
	s_cbranch_vccnz .LBB277_7
; %bb.6:
	s_load_dwordx2 s[2:3], s[4:5], 0x48
	s_mul_i32 s1, s9, s7
	s_mul_hi_u32 s9, s8, s7
	s_mul_i32 s8, s8, s7
	s_add_i32 s9, s9, s1
	s_lshl_b64 s[8:9], s[8:9], 1
	s_waitcnt lgkmcnt(0)
	s_add_u32 s12, s2, s8
	s_addc_u32 s13, s3, s9
.LBB277_7:
	s_clause 0x2
	s_load_dword s1, s[4:5], 0x0
	s_load_dword s3, s[4:5], 0x18
	;; [unrolled: 1-line block ×3, first 2 shown]
	v_lshlrev_b32_e32 v185, 3, v1
	v_and_b32_e32 v3, 3, v0
	v_lshlrev_b32_e32 v129, 3, v0
	v_add_nc_u32_e32 v6, v185, v0
	v_lshlrev_b32_e32 v127, 1, v3
	v_add_nc_u32_e32 v22, 0x1000, v129
	v_lshrrev_b32_e32 v13, 2, v6
	v_lshrrev_b32_e32 v4, 6, v6
	v_and_b32_e32 v14, 63, v6
	v_lshl_or_b32 v128, v13, 3, v127
	v_add_nc_u32_e32 v8, 4, v4
	s_waitcnt lgkmcnt(0)
	s_add_i32 s1, s1, -1
	s_ashr_i32 s8, s1, 31
	v_mad_i64_i32 v[9:10], null, s2, v4, 0
	s_lshr_b32 s8, s8, 26
	v_mad_i64_i32 v[11:12], null, s2, v8, 0
	s_add_i32 s1, s1, s8
	s_ashr_i32 s1, s1, 6
	v_lshlrev_b64 v[9:10], 1, v[9:10]
	s_add_i32 s8, s1, 1
	s_not_b32 s1, s1
	v_cvt_f32_u32_e32 v2, s8
	v_rcp_iflag_f32_e32 v2, v2
	v_mul_f32_e32 v2, 0x4f7ffffe, v2
	v_cvt_u32_f32_e32 v2, v2
	v_readfirstlane_b32 s9, v2
	s_mul_i32 s1, s1, s9
	s_mul_hi_u32 s1, s9, s1
	s_add_i32 s9, s9, s1
	s_mul_hi_u32 s1, s6, s9
	s_mul_i32 s9, s1, s8
	s_add_i32 s20, s1, 1
	s_sub_i32 s9, s6, s9
	s_sub_i32 s21, s9, s8
	s_cmp_ge_u32 s9, s8
	s_cselect_b32 s1, s20, s1
	s_cselect_b32 s9, s21, s9
	s_add_i32 s20, s1, 1
	s_cmp_ge_u32 s9, s8
	s_cselect_b32 s9, s20, s1
	s_mul_i32 s1, s9, s8
	s_sub_i32 s1, s6, s1
	s_lshl_b32 s6, s9, 8
	s_lshl_b32 s1, s1, 6
	v_or_b32_e32 v7, s6, v14
	v_add_nc_u32_e32 v5, s1, v13
	s_cmp_lt_i32 s14, 9
	v_ashrrev_i32_e32 v8, 31, v7
	v_mad_i64_i32 v[5:6], null, v5, s3, 0
	v_lshlrev_b64 v[170:171], 1, v[7:8]
	v_lshlrev_b64 v[2:3], 1, v[5:6]
	v_add_co_u32 v5, vcc_lo, s18, v9
	v_add_co_ci_u32_e64 v6, null, s19, v10, vcc_lo
	v_add_co_u32 v7, vcc_lo, s16, v2
	v_add_co_ci_u32_e64 v8, null, s17, v3, vcc_lo
	v_add_co_u32 v5, vcc_lo, v5, v170
	v_add_co_ci_u32_e64 v6, null, v6, v171, vcc_lo
	v_add_co_u32 v7, vcc_lo, v7, v127
	v_add_co_ci_u32_e64 v8, null, 0, v8, vcc_lo
	s_clause 0x3
	global_load_ushort v9, v[5:6], off
	global_load_ushort v10, v[5:6], off offset:128
	global_load_ushort v15, v[5:6], off offset:256
	;; [unrolled: 1-line block ×3, first 2 shown]
	global_load_ushort v17, v[7:8], off
	v_lshlrev_b64 v[5:6], 1, v[11:12]
	v_add_co_u32 v5, vcc_lo, s18, v5
	v_add_co_ci_u32_e64 v6, null, s19, v6, vcc_lo
	v_add_co_u32 v5, vcc_lo, v5, v170
	v_add_co_ci_u32_e64 v6, null, v6, v171, vcc_lo
	global_load_ushort v36, v[7:8], off offset:8
	s_clause 0x3
	global_load_ushort v37, v[5:6], off
	global_load_ushort v39, v[5:6], off offset:128
	global_load_ushort v45, v[5:6], off offset:256
	;; [unrolled: 1-line block ×3, first 2 shown]
	v_lshlrev_b32_e32 v6, 3, v14
	v_lshl_add_u32 v133, v4, 1, v6
	s_waitcnt vmcnt(9)
	ds_write_b16 v133, v9
	s_waitcnt vmcnt(8)
	ds_write_b16 v133, v10 offset:512
	s_waitcnt vmcnt(7)
	ds_write_b16 v133, v15 offset:1024
	;; [unrolled: 2-line block ×4, first 2 shown]
	s_waitcnt vmcnt(0) lgkmcnt(0)
	s_barrier
	buffer_gl0_inv
	ds_read2_b64 v[6:9], v22 offset1:8
	ds_read2_b64 v[10:13], v185 offset1:32
	ds_read2_b64 v[14:17], v22 offset0:16 offset1:24
	ds_read2_b64 v[18:21], v22 offset0:32 offset1:40
	;; [unrolled: 1-line block ×6, first 2 shown]
	ds_write_b16 v128, v36 offset:4608
	ds_write_b16 v133, v37 offset:2048
	;; [unrolled: 1-line block ×4, first 2 shown]
	s_waitcnt lgkmcnt(10)
	v_pk_add_f16 v36, v6, v10
	v_pk_add_f16 v37, v8, v10
	s_waitcnt lgkmcnt(9)
	v_pk_add_f16 v39, v14, v10
	v_pk_add_f16 v45, v16, v10
	;; [unrolled: 3-line block ×4, first 2 shown]
	v_pk_add_f16 v49, v6, v12
	v_pk_add_f16 v50, v8, v12
	v_pk_add_f16 v51, v14, v12
	v_pk_add_f16 v52, v16, v12
	v_pk_add_f16 v53, v18, v12
	v_pk_add_f16 v54, v20, v12
	v_pk_add_f16 v55, v22, v12
	v_pk_add_f16 v12, v24, v12
	s_waitcnt lgkmcnt(6)
	v_pk_add_f16 v70, v6, v26
	v_pk_add_f16 v71, v8, v26
	v_pk_add_f16 v72, v14, v26
	v_pk_add_f16 v73, v16, v26
	v_pk_add_f16 v74, v18, v26
	v_pk_add_f16 v75, v20, v26
	v_pk_add_f16 v76, v22, v26
	v_pk_add_f16 v26, v24, v26
	v_pk_add_f16 v77, v6, v28
	v_pk_add_f16 v78, v8, v28
	v_pk_add_f16 v79, v14, v28
	v_pk_add_f16 v80, v16, v28
	v_pk_add_f16 v81, v18, v28
	v_pk_add_f16 v82, v20, v28
	v_pk_add_f16 v83, v22, v28
	v_pk_add_f16 v28, v24, v28
	s_waitcnt lgkmcnt(5)
	v_pk_add_f16 v90, v6, v30
	v_pk_add_f16 v91, v8, v30
	v_pk_add_f16 v92, v14, v30
	v_pk_add_f16 v93, v16, v30
	v_pk_add_f16 v94, v18, v30
	v_pk_add_f16 v95, v20, v30
	v_pk_add_f16 v96, v22, v30
	v_pk_add_f16 v30, v24, v30
	;; [unrolled: 17-line block ×3, first 2 shown]
	v_pk_add_f16 v108, v18, v41
	v_pk_add_f16 v135, v20, v41
	;; [unrolled: 1-line block ×72, first 2 shown]
	v_pk_min_f16 v36, 0x7c00, v36 op_sel_hi:[0,1]
	v_pk_min_f16 v37, 0x7c00, v37 op_sel_hi:[0,1]
	;; [unrolled: 1-line block ×64, first 2 shown]
	v_pk_min_f16 v36, v36, v56
	v_pk_min_f16 v57, v37, v57
	;; [unrolled: 1-line block ×64, first 2 shown]
	buffer_store_dword v133, off, s[24:27], 0 offset:132 ; 4-byte Folded Spill
	ds_write_b16 v133, v5 offset:3584
	s_waitcnt lgkmcnt(0)
	s_waitcnt_vscnt null, 0x0
	s_barrier
	buffer_gl0_inv
	s_cbranch_scc1 .LBB277_11
; %bb.8:
	buffer_store_dword v1, off, s[24:27], 0 offset:164 ; 4-byte Folded Spill
	v_add_nc_u32_e32 v1, 0x1000, v128
	v_add_co_u32 v2, vcc_lo, v2, v127
	v_add_co_ci_u32_e64 v3, null, 0, v3, vcc_lo
	buffer_store_dword v1, off, s[24:27], 0 offset:136 ; 4-byte Folded Spill
	buffer_store_dword v129, off, s[24:27], 0 offset:168 ; 4-byte Folded Spill
	buffer_load_dword v5, off, s[24:27], 0 offset:132 ; 4-byte Folded Reload
	v_or_b32_e32 v1, 0x1000, v129
	v_mov_b32_e32 v109, v36
	v_mov_b32_e32 v138, v41
	;; [unrolled: 1-line block ×4, first 2 shown]
	buffer_store_dword v1, off, s[24:27], 0 offset:140 ; 4-byte Folded Spill
	v_add_nc_u32_e32 v1, 0x1200, v128
	s_ashr_i32 s3, s2, 31
	s_add_i32 s8, s14, -8
	s_mov_b32 s9, 0
	buffer_store_dword v1, off, s[24:27], 0 offset:144 ; 4-byte Folded Spill
	v_add_nc_u32_e32 v1, 12, v4
	s_waitcnt vmcnt(0)
	v_or_b32_e32 v5, 0x800, v5
	buffer_store_dword v5, off, s[24:27], 0 offset:148 ; 4-byte Folded Spill
	buffer_store_dword v0, off, s[24:27], 0 offset:160 ; 4-byte Folded Spill
	v_lshl_add_u32 v0, v0, 3, 0x1200
	v_mad_i64_i32 v[5:6], null, v1, s2, 0
	v_add_nc_u32_e32 v1, 8, v4
	v_add_co_u32 v4, vcc_lo, s16, v2
	buffer_store_dword v0, off, s[24:27], 0 offset:152 ; 4-byte Folded Spill
	v_or_b32_e32 v0, 0x800, v185
	v_add_co_ci_u32_e64 v7, null, s17, v3, vcc_lo
	v_lshlrev_b64 v[2:3], 1, v[5:6]
	v_add_co_u32 v36, vcc_lo, v4, 16
	buffer_store_dword v0, off, s[24:27], 0 offset:156 ; 4-byte Folded Spill
	v_mad_i64_i32 v[0:1], null, v1, s2, 0
	v_add_co_ci_u32_e64 v37, null, 0, v7, vcc_lo
	v_add_co_u32 v137, vcc_lo, s18, v2
	v_add_co_ci_u32_e64 v112, null, s19, v3, vcc_lo
	v_lshlrev_b64 v[0:1], 1, v[0:1]
	s_lshl_b64 s[2:3], s[2:3], 4
	v_add_co_u32 v113, vcc_lo, s18, v0
	v_add_co_ci_u32_e64 v114, null, s19, v1, vcc_lo
.LBB277_9:                              ; =>This Inner Loop Header: Depth=1
	v_add_co_u32 v5, vcc_lo, v113, v170
	v_add_co_ci_u32_e64 v6, null, v114, v171, vcc_lo
	buffer_store_dword v65, off, s[24:27], 0 offset:80 ; 4-byte Folded Spill
	buffer_store_dword v74, off, s[24:27], 0 offset:68 ; 4-byte Folded Spill
	;; [unrolled: 1-line block ×5, first 2 shown]
	global_load_ushort v0, v[36:37], off
	v_mov_b32_e32 v139, v12
	s_clause 0x3
	global_load_ushort v2, v[5:6], off
	global_load_ushort v3, v[5:6], off offset:128
	global_load_ushort v4, v[5:6], off offset:256
	;; [unrolled: 1-line block ×3, first 2 shown]
	buffer_load_dword v1, off, s[24:27], 0 offset:152 ; 4-byte Folded Reload
	v_mov_b32_e32 v136, v254
	v_mov_b32_e32 v34, v251
	;; [unrolled: 1-line block ×20, first 2 shown]
	s_add_i32 s9, s9, 8
	s_cmp_ge_i32 s9, s8
	s_waitcnt vmcnt(0)
	ds_read2_b64 v[6:9], v1 offset1:8
	ds_read2_b64 v[10:13], v1 offset0:16 offset1:24
	ds_read2_b64 v[14:17], v1 offset0:32 offset1:40
	;; [unrolled: 1-line block ×3, first 2 shown]
	buffer_load_dword v1, off, s[24:27], 0 offset:156 ; 4-byte Folded Reload
	s_waitcnt vmcnt(0)
	ds_read2_b64 v[22:25], v1 offset1:32
	ds_read2_b64 v[26:29], v1 offset0:64 offset1:96
	ds_read2_b64 v[30:33], v1 offset0:128 offset1:160
	;; [unrolled: 1-line block ×3, first 2 shown]
	s_waitcnt lgkmcnt(3)
	v_pk_add_f16 v141, v6, v22
	v_pk_add_f16 v46, v8, v22
	;; [unrolled: 1-line block ×8, first 2 shown]
	s_waitcnt lgkmcnt(1)
	v_pk_add_f16 v22, v18, v32
	v_pk_add_f16 v241, v6, v24
	;; [unrolled: 1-line block ×5, first 2 shown]
	buffer_store_dword v22, off, s[24:27], 0 offset:124 ; 4-byte Folded Spill
	v_pk_add_f16 v22, v20, v32
	v_pk_add_f16 v151, v6, v32
	;; [unrolled: 1-line block ×5, first 2 shown]
	buffer_store_dword v22, off, s[24:27], 0 offset:116 ; 4-byte Folded Spill
	s_waitcnt lgkmcnt(0)
	v_pk_add_f16 v22, v6, v48
	v_pk_add_f16 v6, v6, v50
	;; [unrolled: 1-line block ×5, first 2 shown]
	buffer_store_dword v22, off, s[24:27], 0 offset:104 ; 4-byte Folded Spill
	buffer_store_dword v6, off, s[24:27], 0 offset:56 ; 4-byte Folded Spill
	v_pk_add_f16 v6, v8, v50
	v_pk_add_f16 v22, v8, v48
	;; [unrolled: 1-line block ×5, first 2 shown]
	buffer_store_dword v6, off, s[24:27], 0 offset:48 ; 4-byte Folded Spill
	v_pk_add_f16 v6, v10, v50
	buffer_store_dword v22, off, s[24:27], 0 offset:100 ; 4-byte Folded Spill
	v_pk_add_f16 v22, v10, v48
	v_pk_add_f16 v204, v12, v26
	v_pk_add_f16 v201, v14, v26
	buffer_store_dword v6, off, s[24:27], 0 offset:44 ; 4-byte Folded Spill
	v_pk_add_f16 v6, v12, v50
	buffer_store_dword v22, off, s[24:27], 0 offset:96 ; 4-byte Folded Spill
	v_pk_add_f16 v22, v12, v48
	v_pk_add_f16 v198, v16, v26
	v_pk_add_f16 v195, v18, v26
	;; [unrolled: 6-line block ×7, first 2 shown]
	buffer_store_dword v6, off, s[24:27], 0 offset:128 ; 4-byte Folded Spill
	v_pk_add_f16 v6, v15, v51
	v_pk_add_f16 v158, v14, v30
	v_pk_add_f16 v154, v16, v30
	v_pk_add_f16 v153, v18, v30
	v_pk_add_f16 v152, v20, v30
	buffer_store_dword v6, off, s[24:27], 0 offset:120 ; 4-byte Folded Spill
	v_pk_add_f16 v6, v17, v51
	v_pk_add_f16 v150, v8, v32
	v_pk_add_f16 v149, v10, v32
	v_pk_add_f16 v147, v12, v32
	v_pk_add_f16 v145, v14, v32
	;; [unrolled: 6-line block ×4, first 2 shown]
	buffer_store_dword v6, off, s[24:27], 0 offset:24 ; 4-byte Folded Spill
	buffer_load_dword v6, off, s[24:27], 0 offset:136 ; 4-byte Folded Reload
	v_pk_add_f16 v52, v21, v23
	v_pk_add_f16 v50, v7, v25
	;; [unrolled: 1-line block ×52, first 2 shown]
	s_waitcnt vmcnt(0)
	ds_write_b16 v6, v0
	buffer_load_dword v0, off, s[24:27], 0 offset:132 ; 4-byte Folded Reload
	s_waitcnt vmcnt(0)
	ds_write_b16 v0, v2
	ds_write_b16 v0, v3 offset:512
	ds_write_b16 v0, v4 offset:1024
	;; [unrolled: 1-line block ×3, first 2 shown]
	s_waitcnt lgkmcnt(0)
	s_waitcnt_vscnt null, 0x0
	s_barrier
	buffer_gl0_inv
	global_load_ushort v0, v[36:37], off offset:8
	v_add_co_u32 v2, vcc_lo, v137, v170
	v_add_co_ci_u32_e64 v3, null, v112, v171, vcc_lo
	v_add_co_u32 v36, vcc_lo, v36, 16
	v_add_co_ci_u32_e64 v37, null, 0, v37, vcc_lo
	;; [unrolled: 2-line block ×4, first 2 shown]
	s_waitcnt vmcnt(0)
	buffer_store_dword v0, off, s[24:27], 0 ; 4-byte Folded Spill
	global_load_ushort v0, v[2:3], off
	s_waitcnt vmcnt(0)
	buffer_store_dword v0, off, s[24:27], 0 offset:4 ; 4-byte Folded Spill
	global_load_ushort v0, v[2:3], off offset:128
	s_waitcnt vmcnt(0)
	buffer_store_dword v0, off, s[24:27], 0 offset:8 ; 4-byte Folded Spill
	global_load_ushort v0, v[2:3], off offset:256
	s_waitcnt vmcnt(0)
	buffer_store_dword v0, off, s[24:27], 0 offset:12 ; 4-byte Folded Spill
	global_load_ushort v0, v[2:3], off offset:384
	s_waitcnt vmcnt(0)
	buffer_store_dword v0, off, s[24:27], 0 offset:16 ; 4-byte Folded Spill
	buffer_load_dword v0, off, s[24:27], 0 offset:140 ; 4-byte Folded Reload
	s_waitcnt vmcnt(0)
	ds_read2_b64 v[18:21], v0 offset1:8
	ds_read2_b64 v[14:17], v0 offset0:16 offset1:24
	ds_read2_b64 v[10:13], v0 offset0:32 offset1:40
	ds_read2_b64 v[2:5], v0 offset0:48 offset1:56
	ds_read2_b64 v[30:33], v185 offset1:32
	ds_read2_b64 v[26:29], v185 offset0:64 offset1:96
	ds_read2_b64 v[22:25], v185 offset0:128 offset1:160
	;; [unrolled: 1-line block ×3, first 2 shown]
	s_waitcnt lgkmcnt(3)
	v_pk_add_f16 v66, v18, v30
	v_pk_add_f16 v67, v20, v30
	v_pk_add_f16 v68, v14, v30
	v_pk_add_f16 v69, v16, v30
	v_pk_add_f16 v70, v10, v30
	v_pk_add_f16 v71, v12, v30
	v_pk_add_f16 v72, v2, v30
	v_pk_add_f16 v73, v4, v30
	v_pk_add_f16 v74, v18, v32
	v_pk_add_f16 v75, v20, v32
	v_pk_add_f16 v76, v14, v32
	v_pk_add_f16 v115, v16, v32
	v_pk_add_f16 v116, v10, v32
	v_pk_add_f16 v117, v12, v32
	v_pk_add_f16 v118, v2, v32
	v_pk_add_f16 v119, v4, v32
	s_waitcnt lgkmcnt(2)
	v_pk_add_f16 v63, v18, v26
	v_pk_add_f16 v61, v20, v26
	v_pk_add_f16 v59, v14, v26
	v_pk_add_f16 v57, v16, v26
	v_pk_add_f16 v55, v10, v26
	v_pk_add_f16 v53, v12, v26
	v_pk_add_f16 v51, v2, v26
	v_pk_add_f16 v49, v4, v26
	v_pk_add_f16 v110, v18, v28
	v_pk_add_f16 v45, v20, v28
	v_pk_add_f16 v0, v14, v28
	v_pk_add_f16 v255, v16, v28
	v_pk_add_f16 v252, v10, v28
	v_pk_add_f16 v249, v12, v28
	v_pk_add_f16 v246, v2, v28
	v_pk_add_f16 v244, v4, v28
	;; [unrolled: 17-line block ×4, first 2 shown]
	v_pk_max_f16 v8, v109, v109
	v_pk_add_f16 v4, v19, v31
	v_pk_min_f16 v8, v8, v141
	v_pk_min_f16 v8, v8, v65
	v_pk_min_f16 v8, v8, v66
	v_pk_min_f16 v109, v8, v4
	v_pk_max_f16 v8, v140, v140
	v_pk_add_f16 v4, v21, v31
	v_pk_min_f16 v8, v8, v46
	v_pk_min_f16 v8, v8, v64
	v_pk_min_f16 v8, v8, v67
	v_pk_min_f16 v140, v8, v4
	;; [unrolled: 6-line block ×26, first 2 shown]
	v_pk_max_f16 v4, v106, v106
	v_pk_add_f16 v1, v15, v29
	v_pk_min_f16 v4, v4, v183
	v_pk_min_f16 v4, v4, v216
	;; [unrolled: 1-line block ×3, first 2 shown]
	buffer_load_dword v4, off, s[24:27], 0 offset:124 ; 4-byte Folded Reload
	v_pk_min_f16 v106, v0, v1
	v_pk_max_f16 v1, v105, v105
	v_pk_add_f16 v0, v17, v29
	v_pk_min_f16 v1, v1, v181
	v_pk_min_f16 v1, v1, v214
	v_pk_min_f16 v1, v1, v255
	v_pk_min_f16 v105, v1, v0
	v_pk_max_f16 v1, v126, v126
	v_pk_add_f16 v0, v11, v29
	v_pk_min_f16 v1, v1, v179
	v_pk_min_f16 v1, v1, v211
	v_pk_min_f16 v1, v1, v252
	;; [unrolled: 6-line block ×19, first 2 shown]
	v_pk_min_f16 v93, v1, v0
	v_pk_max_f16 v1, v92, v92
	v_pk_add_f16 v0, v3, v25
	s_waitcnt vmcnt(0)
	v_pk_min_f16 v1, v1, v4
	buffer_load_dword v4, off, s[24:27], 0 offset:116 ; 4-byte Folded Reload
	v_pk_min_f16 v1, v1, v168
	v_pk_min_f16 v1, v1, v197
	v_pk_min_f16 v92, v1, v0
	v_pk_max_f16 v1, v91, v91
	v_pk_add_f16 v0, v5, v25
	s_waitcnt vmcnt(0)
	v_pk_min_f16 v1, v1, v4
	buffer_load_dword v4, off, s[24:27], 0 offset:104 ; 4-byte Folded Reload
	v_pk_min_f16 v1, v1, v166
	v_pk_min_f16 v1, v1, v194
	;; [unrolled: 8-line block ×10, first 2 shown]
	v_pk_min_f16 v83, v1, v0
	buffer_load_dword v1, off, s[24:27], 0 offset:80 ; 4-byte Folded Reload
	v_pk_add_f16 v0, v19, v9
	s_waitcnt vmcnt(0)
	v_pk_max_f16 v1, v1, v1
	v_pk_min_f16 v1, v1, v4
	buffer_load_dword v4, off, s[24:27], 0 offset:48 ; 4-byte Folded Reload
	v_pk_min_f16 v1, v1, v148
	v_pk_min_f16 v1, v1, v22
	v_pk_min_f16 v65, v1, v0
	buffer_load_dword v1, off, s[24:27], 0 offset:64 ; 4-byte Folded Reload
	v_pk_add_f16 v0, v21, v9
	s_waitcnt vmcnt(0)
	v_pk_max_f16 v1, v1, v1
	v_pk_min_f16 v1, v1, v4
	buffer_load_dword v4, off, s[24:27], 0 offset:44 ; 4-byte Folded Reload
	v_pk_min_f16 v1, v1, v146
	v_pk_min_f16 v1, v1, v20
	v_pk_min_f16 v64, v1, v0
	v_pk_max_f16 v1, v80, v80
	v_pk_add_f16 v0, v15, v9
	s_waitcnt vmcnt(0)
	v_pk_min_f16 v1, v1, v4
	buffer_load_dword v4, off, s[24:27], 0 offset:40 ; 4-byte Folded Reload
	v_pk_min_f16 v1, v1, v144
	v_pk_min_f16 v1, v1, v18
	;; [unrolled: 1-line block ×3, first 2 shown]
	buffer_load_dword v1, off, s[24:27], 0 offset:60 ; 4-byte Folded Reload
	v_pk_add_f16 v0, v17, v9
	s_waitcnt vmcnt(0)
	v_pk_max_f16 v1, v1, v1
	v_pk_min_f16 v1, v1, v4
	buffer_load_dword v4, off, s[24:27], 0 offset:128 ; 4-byte Folded Reload
	s_waitcnt vmcnt(0)
	v_pk_min_f16 v1, v1, v4
	buffer_load_dword v4, off, s[24:27], 0 offset:36 ; 4-byte Folded Reload
	v_pk_min_f16 v1, v1, v16
	v_pk_min_f16 v62, v1, v0
	v_pk_max_f16 v1, v82, v82
	v_pk_add_f16 v0, v11, v9
	s_waitcnt vmcnt(0)
	v_pk_min_f16 v1, v1, v4
	buffer_load_dword v4, off, s[24:27], 0 offset:120 ; 4-byte Folded Reload
	s_waitcnt vmcnt(0)
	v_pk_min_f16 v1, v1, v4
	buffer_load_dword v4, off, s[24:27], 0 offset:32 ; 4-byte Folded Reload
	v_pk_min_f16 v1, v1, v14
	v_pk_min_f16 v82, v1, v0
	buffer_load_dword v1, off, s[24:27], 0 offset:52 ; 4-byte Folded Reload
	v_pk_add_f16 v0, v13, v9
	s_waitcnt vmcnt(0)
	v_pk_max_f16 v1, v1, v1
	v_pk_min_f16 v1, v1, v4
	buffer_load_dword v4, off, s[24:27], 0 offset:112 ; 4-byte Folded Reload
	s_waitcnt vmcnt(0)
	v_pk_min_f16 v1, v1, v4
	v_pk_min_f16 v1, v1, v10
	;; [unrolled: 1-line block ×3, first 2 shown]
	v_pk_add_f16 v0, v3, v9
	buffer_load_dword v3, off, s[24:27], 0 offset:28 ; 4-byte Folded Reload
	v_pk_max_f16 v1, v134, v134
	s_waitcnt vmcnt(0)
	v_pk_min_f16 v1, v1, v3
	buffer_load_dword v3, off, s[24:27], 0 offset:108 ; 4-byte Folded Reload
	s_waitcnt vmcnt(0)
	v_pk_min_f16 v1, v1, v3
	v_pk_add_f16 v3, v5, v9
	v_pk_min_f16 v1, v1, v6
	v_pk_min_f16 v134, v1, v0
	s_clause 0x1
	buffer_load_dword v0, off, s[24:27], 0 offset:68
	buffer_load_dword v1, off, s[24:27], 0 offset:20
	s_waitcnt vmcnt(1)
	v_pk_max_f16 v0, v0, v0
	s_waitcnt vmcnt(0)
	v_pk_min_f16 v0, v0, v1
	buffer_load_dword v1, off, s[24:27], 0 offset:24 ; 4-byte Folded Reload
	s_waitcnt vmcnt(0)
	v_pk_min_f16 v0, v0, v1
	v_pk_min_f16 v0, v0, v2
	;; [unrolled: 1-line block ×3, first 2 shown]
	s_clause 0x1
	buffer_load_dword v0, off, s[24:27], 0 offset:144
	buffer_load_dword v1, off, s[24:27], 0
	s_waitcnt vmcnt(0)
	ds_write_b16 v0, v1
	s_clause 0x1
	buffer_load_dword v0, off, s[24:27], 0 offset:148
	buffer_load_dword v1, off, s[24:27], 0 offset:4
	s_waitcnt vmcnt(0)
	ds_write_b16 v0, v1
	buffer_load_dword v1, off, s[24:27], 0 offset:8 ; 4-byte Folded Reload
	s_waitcnt vmcnt(0)
	ds_write_b16 v0, v1 offset:512
	buffer_load_dword v1, off, s[24:27], 0 offset:12 ; 4-byte Folded Reload
	s_waitcnt vmcnt(0)
	ds_write_b16 v0, v1 offset:1024
	;; [unrolled: 3-line block ×3, first 2 shown]
	s_waitcnt lgkmcnt(0)
	s_waitcnt_vscnt null, 0x0
	s_barrier
	buffer_gl0_inv
	s_cbranch_scc0 .LBB277_9
; %bb.10:
	s_clause 0x2
	buffer_load_dword v0, off, s[24:27], 0 offset:160
	buffer_load_dword v1, off, s[24:27], 0 offset:164
	;; [unrolled: 1-line block ×3, first 2 shown]
	v_mov_b32_e32 v41, v138
	v_mov_b32_e32 v43, v142
	;; [unrolled: 1-line block ×4, first 2 shown]
.LBB277_11:
	s_load_dword s2, s[4:5], 0x50
	s_waitcnt vmcnt(1)
	v_add_nc_u32_e32 v109, s6, v1
	s_waitcnt vmcnt(0)
	ds_read_b64 v[30:31], v129 offset:4608
	ds_read_b64 v[46:47], v185 offset:2048
	v_add_nc_u32_e32 v44, s1, v0
	v_cmp_neq_f16_e64 s8, s15, 0
	v_mov_b32_e32 v77, v12
	v_mov_b32_e32 v34, 0
	;; [unrolled: 1-line block ×3, first 2 shown]
	v_ashrrev_i32_e32 v45, 31, v44
	s_and_b32 vcc_lo, exec_lo, s8
	v_lshlrev_b64 v[28:29], 1, v[44:45]
	s_waitcnt lgkmcnt(0)
	v_mad_i64_i32 v[1:2], null, v109, s2, 0
	v_lshlrev_b64 v[0:1], 1, v[1:2]
	v_add_co_u32 v48, s1, s12, v0
	v_add_co_ci_u32_e64 v49, null, s13, v1, s1
	s_cbranch_vccz .LBB277_13
; %bb.12:
	v_add_co_u32 v0, vcc_lo, v48, v28
	v_add_co_ci_u32_e64 v1, null, v49, v29, vcc_lo
	global_load_ushort v0, v[0:1], off
	s_waitcnt vmcnt(0)
	v_mul_f16_e32 v0, s15, v0
	v_cvt_f32_f16_e32 v32, v0
.LBB277_13:
	s_clause 0x1
	s_load_dwordx2 s[16:17], s[4:5], 0x70
	s_load_dword s3, s[4:5], 0x68
	v_pk_add_f16 v13, v30, v46
	v_pk_add_f16 v26, v31, v47
	v_max_f16_e32 v14, v36, v36
	v_lshrrev_b32_e32 v15, 16, v36
	v_add_nc_u32_e32 v0, 0x1000, v129
	v_lshrrev_b32_e32 v27, 16, v13
	v_lshrrev_b32_e32 v33, 16, v26
	v_min_f16_e32 v37, v14, v13
	v_add_nc_u32_e32 v12, 0x800, v185
	ds_read_b64 v[24:25], v129 offset:5056
	ds_read2_b64 v[8:11], v0 offset0:72 offset1:80
	ds_read2_b64 v[4:7], v0 offset0:88 offset1:96
	v_min3_f16 v27, v15, v27, v33
	ds_read2_b64 v[0:3], v0 offset0:104 offset1:112
	ds_read2_b64 v[20:23], v12 offset0:32 offset1:64
	;; [unrolled: 1-line block ×4, first 2 shown]
	v_max_f32_e32 v40, v32, v32
	v_min3_f16 v33, v37, v26, v27
	ds_read_b64 v[26:27], v185 offset:3840
	s_waitcnt lgkmcnt(0)
	s_mul_i32 s1, s17, s7
	v_mad_i64_i32 v[35:36], null, v109, s3, 0
	s_mul_hi_u32 s4, s16, s7
	v_cvt_f32_f16_e32 v39, v33
	s_add_i32 s5, s4, s1
	s_mul_i32 s4, s16, s7
	v_add_nc_u32_e32 v37, 8, v44
	s_lshl_b64 s[4:5], s[4:5], 1
	v_lshlrev_b64 v[32:33], 1, v[35:36]
	s_add_u32 s4, s10, s4
	s_addc_u32 s5, s11, s5
	v_min_f32_e32 v35, v40, v39
	v_ashrrev_i32_e32 v38, 31, v37
	v_cndmask_b32_e64 v36, 0, 1, s8
	v_add_co_u32 v50, vcc_lo, s4, v32
	v_add_co_ci_u32_e64 v51, null, s5, v33, vcc_lo
	v_cvt_f16_f32_e32 v39, v35
	v_add_co_u32 v35, vcc_lo, v50, v28
	v_lshlrev_b64 v[32:33], 1, v[37:38]
	v_cmp_ne_u32_e64 s1, 1, v36
	v_add_co_ci_u32_e64 v36, null, v51, v29, vcc_lo
	s_andn2_b32 vcc_lo, exec_lo, s8
	global_store_short v[35:36], v39, off
	s_cbranch_vccnz .LBB277_15
; %bb.14:
	v_add_co_u32 v34, vcc_lo, v48, v32
	v_add_co_ci_u32_e64 v35, null, v49, v33, vcc_lo
	global_load_ushort v34, v[34:35], off
	s_waitcnt vmcnt(0)
	v_mul_f16_e32 v34, s15, v34
	v_cvt_f32_f16_e32 v34, v34
.LBB277_15:
	v_pk_add_f16 v35, v8, v46
	v_pk_add_f16 v36, v9, v47
	v_max_f16_e32 v37, v57, v57
	v_lshrrev_b32_e32 v38, 16, v57
	v_max_f32_e32 v34, v34, v34
	v_lshrrev_b32_e32 v39, 16, v35
	v_lshrrev_b32_e32 v40, 16, v36
	v_min_f16_e32 v35, v37, v35
	v_min3_f16 v37, v38, v39, v40
	v_add_co_u32 v39, vcc_lo, v50, v32
	v_add_co_ci_u32_e64 v40, null, v51, v33, vcc_lo
	v_min3_f16 v36, v35, v36, v37
	v_add_nc_u32_e32 v35, 16, v44
	v_mov_b32_e32 v38, 0
	s_and_b32 vcc_lo, exec_lo, s1
	v_cvt_f32_f16_e32 v37, v36
	v_ashrrev_i32_e32 v36, 31, v35
	v_min_f32_e32 v34, v34, v37
	v_cvt_f16_f32_e32 v37, v34
	v_lshlrev_b64 v[34:35], 1, v[35:36]
	v_mov_b32_e32 v36, 0
	global_store_short v[39:40], v37, off
	s_cbranch_vccnz .LBB277_17
; %bb.16:
	v_add_co_u32 v36, vcc_lo, v48, v34
	v_add_co_ci_u32_e64 v37, null, v49, v35, vcc_lo
	global_load_ushort v36, v[36:37], off
	s_waitcnt vmcnt(0)
	v_mul_f16_e32 v36, s15, v36
	v_cvt_f32_f16_e32 v36, v36
.LBB277_17:
	v_pk_add_f16 v37, v10, v46
	v_pk_add_f16 v39, v11, v47
	v_max_f16_e32 v40, v43, v43
	v_lshrrev_b32_e32 v43, 16, v43
	v_max_f32_e32 v36, v36, v36
	v_lshrrev_b32_e32 v45, 16, v37
	v_lshrrev_b32_e32 v52, 16, v39
	v_min_f16_e32 v37, v40, v37
	v_min3_f16 v40, v43, v45, v52
	v_add_co_u32 v52, vcc_lo, v50, v34
	v_add_co_ci_u32_e64 v53, null, v51, v35, vcc_lo
	v_min3_f16 v37, v37, v39, v40
	v_add_nc_u32_e32 v39, 24, v44
	s_and_b32 vcc_lo, exec_lo, s1
	v_cvt_f32_f16_e32 v37, v37
	v_ashrrev_i32_e32 v40, 31, v39
	v_min_f32_e32 v36, v36, v37
	v_cvt_f16_f32_e32 v43, v36
	v_lshlrev_b64 v[36:37], 1, v[39:40]
	global_store_short v[52:53], v43, off
	s_cbranch_vccnz .LBB277_19
; %bb.18:
	v_add_co_u32 v38, vcc_lo, v48, v36
	v_add_co_ci_u32_e64 v39, null, v49, v37, vcc_lo
	global_load_ushort v38, v[38:39], off
	s_waitcnt vmcnt(0)
	v_mul_f16_e32 v38, s15, v38
	v_cvt_f32_f16_e32 v38, v38
.LBB277_19:
	v_pk_add_f16 v39, v4, v46
	v_pk_add_f16 v40, v5, v47
	v_max_f16_e32 v43, v41, v41
	v_lshrrev_b32_e32 v42, 16, v41
	v_max_f32_e32 v38, v38, v38
	v_lshrrev_b32_e32 v45, 16, v39
	v_lshrrev_b32_e32 v52, 16, v40
	v_min_f16_e32 v39, v43, v39
	v_min3_f16 v42, v42, v45, v52
	v_add_co_u32 v52, vcc_lo, v50, v36
	v_add_co_ci_u32_e64 v53, null, v51, v37, vcc_lo
	v_min3_f16 v40, v39, v40, v42
	v_add_nc_u32_e32 v39, 32, v44
	s_and_b32 vcc_lo, exec_lo, s1
	v_cvt_f32_f16_e32 v42, v40
	v_ashrrev_i32_e32 v40, 31, v39
	v_min_f32_e32 v42, v38, v42
	v_mov_b32_e32 v38, 0
	v_cvt_f16_f32_e32 v45, v42
	v_lshlrev_b64 v[42:43], 1, v[39:40]
	v_mov_b32_e32 v39, 0
	global_store_short v[52:53], v45, off
	s_cbranch_vccnz .LBB277_21
; %bb.20:
	v_add_co_u32 v39, vcc_lo, v48, v42
	v_add_co_ci_u32_e64 v40, null, v49, v43, vcc_lo
	global_load_ushort v39, v[39:40], off
	s_waitcnt vmcnt(0)
	v_mul_f16_e32 v39, s15, v39
	v_cvt_f32_f16_e32 v39, v39
.LBB277_21:
	v_pk_add_f16 v40, v6, v46
	v_pk_add_f16 v45, v7, v47
	v_max_f16_e32 v52, v254, v254
	v_lshrrev_b32_e32 v41, 16, v254
	v_max_f32_e32 v39, v39, v39
	v_lshrrev_b32_e32 v53, 16, v40
	v_lshrrev_b32_e32 v54, 16, v45
	v_min_f16_e32 v40, v52, v40
	v_add_co_u32 v52, vcc_lo, v50, v42
	v_min3_f16 v41, v41, v53, v54
	v_add_co_ci_u32_e64 v53, null, v51, v43, vcc_lo
	s_and_b32 vcc_lo, exec_lo, s1
	v_min3_f16 v41, v40, v45, v41
	v_add_nc_u32_e32 v40, 40, v44
	v_cvt_f32_f16_e32 v45, v41
	v_ashrrev_i32_e32 v41, 31, v40
	v_min_f32_e32 v39, v39, v45
	v_lshlrev_b64 v[40:41], 1, v[40:41]
	v_cvt_f16_f32_e32 v39, v39
	global_store_short v[52:53], v39, off
	s_cbranch_vccnz .LBB277_23
; %bb.22:
	v_add_co_u32 v38, vcc_lo, v48, v40
	v_add_co_ci_u32_e64 v39, null, v49, v41, vcc_lo
	global_load_ushort v38, v[38:39], off
	s_waitcnt vmcnt(0)
	v_mul_f16_e32 v38, s15, v38
	v_cvt_f32_f16_e32 v38, v38
.LBB277_23:
	v_pk_add_f16 v39, v0, v46
	v_pk_add_f16 v45, v1, v47
	v_max_f16_e32 v52, v56, v56
	v_lshrrev_b32_e32 v53, 16, v56
	v_max_f32_e32 v38, v38, v38
	v_lshrrev_b32_e32 v54, 16, v39
	v_lshrrev_b32_e32 v55, 16, v45
	v_min_f16_e32 v39, v52, v39
	v_min3_f16 v52, v53, v54, v55
	v_add_nc_u32_e32 v53, 48, v44
	v_add_co_u32 v55, vcc_lo, v50, v40
	v_add_co_ci_u32_e64 v56, null, v51, v41, vcc_lo
	v_min3_f16 v39, v39, v45, v52
	v_ashrrev_i32_e32 v54, 31, v53
	v_mov_b32_e32 v52, 0
	v_mov_b32_e32 v45, 0
	s_and_b32 vcc_lo, exec_lo, s1
	v_cvt_f32_f16_e32 v39, v39
	v_min_f32_e32 v38, v38, v39
	v_cvt_f16_f32_e32 v57, v38
	v_lshlrev_b64 v[38:39], 1, v[53:54]
	global_store_short v[55:56], v57, off
	s_cbranch_vccnz .LBB277_25
; %bb.24:
	v_add_co_u32 v53, vcc_lo, v48, v38
	v_add_co_ci_u32_e64 v54, null, v49, v39, vcc_lo
	global_load_ushort v45, v[53:54], off
	s_waitcnt vmcnt(0)
	v_mul_f16_e32 v45, s15, v45
	v_cvt_f32_f16_e32 v45, v45
.LBB277_25:
	v_pk_add_f16 v53, v2, v46
	v_pk_add_f16 v54, v3, v47
	v_max_f16_e32 v55, v58, v58
	v_lshrrev_b32_e32 v56, 16, v58
	v_add_nc_u32_e32 v44, 56, v44
	v_lshrrev_b32_e32 v57, 16, v53
	v_lshrrev_b32_e32 v58, 16, v54
	v_min_f16_e32 v53, v55, v53
	v_min3_f16 v55, v56, v57, v58
	v_min3_f16 v53, v53, v54, v55
	v_max_f32_e32 v54, v45, v45
	v_ashrrev_i32_e32 v45, 31, v44
	v_cvt_f32_f16_e32 v53, v53
	v_lshlrev_b64 v[44:45], 1, v[44:45]
	v_min_f32_e32 v55, v54, v53
	v_add_co_u32 v53, vcc_lo, v50, v38
	v_add_co_ci_u32_e64 v54, null, v51, v39, vcc_lo
	v_cvt_f16_f32_e32 v55, v55
	s_and_b32 vcc_lo, exec_lo, s1
	global_store_short v[53:54], v55, off
	s_cbranch_vccnz .LBB277_27
; %bb.26:
	v_add_co_u32 v48, vcc_lo, v48, v44
	v_add_co_ci_u32_e64 v49, null, v49, v45, vcc_lo
	global_load_ushort v48, v[48:49], off
	s_waitcnt vmcnt(0)
	v_mul_f16_e32 v48, s15, v48
	v_cvt_f32_f16_e32 v52, v48
.LBB277_27:
	v_pk_add_f16 v46, v24, v46
	v_pk_add_f16 v49, v25, v47
	v_max_f16_e32 v47, v251, v251
	v_lshrrev_b32_e32 v53, 16, v251
	v_add_nc_u32_e32 v48, 32, v109
	v_lshrrev_b32_e32 v54, 16, v46
	v_lshrrev_b32_e32 v55, 16, v49
	v_min_f16_e32 v56, v47, v46
	v_mad_i64_i32 v[46:47], null, v48, s2, 0
	v_min3_f16 v53, v53, v54, v55
	v_max_f32_e32 v54, v52, v52
	v_add_co_u32 v52, vcc_lo, v50, v44
	v_mov_b32_e32 v50, 0
	v_min3_f16 v49, v56, v49, v53
	v_lshlrev_b64 v[46:47], 1, v[46:47]
	v_add_co_ci_u32_e64 v53, null, v51, v45, vcc_lo
	v_cvt_f32_f16_e32 v49, v49
	v_add_co_u32 v46, vcc_lo, s12, v46
	v_add_co_ci_u32_e64 v47, null, s13, v47, vcc_lo
	v_min_f32_e32 v49, v54, v49
	s_and_b32 vcc_lo, exec_lo, s1
	v_cvt_f16_f32_e32 v51, v49
	v_mov_b32_e32 v49, 0
	global_store_short v[52:53], v51, off
	s_cbranch_vccnz .LBB277_29
; %bb.28:
	v_add_co_u32 v51, vcc_lo, v46, v28
	v_add_co_ci_u32_e64 v52, null, v47, v29, vcc_lo
	global_load_ushort v49, v[51:52], off
	s_waitcnt vmcnt(0)
	v_mul_f16_e32 v49, s15, v49
	v_cvt_f32_f16_e32 v49, v49
.LBB277_29:
	v_pk_add_f16 v51, v30, v20
	v_pk_add_f16 v53, v31, v21
	v_max_f16_e32 v52, v248, v248
	v_lshrrev_b32_e32 v54, 16, v248
	v_lshrrev_b32_e32 v55, 16, v51
	;; [unrolled: 1-line block ×3, first 2 shown]
	v_min_f16_e32 v57, v52, v51
	v_mad_i64_i32 v[51:52], null, v48, s3, 0
	v_min3_f16 v54, v54, v55, v56
	v_min3_f16 v48, v57, v53, v54
	v_max_f32_e32 v53, v49, v49
	v_cvt_f32_f16_e32 v54, v48
	v_lshlrev_b64 v[48:49], 1, v[51:52]
	v_min_f32_e32 v51, v53, v54
	v_add_co_u32 v48, vcc_lo, s4, v48
	v_add_co_ci_u32_e64 v49, null, s5, v49, vcc_lo
	v_cvt_f16_f32_e32 v53, v51
	v_add_co_u32 v51, vcc_lo, v48, v28
	v_add_co_ci_u32_e64 v52, null, v49, v29, vcc_lo
	s_and_b32 vcc_lo, exec_lo, s1
	global_store_short v[51:52], v53, off
	s_cbranch_vccnz .LBB277_31
; %bb.30:
	v_add_co_u32 v50, vcc_lo, v46, v32
	v_add_co_ci_u32_e64 v51, null, v47, v33, vcc_lo
	global_load_ushort v50, v[50:51], off
	s_waitcnt vmcnt(0)
	v_mul_f16_e32 v50, s15, v50
	v_cvt_f32_f16_e32 v50, v50
.LBB277_31:
	v_pk_add_f16 v51, v8, v20
	v_pk_add_f16 v52, v9, v21
	v_max_f16_e32 v53, v245, v245
	v_lshrrev_b32_e32 v54, 16, v245
	v_max_f32_e32 v50, v50, v50
	v_lshrrev_b32_e32 v55, 16, v51
	v_lshrrev_b32_e32 v56, 16, v52
	v_min_f16_e32 v51, v53, v51
	v_min3_f16 v53, v54, v55, v56
	v_min3_f16 v51, v51, v52, v53
	v_add_co_u32 v52, vcc_lo, v48, v32
	v_add_co_ci_u32_e64 v53, null, v49, v33, vcc_lo
	v_cvt_f32_f16_e32 v51, v51
	s_and_b32 vcc_lo, exec_lo, s1
	v_min_f32_e32 v50, v50, v51
	v_mov_b32_e32 v51, 0
	v_cvt_f16_f32_e32 v54, v50
	v_mov_b32_e32 v50, 0
	global_store_short v[52:53], v54, off
	s_cbranch_vccnz .LBB277_33
; %bb.32:
	v_add_co_u32 v51, vcc_lo, v46, v34
	v_add_co_ci_u32_e64 v52, null, v47, v35, vcc_lo
	global_load_ushort v51, v[51:52], off
	s_waitcnt vmcnt(0)
	v_mul_f16_e32 v51, s15, v51
	v_cvt_f32_f16_e32 v51, v51
.LBB277_33:
	v_pk_add_f16 v52, v10, v20
	v_pk_add_f16 v53, v11, v21
	v_max_f16_e32 v54, v90, v90
	v_lshrrev_b32_e32 v55, 16, v90
	v_max_f32_e32 v51, v51, v51
	v_lshrrev_b32_e32 v56, 16, v52
	v_lshrrev_b32_e32 v57, 16, v53
	v_min_f16_e32 v52, v54, v52
	v_min3_f16 v54, v55, v56, v57
	v_min3_f16 v52, v52, v53, v54
	v_cvt_f32_f16_e32 v52, v52
	v_min_f32_e32 v51, v51, v52
	v_cvt_f16_f32_e32 v53, v51
	v_add_co_u32 v51, vcc_lo, v48, v34
	v_add_co_ci_u32_e64 v52, null, v49, v35, vcc_lo
	s_and_b32 vcc_lo, exec_lo, s1
	global_store_short v[51:52], v53, off
	s_cbranch_vccnz .LBB277_35
; %bb.34:
	v_add_co_u32 v50, vcc_lo, v46, v36
	v_add_co_ci_u32_e64 v51, null, v47, v37, vcc_lo
	global_load_ushort v50, v[50:51], off
	s_waitcnt vmcnt(0)
	v_mul_f16_e32 v50, s15, v50
	v_cvt_f32_f16_e32 v50, v50
.LBB277_35:
	v_pk_add_f16 v51, v4, v20
	v_pk_add_f16 v52, v5, v21
	v_max_f16_e32 v53, v81, v81
	v_lshrrev_b32_e32 v54, 16, v81
	v_max_f32_e32 v50, v50, v50
	v_lshrrev_b32_e32 v55, 16, v51
	v_lshrrev_b32_e32 v56, 16, v52
	v_min_f16_e32 v51, v53, v51
	v_min3_f16 v53, v54, v55, v56
	v_min3_f16 v51, v51, v52, v53
	v_add_co_u32 v52, vcc_lo, v48, v36
	v_add_co_ci_u32_e64 v53, null, v49, v37, vcc_lo
	v_cvt_f32_f16_e32 v51, v51
	s_and_b32 vcc_lo, exec_lo, s1
	v_min_f32_e32 v50, v50, v51
	v_mov_b32_e32 v51, 0
	v_cvt_f16_f32_e32 v54, v50
	v_mov_b32_e32 v50, 0
	global_store_short v[52:53], v54, off
	s_cbranch_vccnz .LBB277_37
; %bb.36:
	v_add_co_u32 v51, vcc_lo, v46, v42
	v_add_co_ci_u32_e64 v52, null, v47, v43, vcc_lo
	global_load_ushort v51, v[51:52], off
	s_waitcnt vmcnt(0)
	v_mul_f16_e32 v51, s15, v51
	v_cvt_f32_f16_e32 v51, v51
.LBB277_37:
	v_pk_add_f16 v52, v6, v20
	v_pk_add_f16 v53, v7, v21
	v_max_f16_e32 v54, v239, v239
	v_lshrrev_b32_e32 v55, 16, v239
	v_max_f32_e32 v51, v51, v51
	v_lshrrev_b32_e32 v56, 16, v52
	v_lshrrev_b32_e32 v57, 16, v53
	v_min_f16_e32 v52, v54, v52
	v_min3_f16 v54, v55, v56, v57
	v_min3_f16 v52, v52, v53, v54
	v_cvt_f32_f16_e32 v52, v52
	v_min_f32_e32 v51, v51, v52
	;; [unrolled: 54-line block ×3, first 2 shown]
	v_cvt_f16_f32_e32 v53, v51
	v_add_co_u32 v51, vcc_lo, v48, v38
	v_add_co_ci_u32_e64 v52, null, v49, v39, vcc_lo
	s_and_b32 vcc_lo, exec_lo, s1
	global_store_short v[51:52], v53, off
	s_cbranch_vccnz .LBB277_43
; %bb.42:
	v_add_co_u32 v46, vcc_lo, v46, v44
	v_add_co_ci_u32_e64 v47, null, v47, v45, vcc_lo
	global_load_ushort v46, v[46:47], off
	s_waitcnt vmcnt(0)
	v_mul_f16_e32 v46, s15, v46
	v_cvt_f32_f16_e32 v50, v46
.LBB277_43:
	v_pk_add_f16 v20, v24, v20
	v_pk_add_f16 v47, v25, v21
	v_max_f16_e32 v21, v231, v231
	v_lshrrev_b32_e32 v51, 16, v231
	v_add_nc_u32_e32 v46, 64, v109
	v_lshrrev_b32_e32 v52, 16, v20
	v_lshrrev_b32_e32 v53, 16, v47
	v_min_f16_e32 v54, v21, v20
	v_mad_i64_i32 v[20:21], null, v46, s2, 0
	v_min3_f16 v51, v51, v52, v53
	v_max_f32_e32 v52, v50, v50
	v_add_co_u32 v50, vcc_lo, v48, v44
	v_mov_b32_e32 v48, 0
	v_min3_f16 v47, v54, v47, v51
	v_lshlrev_b64 v[20:21], 1, v[20:21]
	v_add_co_ci_u32_e64 v51, null, v49, v45, vcc_lo
	v_cvt_f32_f16_e32 v47, v47
	v_add_co_u32 v20, vcc_lo, s12, v20
	v_add_co_ci_u32_e64 v21, null, s13, v21, vcc_lo
	v_min_f32_e32 v47, v52, v47
	s_and_b32 vcc_lo, exec_lo, s1
	v_cvt_f16_f32_e32 v49, v47
	v_mov_b32_e32 v47, 0
	global_store_short v[50:51], v49, off
	s_cbranch_vccnz .LBB277_45
; %bb.44:
	v_add_co_u32 v49, vcc_lo, v20, v28
	v_add_co_ci_u32_e64 v50, null, v21, v29, vcc_lo
	global_load_ushort v47, v[49:50], off
	s_waitcnt vmcnt(0)
	v_mul_f16_e32 v47, s15, v47
	v_cvt_f32_f16_e32 v47, v47
.LBB277_45:
	v_pk_add_f16 v49, v30, v22
	v_pk_add_f16 v51, v31, v23
	v_max_f16_e32 v50, v228, v228
	v_lshrrev_b32_e32 v52, 16, v228
	v_lshrrev_b32_e32 v53, 16, v49
	;; [unrolled: 1-line block ×3, first 2 shown]
	v_min_f16_e32 v55, v50, v49
	v_mad_i64_i32 v[49:50], null, v46, s3, 0
	v_min3_f16 v52, v52, v53, v54
	v_min3_f16 v46, v55, v51, v52
	v_max_f32_e32 v51, v47, v47
	v_cvt_f32_f16_e32 v52, v46
	v_lshlrev_b64 v[46:47], 1, v[49:50]
	v_min_f32_e32 v49, v51, v52
	v_add_co_u32 v46, vcc_lo, s4, v46
	v_add_co_ci_u32_e64 v47, null, s5, v47, vcc_lo
	v_cvt_f16_f32_e32 v51, v49
	v_add_co_u32 v49, vcc_lo, v46, v28
	v_add_co_ci_u32_e64 v50, null, v47, v29, vcc_lo
	s_and_b32 vcc_lo, exec_lo, s1
	global_store_short v[49:50], v51, off
	s_cbranch_vccnz .LBB277_47
; %bb.46:
	v_add_co_u32 v48, vcc_lo, v20, v32
	v_add_co_ci_u32_e64 v49, null, v21, v33, vcc_lo
	global_load_ushort v48, v[48:49], off
	s_waitcnt vmcnt(0)
	v_mul_f16_e32 v48, s15, v48
	v_cvt_f32_f16_e32 v48, v48
.LBB277_47:
	v_pk_add_f16 v49, v8, v22
	v_pk_add_f16 v50, v9, v23
	v_max_f16_e32 v51, v107, v107
	v_lshrrev_b32_e32 v52, 16, v107
	v_max_f32_e32 v48, v48, v48
	v_lshrrev_b32_e32 v53, 16, v49
	v_lshrrev_b32_e32 v54, 16, v50
	v_min_f16_e32 v49, v51, v49
	v_min3_f16 v51, v52, v53, v54
	v_min3_f16 v49, v49, v50, v51
	v_add_co_u32 v50, vcc_lo, v46, v32
	v_add_co_ci_u32_e64 v51, null, v47, v33, vcc_lo
	v_cvt_f32_f16_e32 v49, v49
	s_and_b32 vcc_lo, exec_lo, s1
	v_min_f32_e32 v48, v48, v49
	v_mov_b32_e32 v49, 0
	v_cvt_f16_f32_e32 v52, v48
	v_mov_b32_e32 v48, 0
	global_store_short v[50:51], v52, off
	s_cbranch_vccnz .LBB277_49
; %bb.48:
	v_add_co_u32 v49, vcc_lo, v20, v34
	v_add_co_ci_u32_e64 v50, null, v21, v35, vcc_lo
	global_load_ushort v49, v[49:50], off
	s_waitcnt vmcnt(0)
	v_mul_f16_e32 v49, s15, v49
	v_cvt_f32_f16_e32 v49, v49
.LBB277_49:
	v_pk_add_f16 v50, v10, v22
	v_pk_add_f16 v51, v11, v23
	v_max_f16_e32 v52, v222, v222
	v_lshrrev_b32_e32 v53, 16, v222
	v_max_f32_e32 v49, v49, v49
	v_lshrrev_b32_e32 v54, 16, v50
	v_lshrrev_b32_e32 v55, 16, v51
	v_min_f16_e32 v50, v52, v50
	v_min3_f16 v52, v53, v54, v55
	v_min3_f16 v50, v50, v51, v52
	v_cvt_f32_f16_e32 v50, v50
	v_min_f32_e32 v49, v49, v50
	v_cvt_f16_f32_e32 v51, v49
	v_add_co_u32 v49, vcc_lo, v46, v34
	v_add_co_ci_u32_e64 v50, null, v47, v35, vcc_lo
	s_and_b32 vcc_lo, exec_lo, s1
	global_store_short v[49:50], v51, off
	s_cbranch_vccnz .LBB277_51
; %bb.50:
	v_add_co_u32 v48, vcc_lo, v20, v36
	v_add_co_ci_u32_e64 v49, null, v21, v37, vcc_lo
	global_load_ushort v48, v[48:49], off
	s_waitcnt vmcnt(0)
	v_mul_f16_e32 v48, s15, v48
	v_cvt_f32_f16_e32 v48, v48
.LBB277_51:
	v_pk_add_f16 v49, v4, v22
	v_pk_add_f16 v50, v5, v23
	v_max_f16_e32 v51, v78, v78
	v_lshrrev_b32_e32 v52, 16, v78
	v_max_f32_e32 v48, v48, v48
	v_lshrrev_b32_e32 v53, 16, v49
	v_lshrrev_b32_e32 v54, 16, v50
	v_min_f16_e32 v49, v51, v49
	v_min3_f16 v51, v52, v53, v54
	v_min3_f16 v49, v49, v50, v51
	v_add_co_u32 v50, vcc_lo, v46, v36
	v_add_co_ci_u32_e64 v51, null, v47, v37, vcc_lo
	v_cvt_f32_f16_e32 v49, v49
	s_and_b32 vcc_lo, exec_lo, s1
	v_min_f32_e32 v48, v48, v49
	v_mov_b32_e32 v49, 0
	v_cvt_f16_f32_e32 v52, v48
	v_mov_b32_e32 v48, 0
	global_store_short v[50:51], v52, off
	s_cbranch_vccnz .LBB277_53
; %bb.52:
	v_add_co_u32 v49, vcc_lo, v20, v42
	v_add_co_ci_u32_e64 v50, null, v21, v43, vcc_lo
	global_load_ushort v49, v[49:50], off
	s_waitcnt vmcnt(0)
	v_mul_f16_e32 v49, s15, v49
	v_cvt_f32_f16_e32 v49, v49
.LBB277_53:
	v_pk_add_f16 v50, v6, v22
	v_pk_add_f16 v51, v7, v23
	v_max_f16_e32 v52, v210, v210
	v_lshrrev_b32_e32 v53, 16, v210
	v_max_f32_e32 v49, v49, v49
	v_lshrrev_b32_e32 v54, 16, v50
	v_lshrrev_b32_e32 v55, 16, v51
	v_min_f16_e32 v50, v52, v50
	v_min3_f16 v52, v53, v54, v55
	v_min3_f16 v50, v50, v51, v52
	v_cvt_f32_f16_e32 v50, v50
	v_min_f32_e32 v49, v49, v50
	;; [unrolled: 54-line block ×3, first 2 shown]
	v_cvt_f16_f32_e32 v51, v49
	v_add_co_u32 v49, vcc_lo, v46, v38
	v_add_co_ci_u32_e64 v50, null, v47, v39, vcc_lo
	s_and_b32 vcc_lo, exec_lo, s1
	global_store_short v[49:50], v51, off
	s_cbranch_vccnz .LBB277_59
; %bb.58:
	v_add_co_u32 v20, vcc_lo, v20, v44
	v_add_co_ci_u32_e64 v21, null, v21, v45, vcc_lo
	global_load_ushort v20, v[20:21], off
	s_waitcnt vmcnt(0)
	v_mul_f16_e32 v20, s15, v20
	v_cvt_f32_f16_e32 v48, v20
.LBB277_59:
	v_pk_add_f16 v20, v24, v22
	v_pk_add_f16 v23, v25, v23
	v_max_f16_e32 v21, v77, v77
	v_lshrrev_b32_e32 v49, 16, v77
	v_add_nc_u32_e32 v22, 0x60, v109
	v_lshrrev_b32_e32 v50, 16, v20
	v_lshrrev_b32_e32 v51, 16, v23
	v_min_f16_e32 v52, v21, v20
	v_mad_i64_i32 v[20:21], null, v22, s2, 0
	v_min3_f16 v49, v49, v50, v51
	v_max_f32_e32 v50, v48, v48
	v_add_co_u32 v48, vcc_lo, v46, v44
	v_mov_b32_e32 v46, 0
	v_min3_f16 v23, v52, v23, v49
	v_lshlrev_b64 v[20:21], 1, v[20:21]
	v_add_co_ci_u32_e64 v49, null, v47, v45, vcc_lo
	v_cvt_f32_f16_e32 v23, v23
	v_add_co_u32 v20, vcc_lo, s12, v20
	v_add_co_ci_u32_e64 v21, null, s13, v21, vcc_lo
	v_min_f32_e32 v23, v50, v23
	s_and_b32 vcc_lo, exec_lo, s1
	v_cvt_f16_f32_e32 v47, v23
	v_mov_b32_e32 v23, 0
	global_store_short v[48:49], v47, off
	s_cbranch_vccnz .LBB277_61
; %bb.60:
	v_add_co_u32 v47, vcc_lo, v20, v28
	v_add_co_ci_u32_e64 v48, null, v21, v29, vcc_lo
	global_load_ushort v23, v[47:48], off
	s_waitcnt vmcnt(0)
	v_mul_f16_e32 v23, s15, v23
	v_cvt_f32_f16_e32 v23, v23
.LBB277_61:
	v_pk_add_f16 v47, v30, v16
	v_pk_add_f16 v49, v31, v17
	v_max_f16_e32 v48, v201, v201
	v_lshrrev_b32_e32 v50, 16, v201
	v_lshrrev_b32_e32 v51, 16, v47
	v_lshrrev_b32_e32 v52, 16, v49
	v_min_f16_e32 v53, v48, v47
	v_mad_i64_i32 v[47:48], null, v22, s3, 0
	v_min3_f16 v50, v50, v51, v52
	v_min3_f16 v22, v53, v49, v50
	v_max_f32_e32 v49, v23, v23
	v_cvt_f32_f16_e32 v50, v22
	v_lshlrev_b64 v[22:23], 1, v[47:48]
	v_min_f32_e32 v47, v49, v50
	v_add_co_u32 v22, vcc_lo, s4, v22
	v_add_co_ci_u32_e64 v23, null, s5, v23, vcc_lo
	v_cvt_f16_f32_e32 v49, v47
	v_add_co_u32 v47, vcc_lo, v22, v28
	v_add_co_ci_u32_e64 v48, null, v23, v29, vcc_lo
	s_and_b32 vcc_lo, exec_lo, s1
	global_store_short v[47:48], v49, off
	s_cbranch_vccnz .LBB277_63
; %bb.62:
	v_add_co_u32 v46, vcc_lo, v20, v32
	v_add_co_ci_u32_e64 v47, null, v21, v33, vcc_lo
	global_load_ushort v46, v[46:47], off
	s_waitcnt vmcnt(0)
	v_mul_f16_e32 v46, s15, v46
	v_cvt_f32_f16_e32 v46, v46
.LBB277_63:
	v_pk_add_f16 v47, v8, v16
	v_pk_add_f16 v48, v9, v17
	v_max_f16_e32 v49, v198, v198
	v_lshrrev_b32_e32 v50, 16, v198
	v_max_f32_e32 v46, v46, v46
	v_lshrrev_b32_e32 v51, 16, v47
	v_lshrrev_b32_e32 v52, 16, v48
	v_min_f16_e32 v47, v49, v47
	v_min3_f16 v49, v50, v51, v52
	v_min3_f16 v47, v47, v48, v49
	v_add_co_u32 v48, vcc_lo, v22, v32
	v_add_co_ci_u32_e64 v49, null, v23, v33, vcc_lo
	v_cvt_f32_f16_e32 v47, v47
	s_and_b32 vcc_lo, exec_lo, s1
	v_min_f32_e32 v46, v46, v47
	v_mov_b32_e32 v47, 0
	v_cvt_f16_f32_e32 v50, v46
	v_mov_b32_e32 v46, 0
	global_store_short v[48:49], v50, off
	s_cbranch_vccnz .LBB277_65
; %bb.64:
	v_add_co_u32 v47, vcc_lo, v20, v34
	v_add_co_ci_u32_e64 v48, null, v21, v35, vcc_lo
	global_load_ushort v47, v[47:48], off
	s_waitcnt vmcnt(0)
	v_mul_f16_e32 v47, s15, v47
	v_cvt_f32_f16_e32 v47, v47
.LBB277_65:
	v_pk_add_f16 v48, v10, v16
	v_pk_add_f16 v49, v11, v17
	v_max_f16_e32 v50, v106, v106
	v_lshrrev_b32_e32 v51, 16, v106
	v_max_f32_e32 v47, v47, v47
	v_lshrrev_b32_e32 v52, 16, v48
	v_lshrrev_b32_e32 v53, 16, v49
	v_min_f16_e32 v48, v50, v48
	v_min3_f16 v50, v51, v52, v53
	v_min3_f16 v48, v48, v49, v50
	v_cvt_f32_f16_e32 v48, v48
	v_min_f32_e32 v47, v47, v48
	v_cvt_f16_f32_e32 v49, v47
	v_add_co_u32 v47, vcc_lo, v22, v34
	v_add_co_ci_u32_e64 v48, null, v23, v35, vcc_lo
	s_and_b32 vcc_lo, exec_lo, s1
	global_store_short v[47:48], v49, off
	s_cbranch_vccnz .LBB277_67
; %bb.66:
	v_add_co_u32 v46, vcc_lo, v20, v36
	v_add_co_ci_u32_e64 v47, null, v21, v37, vcc_lo
	global_load_ushort v46, v[46:47], off
	s_waitcnt vmcnt(0)
	v_mul_f16_e32 v46, s15, v46
	v_cvt_f32_f16_e32 v46, v46
.LBB277_67:
	v_pk_add_f16 v47, v4, v16
	v_pk_add_f16 v48, v5, v17
	v_max_f16_e32 v49, v105, v105
	v_lshrrev_b32_e32 v50, 16, v105
	v_max_f32_e32 v46, v46, v46
	v_lshrrev_b32_e32 v51, 16, v47
	v_lshrrev_b32_e32 v52, 16, v48
	v_min_f16_e32 v47, v49, v47
	v_min3_f16 v49, v50, v51, v52
	v_min3_f16 v47, v47, v48, v49
	v_add_co_u32 v48, vcc_lo, v22, v36
	v_add_co_ci_u32_e64 v49, null, v23, v37, vcc_lo
	v_cvt_f32_f16_e32 v47, v47
	s_and_b32 vcc_lo, exec_lo, s1
	v_min_f32_e32 v46, v46, v47
	v_mov_b32_e32 v47, 0
	v_cvt_f16_f32_e32 v50, v46
	v_mov_b32_e32 v46, 0
	global_store_short v[48:49], v50, off
	s_cbranch_vccnz .LBB277_69
; %bb.68:
	v_add_co_u32 v47, vcc_lo, v20, v42
	v_add_co_ci_u32_e64 v48, null, v21, v43, vcc_lo
	global_load_ushort v47, v[47:48], off
	s_waitcnt vmcnt(0)
	v_mul_f16_e32 v47, s15, v47
	v_cvt_f32_f16_e32 v47, v47
.LBB277_69:
	v_pk_add_f16 v48, v6, v16
	v_pk_add_f16 v49, v7, v17
	v_max_f16_e32 v50, v126, v126
	v_lshrrev_b32_e32 v51, 16, v126
	v_max_f32_e32 v47, v47, v47
	v_lshrrev_b32_e32 v52, 16, v48
	v_lshrrev_b32_e32 v53, 16, v49
	v_min_f16_e32 v48, v50, v48
	v_min3_f16 v50, v51, v52, v53
	v_min3_f16 v48, v48, v49, v50
	v_cvt_f32_f16_e32 v48, v48
	v_min_f32_e32 v47, v47, v48
	;; [unrolled: 54-line block ×3, first 2 shown]
	v_cvt_f16_f32_e32 v49, v47
	v_add_co_u32 v47, vcc_lo, v22, v38
	v_add_co_ci_u32_e64 v48, null, v23, v39, vcc_lo
	s_and_b32 vcc_lo, exec_lo, s1
	global_store_short v[47:48], v49, off
	s_cbranch_vccnz .LBB277_75
; %bb.74:
	v_add_co_u32 v20, vcc_lo, v20, v44
	v_add_co_ci_u32_e64 v21, null, v21, v45, vcc_lo
	global_load_ushort v20, v[20:21], off
	s_waitcnt vmcnt(0)
	v_mul_f16_e32 v20, s15, v20
	v_cvt_f32_f16_e32 v46, v20
.LBB277_75:
	v_pk_add_f16 v16, v24, v16
	v_pk_add_f16 v21, v25, v17
	v_max_f16_e32 v17, v104, v104
	v_lshrrev_b32_e32 v47, 16, v104
	v_add_nc_u32_e32 v20, 0x80, v109
	v_lshrrev_b32_e32 v48, 16, v16
	v_lshrrev_b32_e32 v49, 16, v21
	v_min_f16_e32 v50, v17, v16
	v_mad_i64_i32 v[16:17], null, v20, s2, 0
	v_min3_f16 v47, v47, v48, v49
	v_max_f32_e32 v48, v46, v46
	v_add_co_u32 v46, vcc_lo, v22, v44
	v_mov_b32_e32 v22, 0
	v_min3_f16 v21, v50, v21, v47
	v_lshlrev_b64 v[16:17], 1, v[16:17]
	v_add_co_ci_u32_e64 v47, null, v23, v45, vcc_lo
	v_cvt_f32_f16_e32 v21, v21
	v_add_co_u32 v16, vcc_lo, s12, v16
	v_add_co_ci_u32_e64 v17, null, s13, v17, vcc_lo
	v_min_f32_e32 v21, v48, v21
	s_and_b32 vcc_lo, exec_lo, s1
	v_cvt_f16_f32_e32 v23, v21
	v_mov_b32_e32 v21, 0
	global_store_short v[46:47], v23, off
	s_cbranch_vccnz .LBB277_77
; %bb.76:
	v_add_co_u32 v46, vcc_lo, v16, v28
	v_add_co_ci_u32_e64 v47, null, v17, v29, vcc_lo
	global_load_ushort v21, v[46:47], off
	s_waitcnt vmcnt(0)
	v_mul_f16_e32 v21, s15, v21
	v_cvt_f32_f16_e32 v21, v21
.LBB277_77:
	v_pk_add_f16 v23, v30, v18
	v_pk_add_f16 v48, v31, v19
	v_max_f16_e32 v46, v103, v103
	v_lshrrev_b32_e32 v47, 16, v103
	v_lshrrev_b32_e32 v49, 16, v23
	v_lshrrev_b32_e32 v50, 16, v48
	v_min_f16_e32 v23, v46, v23
	v_min3_f16 v49, v47, v49, v50
	v_mad_i64_i32 v[46:47], null, v20, s3, 0
	v_min3_f16 v20, v23, v48, v49
	v_max_f32_e32 v23, v21, v21
	v_cvt_f32_f16_e32 v48, v20
	v_lshlrev_b64 v[20:21], 1, v[46:47]
	v_min_f32_e32 v23, v23, v48
	v_add_co_u32 v20, vcc_lo, s4, v20
	v_add_co_ci_u32_e64 v21, null, s5, v21, vcc_lo
	v_cvt_f16_f32_e32 v23, v23
	v_add_co_u32 v46, vcc_lo, v20, v28
	v_add_co_ci_u32_e64 v47, null, v21, v29, vcc_lo
	s_and_b32 vcc_lo, exec_lo, s1
	global_store_short v[46:47], v23, off
	s_cbranch_vccnz .LBB277_79
; %bb.78:
	v_add_co_u32 v22, vcc_lo, v16, v32
	v_add_co_ci_u32_e64 v23, null, v17, v33, vcc_lo
	global_load_ushort v22, v[22:23], off
	s_waitcnt vmcnt(0)
	v_mul_f16_e32 v22, s15, v22
	v_cvt_f32_f16_e32 v22, v22
.LBB277_79:
	v_pk_add_f16 v23, v8, v18
	v_pk_add_f16 v46, v9, v19
	v_max_f16_e32 v47, v177, v177
	v_lshrrev_b32_e32 v48, 16, v177
	v_max_f32_e32 v22, v22, v22
	v_lshrrev_b32_e32 v49, 16, v23
	v_lshrrev_b32_e32 v50, 16, v46
	v_min_f16_e32 v23, v47, v23
	v_min3_f16 v47, v48, v49, v50
	v_min3_f16 v23, v23, v46, v47
	v_add_co_u32 v46, vcc_lo, v20, v32
	v_add_co_ci_u32_e64 v47, null, v21, v33, vcc_lo
	v_cvt_f32_f16_e32 v23, v23
	s_and_b32 vcc_lo, exec_lo, s1
	v_min_f32_e32 v22, v22, v23
	v_mov_b32_e32 v23, 0
	v_cvt_f16_f32_e32 v48, v22
	v_mov_b32_e32 v22, 0
	global_store_short v[46:47], v48, off
	s_cbranch_vccnz .LBB277_81
; %bb.80:
	v_add_co_u32 v46, vcc_lo, v16, v34
	v_add_co_ci_u32_e64 v47, null, v17, v35, vcc_lo
	global_load_ushort v23, v[46:47], off
	s_waitcnt vmcnt(0)
	v_mul_f16_e32 v23, s15, v23
	v_cvt_f32_f16_e32 v23, v23
.LBB277_81:
	v_pk_add_f16 v46, v10, v18
	v_pk_add_f16 v47, v11, v19
	v_max_f16_e32 v48, v102, v102
	v_lshrrev_b32_e32 v49, 16, v102
	v_max_f32_e32 v23, v23, v23
	v_lshrrev_b32_e32 v50, 16, v46
	v_lshrrev_b32_e32 v51, 16, v47
	v_min_f16_e32 v46, v48, v46
	v_min3_f16 v48, v49, v50, v51
	v_min3_f16 v46, v46, v47, v48
	v_cvt_f32_f16_e32 v46, v46
	v_min_f32_e32 v23, v23, v46
	v_add_co_u32 v46, vcc_lo, v20, v34
	v_add_co_ci_u32_e64 v47, null, v21, v35, vcc_lo
	v_cvt_f16_f32_e32 v23, v23
	s_and_b32 vcc_lo, exec_lo, s1
	global_store_short v[46:47], v23, off
	s_cbranch_vccnz .LBB277_83
; %bb.82:
	v_add_co_u32 v22, vcc_lo, v16, v36
	v_add_co_ci_u32_e64 v23, null, v17, v37, vcc_lo
	global_load_ushort v22, v[22:23], off
	s_waitcnt vmcnt(0)
	v_mul_f16_e32 v22, s15, v22
	v_cvt_f32_f16_e32 v22, v22
.LBB277_83:
	v_pk_add_f16 v23, v4, v18
	v_pk_add_f16 v46, v5, v19
	v_max_f16_e32 v47, v173, v173
	v_lshrrev_b32_e32 v48, 16, v173
	v_max_f32_e32 v22, v22, v22
	v_lshrrev_b32_e32 v49, 16, v23
	v_lshrrev_b32_e32 v50, 16, v46
	v_min_f16_e32 v23, v47, v23
	v_min3_f16 v47, v48, v49, v50
	v_min3_f16 v23, v23, v46, v47
	v_add_co_u32 v46, vcc_lo, v20, v36
	v_add_co_ci_u32_e64 v47, null, v21, v37, vcc_lo
	v_cvt_f32_f16_e32 v23, v23
	s_and_b32 vcc_lo, exec_lo, s1
	v_min_f32_e32 v22, v22, v23
	v_mov_b32_e32 v23, 0
	v_cvt_f16_f32_e32 v48, v22
	v_mov_b32_e32 v22, 0
	global_store_short v[46:47], v48, off
	s_cbranch_vccnz .LBB277_85
; %bb.84:
	v_add_co_u32 v46, vcc_lo, v16, v42
	v_add_co_ci_u32_e64 v47, null, v17, v43, vcc_lo
	global_load_ushort v23, v[46:47], off
	s_waitcnt vmcnt(0)
	v_mul_f16_e32 v23, s15, v23
	v_cvt_f32_f16_e32 v23, v23
.LBB277_85:
	v_pk_add_f16 v46, v6, v18
	v_pk_add_f16 v47, v7, v19
	v_max_f16_e32 v48, v101, v101
	v_lshrrev_b32_e32 v49, 16, v101
	v_max_f32_e32 v23, v23, v23
	v_lshrrev_b32_e32 v50, 16, v46
	v_lshrrev_b32_e32 v51, 16, v47
	v_min_f16_e32 v46, v48, v46
	v_min3_f16 v48, v49, v50, v51
	v_min3_f16 v46, v46, v47, v48
	v_cvt_f32_f16_e32 v46, v46
	v_min_f32_e32 v23, v23, v46
	v_add_co_u32 v46, vcc_lo, v20, v42
	v_add_co_ci_u32_e64 v47, null, v21, v43, vcc_lo
	v_cvt_f16_f32_e32 v23, v23
	;; [unrolled: 54-line block ×3, first 2 shown]
	s_and_b32 vcc_lo, exec_lo, s1
	global_store_short v[46:47], v23, off
	s_cbranch_vccnz .LBB277_91
; %bb.90:
	v_add_co_u32 v16, vcc_lo, v16, v44
	v_add_co_ci_u32_e64 v17, null, v17, v45, vcc_lo
	global_load_ushort v16, v[16:17], off
	s_waitcnt vmcnt(0)
	v_mul_f16_e32 v16, s15, v16
	v_cvt_f32_f16_e32 v22, v16
.LBB277_91:
	v_pk_add_f16 v16, v24, v18
	v_pk_add_f16 v19, v25, v19
	v_max_f16_e32 v17, v99, v99
	v_lshrrev_b32_e32 v23, 16, v99
	v_add_nc_u32_e32 v18, 0xa0, v109
	v_lshrrev_b32_e32 v46, 16, v16
	v_lshrrev_b32_e32 v47, 16, v19
	v_min_f16_e32 v48, v17, v16
	v_mad_i64_i32 v[16:17], null, v18, s2, 0
	v_min3_f16 v23, v23, v46, v47
	v_max_f32_e32 v46, v22, v22
	v_add_co_u32 v22, vcc_lo, v20, v44
	v_mov_b32_e32 v20, 0
	v_min3_f16 v19, v48, v19, v23
	v_lshlrev_b64 v[16:17], 1, v[16:17]
	v_add_co_ci_u32_e64 v23, null, v21, v45, vcc_lo
	v_cvt_f32_f16_e32 v19, v19
	v_add_co_u32 v16, vcc_lo, s12, v16
	v_add_co_ci_u32_e64 v17, null, s13, v17, vcc_lo
	v_min_f32_e32 v19, v46, v19
	s_and_b32 vcc_lo, exec_lo, s1
	v_cvt_f16_f32_e32 v21, v19
	v_mov_b32_e32 v19, 0
	global_store_short v[22:23], v21, off
	s_cbranch_vccnz .LBB277_93
; %bb.92:
	v_add_co_u32 v21, vcc_lo, v16, v28
	v_add_co_ci_u32_e64 v22, null, v17, v29, vcc_lo
	global_load_ushort v19, v[21:22], off
	s_waitcnt vmcnt(0)
	v_mul_f16_e32 v19, s15, v19
	v_cvt_f32_f16_e32 v19, v19
.LBB277_93:
	v_pk_add_f16 v21, v30, v12
	v_pk_add_f16 v23, v31, v13
	v_max_f16_e32 v22, v98, v98
	v_lshrrev_b32_e32 v46, 16, v98
	v_lshrrev_b32_e32 v47, 16, v21
	;; [unrolled: 1-line block ×3, first 2 shown]
	v_min_f16_e32 v49, v22, v21
	v_mad_i64_i32 v[21:22], null, v18, s3, 0
	v_min3_f16 v46, v46, v47, v48
	v_min3_f16 v18, v49, v23, v46
	v_max_f32_e32 v23, v19, v19
	v_cvt_f32_f16_e32 v46, v18
	v_lshlrev_b64 v[18:19], 1, v[21:22]
	v_min_f32_e32 v21, v23, v46
	v_add_co_u32 v18, vcc_lo, s4, v18
	v_add_co_ci_u32_e64 v19, null, s5, v19, vcc_lo
	v_cvt_f16_f32_e32 v23, v21
	v_add_co_u32 v21, vcc_lo, v18, v28
	v_add_co_ci_u32_e64 v22, null, v19, v29, vcc_lo
	s_and_b32 vcc_lo, exec_lo, s1
	global_store_short v[21:22], v23, off
	s_cbranch_vccnz .LBB277_95
; %bb.94:
	v_add_co_u32 v20, vcc_lo, v16, v32
	v_add_co_ci_u32_e64 v21, null, v17, v33, vcc_lo
	global_load_ushort v20, v[20:21], off
	s_waitcnt vmcnt(0)
	v_mul_f16_e32 v20, s15, v20
	v_cvt_f32_f16_e32 v20, v20
.LBB277_95:
	v_pk_add_f16 v21, v8, v12
	v_pk_add_f16 v22, v9, v13
	v_max_f16_e32 v23, v97, v97
	v_lshrrev_b32_e32 v46, 16, v97
	v_max_f32_e32 v20, v20, v20
	v_lshrrev_b32_e32 v47, 16, v21
	v_lshrrev_b32_e32 v48, 16, v22
	v_min_f16_e32 v21, v23, v21
	v_min3_f16 v23, v46, v47, v48
	v_min3_f16 v21, v21, v22, v23
	v_add_co_u32 v22, vcc_lo, v18, v32
	v_add_co_ci_u32_e64 v23, null, v19, v33, vcc_lo
	v_cvt_f32_f16_e32 v21, v21
	s_and_b32 vcc_lo, exec_lo, s1
	v_min_f32_e32 v20, v20, v21
	v_mov_b32_e32 v21, 0
	v_cvt_f16_f32_e32 v46, v20
	v_mov_b32_e32 v20, 0
	global_store_short v[22:23], v46, off
	s_cbranch_vccnz .LBB277_97
; %bb.96:
	v_add_co_u32 v21, vcc_lo, v16, v34
	v_add_co_ci_u32_e64 v22, null, v17, v35, vcc_lo
	global_load_ushort v21, v[21:22], off
	s_waitcnt vmcnt(0)
	v_mul_f16_e32 v21, s15, v21
	v_cvt_f32_f16_e32 v21, v21
.LBB277_97:
	v_pk_add_f16 v22, v10, v12
	v_pk_add_f16 v23, v11, v13
	v_max_f16_e32 v46, v96, v96
	v_lshrrev_b32_e32 v47, 16, v96
	v_max_f32_e32 v21, v21, v21
	v_lshrrev_b32_e32 v48, 16, v22
	v_lshrrev_b32_e32 v49, 16, v23
	v_min_f16_e32 v22, v46, v22
	v_min3_f16 v46, v47, v48, v49
	v_min3_f16 v22, v22, v23, v46
	v_cvt_f32_f16_e32 v22, v22
	v_min_f32_e32 v21, v21, v22
	v_cvt_f16_f32_e32 v23, v21
	v_add_co_u32 v21, vcc_lo, v18, v34
	v_add_co_ci_u32_e64 v22, null, v19, v35, vcc_lo
	s_and_b32 vcc_lo, exec_lo, s1
	global_store_short v[21:22], v23, off
	s_cbranch_vccnz .LBB277_99
; %bb.98:
	v_add_co_u32 v20, vcc_lo, v16, v36
	v_add_co_ci_u32_e64 v21, null, v17, v37, vcc_lo
	global_load_ushort v20, v[20:21], off
	s_waitcnt vmcnt(0)
	v_mul_f16_e32 v20, s15, v20
	v_cvt_f32_f16_e32 v20, v20
.LBB277_99:
	v_pk_add_f16 v21, v4, v12
	v_pk_add_f16 v22, v5, v13
	v_max_f16_e32 v23, v95, v95
	v_lshrrev_b32_e32 v46, 16, v95
	v_max_f32_e32 v20, v20, v20
	v_lshrrev_b32_e32 v47, 16, v21
	v_lshrrev_b32_e32 v48, 16, v22
	v_min_f16_e32 v21, v23, v21
	v_min3_f16 v23, v46, v47, v48
	v_min3_f16 v21, v21, v22, v23
	v_add_co_u32 v22, vcc_lo, v18, v36
	v_add_co_ci_u32_e64 v23, null, v19, v37, vcc_lo
	v_cvt_f32_f16_e32 v21, v21
	s_and_b32 vcc_lo, exec_lo, s1
	v_min_f32_e32 v20, v20, v21
	v_mov_b32_e32 v21, 0
	v_cvt_f16_f32_e32 v46, v20
	v_mov_b32_e32 v20, 0
	global_store_short v[22:23], v46, off
	s_cbranch_vccnz .LBB277_101
; %bb.100:
	v_add_co_u32 v21, vcc_lo, v16, v42
	v_add_co_ci_u32_e64 v22, null, v17, v43, vcc_lo
	global_load_ushort v21, v[21:22], off
	s_waitcnt vmcnt(0)
	v_mul_f16_e32 v21, s15, v21
	v_cvt_f32_f16_e32 v21, v21
.LBB277_101:
	v_pk_add_f16 v22, v6, v12
	v_pk_add_f16 v23, v7, v13
	v_max_f16_e32 v46, v94, v94
	v_lshrrev_b32_e32 v47, 16, v94
	v_max_f32_e32 v21, v21, v21
	v_lshrrev_b32_e32 v48, 16, v22
	v_lshrrev_b32_e32 v49, 16, v23
	v_min_f16_e32 v22, v46, v22
	v_min3_f16 v46, v47, v48, v49
	v_min3_f16 v22, v22, v23, v46
	v_cvt_f32_f16_e32 v22, v22
	v_min_f32_e32 v21, v21, v22
	;; [unrolled: 54-line block ×3, first 2 shown]
	v_cvt_f16_f32_e32 v23, v21
	v_add_co_u32 v21, vcc_lo, v18, v38
	v_add_co_ci_u32_e64 v22, null, v19, v39, vcc_lo
	s_and_b32 vcc_lo, exec_lo, s1
	global_store_short v[21:22], v23, off
	s_cbranch_vccnz .LBB277_107
; %bb.106:
	v_add_co_u32 v16, vcc_lo, v16, v44
	v_add_co_ci_u32_e64 v17, null, v17, v45, vcc_lo
	global_load_ushort v16, v[16:17], off
	s_waitcnt vmcnt(0)
	v_mul_f16_e32 v16, s15, v16
	v_cvt_f32_f16_e32 v20, v16
.LBB277_107:
	v_pk_add_f16 v12, v24, v12
	v_pk_add_f16 v17, v25, v13
	v_max_f16_e32 v13, v91, v91
	v_lshrrev_b32_e32 v21, 16, v91
	v_add_nc_u32_e32 v16, 0xc0, v109
	v_lshrrev_b32_e32 v22, 16, v12
	v_lshrrev_b32_e32 v23, 16, v17
	v_min_f16_e32 v46, v13, v12
	v_mad_i64_i32 v[12:13], null, v16, s2, 0
	v_min3_f16 v21, v21, v22, v23
	v_max_f32_e32 v22, v20, v20
	v_add_co_u32 v20, vcc_lo, v18, v44
	v_mov_b32_e32 v18, 0
	v_min3_f16 v17, v46, v17, v21
	v_lshlrev_b64 v[12:13], 1, v[12:13]
	v_add_co_ci_u32_e64 v21, null, v19, v45, vcc_lo
	v_cvt_f32_f16_e32 v17, v17
	v_add_co_u32 v12, vcc_lo, s12, v12
	v_add_co_ci_u32_e64 v13, null, s13, v13, vcc_lo
	v_min_f32_e32 v17, v22, v17
	s_and_b32 vcc_lo, exec_lo, s1
	v_cvt_f16_f32_e32 v19, v17
	v_mov_b32_e32 v17, 0
	global_store_short v[20:21], v19, off
	s_cbranch_vccnz .LBB277_109
; %bb.108:
	v_add_co_u32 v19, vcc_lo, v12, v28
	v_add_co_ci_u32_e64 v20, null, v13, v29, vcc_lo
	global_load_ushort v17, v[19:20], off
	s_waitcnt vmcnt(0)
	v_mul_f16_e32 v17, s15, v17
	v_cvt_f32_f16_e32 v17, v17
.LBB277_109:
	v_pk_add_f16 v19, v30, v14
	v_pk_add_f16 v21, v31, v15
	v_max_f16_e32 v20, v89, v89
	v_lshrrev_b32_e32 v22, 16, v89
	v_lshrrev_b32_e32 v23, 16, v19
	;; [unrolled: 1-line block ×3, first 2 shown]
	v_min_f16_e32 v47, v20, v19
	v_mad_i64_i32 v[19:20], null, v16, s3, 0
	v_min3_f16 v22, v22, v23, v46
	v_min3_f16 v16, v47, v21, v22
	v_max_f32_e32 v21, v17, v17
	v_cvt_f32_f16_e32 v22, v16
	v_lshlrev_b64 v[16:17], 1, v[19:20]
	v_min_f32_e32 v19, v21, v22
	v_add_co_u32 v16, vcc_lo, s4, v16
	v_add_co_ci_u32_e64 v17, null, s5, v17, vcc_lo
	v_cvt_f16_f32_e32 v21, v19
	v_add_co_u32 v19, vcc_lo, v16, v28
	v_add_co_ci_u32_e64 v20, null, v17, v29, vcc_lo
	s_and_b32 vcc_lo, exec_lo, s1
	global_store_short v[19:20], v21, off
	s_cbranch_vccnz .LBB277_111
; %bb.110:
	v_add_co_u32 v18, vcc_lo, v12, v32
	v_add_co_ci_u32_e64 v19, null, v13, v33, vcc_lo
	global_load_ushort v18, v[18:19], off
	s_waitcnt vmcnt(0)
	v_mul_f16_e32 v18, s15, v18
	v_cvt_f32_f16_e32 v18, v18
.LBB277_111:
	v_pk_add_f16 v19, v8, v14
	v_pk_add_f16 v20, v9, v15
	v_max_f16_e32 v21, v121, v121
	v_lshrrev_b32_e32 v22, 16, v121
	v_max_f32_e32 v18, v18, v18
	v_lshrrev_b32_e32 v23, 16, v19
	v_lshrrev_b32_e32 v46, 16, v20
	v_min_f16_e32 v19, v21, v19
	v_min3_f16 v21, v22, v23, v46
	v_min3_f16 v19, v19, v20, v21
	v_add_co_u32 v20, vcc_lo, v16, v32
	v_add_co_ci_u32_e64 v21, null, v17, v33, vcc_lo
	v_cvt_f32_f16_e32 v19, v19
	s_and_b32 vcc_lo, exec_lo, s1
	v_min_f32_e32 v18, v18, v19
	v_mov_b32_e32 v19, 0
	v_cvt_f16_f32_e32 v22, v18
	v_mov_b32_e32 v18, 0
	global_store_short v[20:21], v22, off
	s_cbranch_vccnz .LBB277_113
; %bb.112:
	v_add_co_u32 v19, vcc_lo, v12, v34
	v_add_co_ci_u32_e64 v20, null, v13, v35, vcc_lo
	global_load_ushort v19, v[19:20], off
	s_waitcnt vmcnt(0)
	v_mul_f16_e32 v19, s15, v19
	v_cvt_f32_f16_e32 v19, v19
.LBB277_113:
	v_pk_add_f16 v20, v10, v14
	v_pk_add_f16 v21, v11, v15
	v_max_f16_e32 v22, v88, v88
	v_lshrrev_b32_e32 v23, 16, v88
	v_max_f32_e32 v19, v19, v19
	v_lshrrev_b32_e32 v46, 16, v20
	v_lshrrev_b32_e32 v47, 16, v21
	v_min_f16_e32 v20, v22, v20
	v_min3_f16 v22, v23, v46, v47
	v_min3_f16 v20, v20, v21, v22
	v_cvt_f32_f16_e32 v20, v20
	v_min_f32_e32 v19, v19, v20
	v_cvt_f16_f32_e32 v21, v19
	v_add_co_u32 v19, vcc_lo, v16, v34
	v_add_co_ci_u32_e64 v20, null, v17, v35, vcc_lo
	s_and_b32 vcc_lo, exec_lo, s1
	global_store_short v[19:20], v21, off
	s_cbranch_vccnz .LBB277_115
; %bb.114:
	v_add_co_u32 v18, vcc_lo, v12, v36
	v_add_co_ci_u32_e64 v19, null, v13, v37, vcc_lo
	global_load_ushort v18, v[18:19], off
	s_waitcnt vmcnt(0)
	v_mul_f16_e32 v18, s15, v18
	v_cvt_f32_f16_e32 v18, v18
.LBB277_115:
	v_pk_add_f16 v19, v4, v14
	v_pk_add_f16 v20, v5, v15
	v_max_f16_e32 v21, v87, v87
	v_lshrrev_b32_e32 v22, 16, v87
	v_max_f32_e32 v18, v18, v18
	v_lshrrev_b32_e32 v23, 16, v19
	v_lshrrev_b32_e32 v46, 16, v20
	v_min_f16_e32 v19, v21, v19
	v_min3_f16 v21, v22, v23, v46
	v_min3_f16 v19, v19, v20, v21
	v_add_co_u32 v20, vcc_lo, v16, v36
	v_add_co_ci_u32_e64 v21, null, v17, v37, vcc_lo
	v_cvt_f32_f16_e32 v19, v19
	s_and_b32 vcc_lo, exec_lo, s1
	v_min_f32_e32 v18, v18, v19
	v_mov_b32_e32 v19, 0
	v_cvt_f16_f32_e32 v22, v18
	v_mov_b32_e32 v18, 0
	global_store_short v[20:21], v22, off
	s_cbranch_vccnz .LBB277_117
; %bb.116:
	v_add_co_u32 v19, vcc_lo, v12, v42
	v_add_co_ci_u32_e64 v20, null, v13, v43, vcc_lo
	global_load_ushort v19, v[19:20], off
	s_waitcnt vmcnt(0)
	v_mul_f16_e32 v19, s15, v19
	v_cvt_f32_f16_e32 v19, v19
.LBB277_117:
	v_pk_add_f16 v20, v6, v14
	v_pk_add_f16 v21, v7, v15
	v_max_f16_e32 v22, v86, v86
	v_lshrrev_b32_e32 v23, 16, v86
	v_max_f32_e32 v19, v19, v19
	v_lshrrev_b32_e32 v46, 16, v20
	v_lshrrev_b32_e32 v47, 16, v21
	v_min_f16_e32 v20, v22, v20
	v_min3_f16 v22, v23, v46, v47
	v_min3_f16 v20, v20, v21, v22
	v_cvt_f32_f16_e32 v20, v20
	v_min_f32_e32 v19, v19, v20
	;; [unrolled: 54-line block ×3, first 2 shown]
	v_cvt_f16_f32_e32 v21, v19
	v_add_co_u32 v19, vcc_lo, v16, v38
	v_add_co_ci_u32_e64 v20, null, v17, v39, vcc_lo
	s_and_b32 vcc_lo, exec_lo, s1
	global_store_short v[19:20], v21, off
	s_cbranch_vccnz .LBB277_123
; %bb.122:
	v_add_co_u32 v12, vcc_lo, v12, v44
	v_add_co_ci_u32_e64 v13, null, v13, v45, vcc_lo
	global_load_ushort v12, v[12:13], off
	s_waitcnt vmcnt(0)
	v_mul_f16_e32 v12, s15, v12
	v_cvt_f32_f16_e32 v18, v12
.LBB277_123:
	v_pk_add_f16 v12, v24, v14
	v_pk_add_f16 v15, v25, v15
	v_max_f16_e32 v13, v83, v83
	v_lshrrev_b32_e32 v19, 16, v83
	v_add_nc_u32_e32 v14, 0xe0, v109
	v_lshrrev_b32_e32 v20, 16, v12
	v_lshrrev_b32_e32 v21, 16, v15
	v_min_f16_e32 v22, v13, v12
	v_mad_i64_i32 v[12:13], null, v14, s2, 0
	v_min3_f16 v19, v19, v20, v21
	v_max_f32_e32 v20, v18, v18
	v_add_co_u32 v18, vcc_lo, v16, v44
	v_mov_b32_e32 v16, 0
	v_min3_f16 v15, v22, v15, v19
	v_lshlrev_b64 v[12:13], 1, v[12:13]
	v_add_co_ci_u32_e64 v19, null, v17, v45, vcc_lo
	v_cvt_f32_f16_e32 v15, v15
	v_add_co_u32 v12, vcc_lo, s12, v12
	v_add_co_ci_u32_e64 v13, null, s13, v13, vcc_lo
	v_min_f32_e32 v15, v20, v15
	s_and_b32 vcc_lo, exec_lo, s1
	v_cvt_f16_f32_e32 v17, v15
	v_mov_b32_e32 v15, 0
	global_store_short v[18:19], v17, off
	s_cbranch_vccnz .LBB277_125
; %bb.124:
	v_add_co_u32 v17, vcc_lo, v12, v28
	v_add_co_ci_u32_e64 v18, null, v13, v29, vcc_lo
	global_load_ushort v15, v[17:18], off
	s_waitcnt vmcnt(0)
	v_mul_f16_e32 v15, s15, v15
	v_cvt_f32_f16_e32 v15, v15
.LBB277_125:
	v_pk_add_f16 v17, v30, v26
	v_pk_add_f16 v19, v31, v27
	v_max_f16_e32 v18, v65, v65
	v_lshrrev_b32_e32 v20, 16, v65
	v_lshrrev_b32_e32 v21, 16, v17
	;; [unrolled: 1-line block ×3, first 2 shown]
	v_min_f16_e32 v23, v18, v17
	v_mad_i64_i32 v[17:18], null, v14, s3, 0
	v_min3_f16 v20, v20, v21, v22
	v_min3_f16 v14, v23, v19, v20
	v_max_f32_e32 v19, v15, v15
	v_cvt_f32_f16_e32 v20, v14
	v_lshlrev_b64 v[14:15], 1, v[17:18]
	v_min_f32_e32 v17, v19, v20
	v_add_co_u32 v14, vcc_lo, s4, v14
	v_add_co_ci_u32_e64 v15, null, s5, v15, vcc_lo
	v_cvt_f16_f32_e32 v19, v17
	v_add_co_u32 v17, vcc_lo, v14, v28
	v_add_co_ci_u32_e64 v18, null, v15, v29, vcc_lo
	s_and_b32 vcc_lo, exec_lo, s1
	global_store_short v[17:18], v19, off
	s_cbranch_vccnz .LBB277_127
; %bb.126:
	v_add_co_u32 v16, vcc_lo, v12, v32
	v_add_co_ci_u32_e64 v17, null, v13, v33, vcc_lo
	global_load_ushort v16, v[16:17], off
	s_waitcnt vmcnt(0)
	v_mul_f16_e32 v16, s15, v16
	v_cvt_f32_f16_e32 v16, v16
.LBB277_127:
	v_pk_add_f16 v8, v8, v26
	v_pk_add_f16 v9, v9, v27
	v_max_f16_e32 v17, v64, v64
	v_lshrrev_b32_e32 v18, 16, v64
	v_lshrrev_b32_e32 v19, 16, v8
	;; [unrolled: 1-line block ×3, first 2 shown]
	v_min_f16_e32 v8, v17, v8
	v_min3_f16 v17, v18, v19, v20
	v_min3_f16 v8, v8, v9, v17
	v_max_f32_e32 v9, v16, v16
	v_add_co_u32 v16, vcc_lo, v14, v32
	v_add_co_ci_u32_e64 v17, null, v15, v33, vcc_lo
	v_cvt_f32_f16_e32 v8, v8
	s_and_b32 vcc_lo, exec_lo, s1
	v_min_f32_e32 v8, v9, v8
	v_mov_b32_e32 v9, 0
	v_cvt_f16_f32_e32 v18, v8
	v_mov_b32_e32 v8, 0
	global_store_short v[16:17], v18, off
	s_cbranch_vccnz .LBB277_129
; %bb.128:
	v_add_co_u32 v16, vcc_lo, v12, v34
	v_add_co_ci_u32_e64 v17, null, v13, v35, vcc_lo
	global_load_ushort v9, v[16:17], off
	s_waitcnt vmcnt(0)
	v_mul_f16_e32 v9, s15, v9
	v_cvt_f32_f16_e32 v9, v9
.LBB277_129:
	v_pk_add_f16 v10, v10, v26
	v_pk_add_f16 v11, v11, v27
	v_max_f16_e32 v16, v80, v80
	v_lshrrev_b32_e32 v17, 16, v80
	v_max_f32_e32 v9, v9, v9
	v_lshrrev_b32_e32 v18, 16, v10
	v_lshrrev_b32_e32 v19, 16, v11
	v_min_f16_e32 v10, v16, v10
	v_min3_f16 v16, v17, v18, v19
	v_min3_f16 v10, v10, v11, v16
	v_cvt_f32_f16_e32 v10, v10
	v_min_f32_e32 v9, v9, v10
	v_cvt_f16_f32_e32 v11, v9
	v_add_co_u32 v9, vcc_lo, v14, v34
	v_add_co_ci_u32_e64 v10, null, v15, v35, vcc_lo
	s_and_b32 vcc_lo, exec_lo, s1
	global_store_short v[9:10], v11, off
	s_cbranch_vccnz .LBB277_131
; %bb.130:
	v_add_co_u32 v8, vcc_lo, v12, v36
	v_add_co_ci_u32_e64 v9, null, v13, v37, vcc_lo
	global_load_ushort v8, v[8:9], off
	s_waitcnt vmcnt(0)
	v_mul_f16_e32 v8, s15, v8
	v_cvt_f32_f16_e32 v8, v8
.LBB277_131:
	v_pk_add_f16 v4, v4, v26
	v_pk_add_f16 v5, v5, v27
	v_max_f16_e32 v9, v62, v62
	v_lshrrev_b32_e32 v10, 16, v62
	v_lshrrev_b32_e32 v11, 16, v4
	;; [unrolled: 1-line block ×3, first 2 shown]
	v_min_f16_e32 v4, v9, v4
	v_min3_f16 v9, v10, v11, v16
	v_min3_f16 v4, v4, v5, v9
	v_max_f32_e32 v5, v8, v8
	v_add_co_u32 v8, vcc_lo, v14, v36
	v_add_co_ci_u32_e64 v9, null, v15, v37, vcc_lo
	v_cvt_f32_f16_e32 v4, v4
	s_and_b32 vcc_lo, exec_lo, s1
	v_min_f32_e32 v4, v5, v4
	v_mov_b32_e32 v5, 0
	v_cvt_f16_f32_e32 v10, v4
	v_mov_b32_e32 v4, 0
	global_store_short v[8:9], v10, off
	s_cbranch_vccnz .LBB277_133
; %bb.132:
	v_add_co_u32 v8, vcc_lo, v12, v42
	v_add_co_ci_u32_e64 v9, null, v13, v43, vcc_lo
	global_load_ushort v5, v[8:9], off
	s_waitcnt vmcnt(0)
	v_mul_f16_e32 v5, s15, v5
	v_cvt_f32_f16_e32 v5, v5
.LBB277_133:
	v_pk_add_f16 v6, v6, v26
	v_pk_add_f16 v7, v7, v27
	v_max_f16_e32 v8, v82, v82
	v_lshrrev_b32_e32 v9, 16, v82
	v_max_f32_e32 v5, v5, v5
	v_lshrrev_b32_e32 v10, 16, v6
	v_lshrrev_b32_e32 v11, 16, v7
	v_min_f16_e32 v6, v8, v6
	v_min3_f16 v8, v9, v10, v11
	v_min3_f16 v6, v6, v7, v8
	v_cvt_f32_f16_e32 v6, v6
	v_min_f32_e32 v5, v5, v6
	v_cvt_f16_f32_e32 v7, v5
	v_add_co_u32 v5, vcc_lo, v14, v42
	v_add_co_ci_u32_e64 v6, null, v15, v43, vcc_lo
	s_and_b32 vcc_lo, exec_lo, s1
	global_store_short v[5:6], v7, off
	s_cbranch_vccnz .LBB277_135
; %bb.134:
	v_add_co_u32 v4, vcc_lo, v12, v40
	v_add_co_ci_u32_e64 v5, null, v13, v41, vcc_lo
	global_load_ushort v4, v[4:5], off
	s_waitcnt vmcnt(0)
	v_mul_f16_e32 v4, s15, v4
	v_cvt_f32_f16_e32 v4, v4
.LBB277_135:
	v_pk_add_f16 v0, v0, v26
	v_pk_add_f16 v1, v1, v27
	v_max_f16_e32 v5, v60, v60
	v_lshrrev_b32_e32 v6, 16, v60
	v_pk_add_f16 v3, v3, v27
	v_lshrrev_b32_e32 v7, 16, v0
	v_lshrrev_b32_e32 v8, 16, v1
	v_min_f16_e32 v0, v5, v0
	s_mov_b32 s1, -1
	v_min3_f16 v5, v6, v7, v8
	v_lshrrev_b32_e32 v6, 16, v134
	v_lshrrev_b32_e32 v8, 16, v3
	v_min3_f16 v0, v0, v1, v5
	v_pk_add_f16 v5, v2, v26
	v_max_f32_e32 v1, v4, v4
	v_max_f16_e32 v4, v134, v134
	v_cvt_f32_f16_e32 v0, v0
	v_lshrrev_b32_e32 v7, 16, v5
	v_min_f16_e32 v4, v4, v5
	v_min_f32_e32 v0, v1, v0
	v_min3_f16 v5, v6, v7, v8
	v_add_co_u32 v1, vcc_lo, v14, v40
	v_add_co_ci_u32_e64 v2, null, v15, v41, vcc_lo
	v_cvt_f16_f32_e32 v6, v0
	v_min3_f16 v0, v4, v3, v5
	s_mov_b32 vcc_lo, s0
	global_store_short v[1:2], v6, off
	s_cbranch_vccz .LBB277_137
; %bb.136:
	v_cvt_f32_f16_e32 v1, v0
	s_mov_b32 s1, 0
	v_min_f32_e32 v1, 0, v1
	v_cvt_f16_f32_e32 v3, v1
	v_add_co_u32 v1, vcc_lo, v14, v38
	v_add_co_ci_u32_e64 v2, null, v15, v39, vcc_lo
	global_store_short v[1:2], v3, off
.LBB277_137:
	v_mov_b32_e32 v1, 0
	s_andn2_b32 vcc_lo, exec_lo, s1
	s_cbranch_vccnz .LBB277_139
; %bb.138:
	v_add_co_u32 v1, vcc_lo, v12, v38
	v_add_co_ci_u32_e64 v2, null, v13, v39, vcc_lo
	global_load_ushort v1, v[1:2], off
	v_max_f16_e32 v2, v0, v0
	v_add_co_u32 v0, vcc_lo, v14, v38
	s_waitcnt vmcnt(0)
	v_mul_f16_e32 v3, s15, v1
	v_add_co_ci_u32_e64 v1, null, v15, v39, vcc_lo
	v_min_f16_e32 v4, v3, v2
	v_add_co_u32 v2, vcc_lo, v12, v44
	v_add_co_ci_u32_e64 v3, null, v13, v45, vcc_lo
	global_store_short v[0:1], v4, off
	global_load_ushort v0, v[2:3], off
	s_waitcnt vmcnt(0)
	v_mul_f16_e32 v0, s15, v0
	v_cvt_f32_f16_e32 v1, v0
.LBB277_139:
	v_pk_add_f16 v0, v24, v26
	v_pk_add_f16 v2, v25, v27
	v_max_f16_e32 v3, v74, v74
	v_lshrrev_b32_e32 v4, 16, v74
	v_max_f32_e32 v1, v1, v1
	v_lshrrev_b32_e32 v5, 16, v0
	v_lshrrev_b32_e32 v6, 16, v2
	v_min_f16_e32 v0, v3, v0
	v_min3_f16 v3, v4, v5, v6
	v_min3_f16 v0, v0, v2, v3
	v_cvt_f32_f16_e32 v0, v0
	v_min_f32_e32 v0, v1, v0
	v_cvt_f16_f32_e32 v2, v0
	v_add_co_u32 v0, vcc_lo, v14, v44
	v_add_co_ci_u32_e64 v1, null, v15, v45, vcc_lo
	global_store_short v[0:1], v2, off
	s_endpgm
.LBB277_140:
	s_mov_b64 s[16:17], 0
	s_andn2_b32 vcc_lo, exec_lo, s8
	s_mov_b32 s0, -1
	s_cbranch_vccz .LBB277_2
	s_branch .LBB277_3
	.section	.rodata,"a",@progbits
	.p2align	6, 0x0
	.amdhsa_kernel _ZN12_GLOBAL__N_120geam_min_plus_kernelIDF16_Dv2_DF16_S1_Li8ELi32ELi64ELi256ELi4ELi4ELi64ELi64ELi4ELc84ELc84ELb1ELb0ELb1EDF16_KDF16_DF16_EEviiiT16_PT17_ilS5_ilS3_S5_ilPT18_ili26rocblas_geam_ex_operation_
		.amdhsa_group_segment_fixed_size 5120
		.amdhsa_private_segment_fixed_size 176
		.amdhsa_kernarg_size 128
		.amdhsa_user_sgpr_count 6
		.amdhsa_user_sgpr_private_segment_buffer 1
		.amdhsa_user_sgpr_dispatch_ptr 0
		.amdhsa_user_sgpr_queue_ptr 0
		.amdhsa_user_sgpr_kernarg_segment_ptr 1
		.amdhsa_user_sgpr_dispatch_id 0
		.amdhsa_user_sgpr_flat_scratch_init 0
		.amdhsa_user_sgpr_private_segment_size 0
		.amdhsa_wavefront_size32 1
		.amdhsa_uses_dynamic_stack 0
		.amdhsa_system_sgpr_private_segment_wavefront_offset 1
		.amdhsa_system_sgpr_workgroup_id_x 1
		.amdhsa_system_sgpr_workgroup_id_y 0
		.amdhsa_system_sgpr_workgroup_id_z 1
		.amdhsa_system_sgpr_workgroup_info 0
		.amdhsa_system_vgpr_workitem_id 1
		.amdhsa_next_free_vgpr 256
		.amdhsa_next_free_sgpr 28
		.amdhsa_reserve_vcc 1
		.amdhsa_reserve_flat_scratch 0
		.amdhsa_float_round_mode_32 0
		.amdhsa_float_round_mode_16_64 0
		.amdhsa_float_denorm_mode_32 3
		.amdhsa_float_denorm_mode_16_64 3
		.amdhsa_dx10_clamp 1
		.amdhsa_ieee_mode 1
		.amdhsa_fp16_overflow 0
		.amdhsa_workgroup_processor_mode 1
		.amdhsa_memory_ordered 1
		.amdhsa_forward_progress 1
		.amdhsa_shared_vgpr_count 0
		.amdhsa_exception_fp_ieee_invalid_op 0
		.amdhsa_exception_fp_denorm_src 0
		.amdhsa_exception_fp_ieee_div_zero 0
		.amdhsa_exception_fp_ieee_overflow 0
		.amdhsa_exception_fp_ieee_underflow 0
		.amdhsa_exception_fp_ieee_inexact 0
		.amdhsa_exception_int_div_zero 0
	.end_amdhsa_kernel
	.section	.text._ZN12_GLOBAL__N_120geam_min_plus_kernelIDF16_Dv2_DF16_S1_Li8ELi32ELi64ELi256ELi4ELi4ELi64ELi64ELi4ELc84ELc84ELb1ELb0ELb1EDF16_KDF16_DF16_EEviiiT16_PT17_ilS5_ilS3_S5_ilPT18_ili26rocblas_geam_ex_operation_,"axG",@progbits,_ZN12_GLOBAL__N_120geam_min_plus_kernelIDF16_Dv2_DF16_S1_Li8ELi32ELi64ELi256ELi4ELi4ELi64ELi64ELi4ELc84ELc84ELb1ELb0ELb1EDF16_KDF16_DF16_EEviiiT16_PT17_ilS5_ilS3_S5_ilPT18_ili26rocblas_geam_ex_operation_,comdat
.Lfunc_end277:
	.size	_ZN12_GLOBAL__N_120geam_min_plus_kernelIDF16_Dv2_DF16_S1_Li8ELi32ELi64ELi256ELi4ELi4ELi64ELi64ELi4ELc84ELc84ELb1ELb0ELb1EDF16_KDF16_DF16_EEviiiT16_PT17_ilS5_ilS3_S5_ilPT18_ili26rocblas_geam_ex_operation_, .Lfunc_end277-_ZN12_GLOBAL__N_120geam_min_plus_kernelIDF16_Dv2_DF16_S1_Li8ELi32ELi64ELi256ELi4ELi4ELi64ELi64ELi4ELc84ELc84ELb1ELb0ELb1EDF16_KDF16_DF16_EEviiiT16_PT17_ilS5_ilS3_S5_ilPT18_ili26rocblas_geam_ex_operation_
                                        ; -- End function
	.set _ZN12_GLOBAL__N_120geam_min_plus_kernelIDF16_Dv2_DF16_S1_Li8ELi32ELi64ELi256ELi4ELi4ELi64ELi64ELi4ELc84ELc84ELb1ELb0ELb1EDF16_KDF16_DF16_EEviiiT16_PT17_ilS5_ilS3_S5_ilPT18_ili26rocblas_geam_ex_operation_.num_vgpr, 256
	.set _ZN12_GLOBAL__N_120geam_min_plus_kernelIDF16_Dv2_DF16_S1_Li8ELi32ELi64ELi256ELi4ELi4ELi64ELi64ELi4ELc84ELc84ELb1ELb0ELb1EDF16_KDF16_DF16_EEviiiT16_PT17_ilS5_ilS3_S5_ilPT18_ili26rocblas_geam_ex_operation_.num_agpr, 0
	.set _ZN12_GLOBAL__N_120geam_min_plus_kernelIDF16_Dv2_DF16_S1_Li8ELi32ELi64ELi256ELi4ELi4ELi64ELi64ELi4ELc84ELc84ELb1ELb0ELb1EDF16_KDF16_DF16_EEviiiT16_PT17_ilS5_ilS3_S5_ilPT18_ili26rocblas_geam_ex_operation_.numbered_sgpr, 28
	.set _ZN12_GLOBAL__N_120geam_min_plus_kernelIDF16_Dv2_DF16_S1_Li8ELi32ELi64ELi256ELi4ELi4ELi64ELi64ELi4ELc84ELc84ELb1ELb0ELb1EDF16_KDF16_DF16_EEviiiT16_PT17_ilS5_ilS3_S5_ilPT18_ili26rocblas_geam_ex_operation_.num_named_barrier, 0
	.set _ZN12_GLOBAL__N_120geam_min_plus_kernelIDF16_Dv2_DF16_S1_Li8ELi32ELi64ELi256ELi4ELi4ELi64ELi64ELi4ELc84ELc84ELb1ELb0ELb1EDF16_KDF16_DF16_EEviiiT16_PT17_ilS5_ilS3_S5_ilPT18_ili26rocblas_geam_ex_operation_.private_seg_size, 176
	.set _ZN12_GLOBAL__N_120geam_min_plus_kernelIDF16_Dv2_DF16_S1_Li8ELi32ELi64ELi256ELi4ELi4ELi64ELi64ELi4ELc84ELc84ELb1ELb0ELb1EDF16_KDF16_DF16_EEviiiT16_PT17_ilS5_ilS3_S5_ilPT18_ili26rocblas_geam_ex_operation_.uses_vcc, 1
	.set _ZN12_GLOBAL__N_120geam_min_plus_kernelIDF16_Dv2_DF16_S1_Li8ELi32ELi64ELi256ELi4ELi4ELi64ELi64ELi4ELc84ELc84ELb1ELb0ELb1EDF16_KDF16_DF16_EEviiiT16_PT17_ilS5_ilS3_S5_ilPT18_ili26rocblas_geam_ex_operation_.uses_flat_scratch, 0
	.set _ZN12_GLOBAL__N_120geam_min_plus_kernelIDF16_Dv2_DF16_S1_Li8ELi32ELi64ELi256ELi4ELi4ELi64ELi64ELi4ELc84ELc84ELb1ELb0ELb1EDF16_KDF16_DF16_EEviiiT16_PT17_ilS5_ilS3_S5_ilPT18_ili26rocblas_geam_ex_operation_.has_dyn_sized_stack, 0
	.set _ZN12_GLOBAL__N_120geam_min_plus_kernelIDF16_Dv2_DF16_S1_Li8ELi32ELi64ELi256ELi4ELi4ELi64ELi64ELi4ELc84ELc84ELb1ELb0ELb1EDF16_KDF16_DF16_EEviiiT16_PT17_ilS5_ilS3_S5_ilPT18_ili26rocblas_geam_ex_operation_.has_recursion, 0
	.set _ZN12_GLOBAL__N_120geam_min_plus_kernelIDF16_Dv2_DF16_S1_Li8ELi32ELi64ELi256ELi4ELi4ELi64ELi64ELi4ELc84ELc84ELb1ELb0ELb1EDF16_KDF16_DF16_EEviiiT16_PT17_ilS5_ilS3_S5_ilPT18_ili26rocblas_geam_ex_operation_.has_indirect_call, 0
	.section	.AMDGPU.csdata,"",@progbits
; Kernel info:
; codeLenInByte = 19400
; TotalNumSgprs: 30
; NumVgprs: 256
; ScratchSize: 176
; MemoryBound: 0
; FloatMode: 240
; IeeeMode: 1
; LDSByteSize: 5120 bytes/workgroup (compile time only)
; SGPRBlocks: 0
; VGPRBlocks: 31
; NumSGPRsForWavesPerEU: 30
; NumVGPRsForWavesPerEU: 256
; Occupancy: 4
; WaveLimiterHint : 1
; COMPUTE_PGM_RSRC2:SCRATCH_EN: 1
; COMPUTE_PGM_RSRC2:USER_SGPR: 6
; COMPUTE_PGM_RSRC2:TRAP_HANDLER: 0
; COMPUTE_PGM_RSRC2:TGID_X_EN: 1
; COMPUTE_PGM_RSRC2:TGID_Y_EN: 0
; COMPUTE_PGM_RSRC2:TGID_Z_EN: 1
; COMPUTE_PGM_RSRC2:TIDIG_COMP_CNT: 1
	.section	.text._ZN12_GLOBAL__N_120geam_min_plus_kernelIDF16_Dv2_DF16_S1_Li8ELi32ELi64ELi256ELi4ELi4ELi64ELi64ELi4ELc84ELc84ELb0ELb0ELb1EDF16_KDF16_DF16_EEviiiT16_PT17_ilS5_ilS3_S5_ilPT18_ili26rocblas_geam_ex_operation_,"axG",@progbits,_ZN12_GLOBAL__N_120geam_min_plus_kernelIDF16_Dv2_DF16_S1_Li8ELi32ELi64ELi256ELi4ELi4ELi64ELi64ELi4ELc84ELc84ELb0ELb0ELb1EDF16_KDF16_DF16_EEviiiT16_PT17_ilS5_ilS3_S5_ilPT18_ili26rocblas_geam_ex_operation_,comdat
	.globl	_ZN12_GLOBAL__N_120geam_min_plus_kernelIDF16_Dv2_DF16_S1_Li8ELi32ELi64ELi256ELi4ELi4ELi64ELi64ELi4ELc84ELc84ELb0ELb0ELb1EDF16_KDF16_DF16_EEviiiT16_PT17_ilS5_ilS3_S5_ilPT18_ili26rocblas_geam_ex_operation_ ; -- Begin function _ZN12_GLOBAL__N_120geam_min_plus_kernelIDF16_Dv2_DF16_S1_Li8ELi32ELi64ELi256ELi4ELi4ELi64ELi64ELi4ELc84ELc84ELb0ELb0ELb1EDF16_KDF16_DF16_EEviiiT16_PT17_ilS5_ilS3_S5_ilPT18_ili26rocblas_geam_ex_operation_
	.p2align	8
	.type	_ZN12_GLOBAL__N_120geam_min_plus_kernelIDF16_Dv2_DF16_S1_Li8ELi32ELi64ELi256ELi4ELi4ELi64ELi64ELi4ELc84ELc84ELb0ELb0ELb1EDF16_KDF16_DF16_EEviiiT16_PT17_ilS5_ilS3_S5_ilPT18_ili26rocblas_geam_ex_operation_,@function
_ZN12_GLOBAL__N_120geam_min_plus_kernelIDF16_Dv2_DF16_S1_Li8ELi32ELi64ELi256ELi4ELi4ELi64ELi64ELi4ELc84ELc84ELb0ELb0ELb1EDF16_KDF16_DF16_EEviiiT16_PT17_ilS5_ilS3_S5_ilPT18_ili26rocblas_geam_ex_operation_: ; @_ZN12_GLOBAL__N_120geam_min_plus_kernelIDF16_Dv2_DF16_S1_Li8ELi32ELi64ELi256ELi4ELi4ELi64ELi64ELi4ELc84ELc84ELb0ELb0ELb1EDF16_KDF16_DF16_EEviiiT16_PT17_ilS5_ilS3_S5_ilPT18_ili26rocblas_geam_ex_operation_
; %bb.0:
	s_clause 0x1
	s_load_dwordx2 s[14:15], s[4:5], 0x8
	s_load_dwordx4 s[8:11], s[4:5], 0x20
	s_waitcnt lgkmcnt(0)
	v_cmp_eq_f16_e64 s0, s15, 0
	s_and_b32 s1, exec_lo, s0
	s_mov_b32 vcc_lo, s1
	s_cbranch_vccnz .LBB278_11
; %bb.1:
	s_load_dwordx2 s[2:3], s[4:5], 0x10
	s_mul_i32 s9, s9, s7
	s_mul_hi_u32 s12, s8, s7
	s_mul_i32 s8, s8, s7
	s_add_i32 s9, s12, s9
	s_lshl_b64 s[8:9], s[8:9], 1
	s_waitcnt lgkmcnt(0)
	s_add_u32 s16, s2, s8
	s_addc_u32 s17, s3, s9
	s_andn2_b32 vcc_lo, exec_lo, s0
	s_mov_b32 s0, -1
	s_cbranch_vccnz .LBB278_3
.LBB278_2:
	s_mov_b32 s0, 0
.LBB278_3:
	s_mov_b64 s[12:13], 0
	s_andn2_b32 vcc_lo, exec_lo, s0
	s_mov_b64 s[18:19], 0
	s_cbranch_vccnz .LBB278_5
; %bb.4:
	s_load_dwordx2 s[2:3], s[4:5], 0x38
	s_waitcnt lgkmcnt(0)
	s_mul_i32 s0, s3, s7
	s_mul_hi_u32 s3, s2, s7
	s_mul_i32 s2, s2, s7
	s_add_i32 s3, s3, s0
	s_lshl_b64 s[2:3], s[2:3], 1
	s_add_u32 s18, s10, s2
	s_addc_u32 s19, s11, s3
.LBB278_5:
	s_clause 0x1
	s_load_dword s3, s[4:5], 0x40
	s_load_dwordx4 s[8:11], s[4:5], 0x58
	v_cmp_neq_f16_e64 s21, s15, 0
	s_waitcnt lgkmcnt(0)
	v_cmp_eq_f16_e64 s0, s3, 0
	s_and_b32 s0, exec_lo, s0
	s_mov_b32 vcc_lo, s0
	s_cbranch_vccnz .LBB278_7
; %bb.6:
	s_load_dwordx2 s[12:13], s[4:5], 0x48
	s_mul_i32 s2, s9, s7
	s_mul_hi_u32 s9, s8, s7
	s_mul_i32 s8, s8, s7
	s_add_i32 s9, s9, s2
	s_lshl_b64 s[8:9], s[8:9], 1
	s_waitcnt lgkmcnt(0)
	s_add_u32 s12, s12, s8
	s_addc_u32 s13, s13, s9
.LBB278_7:
	s_clause 0x1
	s_load_dword s2, s[4:5], 0x0
	s_load_dword s22, s[4:5], 0x18
	v_and_b32_e32 v3, 3, v0
	v_cndmask_b32_e64 v4, 0, 1, s21
	v_mov_b32_e32 v10, 0
	v_mov_b32_e32 v13, 0
	s_waitcnt lgkmcnt(0)
	s_add_i32 s2, s2, -1
	s_ashr_i32 s8, s2, 31
	s_lshr_b32 s8, s8, 26
	s_add_i32 s2, s2, s8
	s_ashr_i32 s2, s2, 6
	s_add_i32 s8, s2, 1
	s_not_b32 s2, s2
	v_cvt_f32_u32_e32 v2, s8
	v_rcp_iflag_f32_e32 v2, v2
	v_mul_f32_e32 v2, 0x4f7ffffe, v2
	v_cvt_u32_f32_e32 v2, v2
	v_readfirstlane_b32 s9, v2
	v_lshl_add_u32 v2, v1, 3, v0
	s_mul_i32 s2, s2, s9
	v_lshrrev_b32_e32 v8, 2, v2
	s_mul_hi_u32 s2, s9, s2
	s_add_i32 s9, s9, s2
	s_mul_hi_u32 s2, s6, s9
	s_mul_i32 s9, s2, s8
	s_add_i32 s20, s2, 1
	s_sub_i32 s9, s6, s9
	s_sub_i32 s23, s9, s8
	s_cmp_ge_u32 s9, s8
	s_cselect_b32 s2, s20, s2
	s_cselect_b32 s9, s23, s9
	s_add_i32 s20, s2, 1
	s_cmp_ge_u32 s9, s8
	s_cselect_b32 s9, s20, s2
	v_cmp_ne_u32_e64 s2, 1, v4
	s_mul_i32 s23, s9, s8
	v_lshlrev_b32_e32 v4, 1, v3
	s_sub_i32 s8, s6, s23
	s_andn2_b32 vcc_lo, exec_lo, s21
	s_lshl_b32 s20, s8, 6
	v_add_nc_u32_e32 v6, s20, v8
	s_cbranch_vccnz .LBB278_9
; %bb.8:
	v_mad_i64_i32 v[11:12], null, v6, s22, 0
	v_lshlrev_b64 v[11:12], 1, v[11:12]
	v_add_co_u32 v3, vcc_lo, s16, v11
	v_add_co_ci_u32_e64 v5, null, s17, v12, vcc_lo
	v_add_co_u32 v11, vcc_lo, v3, v4
	v_add_co_ci_u32_e64 v12, null, 0, v5, vcc_lo
	global_load_ushort v3, v[11:12], off
	s_waitcnt vmcnt(0)
	v_mul_f16_e32 v13, s15, v3
.LBB278_9:
	s_load_dword s8, s[4:5], 0x30
	v_lshrrev_b32_e32 v5, 6, v2
	v_and_b32_e32 v9, 63, v2
	s_lshl_b32 s21, s9, 8
	v_or_b32_e32 v2, s21, v9
	v_ashrrev_i32_e32 v3, 31, v2
	s_waitcnt lgkmcnt(0)
	v_mad_i64_i32 v[11:12], null, s8, v5, 0
	v_lshlrev_b64 v[11:12], 1, v[11:12]
	v_add_co_u32 v7, vcc_lo, s18, v11
	v_add_co_ci_u32_e64 v12, null, s19, v12, vcc_lo
	s_and_b32 vcc_lo, exec_lo, s2
	s_cbranch_vccnz .LBB278_12
; %bb.10:
	v_lshlrev_b64 v[10:11], 1, v[2:3]
	v_add_co_u32 v10, vcc_lo, v7, v10
	v_add_co_ci_u32_e64 v11, null, v12, v11, vcc_lo
	s_clause 0x1
	global_load_ushort v14, v[10:11], off
	global_load_ushort v10, v[10:11], off offset:128
	s_waitcnt vmcnt(1)
	v_mul_f16_e32 v11, s15, v14
	s_waitcnt vmcnt(0)
	v_mul_f16_e32 v10, s15, v10
	v_pack_b32_f16 v11, v11, 0
	s_branch .LBB278_13
.LBB278_11:
	s_mov_b64 s[16:17], 0
	s_andn2_b32 vcc_lo, exec_lo, s0
	s_mov_b32 s0, -1
	s_cbranch_vccz .LBB278_2
	s_branch .LBB278_3
.LBB278_12:
	v_mov_b32_e32 v11, 0
.LBB278_13:
	v_mov_b32_e32 v14, 0
	v_perm_b32 v38, v10, v11, 0x5040100
	s_ashr_i32 s9, s8, 31
	s_mov_b32 vcc_lo, s1
	s_cbranch_vccz .LBB278_15
; %bb.14:
	v_and_b32_e32 v39, 0xffff0000, v14
	v_mov_b32_e32 v11, 0
	v_mov_b32_e32 v10, 0
	s_cbranch_execz .LBB278_16
	s_branch .LBB278_17
.LBB278_15:
	v_mov_b32_e32 v11, 0
	v_mov_b32_e32 v10, 0
.LBB278_16:
	v_lshlrev_b64 v[15:16], 1, v[2:3]
	v_add_co_u32 v15, vcc_lo, v7, v15
	v_add_co_ci_u32_e64 v16, null, v12, v16, vcc_lo
	s_clause 0x1
	global_load_ushort v7, v[15:16], off offset:256
	global_load_ushort v10, v[15:16], off offset:384
	s_waitcnt vmcnt(1)
	v_mul_f16_e32 v7, s15, v7
	s_waitcnt vmcnt(0)
	v_mul_f16_e32 v10, s15, v10
	v_bfi_b32 v39, 0xffff, v7, v14
.LBB278_17:
	s_and_b32 vcc_lo, exec_lo, s2
	s_cbranch_vccnz .LBB278_19
; %bb.18:
	v_mad_i64_i32 v[6:7], null, v6, s22, 0
	v_lshlrev_b64 v[6:7], 1, v[6:7]
	v_add_co_u32 v6, vcc_lo, s16, v6
	v_add_co_ci_u32_e64 v7, null, s17, v7, vcc_lo
	v_add_co_u32 v6, vcc_lo, v6, v4
	v_add_co_ci_u32_e64 v7, null, 0, v7, vcc_lo
	global_load_ushort v6, v[6:7], off offset:8
	s_waitcnt vmcnt(0)
	v_mul_f16_e32 v11, s15, v6
.LBB278_19:
	v_add_nc_u32_e32 v6, 4, v5
	v_mad_i64_i32 v[6:7], null, s8, v6, 0
	v_lshlrev_b64 v[6:7], 1, v[6:7]
	v_add_co_u32 v14, vcc_lo, s18, v6
	v_add_co_ci_u32_e64 v15, null, s19, v7, vcc_lo
	s_and_b32 vcc_lo, exec_lo, s2
	s_cbranch_vccnz .LBB278_22
; %bb.20:
	v_lshlrev_b64 v[6:7], 1, v[2:3]
	v_add_co_u32 v6, vcc_lo, v14, v6
	v_add_co_ci_u32_e64 v7, null, v15, v7, vcc_lo
	s_clause 0x1
	global_load_ushort v12, v[6:7], off
	global_load_ushort v6, v[6:7], off offset:128
	s_waitcnt vmcnt(1)
	v_mul_f16_e32 v7, s15, v12
	s_waitcnt vmcnt(0)
	v_mul_f16_e32 v6, s15, v6
	v_pack_b32_f16 v7, v7, 0
	v_mov_b32_e32 v16, 0
	v_perm_b32 v6, v6, v7, 0x5040100
	s_mov_b32 vcc_lo, s1
	s_cbranch_vccz .LBB278_23
.LBB278_21:
	v_and_b32_e32 v7, 0xffff0000, v16
	v_mov_b32_e32 v12, 0
	s_cbranch_execz .LBB278_24
	s_branch .LBB278_25
.LBB278_22:
	v_mov_b32_e32 v7, 0
	v_mov_b32_e32 v6, 0
	;; [unrolled: 1-line block ×3, first 2 shown]
	v_perm_b32 v6, v6, v7, 0x5040100
	s_mov_b32 vcc_lo, s1
	s_cbranch_vccnz .LBB278_21
.LBB278_23:
	v_mov_b32_e32 v12, 0
.LBB278_24:
	v_lshlrev_b64 v[2:3], 1, v[2:3]
	v_add_co_u32 v2, vcc_lo, v14, v2
	v_add_co_ci_u32_e64 v3, null, v15, v3, vcc_lo
	s_clause 0x1
	global_load_ushort v7, v[2:3], off offset:256
	global_load_ushort v2, v[2:3], off offset:384
	s_waitcnt vmcnt(1)
	v_mul_f16_e32 v3, s15, v7
	s_waitcnt vmcnt(0)
	v_mul_f16_e32 v12, s15, v2
	v_bfi_b32 v7, 0xffff, v3, v16
.LBB278_25:
	v_lshlrev_b32_e32 v3, 3, v9
	v_lshlrev_b32_e32 v88, 3, v0
	v_lshl_or_b32 v2, v8, 3, v4
	v_lshlrev_b32_e32 v84, 3, v1
	s_cmp_lt_i32 s14, 9
	v_lshl_add_u32 v46, v5, 1, v3
	v_add_nc_u32_e32 v3, 0x1000, v88
	ds_write_b16 v2, v13 offset:4096
	ds_write_b16 v46, v38
	ds_write_b16_d16_hi v46, v38 offset:512
	ds_write_b16 v46, v39 offset:1024
	ds_write_b16 v46, v10 offset:1536
	s_waitcnt lgkmcnt(0)
	s_barrier
	buffer_gl0_inv
	ds_read2_b64 v[13:16], v3 offset1:8
	ds_read2_b64 v[17:20], v84 offset1:32
	ds_read2_b64 v[21:24], v3 offset0:16 offset1:24
	ds_read2_b64 v[25:28], v3 offset0:32 offset1:40
	;; [unrolled: 1-line block ×4, first 2 shown]
	s_waitcnt lgkmcnt(4)
	v_pk_add_f16 v3, v13, v17
	v_pk_add_f16 v37, v15, v17
	s_waitcnt lgkmcnt(3)
	v_pk_add_f16 v40, v21, v17
	v_pk_add_f16 v41, v23, v17
	;; [unrolled: 3-line block ×4, first 2 shown]
	v_pk_add_f16 v47, v13, v19
	v_pk_add_f16 v48, v15, v19
	;; [unrolled: 1-line block ×24, first 2 shown]
	s_waitcnt lgkmcnt(0)
	v_pk_add_f16 v71, v13, v33
	v_pk_add_f16 v72, v15, v33
	;; [unrolled: 1-line block ×13, first 2 shown]
	ds_read2_b64 v[17:20], v84 offset0:128 offset1:160
	v_pk_add_f16 v86, v27, v35
	v_pk_add_f16 v112, v29, v35
	;; [unrolled: 1-line block ×19, first 2 shown]
	ds_read2_b64 v[33:36], v84 offset0:192 offset1:224
	v_pk_min_f16 v3, 0x7c00, v3 op_sel_hi:[0,1]
	v_pk_min_f16 v37, 0x7c00, v37 op_sel_hi:[0,1]
	;; [unrolled: 1-line block ×3, first 2 shown]
	s_waitcnt lgkmcnt(1)
	v_pk_add_f16 v127, v13, v17
	v_pk_add_f16 v128, v15, v17
	v_pk_min_f16 v122, v3, v55
	v_pk_min_f16 v3, 0x7c00, v42 op_sel_hi:[0,1]
	v_pk_min_f16 v121, v37, v56
	v_pk_min_f16 v115, v40, v57
	v_pk_min_f16 v37, 0x7c00, v44 op_sel_hi:[0,1]
	v_pk_min_f16 v40, 0x7c00, v45 op_sel_hi:[0,1]
	v_pk_min_f16 v110, v3, v59
	v_pk_min_f16 v3, 0x7c00, v48 op_sel_hi:[0,1]
	v_pk_add_f16 v129, v21, v17
	v_pk_add_f16 v130, v23, v17
	;; [unrolled: 1-line block ×4, first 2 shown]
	v_pk_min_f16 v105, v3, v64
	v_pk_min_f16 v3, 0x7c00, v53 op_sel_hi:[0,1]
	v_pk_add_f16 v133, v29, v17
	v_pk_add_f16 v17, v31, v17
	;; [unrolled: 1-line block ×26, first 2 shown]
	s_waitcnt lgkmcnt(0)
	v_pk_add_f16 v155, v13, v33
	v_pk_add_f16 v156, v15, v33
	;; [unrolled: 1-line block ×32, first 2 shown]
	v_pk_min_f16 v36, 0x7c00, v43 op_sel_hi:[0,1]
	v_pk_min_f16 v108, v37, v61
	v_pk_min_f16 v107, v40, v62
	v_pk_min_f16 v37, 0x7c00, v50 op_sel_hi:[0,1]
	v_pk_min_f16 v40, 0x7c00, v51 op_sel_hi:[0,1]
	v_pk_min_f16 v100, v3, v69
	v_pk_min_f16 v3, 0x7c00, v74 op_sel_hi:[0,1]
	v_pk_min_f16 v41, 0x7c00, v41 op_sel_hi:[0,1]
	v_pk_min_f16 v109, v36, v60
	v_pk_min_f16 v36, 0x7c00, v49 op_sel_hi:[0,1]
	v_pk_min_f16 v103, v37, v66
	v_pk_min_f16 v102, v40, v67
	v_pk_min_f16 v37, 0x7c00, v71 op_sel_hi:[0,1]
	v_pk_min_f16 v40, 0x7c00, v72 op_sel_hi:[0,1]
	v_pk_min_f16 v95, v3, v90
	v_pk_min_f16 v3, 0x7c00, v79 op_sel_hi:[0,1]
	v_pk_min_f16 v111, v41, v58
	;; [unrolled: 2-line block ×4, first 2 shown]
	v_pk_min_f16 v97, v40, v87
	v_pk_min_f16 v37, 0x7c00, v76 op_sel_hi:[0,1]
	v_pk_min_f16 v40, 0x7c00, v77 op_sel_hi:[0,1]
	v_pk_min_f16 v90, v3, v117
	v_pk_min_f16 v3, 0x7c00, v86 op_sel_hi:[0,1]
	v_pk_min_f16 v106, v41, v63
	v_pk_min_f16 v41, 0x7c00, v52 op_sel_hi:[0,1]
	v_pk_min_f16 v99, v36, v70
	v_pk_min_f16 v36, 0x7c00, v75 op_sel_hi:[0,1]
	v_pk_min_f16 v93, v37, v92
	v_pk_min_f16 v92, v40, v114
	v_pk_min_f16 v40, 0x7c00, v82 op_sel_hi:[0,1]
	v_pk_min_f16 v82, v3, v124
	v_pk_min_f16 v3, 0x7c00, v129 op_sel_hi:[0,1]
	v_pk_min_f16 v101, v41, v68
	v_pk_min_f16 v41, 0x7c00, v73 op_sel_hi:[0,1]
	v_pk_min_f16 v94, v36, v91
	v_pk_min_f16 v36, 0x7c00, v80 op_sel_hi:[0,1]
	v_pk_min_f16 v77, v3, v143
	v_pk_min_f16 v3, 0x7c00, v17 op_sel_hi:[0,1]
	v_pk_min_f16 v96, v41, v89
	v_pk_min_f16 v41, 0x7c00, v78 op_sel_hi:[0,1]
	v_pk_min_f16 v37, 0x7c00, v81 op_sel_hi:[0,1]
	v_pk_min_f16 v89, v36, v118
	v_pk_min_f16 v36, 0x7c00, v112 op_sel_hi:[0,1]
	v_pk_min_f16 v17, 0x7c00, v134 op_sel_hi:[0,1]
	v_pk_min_f16 v72, v3, v18
	v_pk_min_f16 v3, 0x7c00, v138 op_sel_hi:[0,1]
	v_pk_min_f16 v91, v41, v116
	;; [unrolled: 2-line block ×3, first 2 shown]
	v_pk_min_f16 v85, v40, v120
	v_pk_min_f16 v37, 0x7c00, v113 op_sel_hi:[0,1]
	v_pk_min_f16 v40, 0x7c00, v127 op_sel_hi:[0,1]
	v_pk_min_f16 v81, v36, v125
	v_pk_min_f16 v36, 0x7c00, v130 op_sel_hi:[0,1]
	v_pk_min_f16 v71, v17, v148
	v_pk_min_f16 v17, 0x7c00, v139 op_sel_hi:[0,1]
	v_pk_min_f16 v18, 0x7c00, v140 op_sel_hi:[0,1]
	v_pk_min_f16 v67, v3, v152
	v_pk_min_f16 v3, 0x7c00, v156 op_sel_hi:[0,1]
	v_pk_min_f16 v83, v41, v123
	;; [unrolled: 2-line block ×3, first 2 shown]
	v_pk_min_f16 v79, v40, v141
	v_pk_min_f16 v37, 0x7c00, v131 op_sel_hi:[0,1]
	v_pk_min_f16 v40, 0x7c00, v132 op_sel_hi:[0,1]
	v_pk_min_f16 v76, v36, v144
	v_pk_min_f16 v36, 0x7c00, v135 op_sel_hi:[0,1]
	v_pk_min_f16 v19, 0x7c00, v19 op_sel_hi:[0,1]
	v_pk_min_f16 v66, v17, v153
	v_pk_min_f16 v65, v18, v154
	v_pk_min_f16 v17, 0x7c00, v159 op_sel_hi:[0,1]
	v_pk_min_f16 v18, 0x7c00, v160 op_sel_hi:[0,1]
	v_pk_min_f16 v62, v3, v158
	v_pk_min_f16 v3, 0x7c00, v167 op_sel_hi:[0,1]
	v_pk_min_f16 v13, 0x7c00, v13 op_sel_hi:[0,1]
	;; [unrolled: 1-line block ×3, first 2 shown]
	v_pk_min_f16 v78, v41, v142
	v_pk_min_f16 v41, 0x7c00, v133 op_sel_hi:[0,1]
	v_pk_min_f16 v75, v37, v145
	v_pk_min_f16 v74, v40, v146
	v_pk_min_f16 v37, 0x7c00, v136 op_sel_hi:[0,1]
	v_pk_min_f16 v40, 0x7c00, v137 op_sel_hi:[0,1]
	v_pk_min_f16 v70, v36, v149
	v_pk_min_f16 v36, 0x7c00, v155 op_sel_hi:[0,1]
	v_pk_min_f16 v64, v19, v20
	v_pk_min_f16 v19, 0x7c00, v163 op_sel_hi:[0,1]
	v_pk_min_f16 v20, 0x7c00, v164 op_sel_hi:[0,1]
	v_pk_min_f16 v61, v17, v161
	v_pk_min_f16 v60, v18, v162
	v_pk_min_f16 v17, 0x7c00, v33 op_sel_hi:[0,1]
	v_pk_min_f16 v18, 0x7c00, v21 op_sel_hi:[0,1]
	v_pk_min_f16 v57, v3, v35
	v_pk_min_f16 v55, v13, v14
	;; [unrolled: 1-line block ×3, first 2 shown]
	v_pk_min_f16 v3, 0x7c00, v23 op_sel_hi:[0,1]
	v_pk_min_f16 v13, 0x7c00, v25 op_sel_hi:[0,1]
	;; [unrolled: 1-line block ×5, first 2 shown]
	v_pk_min_f16 v73, v41, v147
	v_pk_min_f16 v69, v37, v150
	;; [unrolled: 1-line block ×13, first 2 shown]
	ds_write_b16 v2, v11 offset:4608
	ds_write_b16 v46, v6 offset:2048
	ds_write_b16_d16_hi v46, v6 offset:2560
	ds_write_b16 v46, v7 offset:3072
	ds_write_b16 v46, v12 offset:3584
	s_waitcnt lgkmcnt(0)
	s_barrier
	buffer_gl0_inv
	s_cbranch_scc1 .LBB278_48
; %bb.26:
	v_lshl_add_u32 v3, s6, 6, v8
	s_lshl_b32 s6, s23, 6
	v_add_nc_u32_e32 v47, 0x1000, v2
	v_add_nc_u32_e32 v112, 0x1200, v2
	v_perm_b32 v39, v10, v39, 0x5040100
	v_subrev_nc_u32_e32 v3, s6, v3
	v_add_nc_u32_e32 v10, 8, v5
	v_add_nc_u32_e32 v5, 12, v5
	v_perm_b32 v7, v12, v7, 0x5040100
	v_add_nc_u32_e32 v8, s21, v9
	v_mad_i64_i32 v[2:3], null, s22, v3, 0
	v_mad_i64_i32 v[10:11], null, v10, s8, 0
	v_ashrrev_i32_e32 v9, 31, v8
	v_or_b32_e32 v86, 0x1000, v88
	v_or_b32_e32 v113, 0x800, v46
	v_lshl_add_u32 v114, v0, 3, 0x1200
	v_lshlrev_b64 v[2:3], 1, v[2:3]
	v_lshlrev_b64 v[42:43], 1, v[8:9]
	v_lshl_or_b32 v116, v1, 3, 0x800
	s_add_i32 s6, s14, -8
	s_mov_b32 s14, 0
	v_add_co_u32 v4, vcc_lo, v2, v4
	v_add_co_ci_u32_e64 v12, null, 0, v3, vcc_lo
	v_mad_i64_i32 v[2:3], null, v5, s8, 0
	v_add_co_u32 v13, vcc_lo, s16, v4
	v_lshlrev_b64 v[4:5], 1, v[10:11]
	v_add_co_ci_u32_e64 v12, null, s17, v12, vcc_lo
	v_add_co_u32 v40, vcc_lo, v13, 16
	v_lshlrev_b64 v[2:3], 1, v[2:3]
	v_add_co_ci_u32_e64 v41, null, 0, v12, vcc_lo
	v_add_co_u32 v117, vcc_lo, s18, v4
	v_add_co_ci_u32_e64 v118, null, s19, v5, vcc_lo
	v_add_co_u32 v119, vcc_lo, s18, v2
	v_add_co_ci_u32_e64 v120, null, s19, v3, vcc_lo
	s_lshl_b64 s[8:9], s[8:9], 4
	v_mov_b32_e32 v8, 0
	s_and_b32 vcc_lo, exec_lo, s2
	s_cbranch_vccz .LBB278_28
	s_branch .LBB278_29
.LBB278_27:                             ;   in Loop: Header=BB278_29 Depth=1
	v_mov_b32_e32 v6, v44
	v_mov_b32_e32 v8, 0
	s_and_b32 vcc_lo, exec_lo, s2
	s_cbranch_vccnz .LBB278_29
.LBB278_28:
	global_load_ushort v2, v[40:41], off
	s_waitcnt vmcnt(0)
	v_mul_f16_e32 v8, s15, v2
.LBB278_29:                             ; =>This Inner Loop Header: Depth=1
	s_mov_b32 s16, -1
	s_mov_b32 vcc_lo, s1
                                        ; implicit-def: $vgpr2_vgpr3
	s_cbranch_vccz .LBB278_33
; %bb.30:                               ;   in Loop: Header=BB278_29 Depth=1
	v_and_b32_e32 v2, 0xffff0000, v38
	v_mov_b32_e32 v3, v39
	v_mov_b32_e32 v4, 0
	s_cbranch_execz .LBB278_34
.LBB278_31:                             ;   in Loop: Header=BB278_29 Depth=1
	v_perm_b32 v38, v4, v2, 0x5040100
	s_mov_b32 s16, -1
	s_mov_b32 vcc_lo, s1
	s_cbranch_vccz .LBB278_35
.LBB278_32:                             ;   in Loop: Header=BB278_29 Depth=1
	v_and_b32_e32 v39, 0xffff0000, v3
	v_mov_b32_e32 v123, 0
	v_mov_b32_e32 v126, 0
	s_cbranch_execz .LBB278_36
	s_branch .LBB278_37
.LBB278_33:                             ;   in Loop: Header=BB278_29 Depth=1
	v_mov_b32_e32 v4, 0
	s_andn2_b32 vcc_lo, exec_lo, s16
	s_cbranch_vccnz .LBB278_31
.LBB278_34:                             ;   in Loop: Header=BB278_29 Depth=1
	v_add_co_u32 v2, vcc_lo, v117, v42
	v_add_co_ci_u32_e64 v3, null, v118, v43, vcc_lo
	s_clause 0x1
	global_load_ushort v4, v[2:3], off
	global_load_ushort v2, v[2:3], off offset:128
	s_waitcnt vmcnt(1)
	v_mul_f16_e32 v3, s15, v4
	s_waitcnt vmcnt(0)
	v_mul_f16_e32 v4, s15, v2
	v_bfi_b32 v38, 0xffff, v3, v38
	v_mov_b32_e32 v2, v38
	v_mov_b32_e32 v3, v39
	v_perm_b32 v38, v4, v2, 0x5040100
	s_mov_b32 s16, -1
	s_mov_b32 vcc_lo, s1
	s_cbranch_vccnz .LBB278_32
.LBB278_35:                             ;   in Loop: Header=BB278_29 Depth=1
	v_mov_b32_e32 v123, 0
	v_mov_b32_e32 v126, 0
	s_andn2_b32 vcc_lo, exec_lo, s16
	s_cbranch_vccnz .LBB278_37
.LBB278_36:                             ;   in Loop: Header=BB278_29 Depth=1
	v_add_co_u32 v4, vcc_lo, v117, v42
	v_add_co_ci_u32_e64 v5, null, v118, v43, vcc_lo
	s_clause 0x1
	global_load_ushort v2, v[4:5], off offset:256
	global_load_ushort v4, v[4:5], off offset:384
	s_waitcnt vmcnt(1)
	v_mul_f16_e32 v2, s15, v2
	s_waitcnt vmcnt(0)
	v_mul_f16_e32 v126, s15, v4
	v_bfi_b32 v39, 0xffff, v2, v3
.LBB278_37:                             ;   in Loop: Header=BB278_29 Depth=1
	ds_read2_b64 v[17:20], v114 offset1:8
	ds_read2_b64 v[2:5], v114 offset0:16 offset1:24
	ds_read2_b64 v[9:12], v114 offset0:32 offset1:40
	ds_read2_b64 v[13:16], v114 offset0:48 offset1:56
	ds_read2_b64 v[34:37], v116 offset1:32
	ds_read2_b64 v[30:33], v116 offset0:64 offset1:96
	ds_read2_b64 v[26:29], v116 offset0:128 offset1:160
	;; [unrolled: 1-line block ×3, first 2 shown]
	s_and_b32 vcc_lo, exec_lo, s2
	ds_write_b16 v47, v8
	ds_write_b16 v46, v38
	ds_write_b16_d16_hi v46, v38 offset:512
	ds_write_b16 v46, v39 offset:1024
	ds_write_b16 v46, v126 offset:1536
	s_waitcnt lgkmcnt(0)
	s_barrier
	buffer_gl0_inv
	s_cbranch_vccnz .LBB278_39
; %bb.38:                               ;   in Loop: Header=BB278_29 Depth=1
	global_load_ushort v8, v[40:41], off offset:8
	s_waitcnt vmcnt(0)
	v_mul_f16_e32 v123, s15, v8
.LBB278_39:                             ;   in Loop: Header=BB278_29 Depth=1
	s_mov_b32 s16, -1
	s_mov_b32 vcc_lo, s1
                                        ; implicit-def: $vgpr44_vgpr45
	s_cbranch_vccz .LBB278_41
; %bb.40:                               ;   in Loop: Header=BB278_29 Depth=1
	v_and_b32_e32 v44, 0xffff0000, v6
	v_mov_b32_e32 v45, v7
	v_mov_b32_e32 v8, 0
	s_cbranch_execnz .LBB278_43
	s_branch .LBB278_42
.LBB278_41:                             ;   in Loop: Header=BB278_29 Depth=1
	v_mov_b32_e32 v8, 0
	s_andn2_b32 vcc_lo, exec_lo, s16
	s_cbranch_vccnz .LBB278_43
.LBB278_42:                             ;   in Loop: Header=BB278_29 Depth=1
	v_add_co_u32 v44, vcc_lo, v119, v42
	v_add_co_ci_u32_e64 v45, null, v120, v43, vcc_lo
	s_clause 0x1
	global_load_ushort v8, v[44:45], off
	global_load_ushort v21, v[44:45], off offset:128
	s_waitcnt vmcnt(1)
	v_mul_f16_e32 v8, s15, v8
	v_bfi_b32 v6, 0xffff, v8, v6
	v_mov_b32_e32 v45, v7
	s_waitcnt vmcnt(0)
	v_mul_f16_e32 v8, s15, v21
	v_mov_b32_e32 v44, v6
.LBB278_43:                             ;   in Loop: Header=BB278_29 Depth=1
	v_perm_b32 v44, v8, v44, 0x5040100
	s_mov_b32 s16, -1
	s_mov_b32 vcc_lo, s1
                                        ; implicit-def: $vgpr124
	s_cbranch_vccz .LBB278_45
; %bb.44:                               ;   in Loop: Header=BB278_29 Depth=1
	v_and_b32_e32 v124, 0xffff0000, v45
	v_mov_b32_e32 v125, 0
	s_cbranch_execz .LBB278_46
	s_branch .LBB278_47
.LBB278_45:                             ;   in Loop: Header=BB278_29 Depth=1
	v_mov_b32_e32 v125, 0
	s_andn2_b32 vcc_lo, exec_lo, s16
	s_cbranch_vccnz .LBB278_47
.LBB278_46:                             ;   in Loop: Header=BB278_29 Depth=1
	v_add_co_u32 v6, vcc_lo, v119, v42
	v_add_co_ci_u32_e64 v7, null, v120, v43, vcc_lo
	s_clause 0x1
	global_load_ushort v8, v[6:7], off offset:256
	global_load_ushort v6, v[6:7], off offset:384
	s_waitcnt vmcnt(1)
	v_mul_f16_e32 v7, s15, v8
	s_waitcnt vmcnt(0)
	v_mul_f16_e32 v125, s15, v6
	v_bfi_b32 v124, 0xffff, v7, v45
.LBB278_47:                             ;   in Loop: Header=BB278_29 Depth=1
	v_pk_add_f16 v6, v17, v34
	v_pk_max_f16 v7, v122, v122
	v_pk_add_f16 v8, v19, v34
	v_pk_max_f16 v21, v121, v121
	;; [unrolled: 2-line block ×3, first 2 shown]
	v_pk_min_f16 v6, v7, v6
	v_pk_max_f16 v7, v115, v115
	v_pk_add_f16 v115, v4, v34
	v_pk_add_f16 v121, v9, v34
	v_pk_max_f16 v110, v110, v110
	v_pk_add_f16 v122, v11, v34
	v_pk_min_f16 v8, v21, v8
	v_pk_min_f16 v7, v7, v45
	;; [unrolled: 1-line block ×4, first 2 shown]
	v_pk_add_f16 v110, v13, v34
	v_pk_max_f16 v108, v108, v108
	v_pk_add_f16 v34, v15, v34
	v_pk_max_f16 v107, v107, v107
	;; [unrolled: 2-line block ×4, first 2 shown]
	v_pk_add_f16 v121, v2, v36
	v_pk_min_f16 v108, v108, v110
	v_pk_min_f16 v34, v107, v34
	;; [unrolled: 1-line block ×4, first 2 shown]
	v_pk_add_f16 v107, v4, v36
	v_pk_max_f16 v103, v103, v103
	v_pk_add_f16 v110, v9, v36
	v_pk_add_f16 v111, v11, v36
	;; [unrolled: 1-line block ×4, first 2 shown]
	v_pk_max_f16 v99, v99, v99
	v_pk_max_f16 v102, v102, v102
	;; [unrolled: 1-line block ×4, first 2 shown]
	v_pk_min_f16 v103, v103, v107
	v_pk_min_f16 v36, v99, v36
	v_pk_add_f16 v99, v17, v30
	v_pk_max_f16 v98, v98, v98
	v_pk_add_f16 v107, v19, v30
	v_pk_max_f16 v97, v97, v97
	v_pk_min_f16 v102, v102, v110
	v_pk_min_f16 v101, v101, v111
	;; [unrolled: 1-line block ×3, first 2 shown]
	v_pk_add_f16 v110, v2, v30
	v_pk_max_f16 v96, v96, v96
	v_pk_add_f16 v111, v4, v30
	v_pk_max_f16 v95, v95, v95
	v_pk_add_f16 v115, v9, v30
	v_pk_min_f16 v98, v98, v99
	v_pk_min_f16 v97, v97, v107
	v_pk_add_f16 v99, v11, v30
	v_pk_max_f16 v93, v93, v93
	v_pk_add_f16 v107, v13, v30
	v_pk_add_f16 v30, v15, v30
	v_pk_max_f16 v91, v91, v91
	v_pk_min_f16 v96, v96, v110
	v_pk_min_f16 v95, v95, v111
	v_pk_max_f16 v92, v92, v92
	v_pk_add_f16 v110, v17, v32
	v_pk_max_f16 v90, v90, v90
	v_pk_add_f16 v111, v19, v32
	v_pk_max_f16 v89, v89, v89
	v_pk_min_f16 v93, v93, v99
	v_pk_min_f16 v30, v91, v30
	v_pk_add_f16 v91, v2, v32
	v_pk_max_f16 v87, v87, v87
	v_pk_add_f16 v99, v4, v32
	v_pk_max_f16 v85, v85, v85
	v_pk_min_f16 v92, v92, v107
	v_pk_min_f16 v90, v90, v110
	;; [unrolled: 1-line block ×3, first 2 shown]
	v_pk_add_f16 v107, v9, v32
	v_pk_max_f16 v83, v83, v83
	v_pk_add_f16 v110, v11, v32
	v_pk_max_f16 v82, v82, v82
	v_pk_add_f16 v111, v13, v32
	v_pk_min_f16 v87, v87, v91
	v_pk_min_f16 v85, v85, v99
	v_pk_add_f16 v32, v15, v32
	v_pk_max_f16 v80, v80, v80
	v_pk_add_f16 v91, v17, v26
	v_pk_max_f16 v79, v79, v79
	;; [unrolled: 2-line block ×3, first 2 shown]
	v_pk_min_f16 v83, v83, v107
	v_pk_min_f16 v82, v82, v110
	v_pk_add_f16 v107, v2, v26
	v_pk_max_f16 v77, v77, v77
	v_pk_add_f16 v110, v4, v26
	v_pk_min_f16 v32, v80, v32
	v_pk_min_f16 v79, v79, v91
	;; [unrolled: 1-line block ×3, first 2 shown]
	v_pk_add_f16 v80, v9, v26
	v_pk_max_f16 v75, v75, v75
	v_pk_add_f16 v91, v11, v26
	v_pk_max_f16 v74, v74, v74
	v_pk_add_f16 v99, v13, v26
	v_pk_add_f16 v26, v15, v26
	v_pk_max_f16 v72, v72, v72
	v_pk_min_f16 v77, v77, v107
	v_pk_max_f16 v73, v73, v73
	v_pk_add_f16 v107, v17, v28
	v_pk_max_f16 v71, v71, v71
	v_pk_min_f16 v75, v75, v80
	v_pk_min_f16 v74, v74, v91
	;; [unrolled: 1-line block ×3, first 2 shown]
	v_pk_add_f16 v72, v19, v28
	v_pk_max_f16 v70, v70, v70
	v_pk_add_f16 v80, v2, v28
	v_pk_max_f16 v69, v69, v69
	;; [unrolled: 2-line block ×3, first 2 shown]
	v_pk_min_f16 v73, v73, v99
	v_pk_min_f16 v71, v71, v107
	v_pk_add_f16 v99, v9, v28
	v_pk_add_f16 v107, v11, v28
	v_pk_min_f16 v70, v70, v72
	v_pk_min_f16 v69, v69, v80
	;; [unrolled: 1-line block ×3, first 2 shown]
	v_pk_add_f16 v72, v13, v28
	v_pk_max_f16 v65, v65, v65
	v_pk_add_f16 v28, v15, v28
	v_pk_max_f16 v64, v64, v64
	;; [unrolled: 2-line block ×4, first 2 shown]
	v_pk_max_f16 v67, v67, v67
	v_pk_min_f16 v65, v65, v72
	v_pk_min_f16 v28, v64, v28
	;; [unrolled: 1-line block ×4, first 2 shown]
	v_pk_add_f16 v64, v4, v22
	v_pk_max_f16 v60, v60, v60
	v_pk_add_f16 v72, v9, v22
	v_pk_max_f16 v59, v59, v59
	;; [unrolled: 2-line block ×6, first 2 shown]
	v_pk_max_f16 v66, v66, v66
	v_pk_min_f16 v67, v67, v99
	v_pk_add_f16 v99, v2, v22
	v_pk_max_f16 v61, v61, v61
	v_pk_add_f16 v22, v15, v22
	v_pk_min_f16 v60, v60, v64
	v_pk_min_f16 v59, v59, v72
	;; [unrolled: 1-line block ×4, first 2 shown]
	v_pk_add_f16 v17, v17, v24
	v_pk_add_f16 v19, v19, v24
	v_pk_add_f16 v2, v2, v24
	v_pk_min_f16 v80, v52, v4
	v_pk_min_f16 v91, v51, v9
	v_pk_add_f16 v4, v11, v24
	v_pk_max_f16 v9, v50, v50
	v_pk_add_f16 v11, v13, v24
	v_pk_add_f16 v15, v15, v24
	v_pk_max_f16 v24, v48, v48
	v_pk_add_f16 v48, v18, v35
	v_pk_max_f16 v81, v81, v81
	v_pk_max_f16 v76, v76, v76
	v_pk_min_f16 v66, v66, v107
	v_pk_min_f16 v61, v61, v99
	;; [unrolled: 1-line block ×3, first 2 shown]
	v_pk_add_f16 v4, v20, v35
	v_pk_min_f16 v107, v6, v48
	v_pk_add_f16 v6, v3, v35
	v_pk_max_f16 v94, v94, v94
	v_pk_min_f16 v81, v81, v111
	v_pk_min_f16 v76, v76, v110
	;; [unrolled: 1-line block ×3, first 2 shown]
	v_pk_add_f16 v4, v5, v35
	v_pk_min_f16 v111, v7, v6
	v_pk_add_f16 v6, v14, v35
	v_pk_min_f16 v94, v94, v115
	v_pk_max_f16 v104, v104, v104
	v_pk_min_f16 v115, v21, v4
	v_pk_add_f16 v4, v16, v35
	v_pk_min_f16 v108, v108, v6
	v_pk_add_f16 v6, v18, v37
	v_pk_add_f16 v8, v10, v35
	v_pk_min_f16 v104, v104, v121
	v_pk_min_f16 v131, v34, v4
	v_pk_add_f16 v4, v5, v37
	v_pk_min_f16 v106, v106, v6
	v_pk_add_f16 v6, v10, v37
	;; [unrolled: 2-line block ×5, first 2 shown]
	v_pk_add_f16 v7, v20, v37
	v_pk_min_f16 v104, v104, v8
	v_pk_min_f16 v101, v101, v4
	v_pk_add_f16 v4, v20, v31
	v_pk_min_f16 v98, v98, v6
	v_pk_add_f16 v6, v3, v31
	v_pk_add_f16 v8, v16, v37
	v_pk_min_f16 v105, v105, v7
	v_pk_min_f16 v97, v97, v4
	v_pk_add_f16 v4, v12, v31
	v_pk_min_f16 v96, v96, v6
	v_pk_add_f16 v6, v14, v31
	;; [unrolled: 6-line block ×4, first 2 shown]
	v_pk_add_f16 v7, v5, v31
	v_pk_min_f16 v94, v94, v8
	v_pk_add_f16 v8, v20, v33
	v_pk_min_f16 v85, v85, v4
	;; [unrolled: 2-line block ×3, first 2 shown]
	v_pk_add_f16 v6, v18, v27
	v_pk_max_f16 v56, v56, v56
	v_pk_min_f16 v95, v95, v7
	v_pk_add_f16 v7, v18, v33
	v_pk_min_f16 v89, v89, v8
	v_pk_add_f16 v8, v14, v33
	;; [unrolled: 2-line block ×4, first 2 shown]
	v_pk_min_f16 v22, v56, v22
	v_pk_min_f16 v90, v90, v7
	v_pk_add_f16 v7, v12, v33
	v_pk_min_f16 v81, v81, v8
	v_pk_add_f16 v8, v5, v27
	;; [unrolled: 2-line block ×4, first 2 shown]
	v_pk_max_f16 v54, v54, v54
	v_pk_max_f16 v53, v53, v53
	v_pk_min_f16 v82, v82, v7
	v_pk_add_f16 v7, v3, v27
	v_pk_min_f16 v76, v76, v8
	v_pk_add_f16 v8, v18, v29
	;; [unrolled: 2-line block ×4, first 2 shown]
	v_pk_max_f16 v55, v55, v55
	v_pk_min_f16 v19, v54, v19
	v_pk_min_f16 v2, v53, v2
	;; [unrolled: 1-line block ×3, first 2 shown]
	v_pk_add_f16 v7, v16, v27
	v_pk_min_f16 v53, v71, v8
	v_pk_min_f16 v52, v70, v4
	v_pk_add_f16 v4, v5, v29
	v_pk_add_f16 v8, v12, v29
	v_pk_min_f16 v54, v69, v6
	v_pk_add_f16 v6, v14, v29
	v_pk_min_f16 v17, v55, v17
	v_pk_max_f16 v13, v49, v49
	v_pk_min_f16 v55, v26, v7
	v_pk_add_f16 v7, v10, v29
	v_pk_min_f16 v51, v68, v4
	v_pk_min_f16 v49, v66, v8
	v_pk_add_f16 v4, v16, v29
	v_pk_min_f16 v48, v65, v6
	v_pk_add_f16 v6, v18, v23
	v_pk_add_f16 v8, v3, v23
	;; [unrolled: 1-line block ×3, first 2 shown]
	v_pk_min_f16 v50, v67, v7
	v_pk_add_f16 v7, v20, v23
	v_pk_min_f16 v45, v28, v4
	v_pk_add_f16 v4, v5, v23
	v_pk_min_f16 v37, v63, v6
	v_pk_min_f16 v35, v61, v8
	v_pk_add_f16 v6, v10, v23
	v_pk_add_f16 v8, v16, v23
	v_pk_min_f16 v11, v13, v11
	v_pk_min_f16 v13, v24, v15
	;; [unrolled: 1-line block ×4, first 2 shown]
	v_pk_add_f16 v4, v12, v23
	v_pk_add_f16 v7, v14, v23
	v_pk_min_f16 v31, v59, v6
	v_pk_min_f16 v26, v22, v8
	ds_read2_b64 v[21:24], v86 offset1:8
	ds_read2_b64 v[59:62], v84 offset1:32
	v_pk_min_f16 v29, v64, v4
	v_pk_add_f16 v4, v20, v25
	v_pk_add_f16 v3, v3, v25
	v_pk_add_f16 v28, v5, v25
	v_pk_add_f16 v6, v18, v25
	v_pk_max_f16 v109, v109, v109
	v_pk_min_f16 v34, v19, v4
	v_pk_min_f16 v33, v2, v3
	ds_read2_b64 v[2:5], v86 offset0:48 offset1:56
	v_pk_min_f16 v15, v17, v6
	ds_read2_b64 v[17:20], v86 offset0:16 offset1:24
	v_pk_max_f16 v107, v107, v107
	v_pk_max_f16 v110, v110, v110
	v_pk_min_f16 v109, v109, v122
	v_pk_min_f16 v27, v72, v7
	v_pk_add_f16 v12, v12, v25
	v_pk_add_f16 v14, v14, v25
	;; [unrolled: 1-line block ×3, first 2 shown]
	v_pk_min_f16 v109, v109, v9
	s_waitcnt lgkmcnt(2)
	v_pk_add_f16 v67, v21, v59
	v_pk_add_f16 v68, v23, v59
	v_pk_add_f16 v121, v22, v60
	ds_read2_b64 v[6:9], v86 offset0:32 offset1:40
	v_pk_add_f16 v74, v21, v61
	v_pk_min_f16 v67, v107, v67
	v_pk_add_f16 v107, v24, v60
	v_pk_min_f16 v68, v110, v68
	v_pk_max_f16 v110, v115, v115
	s_waitcnt lgkmcnt(2)
	v_pk_add_f16 v73, v2, v59
	v_pk_min_f16 v122, v67, v121
	v_pk_add_f16 v148, v3, v60
	v_pk_min_f16 v121, v68, v107
	v_pk_max_f16 v107, v108, v108
	s_waitcnt lgkmcnt(1)
	v_pk_add_f16 v70, v19, v59
	v_pk_add_f16 v145, v20, v60
	;; [unrolled: 1-line block ×3, first 2 shown]
	v_pk_min_f16 v32, v80, v28
	v_pk_min_f16 v73, v107, v73
	;; [unrolled: 1-line block ×3, first 2 shown]
	v_pk_add_f16 v80, v17, v61
	v_pk_max_f16 v67, v111, v111
	v_pk_add_f16 v10, v10, v25
	v_pk_min_f16 v108, v73, v148
	v_pk_max_f16 v73, v106, v106
	s_waitcnt lgkmcnt(0)
	v_pk_add_f16 v72, v8, v59
	v_pk_min_f16 v111, v70, v145
	v_pk_max_f16 v70, v109, v109
	v_pk_min_f16 v25, v99, v12
	v_pk_min_f16 v73, v73, v74
	;; [unrolled: 1-line block ×4, first 2 shown]
	ds_read2_b64 v[63:66], v84 offset0:64 offset1:96
	v_pk_add_f16 v99, v6, v61
	v_pk_min_f16 v106, v73, v149
	v_pk_max_f16 v73, v104, v104
	v_pk_add_f16 v147, v9, v60
	v_pk_add_f16 v151, v18, v62
	v_pk_min_f16 v70, v70, v72
	v_pk_max_f16 v74, v102, v102
	v_pk_min_f16 v73, v73, v80
	v_pk_add_f16 v69, v17, v59
	v_pk_add_f16 v71, v6, v59
	;; [unrolled: 1-line block ×4, first 2 shown]
	v_pk_min_f16 v109, v70, v147
	v_pk_max_f16 v70, v131, v131
	v_pk_min_f16 v104, v73, v151
	v_pk_min_f16 v73, v74, v99
	v_pk_add_f16 v75, v23, v61
	v_pk_add_f16 v136, v2, v61
	v_pk_add_f16 v144, v18, v60
	v_pk_add_f16 v146, v7, v60
	v_pk_add_f16 v60, v5, v60
	v_pk_min_f16 v59, v70, v59
	v_pk_max_f16 v105, v105, v105
	v_pk_min_f16 v102, v73, v153
	v_pk_max_f16 v73, v100, v100
	v_pk_min_f16 v28, v91, v10
	v_pk_add_f16 v91, v19, v61
	v_pk_add_f16 v135, v8, v61
	;; [unrolled: 1-line block ×5, first 2 shown]
	v_pk_min_f16 v107, v59, v60
	v_pk_min_f16 v60, v105, v75
	v_pk_max_f16 v74, v132, v132
	v_pk_min_f16 v73, v73, v136
	v_perm_b32 v39, v126, v39, 0x5040100
	ds_read2_b64 v[126:129], v84 offset0:128 offset1:160
	ds_read2_b64 v[10:13], v84 offset0:192 offset1:224
	s_waitcnt lgkmcnt(2)
	v_pk_add_f16 v137, v21, v63
	v_pk_add_f16 v152, v20, v62
	;; [unrolled: 1-line block ×4, first 2 shown]
	v_pk_min_f16 v105, v60, v150
	v_pk_max_f16 v60, v103, v103
	v_pk_min_f16 v61, v74, v61
	v_pk_min_f16 v100, v73, v155
	v_pk_max_f16 v73, v98, v98
	v_pk_add_f16 v138, v23, v63
	v_pk_add_f16 v139, v17, v63
	v_pk_min_f16 v67, v67, v69
	v_pk_min_f16 v60, v60, v91
	;; [unrolled: 1-line block ×3, first 2 shown]
	v_pk_max_f16 v61, v97, v97
	v_pk_max_f16 v62, v96, v96
	v_pk_min_f16 v73, v73, v137
	v_pk_add_f16 v74, v22, v64
	v_pk_add_f16 v140, v19, v63
	v_pk_min_f16 v115, v67, v144
	v_pk_max_f16 v67, v130, v130
	v_pk_min_f16 v103, v60, v152
	v_pk_max_f16 v60, v101, v101
	v_pk_min_f16 v61, v61, v138
	v_pk_add_f16 v75, v24, v64
	v_pk_min_f16 v62, v62, v139
	v_pk_add_f16 v80, v18, v64
	v_pk_min_f16 v98, v73, v74
	v_pk_max_f16 v73, v95, v95
	v_pk_add_f16 v141, v6, v63
	v_pk_add_f16 v142, v8, v63
	v_pk_min_f16 v67, v67, v71
	v_pk_min_f16 v60, v60, v135
	;; [unrolled: 1-line block ×4, first 2 shown]
	v_pk_max_f16 v61, v94, v94
	v_pk_min_f16 v62, v73, v140
	v_pk_max_f16 v73, v93, v93
	v_pk_add_f16 v143, v2, v63
	v_pk_add_f16 v63, v4, v63
	;; [unrolled: 1-line block ×10, first 2 shown]
	s_waitcnt lgkmcnt(1)
	v_pk_add_f16 v130, v21, v126
	v_pk_add_f16 v71, v23, v126
	;; [unrolled: 1-line block ×3, first 2 shown]
	v_pk_min_f16 v110, v67, v146
	v_pk_add_f16 v67, v19, v126
	v_pk_add_f16 v144, v6, v126
	;; [unrolled: 1-line block ×13, first 2 shown]
	s_waitcnt lgkmcnt(0)
	v_pk_add_f16 v151, v21, v10
	v_pk_add_f16 v152, v23, v10
	;; [unrolled: 1-line block ×5, first 2 shown]
	v_pk_min_f16 v101, v60, v154
	v_pk_add_f16 v60, v8, v10
	v_pk_add_f16 v136, v2, v10
	;; [unrolled: 1-line block ×8, first 2 shown]
	v_pk_min_f16 v61, v61, v141
	v_pk_min_f16 v73, v73, v142
	v_pk_add_f16 v80, v7, v64
	v_pk_add_f16 v91, v9, v64
	;; [unrolled: 1-line block ×5, first 2 shown]
	v_pk_max_f16 v12, v90, v90
	v_pk_min_f16 v94, v61, v80
	v_pk_max_f16 v61, v133, v133
	v_pk_min_f16 v93, v73, v91
	v_pk_add_f16 v73, v22, v66
	v_pk_min_f16 v12, v12, v156
	v_pk_max_f16 v74, v92, v92
	v_pk_min_f16 v61, v61, v63
	v_pk_add_f16 v63, v5, v64
	v_pk_add_f16 v75, v20, v64
	v_pk_min_f16 v90, v12, v73
	v_pk_max_f16 v12, v85, v85
	v_pk_min_f16 v74, v74, v143
	v_pk_min_f16 v91, v61, v63
	v_pk_add_f16 v61, v20, v66
	v_pk_min_f16 v95, v62, v75
	v_pk_min_f16 v12, v12, v159
	v_pk_add_f16 v62, v3, v64
	v_pk_max_f16 v64, v87, v87
	v_pk_add_f16 v75, v18, v66
	v_pk_max_f16 v63, v82, v82
	v_pk_min_f16 v85, v12, v61
	v_pk_max_f16 v12, v134, v134
	v_pk_add_f16 v61, v5, v66
	v_pk_min_f16 v92, v74, v62
	v_pk_max_f16 v62, v89, v89
	v_pk_add_f16 v74, v24, v66
	v_pk_min_f16 v12, v12, v65
	v_pk_min_f16 v64, v64, v158
	v_pk_max_f16 v73, v81, v81
	v_pk_min_f16 v62, v62, v157
	v_pk_max_f16 v65, v77, v77
	;; [unrolled: 2-line block ×3, first 2 shown]
	v_pk_add_f16 v61, v20, v127
	v_pk_min_f16 v89, v62, v74
	v_pk_max_f16 v62, v83, v83
	v_pk_min_f16 v87, v64, v75
	v_pk_min_f16 v12, v12, v67
	v_pk_add_f16 v64, v7, v66
	v_pk_min_f16 v63, v63, v68
	v_pk_min_f16 v62, v62, v69
	v_pk_add_f16 v69, v9, v66
	v_pk_min_f16 v76, v12, v61
	v_pk_max_f16 v12, v55, v55
	v_pk_add_f16 v55, v5, v127
	v_pk_add_f16 v68, v3, v66
	v_pk_min_f16 v73, v73, v160
	v_pk_min_f16 v65, v65, v72
	;; [unrolled: 1-line block ×6, first 2 shown]
	v_pk_max_f16 v62, v79, v79
	v_pk_min_f16 v72, v12, v55
	v_pk_max_f16 v12, v51, v51
	v_pk_max_f16 v63, v78, v78
	v_pk_add_f16 v68, v18, v127
	v_pk_add_f16 v51, v20, v129
	;; [unrolled: 1-line block ×3, first 2 shown]
	v_pk_min_f16 v12, v12, v147
	v_pk_min_f16 v62, v62, v130
	v_pk_add_f16 v66, v24, v127
	v_pk_min_f16 v63, v63, v71
	v_pk_min_f16 v77, v65, v68
	v_pk_max_f16 v56, v56, v56
	v_pk_max_f16 v58, v58, v58
	;; [unrolled: 1-line block ×3, first 2 shown]
	v_pk_min_f16 v68, v12, v51
	v_pk_max_f16 v12, v45, v45
	v_pk_min_f16 v79, v62, v64
	v_pk_min_f16 v78, v63, v66
	v_pk_add_f16 v62, v7, v127
	v_pk_min_f16 v56, v56, v144
	v_pk_add_f16 v63, v9, v127
	v_pk_min_f16 v58, v58, v131
	v_pk_add_f16 v64, v3, v127
	v_pk_min_f16 v57, v57, v145
	v_pk_max_f16 v53, v53, v53
	v_pk_max_f16 v52, v52, v52
	;; [unrolled: 1-line block ×3, first 2 shown]
	v_pk_add_f16 v45, v5, v129
	v_pk_min_f16 v12, v12, v128
	v_pk_min_f16 v75, v56, v62
	;; [unrolled: 1-line block ×4, first 2 shown]
	v_pk_add_f16 v56, v22, v129
	v_pk_min_f16 v53, v53, v126
	v_pk_add_f16 v57, v24, v129
	v_pk_min_f16 v52, v52, v59
	;; [unrolled: 2-line block ×3, first 2 shown]
	v_pk_max_f16 v50, v50, v50
	v_pk_max_f16 v49, v49, v49
	;; [unrolled: 1-line block ×3, first 2 shown]
	v_pk_min_f16 v64, v12, v45
	v_pk_max_f16 v12, v30, v30
	v_pk_min_f16 v71, v53, v56
	v_pk_min_f16 v70, v52, v57
	;; [unrolled: 1-line block ×3, first 2 shown]
	v_pk_add_f16 v52, v7, v129
	v_pk_min_f16 v50, v50, v148
	v_pk_add_f16 v53, v9, v129
	v_pk_min_f16 v49, v49, v149
	;; [unrolled: 2-line block ×3, first 2 shown]
	v_pk_max_f16 v37, v37, v37
	v_pk_max_f16 v36, v36, v36
	;; [unrolled: 1-line block ×3, first 2 shown]
	v_pk_add_f16 v30, v20, v11
	v_pk_min_f16 v12, v12, v135
	v_pk_max_f16 v29, v29, v29
	v_pk_min_f16 v67, v50, v52
	v_pk_min_f16 v66, v49, v53
	;; [unrolled: 1-line block ×3, first 2 shown]
	v_pk_add_f16 v48, v22, v11
	v_pk_min_f16 v37, v37, v151
	v_pk_add_f16 v49, v24, v11
	v_pk_min_f16 v36, v36, v152
	v_pk_add_f16 v50, v18, v11
	v_pk_min_f16 v35, v35, v153
	v_pk_min_f16 v29, v29, v60
	v_pk_min_f16 v60, v12, v30
	v_pk_max_f16 v12, v26, v26
	v_pk_min_f16 v63, v37, v48
	v_pk_min_f16 v62, v36, v49
	v_pk_min_f16 v61, v35, v50
	v_pk_add_f16 v35, v7, v11
	v_pk_add_f16 v36, v9, v11
	v_pk_add_f16 v37, v3, v11
	v_pk_add_f16 v11, v5, v11
	v_pk_max_f16 v15, v15, v15
	v_pk_min_f16 v10, v12, v10
	v_pk_max_f16 v12, v34, v34
	v_pk_add_f16 v22, v22, v13
	v_pk_max_f16 v31, v31, v31
	v_pk_min_f16 v15, v15, v21
	v_pk_min_f16 v56, v10, v11
	v_pk_max_f16 v11, v28, v28
	v_pk_max_f16 v27, v27, v27
	;; [unrolled: 1-line block ×3, first 2 shown]
	v_pk_add_f16 v21, v24, v13
	v_pk_min_f16 v12, v12, v23
	v_pk_min_f16 v55, v15, v22
	v_pk_max_f16 v10, v32, v32
	v_pk_max_f16 v15, v25, v25
	v_pk_min_f16 v6, v11, v6
	v_pk_max_f16 v11, v16, v16
	v_pk_max_f16 v14, v14, v14
	v_add_co_u32 v40, vcc_lo, v40, 16
	v_pk_min_f16 v31, v31, v132
	v_pk_min_f16 v27, v27, v136
	v_pk_add_f16 v18, v18, v13
	v_pk_min_f16 v17, v26, v17
	v_pk_min_f16 v54, v12, v21
	v_pk_add_f16 v12, v20, v13
	v_pk_min_f16 v10, v10, v19
	v_pk_add_f16 v7, v7, v13
	v_pk_add_f16 v9, v9, v13
	v_pk_min_f16 v8, v15, v8
	v_pk_add_f16 v3, v3, v13
	v_pk_min_f16 v2, v11, v2
	;; [unrolled: 2-line block ×3, first 2 shown]
	v_add_co_ci_u32_e64 v41, null, 0, v41, vcc_lo
	v_add_co_u32 v117, vcc_lo, v117, s8
	v_add_co_ci_u32_e64 v118, null, s9, v118, vcc_lo
	v_add_co_u32 v119, vcc_lo, v119, s8
	v_pk_min_f16 v59, v31, v35
	v_pk_min_f16 v58, v29, v36
	;; [unrolled: 1-line block ×9, first 2 shown]
	v_perm_b32 v7, v125, v124, 0x5040100
	v_add_co_ci_u32_e64 v120, null, s9, v120, vcc_lo
	s_add_i32 s14, s14, 8
	ds_write_b16 v112, v123
	ds_write_b16 v113, v44
	ds_write_b16_d16_hi v113, v44 offset:512
	ds_write_b16 v113, v124 offset:1024
	ds_write_b16 v113, v125 offset:1536
	s_cmp_ge_i32 s14, s6
	s_waitcnt lgkmcnt(0)
	s_barrier
	buffer_gl0_inv
	s_cbranch_scc0 .LBB278_27
.LBB278_48:
	s_load_dword s2, s[4:5], 0x50
	v_add_nc_u32_e32 v86, s21, v1
	ds_read_b64 v[30:31], v88 offset:4608
	ds_read_b64 v[46:47], v84 offset:2048
	v_add_nc_u32_e32 v44, s20, v0
	v_cmp_neq_f16_e64 s8, s3, 0
	v_mov_b32_e32 v34, 0
	v_mov_b32_e32 v32, 0
	v_ashrrev_i32_e32 v45, 31, v44
	s_and_b32 vcc_lo, exec_lo, s8
	v_lshlrev_b64 v[28:29], 1, v[44:45]
	s_waitcnt lgkmcnt(0)
	v_mad_i64_i32 v[1:2], null, v86, s2, 0
	v_lshlrev_b64 v[0:1], 1, v[1:2]
	v_add_co_u32 v112, s1, s12, v0
	v_add_co_ci_u32_e64 v113, null, s13, v1, s1
	s_cbranch_vccz .LBB278_50
; %bb.49:
	v_add_co_u32 v0, vcc_lo, v112, v28
	v_add_co_ci_u32_e64 v1, null, v113, v29, vcc_lo
	global_load_ushort v0, v[0:1], off
	s_waitcnt vmcnt(0)
	v_mul_f16_e32 v0, s3, v0
	v_cvt_f32_f16_e32 v32, v0
.LBB278_50:
	s_clause 0x1
	s_load_dwordx2 s[14:15], s[4:5], 0x70
	s_load_dword s4, s[4:5], 0x68
	v_pk_add_f16 v13, v30, v46
	v_pk_add_f16 v26, v31, v47
	v_max_f16_e32 v14, v122, v122
	v_lshrrev_b32_e32 v15, 16, v122
	v_add_nc_u32_e32 v0, 0x1000, v88
	v_lshrrev_b32_e32 v27, 16, v13
	v_lshrrev_b32_e32 v33, 16, v26
	v_min_f16_e32 v37, v14, v13
	v_add_nc_u32_e32 v12, 0x800, v84
	ds_read_b64 v[24:25], v88 offset:5056
	ds_read2_b64 v[8:11], v0 offset0:72 offset1:80
	ds_read2_b64 v[4:7], v0 offset0:88 offset1:96
	v_min3_f16 v27, v15, v27, v33
	ds_read2_b64 v[0:3], v0 offset0:104 offset1:112
	ds_read2_b64 v[20:23], v12 offset0:32 offset1:64
	;; [unrolled: 1-line block ×4, first 2 shown]
	v_max_f32_e32 v40, v32, v32
	v_min3_f16 v33, v37, v26, v27
	ds_read_b64 v[26:27], v84 offset:3840
	s_waitcnt lgkmcnt(0)
	s_mul_i32 s1, s15, s7
	v_mad_i64_i32 v[35:36], null, v86, s4, 0
	s_mul_hi_u32 s5, s14, s7
	s_mul_i32 s14, s14, s7
	s_add_i32 s15, s5, s1
	v_cvt_f32_f16_e32 v39, v33
	s_lshl_b64 s[6:7], s[14:15], 1
	v_add_nc_u32_e32 v37, 8, v44
	v_lshlrev_b64 v[32:33], 1, v[35:36]
	s_add_u32 s5, s10, s6
	s_addc_u32 s6, s11, s7
	v_min_f32_e32 v35, v40, v39
	v_ashrrev_i32_e32 v38, 31, v37
	v_cndmask_b32_e64 v36, 0, 1, s8
	v_add_co_u32 v84, vcc_lo, s5, v32
	v_add_co_ci_u32_e64 v88, null, s6, v33, vcc_lo
	v_cvt_f16_f32_e32 v39, v35
	v_add_co_u32 v35, vcc_lo, v84, v28
	v_lshlrev_b64 v[32:33], 1, v[37:38]
	v_cmp_ne_u32_e64 s1, 1, v36
	v_add_co_ci_u32_e64 v36, null, v88, v29, vcc_lo
	s_andn2_b32 vcc_lo, exec_lo, s8
	global_store_short v[35:36], v39, off
	s_cbranch_vccnz .LBB278_52
; %bb.51:
	v_add_co_u32 v34, vcc_lo, v112, v32
	v_add_co_ci_u32_e64 v35, null, v113, v33, vcc_lo
	global_load_ushort v34, v[34:35], off
	s_waitcnt vmcnt(0)
	v_mul_f16_e32 v34, s3, v34
	v_cvt_f32_f16_e32 v34, v34
.LBB278_52:
	v_pk_add_f16 v35, v8, v46
	v_pk_add_f16 v36, v9, v47
	v_max_f16_e32 v37, v121, v121
	v_lshrrev_b32_e32 v38, 16, v121
	v_max_f32_e32 v34, v34, v34
	v_lshrrev_b32_e32 v39, 16, v35
	v_lshrrev_b32_e32 v40, 16, v36
	v_min_f16_e32 v35, v37, v35
	v_min3_f16 v37, v38, v39, v40
	v_add_co_u32 v39, vcc_lo, v84, v32
	v_add_co_ci_u32_e64 v40, null, v88, v33, vcc_lo
	v_min3_f16 v36, v35, v36, v37
	v_add_nc_u32_e32 v35, 16, v44
	v_mov_b32_e32 v38, 0
	s_and_b32 vcc_lo, exec_lo, s1
	v_cvt_f32_f16_e32 v37, v36
	v_ashrrev_i32_e32 v36, 31, v35
	v_min_f32_e32 v34, v34, v37
	v_cvt_f16_f32_e32 v37, v34
	v_lshlrev_b64 v[34:35], 1, v[35:36]
	v_mov_b32_e32 v36, 0
	global_store_short v[39:40], v37, off
	s_cbranch_vccnz .LBB278_54
; %bb.53:
	v_add_co_u32 v36, vcc_lo, v112, v34
	v_add_co_ci_u32_e64 v37, null, v113, v35, vcc_lo
	global_load_ushort v36, v[36:37], off
	s_waitcnt vmcnt(0)
	v_mul_f16_e32 v36, s3, v36
	v_cvt_f32_f16_e32 v36, v36
.LBB278_54:
	v_pk_add_f16 v37, v10, v46
	v_pk_add_f16 v39, v11, v47
	v_max_f16_e32 v40, v115, v115
	v_lshrrev_b32_e32 v41, 16, v115
	v_max_f32_e32 v36, v36, v36
	v_lshrrev_b32_e32 v42, 16, v37
	v_lshrrev_b32_e32 v43, 16, v39
	v_min_f16_e32 v37, v40, v37
	v_min3_f16 v40, v41, v42, v43
	v_add_co_u32 v41, vcc_lo, v84, v34
	v_add_co_ci_u32_e64 v42, null, v88, v35, vcc_lo
	v_min3_f16 v37, v37, v39, v40
	v_add_nc_u32_e32 v39, 24, v44
	s_and_b32 vcc_lo, exec_lo, s1
	v_cvt_f32_f16_e32 v37, v37
	v_ashrrev_i32_e32 v40, 31, v39
	v_min_f32_e32 v36, v36, v37
	v_cvt_f16_f32_e32 v43, v36
	v_lshlrev_b64 v[36:37], 1, v[39:40]
	global_store_short v[41:42], v43, off
	s_cbranch_vccnz .LBB278_56
; %bb.55:
	v_add_co_u32 v38, vcc_lo, v112, v36
	v_add_co_ci_u32_e64 v39, null, v113, v37, vcc_lo
	global_load_ushort v38, v[38:39], off
	s_waitcnt vmcnt(0)
	v_mul_f16_e32 v38, s3, v38
	v_cvt_f32_f16_e32 v38, v38
.LBB278_56:
	v_pk_add_f16 v39, v4, v46
	v_pk_add_f16 v40, v5, v47
	v_max_f16_e32 v41, v111, v111
	v_lshrrev_b32_e32 v42, 16, v111
	v_max_f32_e32 v38, v38, v38
	v_lshrrev_b32_e32 v43, 16, v39
	v_lshrrev_b32_e32 v45, 16, v40
	v_min_f16_e32 v39, v41, v39
	v_add_co_u32 v114, vcc_lo, v84, v36
	v_add_co_ci_u32_e64 v115, null, v88, v37, vcc_lo
	v_min3_f16 v41, v42, v43, v45
	s_and_b32 vcc_lo, exec_lo, s1
	v_min3_f16 v40, v39, v40, v41
	v_add_nc_u32_e32 v39, 32, v44
	v_cvt_f32_f16_e32 v41, v40
	v_ashrrev_i32_e32 v40, 31, v39
	v_min_f32_e32 v41, v38, v41
	v_lshlrev_b64 v[42:43], 1, v[39:40]
	v_mov_b32_e32 v38, 0
	v_mov_b32_e32 v39, 0
	v_cvt_f16_f32_e32 v41, v41
	global_store_short v[114:115], v41, off
	s_cbranch_vccnz .LBB278_58
; %bb.57:
	v_add_co_u32 v39, vcc_lo, v112, v42
	v_add_co_ci_u32_e64 v40, null, v113, v43, vcc_lo
	global_load_ushort v39, v[39:40], off
	s_waitcnt vmcnt(0)
	v_mul_f16_e32 v39, s3, v39
	v_cvt_f32_f16_e32 v39, v39
.LBB278_58:
	v_pk_add_f16 v40, v6, v46
	v_pk_add_f16 v41, v7, v47
	v_max_f16_e32 v45, v110, v110
	v_lshrrev_b32_e32 v110, 16, v110
	v_max_f32_e32 v39, v39, v39
	v_lshrrev_b32_e32 v111, 16, v40
	v_lshrrev_b32_e32 v114, 16, v41
	v_min_f16_e32 v40, v45, v40
	v_min3_f16 v45, v110, v111, v114
	v_add_co_u32 v110, vcc_lo, v84, v42
	v_add_co_ci_u32_e64 v111, null, v88, v43, vcc_lo
	v_min3_f16 v41, v40, v41, v45
	v_add_nc_u32_e32 v40, 40, v44
	s_and_b32 vcc_lo, exec_lo, s1
	v_cvt_f32_f16_e32 v45, v41
	v_ashrrev_i32_e32 v41, 31, v40
	v_min_f32_e32 v39, v39, v45
	v_lshlrev_b64 v[40:41], 1, v[40:41]
	v_cvt_f16_f32_e32 v39, v39
	global_store_short v[110:111], v39, off
	s_cbranch_vccnz .LBB278_60
; %bb.59:
	v_add_co_u32 v38, vcc_lo, v112, v40
	v_add_co_ci_u32_e64 v39, null, v113, v41, vcc_lo
	global_load_ushort v38, v[38:39], off
	s_waitcnt vmcnt(0)
	v_mul_f16_e32 v38, s3, v38
	v_cvt_f32_f16_e32 v38, v38
.LBB278_60:
	v_pk_add_f16 v39, v0, v46
	v_pk_add_f16 v45, v1, v47
	v_max_f16_e32 v110, v109, v109
	v_lshrrev_b32_e32 v109, 16, v109
	v_max_f32_e32 v38, v38, v38
	v_lshrrev_b32_e32 v111, 16, v39
	v_lshrrev_b32_e32 v114, 16, v45
	v_min_f16_e32 v39, v110, v39
	v_add_nc_u32_e32 v110, 48, v44
	v_min3_f16 v109, v109, v111, v114
	v_add_co_u32 v114, vcc_lo, v84, v40
	v_ashrrev_i32_e32 v111, 31, v110
	v_add_co_ci_u32_e64 v115, null, v88, v41, vcc_lo
	v_min3_f16 v39, v39, v45, v109
	v_mov_b32_e32 v109, 0
	v_mov_b32_e32 v45, 0
	s_and_b32 vcc_lo, exec_lo, s1
	v_cvt_f32_f16_e32 v39, v39
	v_min_f32_e32 v38, v38, v39
	v_cvt_f16_f32_e32 v116, v38
	v_lshlrev_b64 v[38:39], 1, v[110:111]
	global_store_short v[114:115], v116, off
	s_cbranch_vccnz .LBB278_62
; %bb.61:
	v_add_co_u32 v110, vcc_lo, v112, v38
	v_add_co_ci_u32_e64 v111, null, v113, v39, vcc_lo
	global_load_ushort v45, v[110:111], off
	s_waitcnt vmcnt(0)
	v_mul_f16_e32 v45, s3, v45
	v_cvt_f32_f16_e32 v45, v45
.LBB278_62:
	v_pk_add_f16 v110, v2, v46
	v_pk_add_f16 v111, v3, v47
	v_max_f16_e32 v114, v108, v108
	v_lshrrev_b32_e32 v108, 16, v108
	v_add_nc_u32_e32 v44, 56, v44
	v_lshrrev_b32_e32 v115, 16, v110
	v_lshrrev_b32_e32 v116, 16, v111
	v_min_f16_e32 v110, v114, v110
	v_min3_f16 v108, v108, v115, v116
	v_min3_f16 v108, v110, v111, v108
	v_max_f32_e32 v110, v45, v45
	v_ashrrev_i32_e32 v45, 31, v44
	v_cvt_f32_f16_e32 v108, v108
	v_lshlrev_b64 v[44:45], 1, v[44:45]
	v_min_f32_e32 v108, v110, v108
	v_add_co_u32 v110, vcc_lo, v84, v38
	v_add_co_ci_u32_e64 v111, null, v88, v39, vcc_lo
	v_cvt_f16_f32_e32 v108, v108
	s_and_b32 vcc_lo, exec_lo, s1
	global_store_short v[110:111], v108, off
	s_cbranch_vccnz .LBB278_64
; %bb.63:
	v_add_co_u32 v108, vcc_lo, v112, v44
	v_add_co_ci_u32_e64 v109, null, v113, v45, vcc_lo
	global_load_ushort v108, v[108:109], off
	s_waitcnt vmcnt(0)
	v_mul_f16_e32 v108, s3, v108
	v_cvt_f32_f16_e32 v109, v108
.LBB278_64:
	v_pk_add_f16 v46, v24, v46
	v_pk_add_f16 v110, v25, v47
	v_max_f16_e32 v47, v107, v107
	v_lshrrev_b32_e32 v107, 16, v107
	v_add_nc_u32_e32 v108, 32, v86
	v_lshrrev_b32_e32 v111, 16, v46
	v_lshrrev_b32_e32 v112, 16, v110
	v_min_f16_e32 v113, v47, v46
	v_mad_i64_i32 v[46:47], null, v108, s2, 0
	v_min3_f16 v107, v107, v111, v112
	v_max_f32_e32 v111, v109, v109
	v_add_co_u32 v109, vcc_lo, v84, v44
	v_min3_f16 v107, v113, v110, v107
	v_lshlrev_b64 v[46:47], 1, v[46:47]
	v_add_co_ci_u32_e64 v110, null, v88, v45, vcc_lo
	v_cvt_f32_f16_e32 v107, v107
	v_add_co_u32 v46, vcc_lo, s12, v46
	v_add_co_ci_u32_e64 v47, null, s13, v47, vcc_lo
	v_min_f32_e32 v84, v111, v107
	v_mov_b32_e32 v107, 0
	s_and_b32 vcc_lo, exec_lo, s1
	v_cvt_f16_f32_e32 v88, v84
	v_mov_b32_e32 v84, 0
	global_store_short v[109:110], v88, off
	s_cbranch_vccnz .LBB278_66
; %bb.65:
	v_add_co_u32 v109, vcc_lo, v46, v28
	v_add_co_ci_u32_e64 v110, null, v47, v29, vcc_lo
	global_load_ushort v84, v[109:110], off
	s_waitcnt vmcnt(0)
	v_mul_f16_e32 v84, s3, v84
	v_cvt_f32_f16_e32 v84, v84
.LBB278_66:
	v_pk_add_f16 v88, v30, v20
	v_pk_add_f16 v110, v31, v21
	v_max_f16_e32 v109, v106, v106
	v_lshrrev_b32_e32 v106, 16, v106
	v_max_f32_e32 v84, v84, v84
	v_lshrrev_b32_e32 v111, 16, v88
	v_lshrrev_b32_e32 v112, 16, v110
	v_min_f16_e32 v88, v109, v88
	v_mad_i64_i32 v[108:109], null, v108, s4, 0
	v_min3_f16 v106, v106, v111, v112
	v_lshlrev_b64 v[108:109], 1, v[108:109]
	v_min3_f16 v88, v88, v110, v106
	v_cvt_f32_f16_e32 v88, v88
	v_min_f32_e32 v106, v84, v88
	v_add_co_u32 v84, vcc_lo, s5, v108
	v_add_co_ci_u32_e64 v88, null, s6, v109, vcc_lo
	v_cvt_f16_f32_e32 v106, v106
	v_add_co_u32 v108, vcc_lo, v84, v28
	v_add_co_ci_u32_e64 v109, null, v88, v29, vcc_lo
	s_and_b32 vcc_lo, exec_lo, s1
	global_store_short v[108:109], v106, off
	s_cbranch_vccnz .LBB278_68
; %bb.67:
	v_add_co_u32 v106, vcc_lo, v46, v32
	v_add_co_ci_u32_e64 v107, null, v47, v33, vcc_lo
	global_load_ushort v106, v[106:107], off
	s_waitcnt vmcnt(0)
	v_mul_f16_e32 v106, s3, v106
	v_cvt_f32_f16_e32 v107, v106
.LBB278_68:
	v_pk_add_f16 v106, v8, v20
	v_pk_add_f16 v108, v9, v21
	v_max_f16_e32 v109, v105, v105
	v_lshrrev_b32_e32 v105, 16, v105
	v_lshrrev_b32_e32 v110, 16, v106
	v_lshrrev_b32_e32 v111, 16, v108
	v_min_f16_e32 v106, v109, v106
	v_min3_f16 v105, v105, v110, v111
	v_min3_f16 v105, v106, v108, v105
	v_max_f32_e32 v106, v107, v107
	v_add_co_u32 v107, vcc_lo, v84, v32
	v_add_co_ci_u32_e64 v108, null, v88, v33, vcc_lo
	v_cvt_f32_f16_e32 v105, v105
	s_and_b32 vcc_lo, exec_lo, s1
	v_min_f32_e32 v105, v106, v105
	v_mov_b32_e32 v106, 0
	v_cvt_f16_f32_e32 v109, v105
	v_mov_b32_e32 v105, 0
	global_store_short v[107:108], v109, off
	s_cbranch_vccnz .LBB278_70
; %bb.69:
	v_add_co_u32 v106, vcc_lo, v46, v34
	v_add_co_ci_u32_e64 v107, null, v47, v35, vcc_lo
	global_load_ushort v106, v[106:107], off
	s_waitcnt vmcnt(0)
	v_mul_f16_e32 v106, s3, v106
	v_cvt_f32_f16_e32 v106, v106
.LBB278_70:
	v_pk_add_f16 v107, v10, v20
	v_pk_add_f16 v108, v11, v21
	v_max_f16_e32 v109, v104, v104
	v_lshrrev_b32_e32 v104, 16, v104
	v_max_f32_e32 v106, v106, v106
	v_lshrrev_b32_e32 v110, 16, v107
	v_lshrrev_b32_e32 v111, 16, v108
	v_min_f16_e32 v107, v109, v107
	v_min3_f16 v104, v104, v110, v111
	v_min3_f16 v104, v107, v108, v104
	v_cvt_f32_f16_e32 v104, v104
	v_min_f32_e32 v104, v106, v104
	v_add_co_u32 v106, vcc_lo, v84, v34
	v_add_co_ci_u32_e64 v107, null, v88, v35, vcc_lo
	v_cvt_f16_f32_e32 v104, v104
	s_and_b32 vcc_lo, exec_lo, s1
	global_store_short v[106:107], v104, off
	s_cbranch_vccnz .LBB278_72
; %bb.71:
	v_add_co_u32 v104, vcc_lo, v46, v36
	v_add_co_ci_u32_e64 v105, null, v47, v37, vcc_lo
	global_load_ushort v104, v[104:105], off
	s_waitcnt vmcnt(0)
	v_mul_f16_e32 v104, s3, v104
	v_cvt_f32_f16_e32 v105, v104
.LBB278_72:
	v_pk_add_f16 v104, v4, v20
	v_pk_add_f16 v106, v5, v21
	v_max_f16_e32 v107, v103, v103
	v_lshrrev_b32_e32 v103, 16, v103
	v_lshrrev_b32_e32 v108, 16, v104
	v_lshrrev_b32_e32 v109, 16, v106
	v_min_f16_e32 v104, v107, v104
	v_min3_f16 v103, v103, v108, v109
	v_min3_f16 v103, v104, v106, v103
	v_max_f32_e32 v104, v105, v105
	v_add_co_u32 v105, vcc_lo, v84, v36
	v_add_co_ci_u32_e64 v106, null, v88, v37, vcc_lo
	v_cvt_f32_f16_e32 v103, v103
	s_and_b32 vcc_lo, exec_lo, s1
	v_min_f32_e32 v103, v104, v103
	v_mov_b32_e32 v104, 0
	v_cvt_f16_f32_e32 v107, v103
	v_mov_b32_e32 v103, 0
	global_store_short v[105:106], v107, off
	s_cbranch_vccnz .LBB278_74
; %bb.73:
	v_add_co_u32 v104, vcc_lo, v46, v42
	v_add_co_ci_u32_e64 v105, null, v47, v43, vcc_lo
	global_load_ushort v104, v[104:105], off
	s_waitcnt vmcnt(0)
	v_mul_f16_e32 v104, s3, v104
	v_cvt_f32_f16_e32 v104, v104
.LBB278_74:
	v_pk_add_f16 v105, v6, v20
	v_pk_add_f16 v106, v7, v21
	v_max_f16_e32 v107, v102, v102
	v_lshrrev_b32_e32 v102, 16, v102
	v_max_f32_e32 v104, v104, v104
	v_lshrrev_b32_e32 v108, 16, v105
	v_lshrrev_b32_e32 v109, 16, v106
	v_min_f16_e32 v105, v107, v105
	v_min3_f16 v102, v102, v108, v109
	v_min3_f16 v102, v105, v106, v102
	v_cvt_f32_f16_e32 v102, v102
	v_min_f32_e32 v102, v104, v102
	v_add_co_u32 v104, vcc_lo, v84, v42
	v_add_co_ci_u32_e64 v105, null, v88, v43, vcc_lo
	v_cvt_f16_f32_e32 v102, v102
	s_and_b32 vcc_lo, exec_lo, s1
	global_store_short v[104:105], v102, off
	s_cbranch_vccnz .LBB278_76
; %bb.75:
	v_add_co_u32 v102, vcc_lo, v46, v40
	v_add_co_ci_u32_e64 v103, null, v47, v41, vcc_lo
	global_load_ushort v102, v[102:103], off
	s_waitcnt vmcnt(0)
	v_mul_f16_e32 v102, s3, v102
	v_cvt_f32_f16_e32 v103, v102
.LBB278_76:
	v_pk_add_f16 v102, v0, v20
	v_pk_add_f16 v104, v1, v21
	v_max_f16_e32 v105, v101, v101
	v_lshrrev_b32_e32 v101, 16, v101
	v_lshrrev_b32_e32 v106, 16, v102
	v_lshrrev_b32_e32 v107, 16, v104
	v_min_f16_e32 v102, v105, v102
	v_min3_f16 v101, v101, v106, v107
	v_min3_f16 v101, v102, v104, v101
	v_max_f32_e32 v102, v103, v103
	v_add_co_u32 v103, vcc_lo, v84, v40
	v_add_co_ci_u32_e64 v104, null, v88, v41, vcc_lo
	v_cvt_f32_f16_e32 v101, v101
	s_and_b32 vcc_lo, exec_lo, s1
	v_min_f32_e32 v101, v102, v101
	v_mov_b32_e32 v102, 0
	v_cvt_f16_f32_e32 v105, v101
	v_mov_b32_e32 v101, 0
	global_store_short v[103:104], v105, off
	s_cbranch_vccnz .LBB278_78
; %bb.77:
	v_add_co_u32 v102, vcc_lo, v46, v38
	v_add_co_ci_u32_e64 v103, null, v47, v39, vcc_lo
	global_load_ushort v102, v[102:103], off
	s_waitcnt vmcnt(0)
	v_mul_f16_e32 v102, s3, v102
	v_cvt_f32_f16_e32 v102, v102
.LBB278_78:
	v_pk_add_f16 v103, v2, v20
	v_pk_add_f16 v104, v3, v21
	v_max_f16_e32 v105, v100, v100
	v_lshrrev_b32_e32 v100, 16, v100
	v_max_f32_e32 v102, v102, v102
	v_lshrrev_b32_e32 v106, 16, v103
	v_lshrrev_b32_e32 v107, 16, v104
	v_min_f16_e32 v103, v105, v103
	v_min3_f16 v100, v100, v106, v107
	v_min3_f16 v100, v103, v104, v100
	v_cvt_f32_f16_e32 v100, v100
	v_min_f32_e32 v100, v102, v100
	v_add_co_u32 v102, vcc_lo, v84, v38
	v_add_co_ci_u32_e64 v103, null, v88, v39, vcc_lo
	v_cvt_f16_f32_e32 v100, v100
	s_and_b32 vcc_lo, exec_lo, s1
	global_store_short v[102:103], v100, off
	s_cbranch_vccnz .LBB278_80
; %bb.79:
	v_add_co_u32 v46, vcc_lo, v46, v44
	v_add_co_ci_u32_e64 v47, null, v47, v45, vcc_lo
	global_load_ushort v46, v[46:47], off
	s_waitcnt vmcnt(0)
	v_mul_f16_e32 v46, s3, v46
	v_cvt_f32_f16_e32 v101, v46
.LBB278_80:
	v_pk_add_f16 v20, v24, v20
	v_pk_add_f16 v47, v25, v21
	v_max_f16_e32 v21, v99, v99
	v_lshrrev_b32_e32 v99, 16, v99
	v_add_nc_u32_e32 v46, 64, v86
	v_lshrrev_b32_e32 v100, 16, v20
	v_lshrrev_b32_e32 v102, 16, v47
	v_min_f16_e32 v103, v21, v20
	v_max_f32_e32 v101, v101, v101
	v_mad_i64_i32 v[20:21], null, v46, s2, 0
	v_min3_f16 v99, v99, v100, v102
	v_min3_f16 v47, v103, v47, v99
	v_lshlrev_b64 v[20:21], 1, v[20:21]
	v_add_co_u32 v99, vcc_lo, v84, v44
	v_add_co_ci_u32_e64 v100, null, v88, v45, vcc_lo
	v_cvt_f32_f16_e32 v47, v47
	v_add_co_u32 v20, vcc_lo, s12, v20
	v_add_co_ci_u32_e64 v21, null, s13, v21, vcc_lo
	v_min_f32_e32 v47, v101, v47
	v_mov_b32_e32 v84, 0
	s_and_b32 vcc_lo, exec_lo, s1
	v_cvt_f16_f32_e32 v88, v47
	v_mov_b32_e32 v47, 0
	global_store_short v[99:100], v88, off
	s_cbranch_vccnz .LBB278_82
; %bb.81:
	v_add_co_u32 v99, vcc_lo, v20, v28
	v_add_co_ci_u32_e64 v100, null, v21, v29, vcc_lo
	global_load_ushort v47, v[99:100], off
	s_waitcnt vmcnt(0)
	v_mul_f16_e32 v47, s3, v47
	v_cvt_f32_f16_e32 v47, v47
.LBB278_82:
	v_pk_add_f16 v88, v30, v22
	v_pk_add_f16 v100, v31, v23
	v_max_f16_e32 v99, v98, v98
	v_lshrrev_b32_e32 v98, 16, v98
	v_lshrrev_b32_e32 v101, 16, v88
	;; [unrolled: 1-line block ×3, first 2 shown]
	v_min_f16_e32 v88, v99, v88
	v_min3_f16 v101, v98, v101, v102
	v_mad_i64_i32 v[98:99], null, v46, s4, 0
	v_min3_f16 v46, v88, v100, v101
	v_max_f32_e32 v88, v47, v47
	v_cvt_f32_f16_e32 v100, v46
	v_lshlrev_b64 v[46:47], 1, v[98:99]
	v_min_f32_e32 v88, v88, v100
	v_add_co_u32 v46, vcc_lo, s5, v46
	v_add_co_ci_u32_e64 v47, null, s6, v47, vcc_lo
	v_cvt_f16_f32_e32 v88, v88
	v_add_co_u32 v98, vcc_lo, v46, v28
	v_add_co_ci_u32_e64 v99, null, v47, v29, vcc_lo
	s_and_b32 vcc_lo, exec_lo, s1
	global_store_short v[98:99], v88, off
	s_cbranch_vccnz .LBB278_84
; %bb.83:
	v_add_co_u32 v98, vcc_lo, v20, v32
	v_add_co_ci_u32_e64 v99, null, v21, v33, vcc_lo
	global_load_ushort v84, v[98:99], off
	s_waitcnt vmcnt(0)
	v_mul_f16_e32 v84, s3, v84
	v_cvt_f32_f16_e32 v84, v84
.LBB278_84:
	v_pk_add_f16 v88, v8, v22
	v_pk_add_f16 v98, v9, v23
	v_max_f16_e32 v99, v97, v97
	v_lshrrev_b32_e32 v97, 16, v97
	v_max_f32_e32 v84, v84, v84
	v_lshrrev_b32_e32 v100, 16, v88
	v_lshrrev_b32_e32 v101, 16, v98
	v_min_f16_e32 v88, v99, v88
	v_min3_f16 v97, v97, v100, v101
	v_min3_f16 v88, v88, v98, v97
	v_add_co_u32 v97, vcc_lo, v46, v32
	v_add_co_ci_u32_e64 v98, null, v47, v33, vcc_lo
	v_cvt_f32_f16_e32 v88, v88
	s_and_b32 vcc_lo, exec_lo, s1
	v_min_f32_e32 v84, v84, v88
	v_mov_b32_e32 v88, 0
	v_cvt_f16_f32_e32 v99, v84
	v_mov_b32_e32 v84, 0
	global_store_short v[97:98], v99, off
	s_cbranch_vccnz .LBB278_86
; %bb.85:
	v_add_co_u32 v97, vcc_lo, v20, v34
	v_add_co_ci_u32_e64 v98, null, v21, v35, vcc_lo
	global_load_ushort v88, v[97:98], off
	s_waitcnt vmcnt(0)
	v_mul_f16_e32 v88, s3, v88
	v_cvt_f32_f16_e32 v88, v88
.LBB278_86:
	v_pk_add_f16 v97, v10, v22
	v_pk_add_f16 v98, v11, v23
	v_max_f16_e32 v99, v96, v96
	v_lshrrev_b32_e32 v96, 16, v96
	v_max_f32_e32 v88, v88, v88
	v_lshrrev_b32_e32 v100, 16, v97
	v_lshrrev_b32_e32 v101, 16, v98
	v_min_f16_e32 v97, v99, v97
	v_min3_f16 v96, v96, v100, v101
	v_min3_f16 v96, v97, v98, v96
	v_cvt_f32_f16_e32 v96, v96
	v_min_f32_e32 v88, v88, v96
	v_add_co_u32 v96, vcc_lo, v46, v34
	v_add_co_ci_u32_e64 v97, null, v47, v35, vcc_lo
	v_cvt_f16_f32_e32 v88, v88
	s_and_b32 vcc_lo, exec_lo, s1
	global_store_short v[96:97], v88, off
	s_cbranch_vccnz .LBB278_88
; %bb.87:
	v_add_co_u32 v96, vcc_lo, v20, v36
	v_add_co_ci_u32_e64 v97, null, v21, v37, vcc_lo
	global_load_ushort v84, v[96:97], off
	s_waitcnt vmcnt(0)
	v_mul_f16_e32 v84, s3, v84
	v_cvt_f32_f16_e32 v84, v84
.LBB278_88:
	v_pk_add_f16 v88, v4, v22
	v_pk_add_f16 v96, v5, v23
	v_max_f16_e32 v97, v95, v95
	v_lshrrev_b32_e32 v95, 16, v95
	v_max_f32_e32 v84, v84, v84
	v_lshrrev_b32_e32 v98, 16, v88
	v_lshrrev_b32_e32 v99, 16, v96
	v_min_f16_e32 v88, v97, v88
	v_min3_f16 v95, v95, v98, v99
	v_min3_f16 v88, v88, v96, v95
	v_add_co_u32 v95, vcc_lo, v46, v36
	v_add_co_ci_u32_e64 v96, null, v47, v37, vcc_lo
	v_cvt_f32_f16_e32 v88, v88
	s_and_b32 vcc_lo, exec_lo, s1
	v_min_f32_e32 v84, v84, v88
	v_mov_b32_e32 v88, 0
	v_cvt_f16_f32_e32 v97, v84
	v_mov_b32_e32 v84, 0
	global_store_short v[95:96], v97, off
	s_cbranch_vccnz .LBB278_90
; %bb.89:
	v_add_co_u32 v95, vcc_lo, v20, v42
	v_add_co_ci_u32_e64 v96, null, v21, v43, vcc_lo
	global_load_ushort v88, v[95:96], off
	s_waitcnt vmcnt(0)
	v_mul_f16_e32 v88, s3, v88
	v_cvt_f32_f16_e32 v88, v88
.LBB278_90:
	v_pk_add_f16 v95, v6, v22
	v_pk_add_f16 v96, v7, v23
	v_max_f16_e32 v97, v94, v94
	v_lshrrev_b32_e32 v94, 16, v94
	v_max_f32_e32 v88, v88, v88
	v_lshrrev_b32_e32 v98, 16, v95
	v_lshrrev_b32_e32 v99, 16, v96
	v_min_f16_e32 v95, v97, v95
	v_min3_f16 v94, v94, v98, v99
	v_min3_f16 v94, v95, v96, v94
	v_cvt_f32_f16_e32 v94, v94
	v_min_f32_e32 v88, v88, v94
	v_add_co_u32 v94, vcc_lo, v46, v42
	v_add_co_ci_u32_e64 v95, null, v47, v43, vcc_lo
	v_cvt_f16_f32_e32 v88, v88
	;; [unrolled: 54-line block ×3, first 2 shown]
	s_and_b32 vcc_lo, exec_lo, s1
	global_store_short v[92:93], v88, off
	s_cbranch_vccnz .LBB278_96
; %bb.95:
	v_add_co_u32 v20, vcc_lo, v20, v44
	v_add_co_ci_u32_e64 v21, null, v21, v45, vcc_lo
	global_load_ushort v20, v[20:21], off
	s_waitcnt vmcnt(0)
	v_mul_f16_e32 v20, s3, v20
	v_cvt_f32_f16_e32 v84, v20
.LBB278_96:
	v_pk_add_f16 v20, v24, v22
	v_pk_add_f16 v23, v25, v23
	v_max_f16_e32 v21, v91, v91
	v_lshrrev_b32_e32 v88, 16, v91
	v_add_nc_u32_e32 v22, 0x60, v86
	v_lshrrev_b32_e32 v91, 16, v20
	v_lshrrev_b32_e32 v92, 16, v23
	v_min_f16_e32 v93, v21, v20
	v_max_f32_e32 v84, v84, v84
	v_mad_i64_i32 v[20:21], null, v22, s2, 0
	v_min3_f16 v88, v88, v91, v92
	v_add_co_u32 v91, vcc_lo, v46, v44
	v_add_co_ci_u32_e64 v92, null, v47, v45, vcc_lo
	v_min3_f16 v23, v93, v23, v88
	v_lshlrev_b64 v[20:21], 1, v[20:21]
	v_mov_b32_e32 v46, 0
	v_cvt_f32_f16_e32 v23, v23
	v_add_co_u32 v20, vcc_lo, s12, v20
	v_add_co_ci_u32_e64 v21, null, s13, v21, vcc_lo
	v_min_f32_e32 v23, v84, v23
	s_and_b32 vcc_lo, exec_lo, s1
	v_cvt_f16_f32_e32 v47, v23
	v_mov_b32_e32 v23, 0
	global_store_short v[91:92], v47, off
	s_cbranch_vccnz .LBB278_98
; %bb.97:
	v_add_co_u32 v91, vcc_lo, v20, v28
	v_add_co_ci_u32_e64 v92, null, v21, v29, vcc_lo
	global_load_ushort v23, v[91:92], off
	s_waitcnt vmcnt(0)
	v_mul_f16_e32 v23, s3, v23
	v_cvt_f32_f16_e32 v23, v23
.LBB278_98:
	v_pk_add_f16 v47, v30, v16
	v_pk_add_f16 v84, v31, v17
	v_max_f16_e32 v88, v90, v90
	v_lshrrev_b32_e32 v90, 16, v90
	v_lshrrev_b32_e32 v91, 16, v47
	;; [unrolled: 1-line block ×3, first 2 shown]
	v_min_f16_e32 v47, v88, v47
	v_min3_f16 v88, v90, v91, v92
	v_mad_i64_i32 v[90:91], null, v22, s4, 0
	v_min3_f16 v22, v47, v84, v88
	v_max_f32_e32 v47, v23, v23
	v_cvt_f32_f16_e32 v84, v22
	v_lshlrev_b64 v[22:23], 1, v[90:91]
	v_min_f32_e32 v47, v47, v84
	v_add_co_u32 v22, vcc_lo, s5, v22
	v_add_co_ci_u32_e64 v23, null, s6, v23, vcc_lo
	v_cvt_f16_f32_e32 v47, v47
	v_add_co_u32 v90, vcc_lo, v22, v28
	v_add_co_ci_u32_e64 v91, null, v23, v29, vcc_lo
	s_and_b32 vcc_lo, exec_lo, s1
	global_store_short v[90:91], v47, off
	s_cbranch_vccnz .LBB278_100
; %bb.99:
	v_add_co_u32 v46, vcc_lo, v20, v32
	v_add_co_ci_u32_e64 v47, null, v21, v33, vcc_lo
	global_load_ushort v46, v[46:47], off
	s_waitcnt vmcnt(0)
	v_mul_f16_e32 v46, s3, v46
	v_cvt_f32_f16_e32 v46, v46
.LBB278_100:
	v_pk_add_f16 v47, v8, v16
	v_pk_add_f16 v84, v9, v17
	v_max_f16_e32 v88, v89, v89
	v_lshrrev_b32_e32 v89, 16, v89
	v_max_f32_e32 v46, v46, v46
	v_lshrrev_b32_e32 v90, 16, v47
	v_lshrrev_b32_e32 v91, 16, v84
	v_min_f16_e32 v47, v88, v47
	v_min3_f16 v88, v89, v90, v91
	v_min3_f16 v47, v47, v84, v88
	v_add_co_u32 v88, vcc_lo, v22, v32
	v_add_co_ci_u32_e64 v89, null, v23, v33, vcc_lo
	v_cvt_f32_f16_e32 v47, v47
	s_and_b32 vcc_lo, exec_lo, s1
	v_min_f32_e32 v46, v46, v47
	v_mov_b32_e32 v47, 0
	v_cvt_f16_f32_e32 v84, v46
	v_mov_b32_e32 v46, 0
	global_store_short v[88:89], v84, off
	s_cbranch_vccnz .LBB278_102
; %bb.101:
	v_add_co_u32 v88, vcc_lo, v20, v34
	v_add_co_ci_u32_e64 v89, null, v21, v35, vcc_lo
	global_load_ushort v47, v[88:89], off
	s_waitcnt vmcnt(0)
	v_mul_f16_e32 v47, s3, v47
	v_cvt_f32_f16_e32 v47, v47
.LBB278_102:
	v_pk_add_f16 v84, v10, v16
	v_pk_add_f16 v88, v11, v17
	v_max_f16_e32 v89, v87, v87
	v_lshrrev_b32_e32 v87, 16, v87
	v_max_f32_e32 v47, v47, v47
	v_lshrrev_b32_e32 v90, 16, v84
	v_lshrrev_b32_e32 v91, 16, v88
	v_min_f16_e32 v84, v89, v84
	v_min3_f16 v87, v87, v90, v91
	v_min3_f16 v84, v84, v88, v87
	v_add_co_u32 v87, vcc_lo, v22, v34
	v_add_co_ci_u32_e64 v88, null, v23, v35, vcc_lo
	v_cvt_f32_f16_e32 v84, v84
	s_and_b32 vcc_lo, exec_lo, s1
	v_min_f32_e32 v47, v47, v84
	v_cvt_f16_f32_e32 v47, v47
	global_store_short v[87:88], v47, off
	s_cbranch_vccnz .LBB278_104
; %bb.103:
	v_add_co_u32 v46, vcc_lo, v20, v36
	v_add_co_ci_u32_e64 v47, null, v21, v37, vcc_lo
	global_load_ushort v46, v[46:47], off
	s_waitcnt vmcnt(0)
	v_mul_f16_e32 v46, s3, v46
	v_cvt_f32_f16_e32 v46, v46
.LBB278_104:
	v_pk_add_f16 v47, v4, v16
	v_pk_add_f16 v84, v5, v17
	v_max_f16_e32 v87, v85, v85
	v_lshrrev_b32_e32 v85, 16, v85
	v_max_f32_e32 v46, v46, v46
	v_lshrrev_b32_e32 v88, 16, v47
	v_lshrrev_b32_e32 v89, 16, v84
	v_min_f16_e32 v47, v87, v47
	v_min3_f16 v85, v85, v88, v89
	v_min3_f16 v47, v47, v84, v85
	v_add_co_u32 v84, vcc_lo, v22, v36
	v_add_co_ci_u32_e64 v85, null, v23, v37, vcc_lo
	v_cvt_f32_f16_e32 v47, v47
	s_and_b32 vcc_lo, exec_lo, s1
	v_min_f32_e32 v46, v46, v47
	v_mov_b32_e32 v47, 0
	v_cvt_f16_f32_e32 v87, v46
	v_mov_b32_e32 v46, 0
	global_store_short v[84:85], v87, off
	s_cbranch_vccnz .LBB278_106
; %bb.105:
	v_add_co_u32 v84, vcc_lo, v20, v42
	v_add_co_ci_u32_e64 v85, null, v21, v43, vcc_lo
	global_load_ushort v47, v[84:85], off
	s_waitcnt vmcnt(0)
	v_mul_f16_e32 v47, s3, v47
	v_cvt_f32_f16_e32 v47, v47
.LBB278_106:
	v_pk_add_f16 v84, v6, v16
	v_pk_add_f16 v85, v7, v17
	v_max_f16_e32 v87, v83, v83
	v_lshrrev_b32_e32 v83, 16, v83
	v_max_f32_e32 v47, v47, v47
	v_lshrrev_b32_e32 v88, 16, v84
	v_lshrrev_b32_e32 v89, 16, v85
	v_min_f16_e32 v84, v87, v84
	v_min3_f16 v83, v83, v88, v89
	v_min3_f16 v83, v84, v85, v83
	v_cvt_f32_f16_e32 v83, v83
	v_min_f32_e32 v47, v47, v83
	v_add_co_u32 v83, vcc_lo, v22, v42
	v_add_co_ci_u32_e64 v84, null, v23, v43, vcc_lo
	v_cvt_f16_f32_e32 v47, v47
	s_and_b32 vcc_lo, exec_lo, s1
	global_store_short v[83:84], v47, off
	s_cbranch_vccnz .LBB278_108
; %bb.107:
	v_add_co_u32 v46, vcc_lo, v20, v40
	v_add_co_ci_u32_e64 v47, null, v21, v41, vcc_lo
	global_load_ushort v46, v[46:47], off
	s_waitcnt vmcnt(0)
	v_mul_f16_e32 v46, s3, v46
	v_cvt_f32_f16_e32 v46, v46
.LBB278_108:
	v_pk_add_f16 v47, v0, v16
	v_pk_add_f16 v83, v1, v17
	v_max_f16_e32 v84, v82, v82
	v_lshrrev_b32_e32 v82, 16, v82
	v_max_f32_e32 v46, v46, v46
	v_lshrrev_b32_e32 v85, 16, v47
	v_lshrrev_b32_e32 v87, 16, v83
	v_min_f16_e32 v47, v84, v47
	v_min3_f16 v82, v82, v85, v87
	v_min3_f16 v47, v47, v83, v82
	v_add_co_u32 v82, vcc_lo, v22, v40
	v_add_co_ci_u32_e64 v83, null, v23, v41, vcc_lo
	v_cvt_f32_f16_e32 v47, v47
	s_and_b32 vcc_lo, exec_lo, s1
	v_min_f32_e32 v46, v46, v47
	v_mov_b32_e32 v47, 0
	v_cvt_f16_f32_e32 v84, v46
	v_mov_b32_e32 v46, 0
	global_store_short v[82:83], v84, off
	s_cbranch_vccnz .LBB278_110
; %bb.109:
	v_add_co_u32 v82, vcc_lo, v20, v38
	v_add_co_ci_u32_e64 v83, null, v21, v39, vcc_lo
	global_load_ushort v47, v[82:83], off
	s_waitcnt vmcnt(0)
	v_mul_f16_e32 v47, s3, v47
	v_cvt_f32_f16_e32 v47, v47
.LBB278_110:
	v_pk_add_f16 v82, v2, v16
	v_pk_add_f16 v83, v3, v17
	v_max_f16_e32 v84, v81, v81
	v_lshrrev_b32_e32 v81, 16, v81
	v_max_f32_e32 v47, v47, v47
	v_lshrrev_b32_e32 v85, 16, v82
	v_lshrrev_b32_e32 v87, 16, v83
	v_min_f16_e32 v82, v84, v82
	v_min3_f16 v81, v81, v85, v87
	v_min3_f16 v81, v82, v83, v81
	v_cvt_f32_f16_e32 v81, v81
	v_min_f32_e32 v47, v47, v81
	v_add_co_u32 v81, vcc_lo, v22, v38
	v_add_co_ci_u32_e64 v82, null, v23, v39, vcc_lo
	v_cvt_f16_f32_e32 v47, v47
	s_and_b32 vcc_lo, exec_lo, s1
	global_store_short v[81:82], v47, off
	s_cbranch_vccnz .LBB278_112
; %bb.111:
	v_add_co_u32 v20, vcc_lo, v20, v44
	v_add_co_ci_u32_e64 v21, null, v21, v45, vcc_lo
	global_load_ushort v20, v[20:21], off
	s_waitcnt vmcnt(0)
	v_mul_f16_e32 v20, s3, v20
	v_cvt_f32_f16_e32 v46, v20
.LBB278_112:
	v_pk_add_f16 v16, v24, v16
	v_pk_add_f16 v21, v25, v17
	v_max_f16_e32 v17, v80, v80
	v_lshrrev_b32_e32 v47, 16, v80
	v_add_nc_u32_e32 v20, 0x80, v86
	v_lshrrev_b32_e32 v80, 16, v16
	v_lshrrev_b32_e32 v81, 16, v21
	v_min_f16_e32 v82, v17, v16
	v_mad_i64_i32 v[16:17], null, v20, s2, 0
	v_min3_f16 v47, v47, v80, v81
	v_max_f32_e32 v80, v46, v46
	v_add_co_u32 v46, vcc_lo, v22, v44
	v_mov_b32_e32 v22, 0
	v_min3_f16 v21, v82, v21, v47
	v_lshlrev_b64 v[16:17], 1, v[16:17]
	v_add_co_ci_u32_e64 v47, null, v23, v45, vcc_lo
	v_cvt_f32_f16_e32 v21, v21
	v_add_co_u32 v16, vcc_lo, s12, v16
	v_add_co_ci_u32_e64 v17, null, s13, v17, vcc_lo
	v_min_f32_e32 v21, v80, v21
	s_and_b32 vcc_lo, exec_lo, s1
	v_cvt_f16_f32_e32 v23, v21
	v_mov_b32_e32 v21, 0
	global_store_short v[46:47], v23, off
	s_cbranch_vccnz .LBB278_114
; %bb.113:
	v_add_co_u32 v46, vcc_lo, v16, v28
	v_add_co_ci_u32_e64 v47, null, v17, v29, vcc_lo
	global_load_ushort v21, v[46:47], off
	s_waitcnt vmcnt(0)
	v_mul_f16_e32 v21, s3, v21
	v_cvt_f32_f16_e32 v21, v21
.LBB278_114:
	v_pk_add_f16 v23, v30, v18
	v_pk_add_f16 v80, v31, v19
	v_max_f16_e32 v46, v79, v79
	v_lshrrev_b32_e32 v47, 16, v79
	v_lshrrev_b32_e32 v79, 16, v23
	;; [unrolled: 1-line block ×3, first 2 shown]
	v_min_f16_e32 v23, v46, v23
	v_min3_f16 v79, v47, v79, v81
	v_mad_i64_i32 v[46:47], null, v20, s4, 0
	v_min3_f16 v20, v23, v80, v79
	v_max_f32_e32 v23, v21, v21
	v_cvt_f32_f16_e32 v79, v20
	v_lshlrev_b64 v[20:21], 1, v[46:47]
	v_min_f32_e32 v23, v23, v79
	v_add_co_u32 v20, vcc_lo, s5, v20
	v_add_co_ci_u32_e64 v21, null, s6, v21, vcc_lo
	v_cvt_f16_f32_e32 v23, v23
	v_add_co_u32 v46, vcc_lo, v20, v28
	v_add_co_ci_u32_e64 v47, null, v21, v29, vcc_lo
	s_and_b32 vcc_lo, exec_lo, s1
	global_store_short v[46:47], v23, off
	s_cbranch_vccnz .LBB278_116
; %bb.115:
	v_add_co_u32 v22, vcc_lo, v16, v32
	v_add_co_ci_u32_e64 v23, null, v17, v33, vcc_lo
	global_load_ushort v22, v[22:23], off
	s_waitcnt vmcnt(0)
	v_mul_f16_e32 v22, s3, v22
	v_cvt_f32_f16_e32 v22, v22
.LBB278_116:
	v_pk_add_f16 v23, v8, v18
	v_pk_add_f16 v46, v9, v19
	v_max_f16_e32 v47, v78, v78
	v_lshrrev_b32_e32 v78, 16, v78
	v_max_f32_e32 v22, v22, v22
	v_lshrrev_b32_e32 v79, 16, v23
	v_lshrrev_b32_e32 v80, 16, v46
	v_min_f16_e32 v23, v47, v23
	v_min3_f16 v47, v78, v79, v80
	v_min3_f16 v23, v23, v46, v47
	v_add_co_u32 v46, vcc_lo, v20, v32
	v_add_co_ci_u32_e64 v47, null, v21, v33, vcc_lo
	v_cvt_f32_f16_e32 v23, v23
	s_and_b32 vcc_lo, exec_lo, s1
	v_min_f32_e32 v22, v22, v23
	v_mov_b32_e32 v23, 0
	v_cvt_f16_f32_e32 v78, v22
	v_mov_b32_e32 v22, 0
	global_store_short v[46:47], v78, off
	s_cbranch_vccnz .LBB278_118
; %bb.117:
	v_add_co_u32 v46, vcc_lo, v16, v34
	v_add_co_ci_u32_e64 v47, null, v17, v35, vcc_lo
	global_load_ushort v23, v[46:47], off
	s_waitcnt vmcnt(0)
	v_mul_f16_e32 v23, s3, v23
	v_cvt_f32_f16_e32 v23, v23
.LBB278_118:
	v_pk_add_f16 v46, v10, v18
	v_pk_add_f16 v47, v11, v19
	v_max_f16_e32 v78, v77, v77
	v_lshrrev_b32_e32 v77, 16, v77
	v_max_f32_e32 v23, v23, v23
	v_lshrrev_b32_e32 v79, 16, v46
	v_lshrrev_b32_e32 v80, 16, v47
	v_min_f16_e32 v46, v78, v46
	v_min3_f16 v77, v77, v79, v80
	v_min3_f16 v46, v46, v47, v77
	v_cvt_f32_f16_e32 v46, v46
	v_min_f32_e32 v23, v23, v46
	v_add_co_u32 v46, vcc_lo, v20, v34
	v_add_co_ci_u32_e64 v47, null, v21, v35, vcc_lo
	v_cvt_f16_f32_e32 v23, v23
	s_and_b32 vcc_lo, exec_lo, s1
	global_store_short v[46:47], v23, off
	s_cbranch_vccnz .LBB278_120
; %bb.119:
	v_add_co_u32 v22, vcc_lo, v16, v36
	v_add_co_ci_u32_e64 v23, null, v17, v37, vcc_lo
	global_load_ushort v22, v[22:23], off
	s_waitcnt vmcnt(0)
	v_mul_f16_e32 v22, s3, v22
	v_cvt_f32_f16_e32 v22, v22
.LBB278_120:
	v_pk_add_f16 v23, v4, v18
	v_pk_add_f16 v46, v5, v19
	v_max_f16_e32 v47, v76, v76
	v_lshrrev_b32_e32 v76, 16, v76
	v_max_f32_e32 v22, v22, v22
	v_lshrrev_b32_e32 v77, 16, v23
	v_lshrrev_b32_e32 v78, 16, v46
	v_min_f16_e32 v23, v47, v23
	v_min3_f16 v47, v76, v77, v78
	v_min3_f16 v23, v23, v46, v47
	v_add_co_u32 v46, vcc_lo, v20, v36
	v_add_co_ci_u32_e64 v47, null, v21, v37, vcc_lo
	v_cvt_f32_f16_e32 v23, v23
	s_and_b32 vcc_lo, exec_lo, s1
	v_min_f32_e32 v22, v22, v23
	v_mov_b32_e32 v23, 0
	v_cvt_f16_f32_e32 v76, v22
	v_mov_b32_e32 v22, 0
	global_store_short v[46:47], v76, off
	s_cbranch_vccnz .LBB278_122
; %bb.121:
	v_add_co_u32 v46, vcc_lo, v16, v42
	v_add_co_ci_u32_e64 v47, null, v17, v43, vcc_lo
	global_load_ushort v23, v[46:47], off
	s_waitcnt vmcnt(0)
	v_mul_f16_e32 v23, s3, v23
	v_cvt_f32_f16_e32 v23, v23
.LBB278_122:
	v_pk_add_f16 v46, v6, v18
	v_pk_add_f16 v47, v7, v19
	v_max_f16_e32 v76, v75, v75
	v_lshrrev_b32_e32 v75, 16, v75
	v_max_f32_e32 v23, v23, v23
	v_lshrrev_b32_e32 v77, 16, v46
	v_lshrrev_b32_e32 v78, 16, v47
	v_min_f16_e32 v46, v76, v46
	v_min3_f16 v75, v75, v77, v78
	v_min3_f16 v46, v46, v47, v75
	v_cvt_f32_f16_e32 v46, v46
	v_min_f32_e32 v23, v23, v46
	v_add_co_u32 v46, vcc_lo, v20, v42
	v_add_co_ci_u32_e64 v47, null, v21, v43, vcc_lo
	v_cvt_f16_f32_e32 v23, v23
	;; [unrolled: 54-line block ×3, first 2 shown]
	s_and_b32 vcc_lo, exec_lo, s1
	global_store_short v[46:47], v23, off
	s_cbranch_vccnz .LBB278_128
; %bb.127:
	v_add_co_u32 v16, vcc_lo, v16, v44
	v_add_co_ci_u32_e64 v17, null, v17, v45, vcc_lo
	global_load_ushort v16, v[16:17], off
	s_waitcnt vmcnt(0)
	v_mul_f16_e32 v16, s3, v16
	v_cvt_f32_f16_e32 v22, v16
.LBB278_128:
	v_pk_add_f16 v16, v24, v18
	v_pk_add_f16 v19, v25, v19
	v_max_f16_e32 v17, v72, v72
	v_lshrrev_b32_e32 v23, 16, v72
	v_add_nc_u32_e32 v18, 0xa0, v86
	v_lshrrev_b32_e32 v46, 16, v16
	v_lshrrev_b32_e32 v47, 16, v19
	v_min_f16_e32 v72, v17, v16
	v_mad_i64_i32 v[16:17], null, v18, s2, 0
	v_min3_f16 v23, v23, v46, v47
	v_max_f32_e32 v46, v22, v22
	v_add_co_u32 v22, vcc_lo, v20, v44
	v_mov_b32_e32 v20, 0
	v_min3_f16 v19, v72, v19, v23
	v_lshlrev_b64 v[16:17], 1, v[16:17]
	v_add_co_ci_u32_e64 v23, null, v21, v45, vcc_lo
	v_cvt_f32_f16_e32 v19, v19
	v_add_co_u32 v16, vcc_lo, s12, v16
	v_add_co_ci_u32_e64 v17, null, s13, v17, vcc_lo
	v_min_f32_e32 v19, v46, v19
	s_and_b32 vcc_lo, exec_lo, s1
	v_cvt_f16_f32_e32 v21, v19
	v_mov_b32_e32 v19, 0
	global_store_short v[22:23], v21, off
	s_cbranch_vccnz .LBB278_130
; %bb.129:
	v_add_co_u32 v21, vcc_lo, v16, v28
	v_add_co_ci_u32_e64 v22, null, v17, v29, vcc_lo
	global_load_ushort v19, v[21:22], off
	s_waitcnt vmcnt(0)
	v_mul_f16_e32 v19, s3, v19
	v_cvt_f32_f16_e32 v19, v19
.LBB278_130:
	v_pk_add_f16 v21, v30, v12
	v_pk_add_f16 v23, v31, v13
	v_max_f16_e32 v22, v71, v71
	v_lshrrev_b32_e32 v46, 16, v71
	v_lshrrev_b32_e32 v47, 16, v21
	;; [unrolled: 1-line block ×3, first 2 shown]
	v_min_f16_e32 v72, v22, v21
	v_mad_i64_i32 v[21:22], null, v18, s4, 0
	v_min3_f16 v46, v46, v47, v71
	v_min3_f16 v18, v72, v23, v46
	v_max_f32_e32 v23, v19, v19
	v_cvt_f32_f16_e32 v46, v18
	v_lshlrev_b64 v[18:19], 1, v[21:22]
	v_min_f32_e32 v21, v23, v46
	v_add_co_u32 v18, vcc_lo, s5, v18
	v_add_co_ci_u32_e64 v19, null, s6, v19, vcc_lo
	v_cvt_f16_f32_e32 v23, v21
	v_add_co_u32 v21, vcc_lo, v18, v28
	v_add_co_ci_u32_e64 v22, null, v19, v29, vcc_lo
	s_and_b32 vcc_lo, exec_lo, s1
	global_store_short v[21:22], v23, off
	s_cbranch_vccnz .LBB278_132
; %bb.131:
	v_add_co_u32 v20, vcc_lo, v16, v32
	v_add_co_ci_u32_e64 v21, null, v17, v33, vcc_lo
	global_load_ushort v20, v[20:21], off
	s_waitcnt vmcnt(0)
	v_mul_f16_e32 v20, s3, v20
	v_cvt_f32_f16_e32 v20, v20
.LBB278_132:
	v_pk_add_f16 v21, v8, v12
	v_pk_add_f16 v22, v9, v13
	v_max_f16_e32 v23, v70, v70
	v_lshrrev_b32_e32 v46, 16, v70
	v_max_f32_e32 v20, v20, v20
	v_lshrrev_b32_e32 v47, 16, v21
	v_lshrrev_b32_e32 v70, 16, v22
	v_min_f16_e32 v21, v23, v21
	v_min3_f16 v23, v46, v47, v70
	v_min3_f16 v21, v21, v22, v23
	v_add_co_u32 v22, vcc_lo, v18, v32
	v_add_co_ci_u32_e64 v23, null, v19, v33, vcc_lo
	v_cvt_f32_f16_e32 v21, v21
	s_and_b32 vcc_lo, exec_lo, s1
	v_min_f32_e32 v20, v20, v21
	v_mov_b32_e32 v21, 0
	v_cvt_f16_f32_e32 v46, v20
	v_mov_b32_e32 v20, 0
	global_store_short v[22:23], v46, off
	s_cbranch_vccnz .LBB278_134
; %bb.133:
	v_add_co_u32 v21, vcc_lo, v16, v34
	v_add_co_ci_u32_e64 v22, null, v17, v35, vcc_lo
	global_load_ushort v21, v[21:22], off
	s_waitcnt vmcnt(0)
	v_mul_f16_e32 v21, s3, v21
	v_cvt_f32_f16_e32 v21, v21
.LBB278_134:
	v_pk_add_f16 v22, v10, v12
	v_pk_add_f16 v23, v11, v13
	v_max_f16_e32 v46, v69, v69
	v_lshrrev_b32_e32 v47, 16, v69
	v_max_f32_e32 v21, v21, v21
	v_lshrrev_b32_e32 v69, 16, v22
	v_lshrrev_b32_e32 v70, 16, v23
	v_min_f16_e32 v22, v46, v22
	v_min3_f16 v46, v47, v69, v70
	v_min3_f16 v22, v22, v23, v46
	v_cvt_f32_f16_e32 v22, v22
	v_min_f32_e32 v21, v21, v22
	v_cvt_f16_f32_e32 v23, v21
	v_add_co_u32 v21, vcc_lo, v18, v34
	v_add_co_ci_u32_e64 v22, null, v19, v35, vcc_lo
	s_and_b32 vcc_lo, exec_lo, s1
	global_store_short v[21:22], v23, off
	s_cbranch_vccnz .LBB278_136
; %bb.135:
	v_add_co_u32 v20, vcc_lo, v16, v36
	v_add_co_ci_u32_e64 v21, null, v17, v37, vcc_lo
	global_load_ushort v20, v[20:21], off
	s_waitcnt vmcnt(0)
	v_mul_f16_e32 v20, s3, v20
	v_cvt_f32_f16_e32 v20, v20
.LBB278_136:
	v_pk_add_f16 v21, v4, v12
	v_pk_add_f16 v22, v5, v13
	v_max_f16_e32 v23, v68, v68
	v_lshrrev_b32_e32 v46, 16, v68
	v_max_f32_e32 v20, v20, v20
	v_lshrrev_b32_e32 v47, 16, v21
	v_lshrrev_b32_e32 v68, 16, v22
	v_min_f16_e32 v21, v23, v21
	v_min3_f16 v23, v46, v47, v68
	v_min3_f16 v21, v21, v22, v23
	v_add_co_u32 v22, vcc_lo, v18, v36
	v_add_co_ci_u32_e64 v23, null, v19, v37, vcc_lo
	v_cvt_f32_f16_e32 v21, v21
	s_and_b32 vcc_lo, exec_lo, s1
	v_min_f32_e32 v20, v20, v21
	v_mov_b32_e32 v21, 0
	v_cvt_f16_f32_e32 v46, v20
	v_mov_b32_e32 v20, 0
	global_store_short v[22:23], v46, off
	s_cbranch_vccnz .LBB278_138
; %bb.137:
	v_add_co_u32 v21, vcc_lo, v16, v42
	v_add_co_ci_u32_e64 v22, null, v17, v43, vcc_lo
	global_load_ushort v21, v[21:22], off
	s_waitcnt vmcnt(0)
	v_mul_f16_e32 v21, s3, v21
	v_cvt_f32_f16_e32 v21, v21
.LBB278_138:
	v_pk_add_f16 v22, v6, v12
	v_pk_add_f16 v23, v7, v13
	v_max_f16_e32 v46, v67, v67
	v_lshrrev_b32_e32 v47, 16, v67
	v_max_f32_e32 v21, v21, v21
	v_lshrrev_b32_e32 v67, 16, v22
	v_lshrrev_b32_e32 v68, 16, v23
	v_min_f16_e32 v22, v46, v22
	v_min3_f16 v46, v47, v67, v68
	v_min3_f16 v22, v22, v23, v46
	v_cvt_f32_f16_e32 v22, v22
	v_min_f32_e32 v21, v21, v22
	;; [unrolled: 54-line block ×3, first 2 shown]
	v_cvt_f16_f32_e32 v23, v21
	v_add_co_u32 v21, vcc_lo, v18, v38
	v_add_co_ci_u32_e64 v22, null, v19, v39, vcc_lo
	s_and_b32 vcc_lo, exec_lo, s1
	global_store_short v[21:22], v23, off
	s_cbranch_vccnz .LBB278_144
; %bb.143:
	v_add_co_u32 v16, vcc_lo, v16, v44
	v_add_co_ci_u32_e64 v17, null, v17, v45, vcc_lo
	global_load_ushort v16, v[16:17], off
	s_waitcnt vmcnt(0)
	v_mul_f16_e32 v16, s3, v16
	v_cvt_f32_f16_e32 v20, v16
.LBB278_144:
	v_pk_add_f16 v12, v24, v12
	v_pk_add_f16 v17, v25, v13
	v_max_f16_e32 v13, v64, v64
	v_lshrrev_b32_e32 v21, 16, v64
	v_add_nc_u32_e32 v16, 0xc0, v86
	v_lshrrev_b32_e32 v22, 16, v12
	v_lshrrev_b32_e32 v23, 16, v17
	v_min_f16_e32 v46, v13, v12
	v_mad_i64_i32 v[12:13], null, v16, s2, 0
	v_min3_f16 v21, v21, v22, v23
	v_max_f32_e32 v22, v20, v20
	v_add_co_u32 v20, vcc_lo, v18, v44
	v_mov_b32_e32 v18, 0
	v_min3_f16 v17, v46, v17, v21
	v_lshlrev_b64 v[12:13], 1, v[12:13]
	v_add_co_ci_u32_e64 v21, null, v19, v45, vcc_lo
	v_cvt_f32_f16_e32 v17, v17
	v_add_co_u32 v12, vcc_lo, s12, v12
	v_add_co_ci_u32_e64 v13, null, s13, v13, vcc_lo
	v_min_f32_e32 v17, v22, v17
	s_and_b32 vcc_lo, exec_lo, s1
	v_cvt_f16_f32_e32 v19, v17
	v_mov_b32_e32 v17, 0
	global_store_short v[20:21], v19, off
	s_cbranch_vccnz .LBB278_146
; %bb.145:
	v_add_co_u32 v19, vcc_lo, v12, v28
	v_add_co_ci_u32_e64 v20, null, v13, v29, vcc_lo
	global_load_ushort v17, v[19:20], off
	s_waitcnt vmcnt(0)
	v_mul_f16_e32 v17, s3, v17
	v_cvt_f32_f16_e32 v17, v17
.LBB278_146:
	v_pk_add_f16 v19, v30, v14
	v_pk_add_f16 v21, v31, v15
	v_max_f16_e32 v20, v63, v63
	v_lshrrev_b32_e32 v22, 16, v63
	v_lshrrev_b32_e32 v23, 16, v19
	;; [unrolled: 1-line block ×3, first 2 shown]
	v_min_f16_e32 v47, v20, v19
	v_mad_i64_i32 v[19:20], null, v16, s4, 0
	v_min3_f16 v22, v22, v23, v46
	v_min3_f16 v16, v47, v21, v22
	v_max_f32_e32 v21, v17, v17
	v_cvt_f32_f16_e32 v22, v16
	v_lshlrev_b64 v[16:17], 1, v[19:20]
	v_min_f32_e32 v19, v21, v22
	v_add_co_u32 v16, vcc_lo, s5, v16
	v_add_co_ci_u32_e64 v17, null, s6, v17, vcc_lo
	v_cvt_f16_f32_e32 v21, v19
	v_add_co_u32 v19, vcc_lo, v16, v28
	v_add_co_ci_u32_e64 v20, null, v17, v29, vcc_lo
	s_and_b32 vcc_lo, exec_lo, s1
	global_store_short v[19:20], v21, off
	s_cbranch_vccnz .LBB278_148
; %bb.147:
	v_add_co_u32 v18, vcc_lo, v12, v32
	v_add_co_ci_u32_e64 v19, null, v13, v33, vcc_lo
	global_load_ushort v18, v[18:19], off
	s_waitcnt vmcnt(0)
	v_mul_f16_e32 v18, s3, v18
	v_cvt_f32_f16_e32 v18, v18
.LBB278_148:
	v_pk_add_f16 v19, v8, v14
	v_pk_add_f16 v20, v9, v15
	v_max_f16_e32 v21, v62, v62
	v_lshrrev_b32_e32 v22, 16, v62
	v_max_f32_e32 v18, v18, v18
	v_lshrrev_b32_e32 v23, 16, v19
	v_lshrrev_b32_e32 v46, 16, v20
	v_min_f16_e32 v19, v21, v19
	v_min3_f16 v21, v22, v23, v46
	v_min3_f16 v19, v19, v20, v21
	v_add_co_u32 v20, vcc_lo, v16, v32
	v_add_co_ci_u32_e64 v21, null, v17, v33, vcc_lo
	v_cvt_f32_f16_e32 v19, v19
	s_and_b32 vcc_lo, exec_lo, s1
	v_min_f32_e32 v18, v18, v19
	v_mov_b32_e32 v19, 0
	v_cvt_f16_f32_e32 v22, v18
	v_mov_b32_e32 v18, 0
	global_store_short v[20:21], v22, off
	s_cbranch_vccnz .LBB278_150
; %bb.149:
	v_add_co_u32 v19, vcc_lo, v12, v34
	v_add_co_ci_u32_e64 v20, null, v13, v35, vcc_lo
	global_load_ushort v19, v[19:20], off
	s_waitcnt vmcnt(0)
	v_mul_f16_e32 v19, s3, v19
	v_cvt_f32_f16_e32 v19, v19
.LBB278_150:
	v_pk_add_f16 v20, v10, v14
	v_pk_add_f16 v21, v11, v15
	v_max_f16_e32 v22, v61, v61
	v_lshrrev_b32_e32 v23, 16, v61
	v_max_f32_e32 v19, v19, v19
	v_lshrrev_b32_e32 v46, 16, v20
	v_lshrrev_b32_e32 v47, 16, v21
	v_min_f16_e32 v20, v22, v20
	v_min3_f16 v22, v23, v46, v47
	v_min3_f16 v20, v20, v21, v22
	v_cvt_f32_f16_e32 v20, v20
	v_min_f32_e32 v19, v19, v20
	v_cvt_f16_f32_e32 v21, v19
	v_add_co_u32 v19, vcc_lo, v16, v34
	v_add_co_ci_u32_e64 v20, null, v17, v35, vcc_lo
	s_and_b32 vcc_lo, exec_lo, s1
	global_store_short v[19:20], v21, off
	s_cbranch_vccnz .LBB278_152
; %bb.151:
	v_add_co_u32 v18, vcc_lo, v12, v36
	v_add_co_ci_u32_e64 v19, null, v13, v37, vcc_lo
	global_load_ushort v18, v[18:19], off
	s_waitcnt vmcnt(0)
	v_mul_f16_e32 v18, s3, v18
	v_cvt_f32_f16_e32 v18, v18
.LBB278_152:
	v_pk_add_f16 v19, v4, v14
	v_pk_add_f16 v20, v5, v15
	v_max_f16_e32 v21, v60, v60
	v_lshrrev_b32_e32 v22, 16, v60
	v_max_f32_e32 v18, v18, v18
	v_lshrrev_b32_e32 v23, 16, v19
	v_lshrrev_b32_e32 v46, 16, v20
	v_min_f16_e32 v19, v21, v19
	v_min3_f16 v21, v22, v23, v46
	v_min3_f16 v19, v19, v20, v21
	v_add_co_u32 v20, vcc_lo, v16, v36
	v_add_co_ci_u32_e64 v21, null, v17, v37, vcc_lo
	v_cvt_f32_f16_e32 v19, v19
	s_and_b32 vcc_lo, exec_lo, s1
	v_min_f32_e32 v18, v18, v19
	v_mov_b32_e32 v19, 0
	v_cvt_f16_f32_e32 v22, v18
	v_mov_b32_e32 v18, 0
	global_store_short v[20:21], v22, off
	s_cbranch_vccnz .LBB278_154
; %bb.153:
	v_add_co_u32 v19, vcc_lo, v12, v42
	v_add_co_ci_u32_e64 v20, null, v13, v43, vcc_lo
	global_load_ushort v19, v[19:20], off
	s_waitcnt vmcnt(0)
	v_mul_f16_e32 v19, s3, v19
	v_cvt_f32_f16_e32 v19, v19
.LBB278_154:
	v_pk_add_f16 v20, v6, v14
	v_pk_add_f16 v21, v7, v15
	v_max_f16_e32 v22, v59, v59
	v_lshrrev_b32_e32 v23, 16, v59
	v_max_f32_e32 v19, v19, v19
	v_lshrrev_b32_e32 v46, 16, v20
	v_lshrrev_b32_e32 v47, 16, v21
	v_min_f16_e32 v20, v22, v20
	v_min3_f16 v22, v23, v46, v47
	v_min3_f16 v20, v20, v21, v22
	v_cvt_f32_f16_e32 v20, v20
	v_min_f32_e32 v19, v19, v20
	;; [unrolled: 54-line block ×3, first 2 shown]
	v_cvt_f16_f32_e32 v21, v19
	v_add_co_u32 v19, vcc_lo, v16, v38
	v_add_co_ci_u32_e64 v20, null, v17, v39, vcc_lo
	s_and_b32 vcc_lo, exec_lo, s1
	global_store_short v[19:20], v21, off
	s_cbranch_vccnz .LBB278_160
; %bb.159:
	v_add_co_u32 v12, vcc_lo, v12, v44
	v_add_co_ci_u32_e64 v13, null, v13, v45, vcc_lo
	global_load_ushort v12, v[12:13], off
	s_waitcnt vmcnt(0)
	v_mul_f16_e32 v12, s3, v12
	v_cvt_f32_f16_e32 v18, v12
.LBB278_160:
	v_pk_add_f16 v12, v24, v14
	v_pk_add_f16 v15, v25, v15
	v_max_f16_e32 v13, v56, v56
	v_lshrrev_b32_e32 v19, 16, v56
	v_add_nc_u32_e32 v14, 0xe0, v86
	v_lshrrev_b32_e32 v20, 16, v12
	v_lshrrev_b32_e32 v21, 16, v15
	v_min_f16_e32 v22, v13, v12
	v_mad_i64_i32 v[12:13], null, v14, s2, 0
	v_min3_f16 v19, v19, v20, v21
	v_max_f32_e32 v20, v18, v18
	v_add_co_u32 v18, vcc_lo, v16, v44
	v_mov_b32_e32 v16, 0
	v_min3_f16 v15, v22, v15, v19
	v_lshlrev_b64 v[12:13], 1, v[12:13]
	v_add_co_ci_u32_e64 v19, null, v17, v45, vcc_lo
	v_cvt_f32_f16_e32 v15, v15
	v_add_co_u32 v12, vcc_lo, s12, v12
	v_add_co_ci_u32_e64 v13, null, s13, v13, vcc_lo
	v_min_f32_e32 v15, v20, v15
	s_and_b32 vcc_lo, exec_lo, s1
	v_cvt_f16_f32_e32 v17, v15
	v_mov_b32_e32 v15, 0
	global_store_short v[18:19], v17, off
	s_cbranch_vccnz .LBB278_162
; %bb.161:
	v_add_co_u32 v17, vcc_lo, v12, v28
	v_add_co_ci_u32_e64 v18, null, v13, v29, vcc_lo
	global_load_ushort v15, v[17:18], off
	s_waitcnt vmcnt(0)
	v_mul_f16_e32 v15, s3, v15
	v_cvt_f32_f16_e32 v15, v15
.LBB278_162:
	v_pk_add_f16 v17, v30, v26
	v_pk_add_f16 v19, v31, v27
	v_max_f16_e32 v18, v55, v55
	v_lshrrev_b32_e32 v20, 16, v55
	v_lshrrev_b32_e32 v21, 16, v17
	;; [unrolled: 1-line block ×3, first 2 shown]
	v_min_f16_e32 v23, v18, v17
	v_mad_i64_i32 v[17:18], null, v14, s4, 0
	v_min3_f16 v20, v20, v21, v22
	v_min3_f16 v14, v23, v19, v20
	v_max_f32_e32 v19, v15, v15
	v_cvt_f32_f16_e32 v20, v14
	v_lshlrev_b64 v[14:15], 1, v[17:18]
	v_min_f32_e32 v17, v19, v20
	v_add_co_u32 v14, vcc_lo, s5, v14
	v_add_co_ci_u32_e64 v15, null, s6, v15, vcc_lo
	v_cvt_f16_f32_e32 v19, v17
	v_add_co_u32 v17, vcc_lo, v14, v28
	v_add_co_ci_u32_e64 v18, null, v15, v29, vcc_lo
	s_and_b32 vcc_lo, exec_lo, s1
	global_store_short v[17:18], v19, off
	s_cbranch_vccnz .LBB278_164
; %bb.163:
	v_add_co_u32 v16, vcc_lo, v12, v32
	v_add_co_ci_u32_e64 v17, null, v13, v33, vcc_lo
	global_load_ushort v16, v[16:17], off
	s_waitcnt vmcnt(0)
	v_mul_f16_e32 v16, s3, v16
	v_cvt_f32_f16_e32 v16, v16
.LBB278_164:
	v_pk_add_f16 v8, v8, v26
	v_pk_add_f16 v9, v9, v27
	v_max_f16_e32 v17, v54, v54
	v_lshrrev_b32_e32 v18, 16, v54
	v_lshrrev_b32_e32 v19, 16, v8
	;; [unrolled: 1-line block ×3, first 2 shown]
	v_min_f16_e32 v8, v17, v8
	v_min3_f16 v17, v18, v19, v20
	v_min3_f16 v8, v8, v9, v17
	v_max_f32_e32 v9, v16, v16
	v_add_co_u32 v16, vcc_lo, v14, v32
	v_add_co_ci_u32_e64 v17, null, v15, v33, vcc_lo
	v_cvt_f32_f16_e32 v8, v8
	s_and_b32 vcc_lo, exec_lo, s1
	v_min_f32_e32 v8, v9, v8
	v_mov_b32_e32 v9, 0
	v_cvt_f16_f32_e32 v18, v8
	v_mov_b32_e32 v8, 0
	global_store_short v[16:17], v18, off
	s_cbranch_vccnz .LBB278_166
; %bb.165:
	v_add_co_u32 v16, vcc_lo, v12, v34
	v_add_co_ci_u32_e64 v17, null, v13, v35, vcc_lo
	global_load_ushort v9, v[16:17], off
	s_waitcnt vmcnt(0)
	v_mul_f16_e32 v9, s3, v9
	v_cvt_f32_f16_e32 v9, v9
.LBB278_166:
	v_pk_add_f16 v10, v10, v26
	v_pk_add_f16 v11, v11, v27
	v_max_f16_e32 v16, v53, v53
	v_lshrrev_b32_e32 v17, 16, v53
	v_max_f32_e32 v9, v9, v9
	v_lshrrev_b32_e32 v18, 16, v10
	v_lshrrev_b32_e32 v19, 16, v11
	v_min_f16_e32 v10, v16, v10
	v_min3_f16 v16, v17, v18, v19
	v_min3_f16 v10, v10, v11, v16
	v_cvt_f32_f16_e32 v10, v10
	v_min_f32_e32 v9, v9, v10
	v_cvt_f16_f32_e32 v11, v9
	v_add_co_u32 v9, vcc_lo, v14, v34
	v_add_co_ci_u32_e64 v10, null, v15, v35, vcc_lo
	s_and_b32 vcc_lo, exec_lo, s1
	global_store_short v[9:10], v11, off
	s_cbranch_vccnz .LBB278_168
; %bb.167:
	v_add_co_u32 v8, vcc_lo, v12, v36
	v_add_co_ci_u32_e64 v9, null, v13, v37, vcc_lo
	global_load_ushort v8, v[8:9], off
	s_waitcnt vmcnt(0)
	v_mul_f16_e32 v8, s3, v8
	v_cvt_f32_f16_e32 v8, v8
.LBB278_168:
	v_pk_add_f16 v4, v4, v26
	v_pk_add_f16 v5, v5, v27
	v_max_f16_e32 v9, v52, v52
	v_lshrrev_b32_e32 v10, 16, v52
	v_lshrrev_b32_e32 v11, 16, v4
	;; [unrolled: 1-line block ×3, first 2 shown]
	v_min_f16_e32 v4, v9, v4
	v_min3_f16 v9, v10, v11, v16
	v_min3_f16 v4, v4, v5, v9
	v_max_f32_e32 v5, v8, v8
	v_add_co_u32 v8, vcc_lo, v14, v36
	v_add_co_ci_u32_e64 v9, null, v15, v37, vcc_lo
	v_cvt_f32_f16_e32 v4, v4
	s_and_b32 vcc_lo, exec_lo, s1
	v_min_f32_e32 v4, v5, v4
	v_mov_b32_e32 v5, 0
	v_cvt_f16_f32_e32 v10, v4
	v_mov_b32_e32 v4, 0
	global_store_short v[8:9], v10, off
	s_cbranch_vccnz .LBB278_170
; %bb.169:
	v_add_co_u32 v8, vcc_lo, v12, v42
	v_add_co_ci_u32_e64 v9, null, v13, v43, vcc_lo
	global_load_ushort v5, v[8:9], off
	s_waitcnt vmcnt(0)
	v_mul_f16_e32 v5, s3, v5
	v_cvt_f32_f16_e32 v5, v5
.LBB278_170:
	v_pk_add_f16 v6, v6, v26
	v_pk_add_f16 v7, v7, v27
	v_max_f16_e32 v8, v51, v51
	v_lshrrev_b32_e32 v9, 16, v51
	v_max_f32_e32 v5, v5, v5
	v_lshrrev_b32_e32 v10, 16, v6
	v_lshrrev_b32_e32 v11, 16, v7
	v_min_f16_e32 v6, v8, v6
	v_min3_f16 v8, v9, v10, v11
	v_min3_f16 v6, v6, v7, v8
	v_cvt_f32_f16_e32 v6, v6
	v_min_f32_e32 v5, v5, v6
	v_cvt_f16_f32_e32 v7, v5
	v_add_co_u32 v5, vcc_lo, v14, v42
	v_add_co_ci_u32_e64 v6, null, v15, v43, vcc_lo
	s_and_b32 vcc_lo, exec_lo, s1
	global_store_short v[5:6], v7, off
	s_cbranch_vccnz .LBB278_172
; %bb.171:
	v_add_co_u32 v4, vcc_lo, v12, v40
	v_add_co_ci_u32_e64 v5, null, v13, v41, vcc_lo
	global_load_ushort v4, v[4:5], off
	s_waitcnt vmcnt(0)
	v_mul_f16_e32 v4, s3, v4
	v_cvt_f32_f16_e32 v4, v4
.LBB278_172:
	v_pk_add_f16 v0, v0, v26
	v_pk_add_f16 v1, v1, v27
	v_max_f16_e32 v5, v50, v50
	v_lshrrev_b32_e32 v6, 16, v50
	v_pk_add_f16 v3, v3, v27
	v_lshrrev_b32_e32 v7, 16, v0
	v_lshrrev_b32_e32 v8, 16, v1
	v_min_f16_e32 v0, v5, v0
	s_mov_b32 s1, -1
	v_min3_f16 v5, v6, v7, v8
	v_lshrrev_b32_e32 v6, 16, v49
	v_lshrrev_b32_e32 v8, 16, v3
	v_min3_f16 v0, v0, v1, v5
	v_pk_add_f16 v5, v2, v26
	v_max_f32_e32 v1, v4, v4
	v_max_f16_e32 v4, v49, v49
	v_cvt_f32_f16_e32 v0, v0
	v_lshrrev_b32_e32 v7, 16, v5
	v_min_f16_e32 v4, v4, v5
	v_min_f32_e32 v0, v1, v0
	v_min3_f16 v5, v6, v7, v8
	v_add_co_u32 v1, vcc_lo, v14, v40
	v_add_co_ci_u32_e64 v2, null, v15, v41, vcc_lo
	v_cvt_f16_f32_e32 v6, v0
	v_min3_f16 v0, v4, v3, v5
	s_mov_b32 vcc_lo, s0
	global_store_short v[1:2], v6, off
	s_cbranch_vccz .LBB278_174
; %bb.173:
	v_cvt_f32_f16_e32 v1, v0
	s_mov_b32 s1, 0
	v_min_f32_e32 v1, 0, v1
	v_cvt_f16_f32_e32 v3, v1
	v_add_co_u32 v1, vcc_lo, v14, v38
	v_add_co_ci_u32_e64 v2, null, v15, v39, vcc_lo
	global_store_short v[1:2], v3, off
.LBB278_174:
	v_mov_b32_e32 v1, 0
	s_andn2_b32 vcc_lo, exec_lo, s1
	s_cbranch_vccnz .LBB278_176
; %bb.175:
	v_add_co_u32 v1, vcc_lo, v12, v38
	v_add_co_ci_u32_e64 v2, null, v13, v39, vcc_lo
	global_load_ushort v1, v[1:2], off
	v_max_f16_e32 v2, v0, v0
	v_add_co_u32 v0, vcc_lo, v14, v38
	s_waitcnt vmcnt(0)
	v_mul_f16_e32 v3, s3, v1
	v_add_co_ci_u32_e64 v1, null, v15, v39, vcc_lo
	v_min_f16_e32 v4, v3, v2
	v_add_co_u32 v2, vcc_lo, v12, v44
	v_add_co_ci_u32_e64 v3, null, v13, v45, vcc_lo
	global_store_short v[0:1], v4, off
	global_load_ushort v0, v[2:3], off
	s_waitcnt vmcnt(0)
	v_mul_f16_e32 v0, s3, v0
	v_cvt_f32_f16_e32 v1, v0
.LBB278_176:
	v_pk_add_f16 v0, v24, v26
	v_pk_add_f16 v2, v25, v27
	v_max_f16_e32 v3, v48, v48
	v_lshrrev_b32_e32 v4, 16, v48
	v_max_f32_e32 v1, v1, v1
	v_lshrrev_b32_e32 v5, 16, v0
	v_lshrrev_b32_e32 v6, 16, v2
	v_min_f16_e32 v0, v3, v0
	v_min3_f16 v3, v4, v5, v6
	v_min3_f16 v0, v0, v2, v3
	v_cvt_f32_f16_e32 v0, v0
	v_min_f32_e32 v0, v1, v0
	v_cvt_f16_f32_e32 v2, v0
	v_add_co_u32 v0, vcc_lo, v14, v44
	v_add_co_ci_u32_e64 v1, null, v15, v45, vcc_lo
	global_store_short v[0:1], v2, off
	s_endpgm
	.section	.rodata,"a",@progbits
	.p2align	6, 0x0
	.amdhsa_kernel _ZN12_GLOBAL__N_120geam_min_plus_kernelIDF16_Dv2_DF16_S1_Li8ELi32ELi64ELi256ELi4ELi4ELi64ELi64ELi4ELc84ELc84ELb0ELb0ELb1EDF16_KDF16_DF16_EEviiiT16_PT17_ilS5_ilS3_S5_ilPT18_ili26rocblas_geam_ex_operation_
		.amdhsa_group_segment_fixed_size 5120
		.amdhsa_private_segment_fixed_size 0
		.amdhsa_kernarg_size 128
		.amdhsa_user_sgpr_count 6
		.amdhsa_user_sgpr_private_segment_buffer 1
		.amdhsa_user_sgpr_dispatch_ptr 0
		.amdhsa_user_sgpr_queue_ptr 0
		.amdhsa_user_sgpr_kernarg_segment_ptr 1
		.amdhsa_user_sgpr_dispatch_id 0
		.amdhsa_user_sgpr_flat_scratch_init 0
		.amdhsa_user_sgpr_private_segment_size 0
		.amdhsa_wavefront_size32 1
		.amdhsa_uses_dynamic_stack 0
		.amdhsa_system_sgpr_private_segment_wavefront_offset 0
		.amdhsa_system_sgpr_workgroup_id_x 1
		.amdhsa_system_sgpr_workgroup_id_y 0
		.amdhsa_system_sgpr_workgroup_id_z 1
		.amdhsa_system_sgpr_workgroup_info 0
		.amdhsa_system_vgpr_workitem_id 1
		.amdhsa_next_free_vgpr 168
		.amdhsa_next_free_sgpr 24
		.amdhsa_reserve_vcc 1
		.amdhsa_reserve_flat_scratch 0
		.amdhsa_float_round_mode_32 0
		.amdhsa_float_round_mode_16_64 0
		.amdhsa_float_denorm_mode_32 3
		.amdhsa_float_denorm_mode_16_64 3
		.amdhsa_dx10_clamp 1
		.amdhsa_ieee_mode 1
		.amdhsa_fp16_overflow 0
		.amdhsa_workgroup_processor_mode 1
		.amdhsa_memory_ordered 1
		.amdhsa_forward_progress 1
		.amdhsa_shared_vgpr_count 0
		.amdhsa_exception_fp_ieee_invalid_op 0
		.amdhsa_exception_fp_denorm_src 0
		.amdhsa_exception_fp_ieee_div_zero 0
		.amdhsa_exception_fp_ieee_overflow 0
		.amdhsa_exception_fp_ieee_underflow 0
		.amdhsa_exception_fp_ieee_inexact 0
		.amdhsa_exception_int_div_zero 0
	.end_amdhsa_kernel
	.section	.text._ZN12_GLOBAL__N_120geam_min_plus_kernelIDF16_Dv2_DF16_S1_Li8ELi32ELi64ELi256ELi4ELi4ELi64ELi64ELi4ELc84ELc84ELb0ELb0ELb1EDF16_KDF16_DF16_EEviiiT16_PT17_ilS5_ilS3_S5_ilPT18_ili26rocblas_geam_ex_operation_,"axG",@progbits,_ZN12_GLOBAL__N_120geam_min_plus_kernelIDF16_Dv2_DF16_S1_Li8ELi32ELi64ELi256ELi4ELi4ELi64ELi64ELi4ELc84ELc84ELb0ELb0ELb1EDF16_KDF16_DF16_EEviiiT16_PT17_ilS5_ilS3_S5_ilPT18_ili26rocblas_geam_ex_operation_,comdat
.Lfunc_end278:
	.size	_ZN12_GLOBAL__N_120geam_min_plus_kernelIDF16_Dv2_DF16_S1_Li8ELi32ELi64ELi256ELi4ELi4ELi64ELi64ELi4ELc84ELc84ELb0ELb0ELb1EDF16_KDF16_DF16_EEviiiT16_PT17_ilS5_ilS3_S5_ilPT18_ili26rocblas_geam_ex_operation_, .Lfunc_end278-_ZN12_GLOBAL__N_120geam_min_plus_kernelIDF16_Dv2_DF16_S1_Li8ELi32ELi64ELi256ELi4ELi4ELi64ELi64ELi4ELc84ELc84ELb0ELb0ELb1EDF16_KDF16_DF16_EEviiiT16_PT17_ilS5_ilS3_S5_ilPT18_ili26rocblas_geam_ex_operation_
                                        ; -- End function
	.set _ZN12_GLOBAL__N_120geam_min_plus_kernelIDF16_Dv2_DF16_S1_Li8ELi32ELi64ELi256ELi4ELi4ELi64ELi64ELi4ELc84ELc84ELb0ELb0ELb1EDF16_KDF16_DF16_EEviiiT16_PT17_ilS5_ilS3_S5_ilPT18_ili26rocblas_geam_ex_operation_.num_vgpr, 168
	.set _ZN12_GLOBAL__N_120geam_min_plus_kernelIDF16_Dv2_DF16_S1_Li8ELi32ELi64ELi256ELi4ELi4ELi64ELi64ELi4ELc84ELc84ELb0ELb0ELb1EDF16_KDF16_DF16_EEviiiT16_PT17_ilS5_ilS3_S5_ilPT18_ili26rocblas_geam_ex_operation_.num_agpr, 0
	.set _ZN12_GLOBAL__N_120geam_min_plus_kernelIDF16_Dv2_DF16_S1_Li8ELi32ELi64ELi256ELi4ELi4ELi64ELi64ELi4ELc84ELc84ELb0ELb0ELb1EDF16_KDF16_DF16_EEviiiT16_PT17_ilS5_ilS3_S5_ilPT18_ili26rocblas_geam_ex_operation_.numbered_sgpr, 24
	.set _ZN12_GLOBAL__N_120geam_min_plus_kernelIDF16_Dv2_DF16_S1_Li8ELi32ELi64ELi256ELi4ELi4ELi64ELi64ELi4ELc84ELc84ELb0ELb0ELb1EDF16_KDF16_DF16_EEviiiT16_PT17_ilS5_ilS3_S5_ilPT18_ili26rocblas_geam_ex_operation_.num_named_barrier, 0
	.set _ZN12_GLOBAL__N_120geam_min_plus_kernelIDF16_Dv2_DF16_S1_Li8ELi32ELi64ELi256ELi4ELi4ELi64ELi64ELi4ELc84ELc84ELb0ELb0ELb1EDF16_KDF16_DF16_EEviiiT16_PT17_ilS5_ilS3_S5_ilPT18_ili26rocblas_geam_ex_operation_.private_seg_size, 0
	.set _ZN12_GLOBAL__N_120geam_min_plus_kernelIDF16_Dv2_DF16_S1_Li8ELi32ELi64ELi256ELi4ELi4ELi64ELi64ELi4ELc84ELc84ELb0ELb0ELb1EDF16_KDF16_DF16_EEviiiT16_PT17_ilS5_ilS3_S5_ilPT18_ili26rocblas_geam_ex_operation_.uses_vcc, 1
	.set _ZN12_GLOBAL__N_120geam_min_plus_kernelIDF16_Dv2_DF16_S1_Li8ELi32ELi64ELi256ELi4ELi4ELi64ELi64ELi4ELc84ELc84ELb0ELb0ELb1EDF16_KDF16_DF16_EEviiiT16_PT17_ilS5_ilS3_S5_ilPT18_ili26rocblas_geam_ex_operation_.uses_flat_scratch, 0
	.set _ZN12_GLOBAL__N_120geam_min_plus_kernelIDF16_Dv2_DF16_S1_Li8ELi32ELi64ELi256ELi4ELi4ELi64ELi64ELi4ELc84ELc84ELb0ELb0ELb1EDF16_KDF16_DF16_EEviiiT16_PT17_ilS5_ilS3_S5_ilPT18_ili26rocblas_geam_ex_operation_.has_dyn_sized_stack, 0
	.set _ZN12_GLOBAL__N_120geam_min_plus_kernelIDF16_Dv2_DF16_S1_Li8ELi32ELi64ELi256ELi4ELi4ELi64ELi64ELi4ELc84ELc84ELb0ELb0ELb1EDF16_KDF16_DF16_EEviiiT16_PT17_ilS5_ilS3_S5_ilPT18_ili26rocblas_geam_ex_operation_.has_recursion, 0
	.set _ZN12_GLOBAL__N_120geam_min_plus_kernelIDF16_Dv2_DF16_S1_Li8ELi32ELi64ELi256ELi4ELi4ELi64ELi64ELi4ELc84ELc84ELb0ELb0ELb1EDF16_KDF16_DF16_EEviiiT16_PT17_ilS5_ilS3_S5_ilPT18_ili26rocblas_geam_ex_operation_.has_indirect_call, 0
	.section	.AMDGPU.csdata,"",@progbits
; Kernel info:
; codeLenInByte = 19880
; TotalNumSgprs: 26
; NumVgprs: 168
; ScratchSize: 0
; MemoryBound: 0
; FloatMode: 240
; IeeeMode: 1
; LDSByteSize: 5120 bytes/workgroup (compile time only)
; SGPRBlocks: 0
; VGPRBlocks: 20
; NumSGPRsForWavesPerEU: 26
; NumVGPRsForWavesPerEU: 168
; Occupancy: 5
; WaveLimiterHint : 1
; COMPUTE_PGM_RSRC2:SCRATCH_EN: 0
; COMPUTE_PGM_RSRC2:USER_SGPR: 6
; COMPUTE_PGM_RSRC2:TRAP_HANDLER: 0
; COMPUTE_PGM_RSRC2:TGID_X_EN: 1
; COMPUTE_PGM_RSRC2:TGID_Y_EN: 0
; COMPUTE_PGM_RSRC2:TGID_Z_EN: 1
; COMPUTE_PGM_RSRC2:TIDIG_COMP_CNT: 1
	.section	.text._ZN12_GLOBAL__N_120geam_min_plus_kernelIDF16_Dv2_DF16_S1_Li8ELi32ELi64ELi256ELi4ELi4ELi64ELi64ELi4ELc84ELc84ELb0ELb1ELb1EPKDF16_S2_DF16_EEviiiT16_PT17_ilS6_ilS4_S6_ilPT18_ili26rocblas_geam_ex_operation_,"axG",@progbits,_ZN12_GLOBAL__N_120geam_min_plus_kernelIDF16_Dv2_DF16_S1_Li8ELi32ELi64ELi256ELi4ELi4ELi64ELi64ELi4ELc84ELc84ELb0ELb1ELb1EPKDF16_S2_DF16_EEviiiT16_PT17_ilS6_ilS4_S6_ilPT18_ili26rocblas_geam_ex_operation_,comdat
	.globl	_ZN12_GLOBAL__N_120geam_min_plus_kernelIDF16_Dv2_DF16_S1_Li8ELi32ELi64ELi256ELi4ELi4ELi64ELi64ELi4ELc84ELc84ELb0ELb1ELb1EPKDF16_S2_DF16_EEviiiT16_PT17_ilS6_ilS4_S6_ilPT18_ili26rocblas_geam_ex_operation_ ; -- Begin function _ZN12_GLOBAL__N_120geam_min_plus_kernelIDF16_Dv2_DF16_S1_Li8ELi32ELi64ELi256ELi4ELi4ELi64ELi64ELi4ELc84ELc84ELb0ELb1ELb1EPKDF16_S2_DF16_EEviiiT16_PT17_ilS6_ilS4_S6_ilPT18_ili26rocblas_geam_ex_operation_
	.p2align	8
	.type	_ZN12_GLOBAL__N_120geam_min_plus_kernelIDF16_Dv2_DF16_S1_Li8ELi32ELi64ELi256ELi4ELi4ELi64ELi64ELi4ELc84ELc84ELb0ELb1ELb1EPKDF16_S2_DF16_EEviiiT16_PT17_ilS6_ilS4_S6_ilPT18_ili26rocblas_geam_ex_operation_,@function
_ZN12_GLOBAL__N_120geam_min_plus_kernelIDF16_Dv2_DF16_S1_Li8ELi32ELi64ELi256ELi4ELi4ELi64ELi64ELi4ELc84ELc84ELb0ELb1ELb1EPKDF16_S2_DF16_EEviiiT16_PT17_ilS6_ilS4_S6_ilPT18_ili26rocblas_geam_ex_operation_: ; @_ZN12_GLOBAL__N_120geam_min_plus_kernelIDF16_Dv2_DF16_S1_Li8ELi32ELi64ELi256ELi4ELi4ELi64ELi64ELi4ELc84ELc84ELb0ELb1ELb1EPKDF16_S2_DF16_EEviiiT16_PT17_ilS6_ilS4_S6_ilPT18_ili26rocblas_geam_ex_operation_
; %bb.0:
	s_clause 0x1
	s_load_dwordx4 s[0:3], s[4:5], 0x10
	s_load_dwordx4 s[8:11], s[4:5], 0x40
	s_mov_b32 s18, s7
	s_mov_b32 s19, 0
	v_mov_b32_e32 v2, 0
	s_lshl_b64 s[20:21], s[18:19], 1
	s_clause 0x1
	s_load_dwordx4 s[12:15], s[4:5], 0x28
	s_load_dwordx2 s[16:17], s[4:5], 0x50
	s_mov_b64 s[22:23], 0
	s_waitcnt lgkmcnt(0)
	s_add_u32 s0, s0, s20
	s_addc_u32 s1, s1, s21
	global_load_ushort v47, v2, s[0:1]
	s_add_u32 s0, s10, s20
	s_addc_u32 s1, s11, s21
	s_mov_b64 s[20:21], 0
	global_load_ushort v48, v2, s[0:1]
	s_waitcnt vmcnt(1)
	v_cmp_eq_f16_e32 vcc_lo, 0, v47
	v_cmp_neq_f16_e64 s0, 0, v47
	s_cbranch_vccnz .LBB279_2
; %bb.1:
	s_mul_i32 s1, s13, s18
	s_mul_hi_u32 s7, s12, s18
	s_mul_i32 s10, s12, s18
	s_add_i32 s11, s7, s1
	s_lshl_b64 s[10:11], s[10:11], 1
	s_add_u32 s22, s2, s10
	s_addc_u32 s23, s3, s11
.LBB279_2:
	s_andn2_b32 vcc_lo, exec_lo, s0
	s_cbranch_vccnz .LBB279_4
; %bb.3:
	s_mul_i32 s0, s9, s18
	s_mul_hi_u32 s1, s8, s18
	s_add_i32 s1, s1, s0
	s_mul_i32 s0, s8, s18
	s_lshl_b64 s[0:1], s[0:1], 1
	s_add_u32 s20, s14, s0
	s_addc_u32 s21, s15, s1
.LBB279_4:
	s_load_dwordx4 s[8:11], s[4:5], 0x60
	s_waitcnt vmcnt(0)
	v_cmp_eq_f16_e32 vcc_lo, 0, v48
	v_cmp_neq_f16_e64 s1, 0, v48
	s_cbranch_vccnz .LBB279_6
; %bb.5:
	s_waitcnt lgkmcnt(0)
	s_mul_i32 s0, s9, s18
	s_mul_hi_u32 s2, s8, s18
	s_add_i32 s3, s2, s0
	s_mul_i32 s2, s8, s18
	s_lshl_b64 s[2:3], s[2:3], 1
	s_add_u32 s16, s16, s2
	s_addc_u32 s17, s17, s3
	s_branch .LBB279_7
.LBB279_6:
	s_mov_b64 s[16:17], 0
.LBB279_7:
	s_clause 0x1
	s_load_dwordx4 s[12:15], s[4:5], 0x0
	s_load_dword s25, s[4:5], 0x20
	v_lshl_add_u32 v4, v1, 3, v0
	v_and_b32_e32 v75, 3, v0
                                        ; implicit-def: $vgpr3
	s_waitcnt lgkmcnt(0)
	s_add_i32 s0, s12, -1
	s_ashr_i32 s2, s0, 31
	s_lshr_b32 s2, s2, 26
	s_add_i32 s0, s0, s2
	s_ashr_i32 s0, s0, 6
	s_add_i32 s2, s0, 1
	s_not_b32 s0, s0
	v_cvt_f32_u32_e32 v2, s2
	v_rcp_iflag_f32_e32 v2, v2
	v_mul_f32_e32 v2, 0x4f7ffffe, v2
	v_cvt_u32_f32_e32 v2, v2
	v_readfirstlane_b32 s3, v2
	v_lshrrev_b32_e32 v2, 2, v4
	s_mul_i32 s0, s0, s3
	s_mul_hi_u32 s0, s3, s0
	s_add_i32 s3, s3, s0
	s_mul_hi_u32 s0, s6, s3
	s_mul_i32 s3, s0, s2
	s_add_i32 s7, s0, 1
	s_sub_i32 s3, s6, s3
	s_sub_i32 s8, s3, s2
	s_cmp_ge_u32 s3, s2
	s_cselect_b32 s0, s7, s0
	s_cselect_b32 s3, s8, s3
	s_add_i32 s7, s0, 1
	s_cmp_ge_u32 s3, s2
                                        ; implicit-def: $sgpr8
	s_cselect_b32 s3, s7, s0
	s_mul_i32 s0, s3, s2
	v_cmp_le_i32_e64 s2, s14, v75
	s_sub_i32 s0, s6, s0
	s_lshl_b32 s15, s0, 6
	v_cmp_eq_f16_e64 s0, 0, v47
	v_add_nc_u32_e32 v30, s15, v2
	v_cmp_le_i32_e32 vcc_lo, s12, v30
	s_or_b32 s6, s2, vcc_lo
	s_nor_b32 s2, s0, s6
	s_and_saveexec_b32 s7, s2
	s_xor_b32 s7, exec_lo, s7
	s_cbranch_execz .LBB279_9
; %bb.8:
	v_mad_i64_i32 v[5:6], null, v30, s25, 0
	s_add_i32 s8, s14, -1
	v_min_u32_e32 v3, s8, v75
	v_lshlrev_b64 v[5:6], 1, v[5:6]
	v_lshlrev_b32_e32 v3, 1, v3
	v_add_co_u32 v5, s2, s22, v5
	v_add_co_ci_u32_e64 v6, null, s23, v6, s2
	v_add_co_u32 v5, s2, v5, v3
	v_add_co_ci_u32_e64 v6, null, 0, v6, s2
	global_load_ushort v3, v[5:6], off
	s_waitcnt vmcnt(0)
	v_mul_f16_e32 v3, v47, v3
.LBB279_9:
	s_or_saveexec_b32 s2, s7
	v_mov_b32_e32 v5, s8
	s_xor_b32 exec_lo, exec_lo, s2
; %bb.10:
	s_add_i32 s7, s14, -1
	v_cndmask_b32_e64 v3, 0, 0x7c00, s6
	v_mov_b32_e32 v5, s7
; %bb.11:
	s_or_b32 exec_lo, exec_lo, s2
	s_load_dword s24, s[4:5], 0x38
	v_lshrrev_b32_e32 v83, 6, v4
	s_lshl_b32 s19, s3, 8
	v_min_i32_e32 v6, v83, v5
	v_and_b32_e32 v5, 63, v4
	v_cmp_le_i32_e64 s8, s14, v83
	v_or_b32_e32 v22, s19, v5
	v_cmp_le_i32_e64 s2, s13, v22
	v_ashrrev_i32_e32 v23, 31, v22
	s_waitcnt lgkmcnt(0)
	v_mad_i64_i32 v[6:7], null, v6, s24, 0
	s_or_b32 s6, s2, s8
	v_cndmask_b32_e64 v4, 0, 0x7c00, s6
	v_lshlrev_b64 v[6:7], 1, v[6:7]
	v_add_co_u32 v9, s3, s20, v6
	v_add_co_ci_u32_e64 v10, null, s21, v7, s3
	s_nor_b32 s3, s0, s6
	s_and_saveexec_b32 s6, s3
	s_cbranch_execz .LBB279_13
; %bb.12:
	v_lshlrev_b64 v[6:7], 1, v[22:23]
	v_add_co_u32 v6, s3, v9, v6
	v_add_co_ci_u32_e64 v7, null, v10, v7, s3
	global_load_ushort v4, v[6:7], off
	s_waitcnt vmcnt(0)
	v_mul_f16_e32 v4, v47, v4
.LBB279_13:
	s_or_b32 exec_lo, exec_lo, s6
	v_or_b32_e32 v6, 64, v22
	s_add_i32 s9, s13, -1
	v_cmp_le_i32_e64 s3, s13, v6
	v_min_i32_e32 v24, s9, v6
	s_or_b32 s6, s3, s8
	v_ashrrev_i32_e32 v25, 31, v24
	v_cndmask_b32_e64 v6, 0, 0x7c00, s6
	s_nor_b32 s6, s6, s0
	s_and_saveexec_b32 s7, s6
	s_cbranch_execz .LBB279_15
; %bb.14:
	v_lshlrev_b64 v[6:7], 1, v[24:25]
	v_add_co_u32 v6, s6, v9, v6
	v_add_co_ci_u32_e64 v7, null, v10, v7, s6
	global_load_ushort v6, v[6:7], off
	s_waitcnt vmcnt(0)
	v_mul_f16_e32 v6, v47, v6
.LBB279_15:
	s_or_b32 exec_lo, exec_lo, s7
	v_or_b32_e32 v7, 0x80, v22
	v_cmp_le_i32_e64 s6, s13, v7
	v_min_i32_e32 v26, s9, v7
	s_or_b32 s7, s6, s8
	v_ashrrev_i32_e32 v27, 31, v26
	v_cndmask_b32_e64 v7, 0, 0x7c00, s7
	s_nor_b32 s7, s7, s0
	s_and_saveexec_b32 s26, s7
	s_cbranch_execz .LBB279_17
; %bb.16:
	v_lshlrev_b64 v[7:8], 1, v[26:27]
	v_add_co_u32 v7, s7, v9, v7
	v_add_co_ci_u32_e64 v8, null, v10, v8, s7
	global_load_ushort v7, v[7:8], off
	s_waitcnt vmcnt(0)
	v_mul_f16_e32 v7, v47, v7
.LBB279_17:
	s_or_b32 exec_lo, exec_lo, s26
	v_or_b32_e32 v8, 0xc0, v22
	;; [unrolled: 18-line block ×3, first 2 shown]
                                        ; implicit-def: $vgpr31
                                        ; implicit-def: $sgpr27
	v_cmp_le_i32_e64 s8, s14, v9
	s_or_b32 s9, s8, vcc_lo
	s_nor_b32 s8, s0, s9
	s_and_saveexec_b32 s26, s8
	s_xor_b32 s26, exec_lo, s26
	s_cbranch_execz .LBB279_21
; %bb.20:
	v_mad_i64_i32 v[10:11], null, v30, s25, 0
	s_add_i32 s27, s14, -1
	v_min_u32_e32 v12, s27, v9
	v_lshlrev_b64 v[9:10], 1, v[10:11]
	v_lshlrev_b32_e32 v11, 1, v12
	v_add_co_u32 v9, s8, s22, v9
	v_add_co_ci_u32_e64 v10, null, s23, v10, s8
	v_add_co_u32 v9, s8, v9, v11
	v_add_co_ci_u32_e64 v10, null, 0, v10, s8
	global_load_ushort v9, v[9:10], off
	s_waitcnt vmcnt(0)
	v_mul_f16_e32 v31, v47, v9
.LBB279_21:
	s_or_saveexec_b32 s8, s26
	v_mov_b32_e32 v9, s27
	s_xor_b32 exec_lo, exec_lo, s8
; %bb.22:
	s_add_i32 s26, s14, -1
	v_cndmask_b32_e64 v31, 0, 0x7c00, s9
	v_mov_b32_e32 v9, s26
; %bb.23:
	s_or_b32 exec_lo, exec_lo, s8
	v_add_nc_u32_e32 v11, 4, v83
	v_min_i32_e32 v9, v11, v9
	v_cmp_le_i32_e64 s8, s14, v11
	v_mad_i64_i32 v[9:10], null, v9, s24, 0
	v_lshlrev_b64 v[9:10], 1, v[9:10]
	v_add_co_u32 v9, s9, s20, v9
	v_add_co_ci_u32_e64 v10, null, s21, v10, s9
	s_or_b32 s9, s2, s8
	v_cndmask_b32_e64 v32, 0, 0x7c00, s9
	s_nor_b32 s9, s0, s9
	s_and_saveexec_b32 s26, s9
	s_cbranch_execz .LBB279_25
; %bb.24:
	v_lshlrev_b64 v[11:12], 1, v[22:23]
	v_add_co_u32 v11, s9, v9, v11
	v_add_co_ci_u32_e64 v12, null, v10, v12, s9
	global_load_ushort v11, v[11:12], off
	s_waitcnt vmcnt(0)
	v_mul_f16_e32 v32, v47, v11
.LBB279_25:
	s_or_b32 exec_lo, exec_lo, s26
	s_or_b32 s9, s3, s8
	v_cndmask_b32_e64 v33, 0, 0x7c00, s9
	s_nor_b32 s9, s9, s0
	s_and_saveexec_b32 s26, s9
	s_cbranch_execz .LBB279_27
; %bb.26:
	v_lshlrev_b64 v[11:12], 1, v[24:25]
	v_add_co_u32 v11, s9, v9, v11
	v_add_co_ci_u32_e64 v12, null, v10, v12, s9
	global_load_ushort v11, v[11:12], off
	s_waitcnt vmcnt(0)
	v_mul_f16_e32 v33, v47, v11
.LBB279_27:
	s_or_b32 exec_lo, exec_lo, s26
	;; [unrolled: 14-line block ×4, first 2 shown]
	v_lshlrev_b32_e32 v34, 1, v75
	v_lshlrev_b32_e32 v102, 3, v0
	;; [unrolled: 1-line block ×4, first 2 shown]
	s_cmp_lt_i32 s14, 9
	v_lshl_or_b32 v37, v2, 3, v34
	v_add_nc_u32_e32 v2, 0x1000, v102
	v_lshl_add_u32 v107, v83, 1, v5
	ds_write_b16 v37, v3 offset:4096
	ds_write_b16 v107, v4
	ds_write_b16 v107, v6 offset:512
	ds_write_b16 v107, v7 offset:1024
	;; [unrolled: 1-line block ×3, first 2 shown]
	s_waitcnt lgkmcnt(0)
	s_barrier
	buffer_gl0_inv
	ds_read2_b64 v[18:21], v2 offset1:8
	ds_read2_b64 v[38:41], v101 offset1:32
	ds_read2_b64 v[14:17], v2 offset0:16 offset1:24
	ds_read2_b64 v[10:13], v2 offset0:32 offset1:40
	;; [unrolled: 1-line block ×6, first 2 shown]
	ds_write_b16 v37, v31 offset:4608
	ds_write_b16 v107, v32 offset:2048
	;; [unrolled: 1-line block ×5, first 2 shown]
	s_waitcnt lgkmcnt(0)
	s_barrier
	buffer_gl0_inv
	v_pk_add_f16 v46, v18, v38
	v_pk_add_f16 v53, v20, v38
	;; [unrolled: 1-line block ×64, first 2 shown]
	v_pk_min_f16 v46, 0x7c00, v46 op_sel_hi:[0,1]
	v_pk_add_f16 v85, v21, v39
	v_pk_min_f16 v53, 0x7c00, v53 op_sel_hi:[0,1]
	v_pk_add_f16 v86, v15, v39
	;; [unrolled: 2-line block ×3, first 2 shown]
	v_pk_add_f16 v4, v11, v39
	v_pk_min_f16 v8, 0x7c00, v56 op_sel_hi:[0,1]
	v_pk_add_f16 v87, v17, v39
	v_pk_min_f16 v55, 0x7c00, v55 op_sel_hi:[0,1]
	v_pk_min_f16 v117, v46, v84
	v_pk_min_f16 v116, v53, v85
	;; [unrolled: 1-line block ×3, first 2 shown]
	v_pk_add_f16 v46, v13, v39
	v_pk_min_f16 v53, 0x7c00, v57 op_sel_hi:[0,1]
	v_pk_add_f16 v54, v3, v39
	v_pk_add_f16 v39, v5, v39
	v_pk_min_f16 v38, 0x7c00, v38 op_sel_hi:[0,1]
	v_pk_min_f16 v113, v8, v4
	v_pk_add_f16 v4, v21, v41
	v_pk_min_f16 v8, 0x7c00, v60 op_sel_hi:[0,1]
	v_pk_min_f16 v114, v55, v87
	v_pk_min_f16 v55, 0x7c00, v58 op_sel_hi:[0,1]
	v_pk_add_f16 v56, v19, v41
	v_pk_min_f16 v57, 0x7c00, v59 op_sel_hi:[0,1]
	v_pk_min_f16 v112, v53, v46
	v_pk_min_f16 v110, v38, v39
	v_pk_add_f16 v38, v15, v41
	v_pk_min_f16 v39, 0x7c00, v61 op_sel_hi:[0,1]
	v_pk_add_f16 v46, v17, v41
	v_pk_min_f16 v53, 0x7c00, v62 op_sel_hi:[0,1]
	v_pk_min_f16 v108, v8, v4
	v_pk_add_f16 v4, v3, v41
	v_pk_min_f16 v8, 0x7c00, v65 op_sel_hi:[0,1]
	v_pk_min_f16 v111, v55, v54
	v_pk_min_f16 v109, v57, v56
	v_pk_add_f16 v54, v11, v41
	v_pk_min_f16 v55, 0x7c00, v63 op_sel_hi:[0,1]
	v_pk_add_f16 v56, v13, v41
	v_pk_min_f16 v106, v39, v38
	v_pk_min_f16 v105, v53, v46
	v_pk_add_f16 v38, v5, v41
	v_pk_min_f16 v39, 0x7c00, v40 op_sel_hi:[0,1]
	v_pk_add_f16 v40, v19, v43
	v_pk_min_f16 v41, 0x7c00, v66 op_sel_hi:[0,1]
	;; [unrolled: 2-line block ×3, first 2 shown]
	v_pk_min_f16 v99, v8, v4
	v_pk_add_f16 v4, v17, v43
	v_pk_min_f16 v8, 0x7c00, v69 op_sel_hi:[0,1]
	v_pk_min_f16 v104, v55, v54
	v_pk_add_f16 v54, v15, v43
	v_pk_min_f16 v103, v39, v38
	v_pk_min_f16 v98, v41, v40
	;; [unrolled: 1-line block ×3, first 2 shown]
	v_pk_add_f16 v38, v11, v43
	v_pk_min_f16 v39, 0x7c00, v70 op_sel_hi:[0,1]
	v_pk_add_f16 v40, v13, v43
	v_pk_min_f16 v41, 0x7c00, v71 op_sel_hi:[0,1]
	v_pk_add_f16 v46, v3, v43
	v_pk_add_f16 v43, v5, v43
	v_pk_min_f16 v42, 0x7c00, v42 op_sel_hi:[0,1]
	v_pk_min_f16 v95, v8, v4
	v_pk_add_f16 v4, v19, v45
	v_pk_min_f16 v8, 0x7c00, v73 op_sel_hi:[0,1]
	v_pk_min_f16 v53, 0x7c00, v72 op_sel_hi:[0,1]
	v_pk_min_f16 v94, v39, v38
	v_pk_min_f16 v93, v41, v40
	;; [unrolled: 1-line block ×3, first 2 shown]
	v_pk_add_f16 v38, v21, v45
	v_pk_min_f16 v39, 0x7c00, v74 op_sel_hi:[0,1]
	v_pk_add_f16 v40, v15, v45
	v_pk_min_f16 v41, 0x7c00, v76 op_sel_hi:[0,1]
	;; [unrolled: 2-line block ×3, first 2 shown]
	v_pk_min_f16 v90, v8, v4
	v_pk_add_f16 v4, v13, v45
	v_pk_min_f16 v8, 0x7c00, v79 op_sel_hi:[0,1]
	v_pk_min_f16 v92, v53, v46
	v_pk_add_f16 v46, v11, v45
	v_pk_min_f16 v89, v39, v38
	v_pk_min_f16 v88, v41, v40
	;; [unrolled: 1-line block ×3, first 2 shown]
	v_pk_add_f16 v38, v3, v45
	v_pk_min_f16 v39, 0x7c00, v80 op_sel_hi:[0,1]
	v_pk_add_f16 v40, v5, v45
	v_pk_min_f16 v41, 0x7c00, v44 op_sel_hi:[0,1]
	;; [unrolled: 2-line block ×4, first 2 shown]
	v_pk_min_f16 v85, v8, v4
	v_pk_add_f16 v4, v15, v50
	v_pk_min_f16 v8, 0x7c00, v118 op_sel_hi:[0,1]
	v_pk_min_f16 v84, v39, v38
	v_pk_min_f16 v82, v41, v40
	v_pk_min_f16 v81, v43, v42
	v_pk_min_f16 v80, v45, v44
	v_pk_add_f16 v38, v17, v50
	v_pk_min_f16 v39, 0x7c00, v119 op_sel_hi:[0,1]
	v_pk_add_f16 v40, v11, v50
	v_pk_min_f16 v41, 0x7c00, v120 op_sel_hi:[0,1]
	v_pk_add_f16 v42, v13, v50
	v_pk_min_f16 v43, 0x7c00, v121 op_sel_hi:[0,1]
	v_pk_add_f16 v44, v3, v50
	v_pk_min_f16 v45, 0x7c00, v122 op_sel_hi:[0,1]
	v_pk_min_f16 v79, v8, v4
	v_pk_add_f16 v4, v5, v50
	v_pk_min_f16 v8, 0x7c00, v49 op_sel_hi:[0,1]
	v_pk_min_f16 v53, 0x7c00, v78 op_sel_hi:[0,1]
	v_pk_min_f16 v78, v39, v38
	v_pk_min_f16 v77, v41, v40
	v_pk_min_f16 v76, v43, v42
	v_pk_min_f16 v74, v45, v44
	v_pk_add_f16 v38, v19, v52
	v_pk_min_f16 v39, 0x7c00, v123 op_sel_hi:[0,1]
	v_pk_add_f16 v40, v21, v52
	v_pk_min_f16 v41, 0x7c00, v124 op_sel_hi:[0,1]
	v_pk_add_f16 v42, v15, v52
	v_pk_min_f16 v43, 0x7c00, v125 op_sel_hi:[0,1]
	v_pk_add_f16 v44, v17, v52
	v_pk_min_f16 v45, 0x7c00, v126 op_sel_hi:[0,1]
	v_pk_min_f16 v73, v8, v4
	v_pk_add_f16 v4, v11, v52
	v_pk_min_f16 v8, 0x7c00, v127 op_sel_hi:[0,1]
	v_pk_min_f16 v55, 0x7c00, v68 op_sel_hi:[0,1]
	v_pk_min_f16 v72, v39, v38
	v_pk_min_f16 v71, v41, v40
	v_pk_min_f16 v70, v43, v42
	v_pk_min_f16 v69, v45, v44
	v_pk_add_f16 v38, v13, v52
	v_pk_min_f16 v39, 0x7c00, v128 op_sel_hi:[0,1]
	v_pk_add_f16 v40, v3, v52
	v_pk_min_f16 v41, 0x7c00, v129 op_sel_hi:[0,1]
	v_pk_add_f16 v42, v5, v52
	v_pk_min_f16 v43, 0x7c00, v51 op_sel_hi:[0,1]
	v_pk_add_f16 v44, v19, v7
	v_pk_min_f16 v45, 0x7c00, v130 op_sel_hi:[0,1]
	v_pk_min_f16 v68, v8, v4
	v_pk_add_f16 v4, v21, v7
	v_pk_min_f16 v8, 0x7c00, v131 op_sel_hi:[0,1]
	v_pk_min_f16 v57, 0x7c00, v64 op_sel_hi:[0,1]
	v_pk_min_f16 v67, v39, v38
	v_pk_min_f16 v66, v41, v40
	;; [unrolled: 1-line block ×4, first 2 shown]
	v_pk_add_f16 v38, v15, v7
	v_pk_add_f16 v40, v17, v7
	;; [unrolled: 1-line block ×4, first 2 shown]
	v_pk_min_f16 v63, v8, v4
	v_pk_add_f16 v4, v3, v7
	v_pk_min_f16 v8, 0x7c00, v136 op_sel_hi:[0,1]
	v_pk_add_f16 v7, v5, v7
	v_pk_min_f16 v6, 0x7c00, v6 op_sel_hi:[0,1]
	v_pk_min_f16 v100, v57, v56
	v_pk_min_f16 v39, 0x7c00, v132 op_sel_hi:[0,1]
	v_pk_min_f16 v41, 0x7c00, v133 op_sel_hi:[0,1]
	;; [unrolled: 1-line block ×4, first 2 shown]
	v_pk_add_f16 v19, v19, v9
	v_pk_min_f16 v18, 0x7c00, v18 op_sel_hi:[0,1]
	v_pk_add_f16 v21, v21, v9
	v_pk_min_f16 v20, 0x7c00, v20 op_sel_hi:[0,1]
	;; [unrolled: 2-line block ×3, first 2 shown]
	v_pk_min_f16 v58, v8, v4
	v_pk_min_f16 v57, v6, v7
	v_pk_add_f16 v4, v17, v9
	v_pk_min_f16 v6, 0x7c00, v16 op_sel_hi:[0,1]
	v_pk_add_f16 v7, v11, v9
	v_pk_min_f16 v8, 0x7c00, v10 op_sel_hi:[0,1]
	;; [unrolled: 2-line block ×5, first 2 shown]
	v_pk_min_f16 v96, v55, v54
	v_pk_min_f16 v86, v53, v46
	;; [unrolled: 1-line block ×14, first 2 shown]
	s_cbranch_scc1 .LBB279_58
; %bb.32:
	v_mad_i64_i32 v[2:3], null, s25, v30, 0
	v_add_nc_u32_e32 v118, 0x1000, v37
	v_add_nc_u32_e32 v120, 0x1200, v37
	v_lshlrev_b64 v[37:38], 1, v[22:23]
	v_lshlrev_b64 v[39:40], 1, v[24:25]
	;; [unrolled: 1-line block ×5, first 2 shown]
	v_or_b32_e32 v119, 0x1000, v102
	v_add_nc_u32_e32 v121, 0x800, v107
	v_lshl_add_u32 v122, v0, 3, 0x1200
	v_lshl_or_b32 v123, v1, 3, 0x800
	s_mov_b32 s25, 0
	v_add_co_u32 v2, s8, v2, v34
	v_add_co_ci_u32_e64 v3, null, 0, v3, s8
	v_add_co_u32 v2, s8, s22, v2
	v_add_co_ci_u32_e64 v3, null, s23, v3, s8
	s_add_i32 s22, s14, -8
	v_add_co_u32 v45, s8, v2, 16
	v_add_co_ci_u32_e64 v46, null, 0, v3, s8
	s_add_i32 s23, s14, -1
	s_branch .LBB279_34
.LBB279_33:                             ;   in Loop: Header=BB279_34 Depth=1
	s_or_b32 exec_lo, exec_lo, s9
	v_pk_add_f16 v14, v2, v33
	v_pk_max_f16 v15, v117, v117
	v_pk_add_f16 v16, v4, v33
	v_pk_max_f16 v116, v116, v116
	v_pk_add_f16 v117, v17, v33
	v_pk_max_f16 v114, v114, v114
	v_pk_min_f16 v14, v15, v14
	v_pk_max_f16 v15, v115, v115
	v_pk_add_f16 v115, v19, v33
	v_pk_add_f16 v129, v21, v33
	v_pk_max_f16 v113, v113, v113
	v_pk_add_f16 v130, v23, v33
	v_pk_min_f16 v16, v116, v16
	v_pk_min_f16 v15, v15, v117
	;; [unrolled: 1-line block ×3, first 2 shown]
	v_pk_add_f16 v115, v25, v33
	v_pk_max_f16 v111, v111, v111
	v_pk_add_f16 v33, v27, v33
	v_pk_max_f16 v110, v110, v110
	;; [unrolled: 2-line block ×4, first 2 shown]
	v_pk_min_f16 v113, v113, v129
	v_pk_add_f16 v129, v17, v35
	v_pk_min_f16 v111, v111, v115
	v_pk_min_f16 v33, v110, v33
	;; [unrolled: 1-line block ×4, first 2 shown]
	v_pk_add_f16 v110, v19, v35
	v_pk_max_f16 v105, v105, v105
	v_pk_add_f16 v115, v21, v35
	v_pk_max_f16 v104, v104, v104
	v_pk_add_f16 v116, v23, v35
	v_pk_add_f16 v117, v25, v35
	;; [unrolled: 1-line block ×3, first 2 shown]
	v_pk_max_f16 v103, v103, v103
	v_pk_max_f16 v100, v100, v100
	;; [unrolled: 1-line block ×3, first 2 shown]
	v_pk_min_f16 v105, v105, v110
	v_pk_min_f16 v104, v104, v115
	;; [unrolled: 1-line block ×3, first 2 shown]
	v_pk_add_f16 v103, v2, v10
	v_pk_max_f16 v98, v98, v98
	v_pk_add_f16 v110, v4, v10
	v_pk_max_f16 v97, v97, v97
	;; [unrolled: 2-line block ×3, first 2 shown]
	v_pk_min_f16 v100, v100, v116
	v_pk_min_f16 v99, v99, v117
	v_pk_add_f16 v116, v19, v10
	v_pk_max_f16 v95, v95, v95
	v_pk_add_f16 v117, v21, v10
	v_pk_min_f16 v98, v98, v103
	v_pk_min_f16 v97, v97, v110
	;; [unrolled: 1-line block ×3, first 2 shown]
	v_pk_add_f16 v103, v23, v10
	v_pk_max_f16 v93, v93, v93
	v_pk_add_f16 v110, v25, v10
	v_pk_max_f16 v92, v92, v92
	;; [unrolled: 2-line block ×4, first 2 shown]
	v_pk_min_f16 v95, v95, v116
	v_pk_add_f16 v116, v4, v12
	v_pk_max_f16 v89, v89, v89
	v_pk_min_f16 v93, v93, v103
	v_pk_min_f16 v92, v92, v110
	;; [unrolled: 1-line block ×4, first 2 shown]
	v_pk_add_f16 v91, v17, v12
	v_pk_max_f16 v88, v88, v88
	v_pk_add_f16 v103, v19, v12
	v_pk_max_f16 v87, v87, v87
	;; [unrolled: 2-line block ×4, first 2 shown]
	v_pk_min_f16 v89, v89, v116
	v_pk_add_f16 v116, v25, v12
	v_pk_min_f16 v88, v88, v91
	v_pk_min_f16 v87, v87, v103
	;; [unrolled: 1-line block ×4, first 2 shown]
	v_pk_add_f16 v12, v27, v12
	v_pk_max_f16 v82, v82, v82
	v_pk_add_f16 v91, v2, v6
	v_pk_max_f16 v81, v81, v81
	;; [unrolled: 2-line block ×5, first 2 shown]
	v_pk_max_f16 v94, v94, v94
	v_pk_max_f16 v84, v84, v84
	v_pk_min_f16 v12, v82, v12
	v_pk_min_f16 v81, v81, v91
	v_pk_min_f16 v82, v80, v103
	v_pk_min_f16 v91, v79, v110
	v_pk_min_f16 v103, v78, v115
	v_pk_add_f16 v78, v21, v6
	v_pk_max_f16 v77, v77, v77
	v_pk_add_f16 v79, v23, v6
	v_pk_max_f16 v76, v76, v76
	;; [unrolled: 2-line block ×4, first 2 shown]
	v_pk_max_f16 v112, v112, v112
	v_pk_min_f16 v94, v94, v117
	v_pk_min_f16 v84, v84, v116
	v_pk_add_f16 v110, v2, v8
	v_pk_max_f16 v72, v72, v72
	v_pk_min_f16 v115, v77, v78
	v_pk_min_f16 v116, v76, v79
	;; [unrolled: 1-line block ×4, first 2 shown]
	v_pk_add_f16 v73, v17, v8
	v_pk_max_f16 v70, v70, v70
	v_pk_add_f16 v74, v19, v8
	v_pk_max_f16 v69, v69, v69
	;; [unrolled: 2-line block ×4, first 2 shown]
	v_pk_min_f16 v112, v112, v130
	v_pk_min_f16 v110, v72, v110
	v_pk_add_f16 v72, v4, v8
	v_pk_min_f16 v130, v70, v73
	v_pk_min_f16 v131, v69, v74
	v_pk_min_f16 v132, v68, v76
	v_pk_min_f16 v133, v67, v77
	v_pk_add_f16 v67, v25, v8
	v_pk_add_f16 v8, v27, v8
	v_pk_max_f16 v65, v65, v65
	v_pk_add_f16 v68, v2, v29
	v_pk_max_f16 v64, v64, v64
	v_pk_add_f16 v69, v4, v29
	v_pk_max_f16 v63, v63, v63
	v_pk_add_f16 v70, v17, v29
	v_pk_max_f16 v62, v62, v62
	v_pk_min_f16 v8, v65, v8
	v_pk_min_f16 v135, v64, v68
	;; [unrolled: 1-line block ×3, first 2 shown]
	v_pk_add_f16 v63, v21, v29
	v_pk_min_f16 v137, v62, v70
	v_pk_add_f16 v62, v19, v29
	v_pk_add_f16 v64, v23, v29
	;; [unrolled: 1-line block ×4, first 2 shown]
	v_pk_max_f16 v57, v57, v57
	v_pk_add_f16 v4, v4, v31
	v_pk_max_f16 v53, v53, v53
	v_pk_add_f16 v17, v17, v31
	v_pk_max_f16 v51, v51, v51
	v_pk_min_f16 v142, v57, v29
	v_pk_add_f16 v2, v2, v31
	v_pk_max_f16 v29, v55, v55
	v_pk_add_f16 v19, v19, v31
	v_pk_max_f16 v55, v56, v56
	v_pk_min_f16 v143, v53, v4
	v_pk_min_f16 v144, v51, v17
	v_pk_add_f16 v4, v23, v31
	v_pk_max_f16 v17, v52, v52
	v_pk_add_f16 v21, v21, v31
	v_pk_min_f16 v2, v29, v2
	v_pk_min_f16 v145, v55, v19
	v_pk_add_f16 v19, v25, v31
	v_pk_add_f16 v25, v27, v31
	;; [unrolled: 1-line block ×4, first 2 shown]
	v_pk_min_f16 v146, v17, v4
	v_pk_add_f16 v4, v18, v34
	v_pk_max_f16 v106, v106, v106
	v_pk_min_f16 v149, v14, v29
	v_pk_min_f16 v150, v16, v31
	v_pk_add_f16 v14, v20, v34
	v_pk_add_f16 v16, v22, v34
	v_pk_add_f16 v17, v24, v34
	v_pk_min_f16 v151, v15, v4
	v_pk_add_f16 v4, v28, v34
	v_pk_min_f16 v106, v106, v129
	v_pk_min_f16 v114, v114, v14
	v_pk_min_f16 v113, v113, v16
	v_pk_min_f16 v112, v112, v17
	v_pk_add_f16 v14, v3, v36
	v_pk_add_f16 v15, v5, v36
	v_pk_add_f16 v16, v18, v36
	v_pk_add_f16 v17, v20, v36
	v_pk_min_f16 v152, v33, v4
	v_pk_add_f16 v4, v22, v36
	v_pk_min_f16 v109, v109, v14
	v_pk_min_f16 v108, v108, v15
	v_pk_min_f16 v106, v106, v16
	v_pk_min_f16 v105, v105, v17
	v_pk_add_f16 v14, v24, v36
	;; [unrolled: 10-line block ×3, first 2 shown]
	v_pk_add_f16 v15, v20, v11
	v_pk_add_f16 v16, v22, v11
	;; [unrolled: 1-line block ×3, first 2 shown]
	v_pk_min_f16 v80, v97, v4
	v_pk_add_f16 v4, v26, v11
	v_pk_add_f16 v11, v28, v11
	v_pk_max_f16 v71, v71, v71
	v_pk_max_f16 v66, v66, v66
	;; [unrolled: 1-line block ×3, first 2 shown]
	v_pk_min_f16 v79, v96, v14
	v_pk_min_f16 v74, v10, v11
	v_pk_add_f16 v10, v22, v13
	v_pk_add_f16 v14, v3, v13
	v_pk_min_f16 v77, v92, v4
	v_pk_add_f16 v4, v20, v13
	v_pk_add_f16 v11, v24, v13
	v_pk_min_f16 v68, v86, v10
	v_pk_add_f16 v10, v5, v7
	v_pk_min_f16 v129, v71, v72
	v_pk_min_f16 v134, v66, v67
	v_pk_max_f16 v61, v61, v61
	v_pk_max_f16 v59, v59, v59
	;; [unrolled: 1-line block ×3, first 2 shown]
	v_pk_min_f16 v139, v60, v63
	v_pk_min_f16 v78, v95, v15
	;; [unrolled: 1-line block ×3, first 2 shown]
	v_pk_add_f16 v15, v5, v13
	v_pk_add_f16 v16, v18, v13
	v_pk_min_f16 v72, v90, v14
	v_pk_add_f16 v14, v26, v13
	v_pk_add_f16 v13, v28, v13
	v_pk_min_f16 v70, v87, v4
	v_pk_min_f16 v67, v85, v11
	v_pk_add_f16 v4, v3, v7
	v_pk_add_f16 v11, v18, v7
	v_pk_min_f16 v63, v82, v10
	v_pk_add_f16 v10, v26, v7
	v_pk_min_f16 v138, v61, v62
	v_pk_min_f16 v140, v59, v64
	;; [unrolled: 1-line block ×4, first 2 shown]
	v_pk_add_f16 v12, v20, v7
	v_pk_add_f16 v13, v22, v7
	v_pk_min_f16 v65, v81, v4
	v_pk_min_f16 v62, v91, v11
	v_pk_add_f16 v4, v24, v7
	v_pk_add_f16 v7, v28, v7
	;; [unrolled: 1-line block ×3, first 2 shown]
	v_pk_min_f16 v59, v117, v10
	v_pk_add_f16 v10, v24, v9
	v_pk_max_f16 v54, v54, v54
	v_pk_max_f16 v27, v49, v49
	v_pk_min_f16 v61, v103, v12
	v_pk_add_f16 v12, v5, v9
	v_pk_min_f16 v60, v116, v4
	v_pk_min_f16 v57, v6, v7
	v_pk_min_f16 v55, v110, v11
	v_pk_add_f16 v4, v18, v9
	v_pk_add_f16 v6, v20, v9
	;; [unrolled: 1-line block ×4, first 2 shown]
	v_pk_min_f16 v51, v133, v10
	v_pk_add_f16 v10, v20, v30
	v_pk_min_f16 v21, v54, v21
	v_pk_max_f16 v23, v50, v50
	v_pk_min_f16 v148, v27, v25
	v_pk_min_f16 v66, v84, v14
	;; [unrolled: 1-line block ×8, first 2 shown]
	v_pk_add_f16 v4, v28, v9
	v_pk_add_f16 v6, v3, v30
	;; [unrolled: 1-line block ×3, first 2 shown]
	v_pk_min_f16 v27, v138, v10
	ds_read2_b64 v[10:13], v119 offset1:8
	ds_read2_b64 v[84:87], v101 offset1:32
	v_pk_min_f16 v147, v23, v19
	v_pk_add_f16 v19, v26, v34
	v_pk_add_f16 v9, v18, v30
	v_pk_min_f16 v50, v8, v4
	v_pk_min_f16 v36, v135, v6
	;; [unrolled: 1-line block ×3, first 2 shown]
	v_pk_add_f16 v6, v24, v30
	v_pk_add_f16 v7, v26, v30
	;; [unrolled: 1-line block ×3, first 2 shown]
	v_pk_min_f16 v111, v111, v19
	v_pk_min_f16 v31, v137, v9
	;; [unrolled: 1-line block ×5, first 2 shown]
	ds_read2_b64 v[6:9], v119 offset0:32 offset1:40
	v_pk_add_f16 v4, v22, v30
	v_pk_add_f16 v3, v3, v32
	;; [unrolled: 1-line block ×6, first 2 shown]
	v_pk_min_f16 v73, v93, v17
	v_pk_min_f16 v71, v89, v15
	;; [unrolled: 1-line block ×4, first 2 shown]
	ds_read2_b64 v[14:17], v119 offset0:16 offset1:24
	v_pk_min_f16 v35, v2, v3
	ds_read2_b64 v[2:5], v119 offset0:48 offset1:56
	v_pk_min_f16 v33, v143, v30
	v_pk_min_f16 v30, v144, v18
	v_pk_add_f16 v18, v22, v32
	v_pk_add_f16 v81, v24, v32
	v_pk_min_f16 v24, v145, v20
	v_pk_add_f16 v28, v28, v32
	v_pk_min_f16 v20, v147, v26
	s_waitcnt lgkmcnt(3)
	v_pk_add_f16 v26, v10, v84
	v_pk_max_f16 v115, v149, v149
	v_pk_min_f16 v22, v21, v18
	v_pk_min_f16 v18, v148, v28
	v_pk_add_f16 v28, v12, v84
	v_pk_add_f16 v110, v11, v85
	v_pk_max_f16 v117, v150, v150
	v_pk_min_f16 v26, v115, v26
	s_waitcnt lgkmcnt(2)
	v_pk_add_f16 v92, v8, v84
	v_pk_add_f16 v138, v9, v85
	v_pk_min_f16 v21, v146, v81
	v_pk_min_f16 v28, v117, v28
	;; [unrolled: 1-line block ×3, first 2 shown]
	v_pk_max_f16 v110, v112, v112
	ds_read2_b64 v[88:91], v101 offset0:64 offset1:96
	s_waitcnt lgkmcnt(2)
	v_pk_add_f16 v32, v14, v84
	v_pk_add_f16 v81, v16, v84
	;; [unrolled: 1-line block ×3, first 2 shown]
	v_pk_min_f16 v92, v110, v92
	s_waitcnt lgkmcnt(1)
	v_pk_add_f16 v93, v2, v84
	v_pk_add_f16 v84, v4, v84
	v_pk_max_f16 v115, v151, v151
	v_pk_add_f16 v95, v12, v86
	v_pk_min_f16 v112, v92, v138
	v_pk_max_f16 v92, v152, v152
	v_pk_add_f16 v116, v13, v85
	v_pk_add_f16 v135, v15, v85
	;; [unrolled: 1-line block ×6, first 2 shown]
	v_pk_min_f16 v32, v115, v32
	v_pk_max_f16 v110, v111, v111
	v_pk_min_f16 v84, v92, v84
	v_pk_max_f16 v92, v108, v108
	v_pk_add_f16 v141, v13, v87
	v_pk_min_f16 v115, v32, v135
	v_pk_max_f16 v32, v113, v113
	v_pk_min_f16 v93, v110, v93
	v_pk_min_f16 v110, v84, v85
	;; [unrolled: 1-line block ×3, first 2 shown]
	v_pk_add_f16 v97, v16, v86
	v_pk_add_f16 v134, v2, v86
	v_pk_min_f16 v32, v32, v82
	v_pk_max_f16 v85, v105, v105
	v_pk_min_f16 v108, v84, v141
	v_pk_max_f16 v84, v99, v99
	v_pk_add_f16 v143, v17, v87
	v_pk_add_f16 v146, v3, v87
	ds_read2_b64 v[129:132], v101 offset0:128 offset1:160
	v_pk_min_f16 v113, v32, v137
	s_waitcnt lgkmcnt(1)
	v_pk_add_f16 v32, v6, v90
	v_pk_min_f16 v85, v85, v97
	v_pk_min_f16 v84, v84, v134
	v_pk_max_f16 v68, v68, v68
	v_pk_add_f16 v94, v10, v86
	v_pk_add_f16 v96, v14, v86
	v_pk_add_f16 v103, v6, v86
	v_pk_add_f16 v133, v8, v86
	v_pk_add_f16 v86, v4, v86
	v_pk_min_f16 v116, v28, v116
	v_pk_max_f16 v28, v114, v114
	v_pk_min_f16 v105, v85, v143
	v_pk_max_f16 v85, v153, v153
	v_pk_min_f16 v99, v84, v146
	v_pk_add_f16 v146, v7, v91
	v_pk_min_f16 v32, v68, v32
	v_pk_min_f16 v28, v28, v81
	v_pk_max_f16 v109, v109, v109
	v_pk_add_f16 v152, v4, v90
	v_pk_min_f16 v85, v85, v86
	v_pk_min_f16 v86, v32, v146
	v_pk_max_f16 v32, v64, v64
	v_pk_add_f16 v140, v11, v87
	v_pk_add_f16 v148, v12, v88
	;; [unrolled: 1-line block ×6, first 2 shown]
	v_pk_min_f16 v114, v28, v136
	v_pk_add_f16 v28, v14, v90
	v_pk_add_f16 v155, v16, v90
	v_pk_add_f16 v137, v8, v90
	v_pk_add_f16 v138, v2, v90
	v_pk_min_f16 v90, v109, v94
	v_pk_min_f16 v111, v93, v139
	v_pk_max_f16 v93, v106, v106
	v_pk_add_f16 v157, v5, v91
	v_pk_max_f16 v80, v80, v80
	v_pk_max_f16 v78, v78, v78
	;; [unrolled: 1-line block ×4, first 2 shown]
	v_pk_min_f16 v32, v32, v152
	v_pk_min_f16 v109, v90, v140
	;; [unrolled: 1-line block ×3, first 2 shown]
	v_pk_max_f16 v92, v104, v104
	v_pk_max_f16 v93, v100, v100
	v_pk_add_f16 v94, v17, v89
	v_pk_add_f16 v139, v7, v89
	v_pk_min_f16 v80, v80, v148
	s_waitcnt lgkmcnt(0)
	v_pk_add_f16 v148, v16, v129
	v_pk_min_f16 v78, v78, v150
	v_pk_min_f16 v26, v76, v26
	v_pk_min_f16 v71, v71, v82
	v_pk_min_f16 v82, v32, v157
	v_pk_max_f16 v32, v61, v61
	v_pk_add_f16 v142, v15, v87
	v_pk_add_f16 v144, v7, v87
	;; [unrolled: 1-line block ×7, first 2 shown]
	v_pk_min_f16 v92, v92, v103
	v_pk_min_f16 v93, v93, v133
	v_pk_max_f16 v84, v98, v98
	v_pk_max_f16 v79, v79, v79
	v_pk_min_f16 v95, v78, v94
	v_pk_max_f16 v73, v73, v73
	v_pk_min_f16 v94, v26, v139
	v_pk_max_f16 v26, v77, v77
	v_pk_max_f16 v66, v66, v66
	v_pk_add_f16 v61, v17, v130
	v_pk_min_f16 v32, v32, v148
	v_pk_add_f16 v88, v4, v88
	v_pk_min_f16 v106, v90, v142
	v_pk_min_f16 v104, v92, v144
	;; [unrolled: 1-line block ×3, first 2 shown]
	v_pk_add_f16 v90, v11, v89
	v_pk_add_f16 v92, v13, v89
	;; [unrolled: 1-line block ×6, first 2 shown]
	ds_read2_b64 v[133:136], v101 offset0:192 offset1:224
	v_pk_add_f16 v158, v10, v129
	v_pk_min_f16 v84, v84, v147
	v_pk_add_f16 v147, v12, v129
	v_pk_add_f16 v159, v14, v129
	;; [unrolled: 1-line block ×4, first 2 shown]
	v_pk_min_f16 v79, v79, v149
	v_pk_add_f16 v149, v2, v129
	v_pk_add_f16 v129, v4, v129
	v_pk_min_f16 v73, v73, v151
	v_pk_max_f16 v74, v74, v74
	v_pk_min_f16 v26, v26, v154
	v_pk_min_f16 v66, v66, v138
	v_pk_max_f16 v64, v65, v65
	v_pk_max_f16 v63, v63, v63
	v_pk_min_f16 v78, v32, v61
	v_pk_max_f16 v32, v57, v57
	v_pk_add_f16 v89, v5, v89
	v_pk_min_f16 v98, v84, v90
	v_pk_min_f16 v97, v80, v92
	;; [unrolled: 1-line block ×6, first 2 shown]
	v_pk_max_f16 v26, v72, v72
	v_pk_max_f16 v69, v69, v69
	v_pk_min_f16 v84, v66, v156
	v_pk_add_f16 v65, v11, v130
	v_pk_min_f16 v64, v64, v158
	v_pk_add_f16 v66, v13, v130
	v_pk_min_f16 v63, v63, v147
	v_pk_max_f16 v60, v60, v60
	v_pk_max_f16 v59, v59, v59
	v_pk_add_f16 v57, v5, v130
	v_pk_min_f16 v32, v32, v129
	v_pk_add_f16 v142, v11, v91
	v_pk_add_f16 v143, v13, v91
	;; [unrolled: 1-line block ×8, first 2 shown]
	v_pk_min_f16 v91, v73, v89
	v_pk_min_f16 v26, v26, v81
	;; [unrolled: 1-line block ×3, first 2 shown]
	v_pk_max_f16 v69, v70, v70
	v_pk_max_f16 v67, v67, v67
	v_pk_min_f16 v81, v64, v65
	v_pk_min_f16 v80, v63, v66
	v_pk_add_f16 v63, v9, v130
	v_pk_min_f16 v60, v60, v161
	v_pk_add_f16 v64, v3, v130
	v_pk_min_f16 v59, v59, v149
	v_pk_max_f16 v54, v54, v54
	v_pk_max_f16 v56, v56, v56
	v_pk_min_f16 v73, v32, v57
	v_pk_max_f16 v32, v53, v53
	v_pk_add_f16 v87, v5, v87
	v_pk_add_f16 v151, v6, v131
	;; [unrolled: 1-line block ×3, first 2 shown]
	v_pk_min_f16 v69, v69, v155
	v_pk_min_f16 v67, v67, v137
	v_pk_max_f16 v62, v62, v62
	v_pk_min_f16 v76, v60, v63
	v_pk_min_f16 v74, v59, v64
	v_pk_add_f16 v59, v13, v132
	v_pk_min_f16 v54, v54, v162
	v_pk_add_f16 v60, v15, v132
	;; [unrolled: 2-line block ×3, first 2 shown]
	v_pk_max_f16 v52, v52, v52
	v_pk_min_f16 v32, v32, v139
	v_pk_max_f16 v49, v49, v49
	v_pk_min_f16 v103, v85, v87
	v_pk_add_f16 v150, v10, v131
	v_pk_add_f16 v154, v8, v131
	;; [unrolled: 1-line block ×3, first 2 shown]
	s_waitcnt lgkmcnt(0)
	v_pk_add_f16 v165, v14, v133
	v_pk_min_f16 v90, v26, v142
	v_pk_add_f16 v26, v6, v133
	v_pk_add_f16 v142, v8, v133
	v_pk_min_f16 v89, v71, v143
	v_pk_min_f16 v87, v69, v145
	;; [unrolled: 1-line block ×3, first 2 shown]
	v_pk_add_f16 v67, v15, v130
	v_pk_min_f16 v62, v62, v159
	v_pk_max_f16 v58, v58, v58
	v_pk_min_f16 v71, v54, v59
	v_pk_min_f16 v70, v56, v60
	v_pk_add_f16 v54, v7, v132
	v_pk_min_f16 v52, v52, v151
	v_pk_add_f16 v56, v3, v132
	v_pk_min_f16 v49, v49, v140
	v_pk_min_f16 v69, v32, v53
	v_pk_max_f16 v32, v50, v50
	v_pk_max_f16 v31, v31, v31
	;; [unrolled: 1-line block ×4, first 2 shown]
	v_pk_add_f16 v166, v16, v133
	v_pk_min_f16 v79, v62, v67
	v_pk_add_f16 v62, v7, v130
	v_pk_min_f16 v58, v58, v160
	v_pk_max_f16 v55, v55, v55
	v_pk_min_f16 v68, v52, v54
	v_pk_min_f16 v66, v49, v56
	v_pk_add_f16 v49, v5, v132
	v_pk_min_f16 v32, v32, v131
	v_pk_add_f16 v52, v15, v134
	v_pk_min_f16 v31, v31, v165
	v_pk_max_f16 v27, v27, v27
	v_pk_min_f16 v26, v29, v26
	v_pk_add_f16 v29, v9, v134
	v_pk_min_f16 v25, v25, v142
	v_pk_add_f16 v141, v10, v133
	v_pk_add_f16 v10, v10, v135
	v_pk_min_f16 v77, v58, v62
	v_pk_add_f16 v58, v11, v132
	v_pk_min_f16 v55, v55, v150
	v_pk_max_f16 v51, v51, v51
	v_pk_min_f16 v65, v32, v49
	v_pk_min_f16 v62, v31, v52
	v_pk_add_f16 v31, v17, v134
	v_pk_min_f16 v27, v27, v166
	v_pk_add_f16 v32, v7, v134
	v_pk_min_f16 v59, v25, v29
	v_pk_max_f16 v25, v35, v35
	v_pk_add_f16 v164, v12, v133
	v_pk_add_f16 v12, v12, v135
	;; [unrolled: 1-line block ×3, first 2 shown]
	v_pk_min_f16 v72, v55, v58
	v_pk_add_f16 v55, v9, v132
	v_pk_min_f16 v51, v51, v154
	v_pk_max_f16 v34, v34, v34
	v_pk_add_f16 v50, v11, v134
	v_pk_min_f16 v61, v27, v31
	v_pk_min_f16 v60, v26, v32
	v_pk_max_f16 v26, v33, v33
	v_pk_add_f16 v11, v11, v136
	v_pk_max_f16 v27, v30, v30
	v_pk_min_f16 v10, v25, v10
	v_pk_add_f16 v143, v2, v133
	v_pk_add_f16 v6, v6, v135
	v_pk_min_f16 v67, v51, v55
	v_pk_add_f16 v51, v13, v134
	v_pk_min_f16 v34, v34, v164
	v_pk_max_f16 v23, v23, v23
	v_pk_add_f16 v13, v13, v136
	v_pk_min_f16 v12, v26, v12
	v_pk_add_f16 v15, v15, v136
	v_pk_min_f16 v14, v27, v14
	v_pk_min_f16 v55, v10, v11
	v_pk_max_f16 v11, v22, v22
	v_pk_min_f16 v88, v28, v144
	v_pk_add_f16 v28, v4, v133
	v_pk_add_f16 v16, v16, v135
	;; [unrolled: 1-line block ×5, first 2 shown]
	v_pk_max_f16 v36, v36, v36
	v_pk_min_f16 v63, v34, v51
	v_pk_add_f16 v34, v3, v134
	v_pk_min_f16 v23, v23, v143
	v_pk_max_f16 v19, v19, v19
	v_pk_max_f16 v10, v24, v24
	v_pk_min_f16 v53, v12, v13
	v_pk_min_f16 v51, v14, v15
	v_pk_max_f16 v13, v21, v21
	v_pk_min_f16 v6, v11, v6
	v_pk_max_f16 v11, v20, v20
	v_pk_max_f16 v14, v18, v18
	v_pk_min_f16 v36, v36, v141
	v_pk_min_f16 v58, v23, v34
	v_pk_add_f16 v23, v5, v134
	v_pk_min_f16 v19, v19, v28
	v_pk_add_f16 v12, v17, v136
	;; [unrolled: 2-line block ×3, first 2 shown]
	v_pk_add_f16 v9, v9, v136
	v_pk_min_f16 v8, v13, v8
	v_pk_add_f16 v3, v3, v136
	v_pk_min_f16 v2, v11, v2
	;; [unrolled: 2-line block ×3, first 2 shown]
	v_add_co_u32 v45, s8, v45, 16
	v_pk_min_f16 v64, v36, v50
	v_pk_min_f16 v57, v19, v23
	;; [unrolled: 1-line block ×7, first 2 shown]
	v_add_co_ci_u32_e64 v46, null, 0, v46, s8
	s_add_i32 s25, s25, 8
	ds_write_b16 v120, v124
	ds_write_b16 v121, v125
	ds_write_b16 v121, v126 offset:512
	ds_write_b16 v121, v127 offset:1024
	;; [unrolled: 1-line block ×3, first 2 shown]
	s_cmp_ge_i32 s25, s22
	s_waitcnt lgkmcnt(0)
	s_barrier
	buffer_gl0_inv
	s_cbranch_scc1 .LBB279_58
.LBB279_34:                             ; =>This Inner Loop Header: Depth=1
	v_add_nc_u32_e32 v15, s25, v75
                                        ; implicit-def: $vgpr16
	v_add_nc_u32_e32 v2, 8, v15
	v_cmp_le_i32_e64 s8, s14, v2
	s_or_b32 s8, s8, vcc_lo
	s_nor_b32 s9, s0, s8
	s_and_saveexec_b32 s26, s9
	s_xor_b32 s9, exec_lo, s26
	s_cbranch_execz .LBB279_36
; %bb.35:                               ;   in Loop: Header=BB279_34 Depth=1
	global_load_ushort v2, v[45:46], off
	s_waitcnt vmcnt(0)
	v_mul_f16_e32 v16, v47, v2
.LBB279_36:                             ;   in Loop: Header=BB279_34 Depth=1
	s_andn2_saveexec_b32 s9, s9
; %bb.37:                               ;   in Loop: Header=BB279_34 Depth=1
	v_cndmask_b32_e64 v16, 0, 0x7c00, s8
; %bb.38:                               ;   in Loop: Header=BB279_34 Depth=1
	s_or_b32 exec_lo, exec_lo, s9
	v_add_nc_u32_e32 v14, s25, v83
	v_add_nc_u32_e32 v4, 8, v14
	v_min_i32_e32 v2, s23, v4
	v_cmp_le_i32_e64 s8, s14, v4
	v_mad_i64_i32 v[2:3], null, v2, s24, 0
	v_lshlrev_b64 v[2:3], 1, v[2:3]
	v_add_co_u32 v2, s9, s20, v2
	v_add_co_ci_u32_e64 v3, null, s21, v3, s9
	s_or_b32 s9, s2, s8
	v_cndmask_b32_e64 v124, 0, 0x7c00, s9
	s_nor_b32 s9, s0, s9
	s_and_saveexec_b32 s26, s9
	s_cbranch_execz .LBB279_40
; %bb.39:                               ;   in Loop: Header=BB279_34 Depth=1
	v_add_co_u32 v4, s9, v2, v37
	v_add_co_ci_u32_e64 v5, null, v3, v38, s9
	global_load_ushort v4, v[4:5], off
	s_waitcnt vmcnt(0)
	v_mul_f16_e32 v124, v47, v4
.LBB279_40:                             ;   in Loop: Header=BB279_34 Depth=1
	s_or_b32 exec_lo, exec_lo, s26
	s_or_b32 s9, s3, s8
	v_cndmask_b32_e64 v125, 0, 0x7c00, s9
	s_nor_b32 s9, s9, s0
	s_and_saveexec_b32 s26, s9
	s_cbranch_execz .LBB279_42
; %bb.41:                               ;   in Loop: Header=BB279_34 Depth=1
	v_add_co_u32 v4, s9, v2, v39
	v_add_co_ci_u32_e64 v5, null, v3, v40, s9
	global_load_ushort v4, v[4:5], off
	s_waitcnt vmcnt(0)
	v_mul_f16_e32 v125, v47, v4
.LBB279_42:                             ;   in Loop: Header=BB279_34 Depth=1
	s_or_b32 exec_lo, exec_lo, s26
	;; [unrolled: 13-line block ×4, first 2 shown]
	ds_read2_b64 v[2:5], v122 offset1:8
	ds_read2_b64 v[17:20], v122 offset0:16 offset1:24
	ds_read2_b64 v[21:24], v122 offset0:32 offset1:40
	;; [unrolled: 1-line block ×3, first 2 shown]
	ds_read2_b64 v[33:36], v123 offset1:32
	ds_read2_b64 v[10:13], v123 offset0:64 offset1:96
	ds_read2_b64 v[6:9], v123 offset0:128 offset1:160
	;; [unrolled: 1-line block ×3, first 2 shown]
	v_add_nc_u32_e32 v15, 12, v15
	ds_write_b16 v118, v16
	ds_write_b16 v107, v124
	ds_write_b16 v107, v125 offset:512
	ds_write_b16 v107, v126 offset:1024
	;; [unrolled: 1-line block ×3, first 2 shown]
	s_waitcnt lgkmcnt(0)
	s_barrier
	buffer_gl0_inv
	v_cmp_le_i32_e64 s8, s14, v15
                                        ; implicit-def: $vgpr124
	s_or_b32 s8, s8, vcc_lo
	s_nor_b32 s9, s0, s8
	s_and_saveexec_b32 s26, s9
	s_xor_b32 s9, exec_lo, s26
	s_cbranch_execz .LBB279_48
; %bb.47:                               ;   in Loop: Header=BB279_34 Depth=1
	global_load_ushort v15, v[45:46], off offset:8
	s_waitcnt vmcnt(0)
	v_mul_f16_e32 v124, v47, v15
.LBB279_48:                             ;   in Loop: Header=BB279_34 Depth=1
	s_andn2_saveexec_b32 s9, s9
; %bb.49:                               ;   in Loop: Header=BB279_34 Depth=1
	v_cndmask_b32_e64 v124, 0, 0x7c00, s8
; %bb.50:                               ;   in Loop: Header=BB279_34 Depth=1
	s_or_b32 exec_lo, exec_lo, s9
	v_add_nc_u32_e32 v16, 12, v14
	v_min_i32_e32 v14, s23, v16
	v_cmp_le_i32_e64 s8, s14, v16
	v_mad_i64_i32 v[14:15], null, v14, s24, 0
	v_lshlrev_b64 v[14:15], 1, v[14:15]
	v_add_co_u32 v14, s9, s20, v14
	v_add_co_ci_u32_e64 v15, null, s21, v15, s9
	s_or_b32 s9, s2, s8
	v_cndmask_b32_e64 v125, 0, 0x7c00, s9
	s_nor_b32 s9, s0, s9
	s_and_saveexec_b32 s26, s9
	s_cbranch_execz .LBB279_52
; %bb.51:                               ;   in Loop: Header=BB279_34 Depth=1
	v_add_co_u32 v125, s9, v14, v37
	v_add_co_ci_u32_e64 v126, null, v15, v38, s9
	global_load_ushort v16, v[125:126], off
	s_waitcnt vmcnt(0)
	v_mul_f16_e32 v125, v47, v16
.LBB279_52:                             ;   in Loop: Header=BB279_34 Depth=1
	s_or_b32 exec_lo, exec_lo, s26
	s_or_b32 s9, s3, s8
	v_cndmask_b32_e64 v126, 0, 0x7c00, s9
	s_nor_b32 s9, s9, s0
	s_and_saveexec_b32 s26, s9
	s_cbranch_execz .LBB279_54
; %bb.53:                               ;   in Loop: Header=BB279_34 Depth=1
	v_add_co_u32 v126, s9, v14, v39
	v_add_co_ci_u32_e64 v127, null, v15, v40, s9
	global_load_ushort v16, v[126:127], off
	s_waitcnt vmcnt(0)
	v_mul_f16_e32 v126, v47, v16
.LBB279_54:                             ;   in Loop: Header=BB279_34 Depth=1
	s_or_b32 exec_lo, exec_lo, s26
	;; [unrolled: 13-line block ×3, first 2 shown]
	s_or_b32 s8, s7, s8
	v_cndmask_b32_e64 v128, 0, 0x7c00, s8
	s_nor_b32 s8, s8, s0
	s_and_saveexec_b32 s9, s8
	s_cbranch_execz .LBB279_33
; %bb.57:                               ;   in Loop: Header=BB279_34 Depth=1
	v_add_co_u32 v14, s8, v14, v43
	v_add_co_ci_u32_e64 v15, null, v15, v44, s8
	global_load_ushort v14, v[14:15], off
	s_waitcnt vmcnt(0)
	v_mul_f16_e32 v128, v47, v14
	s_branch .LBB279_33
.LBB279_58:
	s_clause 0x2
	s_load_dwordx2 s[2:3], s[4:5], 0x78
	s_load_dword s14, s[4:5], 0x58
	s_load_dword s9, s[4:5], 0x70
	v_add_nc_u32_e32 v2, 0x1000, v102
	v_add_nc_u32_e32 v83, s19, v1
	v_add_nc_u32_e32 v4, 0x800, v101
	v_add_nc_u32_e32 v32, s15, v0
	ds_read2_b64 v[16:19], v2 offset0:64 offset1:72
	ds_read2_b64 v[12:15], v2 offset0:80 offset1:88
	;; [unrolled: 1-line block ×4, first 2 shown]
	ds_read2_b64 v[28:31], v4 offset1:32
	ds_read2_b64 v[24:27], v4 offset0:64 offset1:96
	ds_read2_b64 v[20:23], v4 offset0:128 offset1:160
	;; [unrolled: 1-line block ×3, first 2 shown]
	v_cmp_gt_i32_e64 s8, s13, v83
	v_cndmask_b32_e64 v75, 0, 1, s1
	v_cmp_gt_i32_e64 s0, s12, v32
	v_ashrrev_i32_e32 v33, 31, v32
	s_waitcnt lgkmcnt(0)
	s_mul_i32 s3, s3, s18
	v_mad_i64_i32 v[34:35], null, v83, s14, 0
	v_mad_i64_i32 v[36:37], null, v83, s9, 0
	s_mul_hi_u32 s4, s2, s18
	s_mul_i32 s2, s2, s18
	s_add_i32 s3, s4, s3
	s_lshl_b64 s[2:3], s[2:3], 1
	v_lshlrev_b64 v[34:35], 1, v[34:35]
	v_lshlrev_b64 v[36:37], 1, v[36:37]
	s_add_u32 s10, s10, s2
	s_addc_u32 s11, s11, s3
	s_and_b32 s3, s0, s8
	v_add_co_u32 v107, vcc_lo, s16, v34
	v_add_co_ci_u32_e64 v118, null, s17, v35, vcc_lo
	v_add_co_u32 v101, vcc_lo, s10, v36
	v_add_co_ci_u32_e64 v102, null, s11, v37, vcc_lo
	s_and_saveexec_b32 s2, s3
	s_cbranch_execz .LBB279_63
; %bb.59:
	s_andn2_b32 vcc_lo, exec_lo, s1
	s_cbranch_vccnz .LBB279_61
; %bb.60:
	v_lshlrev_b64 v[34:35], 1, v[32:33]
	v_add_co_u32 v34, vcc_lo, v107, v34
	v_add_co_ci_u32_e64 v35, null, v118, v35, vcc_lo
	global_load_ushort v34, v[34:35], off
	s_waitcnt vmcnt(0)
	v_mul_f16_e32 v34, v48, v34
	v_cvt_f32_f16_e32 v34, v34
	s_branch .LBB279_62
.LBB279_61:
	v_mov_b32_e32 v34, 0
.LBB279_62:
	v_pk_add_f16 v35, v16, v28
	v_pk_add_f16 v36, v17, v29
	v_max_f16_e32 v37, v117, v117
	v_lshrrev_b32_e32 v38, 16, v117
	v_max_f32_e32 v34, v34, v34
	v_lshrrev_b32_e32 v39, 16, v35
	v_lshrrev_b32_e32 v40, 16, v36
	v_min_f16_e32 v35, v37, v35
	v_min3_f16 v37, v38, v39, v40
	v_min3_f16 v35, v35, v36, v37
	v_cvt_f32_f16_e32 v35, v35
	v_min_f32_e32 v36, v34, v35
	v_lshlrev_b64 v[34:35], 1, v[32:33]
	v_cvt_f16_f32_e32 v36, v36
	v_add_co_u32 v34, vcc_lo, v101, v34
	v_add_co_ci_u32_e64 v35, null, v102, v35, vcc_lo
	global_store_short v[34:35], v36, off
.LBB279_63:
	s_or_b32 exec_lo, exec_lo, s2
	v_add_nc_u32_e32 v34, 8, v32
	v_cmp_gt_i32_e64 s1, s12, v34
	v_ashrrev_i32_e32 v35, 31, v34
	s_and_b32 s3, s1, s8
	s_and_saveexec_b32 s2, s3
	s_cbranch_execz .LBB279_68
; %bb.64:
	v_cmp_ne_u32_e32 vcc_lo, 1, v75
	s_cbranch_vccnz .LBB279_66
; %bb.65:
	v_lshlrev_b64 v[36:37], 1, v[34:35]
	v_add_co_u32 v36, vcc_lo, v107, v36
	v_add_co_ci_u32_e64 v37, null, v118, v37, vcc_lo
	global_load_ushort v36, v[36:37], off
	s_waitcnt vmcnt(0)
	v_mul_f16_e32 v36, v48, v36
	v_cvt_f32_f16_e32 v36, v36
	s_branch .LBB279_67
.LBB279_66:
	v_mov_b32_e32 v36, 0
.LBB279_67:
	v_pk_add_f16 v37, v18, v28
	v_pk_add_f16 v38, v19, v29
	v_max_f16_e32 v39, v116, v116
	v_lshrrev_b32_e32 v40, 16, v116
	v_max_f32_e32 v36, v36, v36
	v_lshrrev_b32_e32 v41, 16, v37
	v_lshrrev_b32_e32 v42, 16, v38
	v_min_f16_e32 v37, v39, v37
	v_min3_f16 v39, v40, v41, v42
	v_min3_f16 v37, v37, v38, v39
	v_cvt_f32_f16_e32 v37, v37
	v_min_f32_e32 v38, v36, v37
	v_lshlrev_b64 v[36:37], 1, v[34:35]
	v_cvt_f16_f32_e32 v38, v38
	v_add_co_u32 v36, vcc_lo, v101, v36
	v_add_co_ci_u32_e64 v37, null, v102, v37, vcc_lo
	global_store_short v[36:37], v38, off
.LBB279_68:
	s_or_b32 exec_lo, exec_lo, s2
	v_add_nc_u32_e32 v36, 16, v32
	v_cmp_gt_i32_e64 s2, s12, v36
	v_ashrrev_i32_e32 v37, 31, v36
	s_and_b32 s4, s2, s8
	s_and_saveexec_b32 s3, s4
	s_cbranch_execz .LBB279_73
; %bb.69:
	v_cmp_ne_u32_e32 vcc_lo, 1, v75
	s_cbranch_vccnz .LBB279_71
; %bb.70:
	v_lshlrev_b64 v[38:39], 1, v[36:37]
	v_add_co_u32 v38, vcc_lo, v107, v38
	v_add_co_ci_u32_e64 v39, null, v118, v39, vcc_lo
	global_load_ushort v38, v[38:39], off
	s_waitcnt vmcnt(0)
	v_mul_f16_e32 v38, v48, v38
	v_cvt_f32_f16_e32 v38, v38
	s_branch .LBB279_72
.LBB279_71:
	v_mov_b32_e32 v38, 0
.LBB279_72:
	v_pk_add_f16 v39, v12, v28
	v_pk_add_f16 v40, v13, v29
	v_max_f16_e32 v41, v115, v115
	v_lshrrev_b32_e32 v42, 16, v115
	v_max_f32_e32 v38, v38, v38
	v_lshrrev_b32_e32 v43, 16, v39
	v_lshrrev_b32_e32 v44, 16, v40
	v_min_f16_e32 v39, v41, v39
	v_min3_f16 v41, v42, v43, v44
	v_min3_f16 v39, v39, v40, v41
	v_cvt_f32_f16_e32 v39, v39
	v_min_f32_e32 v40, v38, v39
	v_lshlrev_b64 v[38:39], 1, v[36:37]
	v_cvt_f16_f32_e32 v40, v40
	v_add_co_u32 v38, vcc_lo, v101, v38
	v_add_co_ci_u32_e64 v39, null, v102, v39, vcc_lo
	global_store_short v[38:39], v40, off
.LBB279_73:
	s_or_b32 exec_lo, exec_lo, s3
	v_add_nc_u32_e32 v38, 24, v32
	v_cmp_gt_i32_e64 s3, s12, v38
	v_ashrrev_i32_e32 v39, 31, v38
	s_and_b32 s5, s3, s8
	s_and_saveexec_b32 s4, s5
	s_cbranch_execz .LBB279_78
; %bb.74:
	v_cmp_ne_u32_e32 vcc_lo, 1, v75
	s_cbranch_vccnz .LBB279_76
; %bb.75:
	v_lshlrev_b64 v[40:41], 1, v[38:39]
	v_add_co_u32 v40, vcc_lo, v107, v40
	v_add_co_ci_u32_e64 v41, null, v118, v41, vcc_lo
	global_load_ushort v40, v[40:41], off
	s_waitcnt vmcnt(0)
	v_mul_f16_e32 v40, v48, v40
	v_cvt_f32_f16_e32 v40, v40
	s_branch .LBB279_77
.LBB279_76:
	v_mov_b32_e32 v40, 0
.LBB279_77:
	v_pk_add_f16 v41, v14, v28
	v_pk_add_f16 v42, v15, v29
	v_max_f16_e32 v43, v114, v114
	v_lshrrev_b32_e32 v44, 16, v114
	v_max_f32_e32 v40, v40, v40
	v_lshrrev_b32_e32 v45, 16, v41
	v_lshrrev_b32_e32 v46, 16, v42
	v_min_f16_e32 v41, v43, v41
	v_min3_f16 v43, v44, v45, v46
	v_min3_f16 v41, v41, v42, v43
	v_cvt_f32_f16_e32 v41, v41
	v_min_f32_e32 v42, v40, v41
	v_lshlrev_b64 v[40:41], 1, v[38:39]
	v_cvt_f16_f32_e32 v42, v42
	v_add_co_u32 v40, vcc_lo, v101, v40
	v_add_co_ci_u32_e64 v41, null, v102, v41, vcc_lo
	global_store_short v[40:41], v42, off
.LBB279_78:
	s_or_b32 exec_lo, exec_lo, s4
	v_add_nc_u32_e32 v40, 32, v32
	v_cmp_gt_i32_e64 s4, s12, v40
	v_ashrrev_i32_e32 v41, 31, v40
	s_and_b32 s6, s4, s8
	s_and_saveexec_b32 s5, s6
	s_cbranch_execz .LBB279_83
; %bb.79:
	v_cmp_ne_u32_e32 vcc_lo, 1, v75
	s_cbranch_vccnz .LBB279_81
; %bb.80:
	v_lshlrev_b64 v[42:43], 1, v[40:41]
	v_add_co_u32 v42, vcc_lo, v107, v42
	v_add_co_ci_u32_e64 v43, null, v118, v43, vcc_lo
	global_load_ushort v42, v[42:43], off
	s_waitcnt vmcnt(0)
	v_mul_f16_e32 v42, v48, v42
	v_cvt_f32_f16_e32 v42, v42
	s_branch .LBB279_82
.LBB279_81:
	v_mov_b32_e32 v42, 0
.LBB279_82:
	v_pk_add_f16 v43, v8, v28
	v_pk_add_f16 v44, v9, v29
	v_max_f16_e32 v45, v113, v113
	v_lshrrev_b32_e32 v46, 16, v113
	v_max_f32_e32 v42, v42, v42
	v_lshrrev_b32_e32 v47, 16, v43
	v_lshrrev_b32_e32 v113, 16, v44
	v_min_f16_e32 v43, v45, v43
	v_min3_f16 v45, v46, v47, v113
	v_min3_f16 v43, v43, v44, v45
	v_cvt_f32_f16_e32 v43, v43
	v_min_f32_e32 v44, v42, v43
	v_lshlrev_b64 v[42:43], 1, v[40:41]
	v_cvt_f16_f32_e32 v44, v44
	v_add_co_u32 v42, vcc_lo, v101, v42
	v_add_co_ci_u32_e64 v43, null, v102, v43, vcc_lo
	global_store_short v[42:43], v44, off
.LBB279_83:
	s_or_b32 exec_lo, exec_lo, s5
	v_add_nc_u32_e32 v42, 40, v32
	v_cmp_gt_i32_e64 s5, s12, v42
	v_ashrrev_i32_e32 v43, 31, v42
	s_and_b32 s7, s5, s8
	s_and_saveexec_b32 s6, s7
	s_cbranch_execz .LBB279_88
; %bb.84:
	v_cmp_ne_u32_e32 vcc_lo, 1, v75
	s_cbranch_vccnz .LBB279_86
; %bb.85:
	v_lshlrev_b64 v[44:45], 1, v[42:43]
	v_add_co_u32 v44, vcc_lo, v107, v44
	v_add_co_ci_u32_e64 v45, null, v118, v45, vcc_lo
	global_load_ushort v44, v[44:45], off
	s_waitcnt vmcnt(0)
	v_mul_f16_e32 v44, v48, v44
	v_cvt_f32_f16_e32 v44, v44
	s_branch .LBB279_87
.LBB279_86:
	v_mov_b32_e32 v44, 0
.LBB279_87:
	v_pk_add_f16 v45, v10, v28
	v_pk_add_f16 v46, v11, v29
	v_max_f16_e32 v47, v112, v112
	v_lshrrev_b32_e32 v112, 16, v112
	v_max_f32_e32 v44, v44, v44
	v_lshrrev_b32_e32 v113, 16, v45
	v_lshrrev_b32_e32 v114, 16, v46
	v_min_f16_e32 v45, v47, v45
	v_min3_f16 v47, v112, v113, v114
	v_min3_f16 v45, v45, v46, v47
	v_cvt_f32_f16_e32 v45, v45
	v_min_f32_e32 v46, v44, v45
	v_lshlrev_b64 v[44:45], 1, v[42:43]
	v_cvt_f16_f32_e32 v46, v46
	v_add_co_u32 v44, vcc_lo, v101, v44
	v_add_co_ci_u32_e64 v45, null, v102, v45, vcc_lo
	global_store_short v[44:45], v46, off
.LBB279_88:
	s_or_b32 exec_lo, exec_lo, s6
	v_add_nc_u32_e32 v44, 48, v32
	v_cmp_gt_i32_e64 s6, s12, v44
	v_ashrrev_i32_e32 v45, 31, v44
	s_and_b32 s15, s6, s8
	s_and_saveexec_b32 s7, s15
	s_cbranch_execz .LBB279_93
; %bb.89:
	v_cmp_ne_u32_e32 vcc_lo, 1, v75
	s_cbranch_vccnz .LBB279_91
; %bb.90:
	v_lshlrev_b64 v[46:47], 1, v[44:45]
	v_add_co_u32 v46, vcc_lo, v107, v46
	v_add_co_ci_u32_e64 v47, null, v118, v47, vcc_lo
	global_load_ushort v46, v[46:47], off
	s_waitcnt vmcnt(0)
	v_mul_f16_e32 v46, v48, v46
	v_cvt_f32_f16_e32 v46, v46
	s_branch .LBB279_92
.LBB279_91:
	v_mov_b32_e32 v46, 0
.LBB279_92:
	v_pk_add_f16 v47, v0, v28
	v_pk_add_f16 v112, v1, v29
	v_max_f16_e32 v113, v111, v111
	v_lshrrev_b32_e32 v111, 16, v111
	v_max_f32_e32 v46, v46, v46
	v_lshrrev_b32_e32 v114, 16, v47
	v_lshrrev_b32_e32 v115, 16, v112
	v_min_f16_e32 v47, v113, v47
	v_min3_f16 v111, v111, v114, v115
	v_min3_f16 v47, v47, v112, v111
	v_cvt_f32_f16_e32 v47, v47
	v_min_f32_e32 v111, v46, v47
	v_lshlrev_b64 v[46:47], 1, v[44:45]
	v_cvt_f16_f32_e32 v111, v111
	v_add_co_u32 v46, vcc_lo, v101, v46
	v_add_co_ci_u32_e64 v47, null, v102, v47, vcc_lo
	global_store_short v[46:47], v111, off
.LBB279_93:
	s_or_b32 exec_lo, exec_lo, s7
	v_add_nc_u32_e32 v46, 56, v32
	v_cmp_gt_i32_e64 s7, s12, v46
	v_ashrrev_i32_e32 v47, 31, v46
	s_and_b32 s12, s7, s8
	s_and_saveexec_b32 s8, s12
	s_cbranch_execz .LBB279_98
; %bb.94:
	v_cmp_ne_u32_e32 vcc_lo, 1, v75
	s_cbranch_vccnz .LBB279_96
; %bb.95:
	v_lshlrev_b64 v[111:112], 1, v[46:47]
	v_add_co_u32 v111, vcc_lo, v107, v111
	v_add_co_ci_u32_e64 v112, null, v118, v112, vcc_lo
	global_load_ushort v107, v[111:112], off
	s_waitcnt vmcnt(0)
	v_mul_f16_e32 v107, v48, v107
	v_cvt_f32_f16_e32 v107, v107
	s_branch .LBB279_97
.LBB279_96:
	v_mov_b32_e32 v107, 0
.LBB279_97:
	v_pk_add_f16 v28, v2, v28
	v_pk_add_f16 v29, v3, v29
	v_max_f16_e32 v111, v110, v110
	v_lshrrev_b32_e32 v110, 16, v110
	v_lshrrev_b32_e32 v112, 16, v28
	;; [unrolled: 1-line block ×3, first 2 shown]
	v_min_f16_e32 v28, v111, v28
	v_min3_f16 v110, v110, v112, v113
	v_min3_f16 v28, v28, v29, v110
	v_max_f32_e32 v29, v107, v107
	v_cvt_f32_f16_e32 v28, v28
	v_min_f32_e32 v107, v29, v28
	v_lshlrev_b64 v[28:29], 1, v[46:47]
	v_cvt_f16_f32_e32 v107, v107
	v_add_co_u32 v28, vcc_lo, v101, v28
	v_add_co_ci_u32_e64 v29, null, v102, v29, vcc_lo
	global_store_short v[28:29], v107, off
.LBB279_98:
	s_or_b32 exec_lo, exec_lo, s8
	v_add_nc_u32_e32 v107, 32, v83
	v_mad_i64_i32 v[28:29], null, v107, s14, 0
	v_mad_i64_i32 v[101:102], null, v107, s9, 0
	v_cmp_gt_i32_e64 s8, s13, v107
	v_lshlrev_b64 v[28:29], 1, v[28:29]
	s_and_b32 s15, s0, s8
	v_lshlrev_b64 v[110:111], 1, v[101:102]
	v_add_co_u32 v101, vcc_lo, s16, v28
	v_add_co_ci_u32_e64 v102, null, s17, v29, vcc_lo
	v_add_co_u32 v28, vcc_lo, s10, v110
	v_add_co_ci_u32_e64 v29, null, s11, v111, vcc_lo
	s_and_saveexec_b32 s12, s15
	s_cbranch_execnz .LBB279_106
; %bb.99:
	s_or_b32 exec_lo, exec_lo, s12
	s_and_b32 s15, s1, s8
	s_and_saveexec_b32 s12, s15
	s_cbranch_execnz .LBB279_110
.LBB279_100:
	s_or_b32 exec_lo, exec_lo, s12
	s_and_b32 s15, s2, s8
	s_and_saveexec_b32 s12, s15
	s_cbranch_execnz .LBB279_114
.LBB279_101:
	s_or_b32 exec_lo, exec_lo, s12
	s_and_b32 s15, s3, s8
	s_and_saveexec_b32 s12, s15
	s_cbranch_execnz .LBB279_118
.LBB279_102:
	s_or_b32 exec_lo, exec_lo, s12
	s_and_b32 s15, s4, s8
	s_and_saveexec_b32 s12, s15
	s_cbranch_execnz .LBB279_122
.LBB279_103:
	s_or_b32 exec_lo, exec_lo, s12
	s_and_b32 s15, s5, s8
	s_and_saveexec_b32 s12, s15
	s_cbranch_execnz .LBB279_126
.LBB279_104:
	s_or_b32 exec_lo, exec_lo, s12
	s_and_b32 s15, s6, s8
	s_and_saveexec_b32 s12, s15
	s_cbranch_execnz .LBB279_130
.LBB279_105:
	s_or_b32 exec_lo, exec_lo, s12
	s_and_b32 s12, s7, s8
	s_and_saveexec_b32 s8, s12
	s_cbranch_execnz .LBB279_134
	s_branch .LBB279_138
.LBB279_106:
	v_cmp_ne_u32_e32 vcc_lo, 1, v75
	s_cbranch_vccnz .LBB279_108
; %bb.107:
	v_lshlrev_b64 v[110:111], 1, v[32:33]
	v_add_co_u32 v110, vcc_lo, v101, v110
	v_add_co_ci_u32_e64 v111, null, v102, v111, vcc_lo
	global_load_ushort v107, v[110:111], off
	s_waitcnt vmcnt(0)
	v_mul_f16_e32 v107, v48, v107
	v_cvt_f32_f16_e32 v107, v107
	s_branch .LBB279_109
.LBB279_108:
	v_mov_b32_e32 v107, 0
.LBB279_109:
	v_pk_add_f16 v110, v16, v30
	v_pk_add_f16 v111, v17, v31
	v_max_f16_e32 v112, v109, v109
	v_lshrrev_b32_e32 v109, 16, v109
	v_max_f32_e32 v107, v107, v107
	v_lshrrev_b32_e32 v113, 16, v110
	v_lshrrev_b32_e32 v114, 16, v111
	v_min_f16_e32 v110, v112, v110
	v_min3_f16 v109, v109, v113, v114
	v_min3_f16 v109, v110, v111, v109
	v_cvt_f32_f16_e32 v109, v109
	v_min_f32_e32 v107, v107, v109
	v_lshlrev_b64 v[109:110], 1, v[32:33]
	v_cvt_f16_f32_e32 v107, v107
	v_add_co_u32 v109, vcc_lo, v28, v109
	v_add_co_ci_u32_e64 v110, null, v29, v110, vcc_lo
	global_store_short v[109:110], v107, off
	s_or_b32 exec_lo, exec_lo, s12
	s_and_b32 s15, s1, s8
	s_and_saveexec_b32 s12, s15
	s_cbranch_execz .LBB279_100
.LBB279_110:
	v_cmp_ne_u32_e32 vcc_lo, 1, v75
	s_cbranch_vccnz .LBB279_112
; %bb.111:
	v_lshlrev_b64 v[109:110], 1, v[34:35]
	v_add_co_u32 v109, vcc_lo, v101, v109
	v_add_co_ci_u32_e64 v110, null, v102, v110, vcc_lo
	global_load_ushort v107, v[109:110], off
	s_waitcnt vmcnt(0)
	v_mul_f16_e32 v107, v48, v107
	v_cvt_f32_f16_e32 v107, v107
	s_branch .LBB279_113
.LBB279_112:
	v_mov_b32_e32 v107, 0
.LBB279_113:
	v_pk_add_f16 v109, v18, v30
	v_pk_add_f16 v110, v19, v31
	v_max_f16_e32 v111, v108, v108
	v_lshrrev_b32_e32 v108, 16, v108
	v_max_f32_e32 v107, v107, v107
	v_lshrrev_b32_e32 v112, 16, v109
	v_lshrrev_b32_e32 v113, 16, v110
	v_min_f16_e32 v109, v111, v109
	v_min3_f16 v108, v108, v112, v113
	v_min3_f16 v108, v109, v110, v108
	v_cvt_f32_f16_e32 v108, v108
	v_min_f32_e32 v109, v107, v108
	v_lshlrev_b64 v[107:108], 1, v[34:35]
	v_cvt_f16_f32_e32 v109, v109
	v_add_co_u32 v107, vcc_lo, v28, v107
	v_add_co_ci_u32_e64 v108, null, v29, v108, vcc_lo
	global_store_short v[107:108], v109, off
	s_or_b32 exec_lo, exec_lo, s12
	s_and_b32 s15, s2, s8
	s_and_saveexec_b32 s12, s15
	s_cbranch_execz .LBB279_101
.LBB279_114:
	v_cmp_ne_u32_e32 vcc_lo, 1, v75
	s_cbranch_vccnz .LBB279_116
; %bb.115:
	v_lshlrev_b64 v[107:108], 1, v[36:37]
	v_add_co_u32 v107, vcc_lo, v101, v107
	v_add_co_ci_u32_e64 v108, null, v102, v108, vcc_lo
	global_load_ushort v107, v[107:108], off
	s_waitcnt vmcnt(0)
	v_mul_f16_e32 v107, v48, v107
	v_cvt_f32_f16_e32 v107, v107
	s_branch .LBB279_117
.LBB279_116:
	v_mov_b32_e32 v107, 0
.LBB279_117:
	v_pk_add_f16 v108, v12, v30
	v_pk_add_f16 v109, v13, v31
	v_max_f16_e32 v110, v106, v106
	v_lshrrev_b32_e32 v106, 16, v106
	v_max_f32_e32 v107, v107, v107
	v_lshrrev_b32_e32 v111, 16, v108
	v_lshrrev_b32_e32 v112, 16, v109
	v_min_f16_e32 v108, v110, v108
	v_min3_f16 v106, v106, v111, v112
	v_min3_f16 v106, v108, v109, v106
	v_cvt_f32_f16_e32 v106, v106
	v_min_f32_e32 v108, v107, v106
	v_lshlrev_b64 v[106:107], 1, v[36:37]
	v_cvt_f16_f32_e32 v108, v108
	v_add_co_u32 v106, vcc_lo, v28, v106
	v_add_co_ci_u32_e64 v107, null, v29, v107, vcc_lo
	global_store_short v[106:107], v108, off
	s_or_b32 exec_lo, exec_lo, s12
	s_and_b32 s15, s3, s8
	s_and_saveexec_b32 s12, s15
	s_cbranch_execz .LBB279_102
.LBB279_118:
	v_cmp_ne_u32_e32 vcc_lo, 1, v75
	s_cbranch_vccnz .LBB279_120
; %bb.119:
	v_lshlrev_b64 v[106:107], 1, v[38:39]
	v_add_co_u32 v106, vcc_lo, v101, v106
	v_add_co_ci_u32_e64 v107, null, v102, v107, vcc_lo
	global_load_ushort v106, v[106:107], off
	s_waitcnt vmcnt(0)
	v_mul_f16_e32 v106, v48, v106
	v_cvt_f32_f16_e32 v106, v106
	s_branch .LBB279_121
.LBB279_120:
	v_mov_b32_e32 v106, 0
.LBB279_121:
	v_pk_add_f16 v107, v14, v30
	v_pk_add_f16 v108, v15, v31
	v_max_f16_e32 v109, v105, v105
	v_lshrrev_b32_e32 v105, 16, v105
	v_max_f32_e32 v106, v106, v106
	v_lshrrev_b32_e32 v110, 16, v107
	v_lshrrev_b32_e32 v111, 16, v108
	v_min_f16_e32 v107, v109, v107
	v_min3_f16 v105, v105, v110, v111
	v_min3_f16 v105, v107, v108, v105
	v_cvt_f32_f16_e32 v105, v105
	v_min_f32_e32 v107, v106, v105
	v_lshlrev_b64 v[105:106], 1, v[38:39]
	v_cvt_f16_f32_e32 v107, v107
	v_add_co_u32 v105, vcc_lo, v28, v105
	v_add_co_ci_u32_e64 v106, null, v29, v106, vcc_lo
	global_store_short v[105:106], v107, off
	s_or_b32 exec_lo, exec_lo, s12
	s_and_b32 s15, s4, s8
	s_and_saveexec_b32 s12, s15
	s_cbranch_execz .LBB279_103
.LBB279_122:
	v_cmp_ne_u32_e32 vcc_lo, 1, v75
	s_cbranch_vccnz .LBB279_124
; %bb.123:
	v_lshlrev_b64 v[105:106], 1, v[40:41]
	v_add_co_u32 v105, vcc_lo, v101, v105
	v_add_co_ci_u32_e64 v106, null, v102, v106, vcc_lo
	global_load_ushort v105, v[105:106], off
	s_waitcnt vmcnt(0)
	v_mul_f16_e32 v105, v48, v105
	v_cvt_f32_f16_e32 v105, v105
	s_branch .LBB279_125
.LBB279_124:
	v_mov_b32_e32 v105, 0
.LBB279_125:
	v_pk_add_f16 v106, v8, v30
	v_pk_add_f16 v107, v9, v31
	v_max_f16_e32 v108, v104, v104
	v_lshrrev_b32_e32 v104, 16, v104
	v_max_f32_e32 v105, v105, v105
	v_lshrrev_b32_e32 v109, 16, v106
	v_lshrrev_b32_e32 v110, 16, v107
	v_min_f16_e32 v106, v108, v106
	v_min3_f16 v104, v104, v109, v110
	v_min3_f16 v104, v106, v107, v104
	v_cvt_f32_f16_e32 v104, v104
	v_min_f32_e32 v106, v105, v104
	v_lshlrev_b64 v[104:105], 1, v[40:41]
	v_cvt_f16_f32_e32 v106, v106
	v_add_co_u32 v104, vcc_lo, v28, v104
	v_add_co_ci_u32_e64 v105, null, v29, v105, vcc_lo
	global_store_short v[104:105], v106, off
	s_or_b32 exec_lo, exec_lo, s12
	s_and_b32 s15, s5, s8
	s_and_saveexec_b32 s12, s15
	s_cbranch_execz .LBB279_104
.LBB279_126:
	v_cmp_ne_u32_e32 vcc_lo, 1, v75
	s_cbranch_vccnz .LBB279_128
; %bb.127:
	v_lshlrev_b64 v[104:105], 1, v[42:43]
	v_add_co_u32 v104, vcc_lo, v101, v104
	v_add_co_ci_u32_e64 v105, null, v102, v105, vcc_lo
	global_load_ushort v104, v[104:105], off
	s_waitcnt vmcnt(0)
	v_mul_f16_e32 v104, v48, v104
	v_cvt_f32_f16_e32 v104, v104
	s_branch .LBB279_129
.LBB279_128:
	v_mov_b32_e32 v104, 0
.LBB279_129:
	v_pk_add_f16 v105, v10, v30
	v_pk_add_f16 v106, v11, v31
	v_max_f16_e32 v107, v100, v100
	v_lshrrev_b32_e32 v100, 16, v100
	v_max_f32_e32 v104, v104, v104
	v_lshrrev_b32_e32 v108, 16, v105
	v_lshrrev_b32_e32 v109, 16, v106
	v_min_f16_e32 v105, v107, v105
	v_min3_f16 v100, v100, v108, v109
	v_min3_f16 v100, v105, v106, v100
	v_cvt_f32_f16_e32 v100, v100
	v_min_f32_e32 v100, v104, v100
	v_lshlrev_b64 v[104:105], 1, v[42:43]
	v_cvt_f16_f32_e32 v100, v100
	v_add_co_u32 v104, vcc_lo, v28, v104
	v_add_co_ci_u32_e64 v105, null, v29, v105, vcc_lo
	global_store_short v[104:105], v100, off
	s_or_b32 exec_lo, exec_lo, s12
	s_and_b32 s15, s6, s8
	s_and_saveexec_b32 s12, s15
	s_cbranch_execz .LBB279_105
.LBB279_130:
	v_cmp_ne_u32_e32 vcc_lo, 1, v75
	s_cbranch_vccnz .LBB279_132
; %bb.131:
	v_lshlrev_b64 v[104:105], 1, v[44:45]
	v_add_co_u32 v104, vcc_lo, v101, v104
	v_add_co_ci_u32_e64 v105, null, v102, v105, vcc_lo
	global_load_ushort v100, v[104:105], off
	s_waitcnt vmcnt(0)
	v_mul_f16_e32 v100, v48, v100
	v_cvt_f32_f16_e32 v100, v100
	s_branch .LBB279_133
.LBB279_132:
	v_mov_b32_e32 v100, 0
.LBB279_133:
	v_pk_add_f16 v104, v0, v30
	v_pk_add_f16 v105, v1, v31
	v_max_f16_e32 v106, v99, v99
	v_lshrrev_b32_e32 v99, 16, v99
	v_max_f32_e32 v100, v100, v100
	v_lshrrev_b32_e32 v107, 16, v104
	v_lshrrev_b32_e32 v108, 16, v105
	v_min_f16_e32 v104, v106, v104
	v_min3_f16 v99, v99, v107, v108
	v_min3_f16 v99, v104, v105, v99
	v_cvt_f32_f16_e32 v99, v99
	v_min_f32_e32 v104, v100, v99
	v_lshlrev_b64 v[99:100], 1, v[44:45]
	v_cvt_f16_f32_e32 v104, v104
	v_add_co_u32 v99, vcc_lo, v28, v99
	v_add_co_ci_u32_e64 v100, null, v29, v100, vcc_lo
	global_store_short v[99:100], v104, off
	s_or_b32 exec_lo, exec_lo, s12
	s_and_b32 s12, s7, s8
	s_and_saveexec_b32 s8, s12
	s_cbranch_execz .LBB279_138
.LBB279_134:
	v_cmp_ne_u32_e32 vcc_lo, 1, v75
	s_cbranch_vccnz .LBB279_136
; %bb.135:
	v_lshlrev_b64 v[99:100], 1, v[46:47]
	v_add_co_u32 v99, vcc_lo, v101, v99
	v_add_co_ci_u32_e64 v100, null, v102, v100, vcc_lo
	global_load_ushort v99, v[99:100], off
	s_waitcnt vmcnt(0)
	v_mul_f16_e32 v99, v48, v99
	v_cvt_f32_f16_e32 v99, v99
	s_branch .LBB279_137
.LBB279_136:
	v_mov_b32_e32 v99, 0
.LBB279_137:
	v_pk_add_f16 v30, v2, v30
	v_pk_add_f16 v31, v3, v31
	v_max_f16_e32 v100, v103, v103
	v_lshrrev_b32_e32 v101, 16, v103
	v_lshrrev_b32_e32 v102, 16, v30
	v_lshrrev_b32_e32 v103, 16, v31
	v_min_f16_e32 v30, v100, v30
	v_min3_f16 v100, v101, v102, v103
	v_min3_f16 v30, v30, v31, v100
	v_max_f32_e32 v31, v99, v99
	v_cvt_f32_f16_e32 v30, v30
	v_min_f32_e32 v99, v31, v30
	v_lshlrev_b64 v[30:31], 1, v[46:47]
	v_cvt_f16_f32_e32 v99, v99
	v_add_co_u32 v28, vcc_lo, v28, v30
	v_add_co_ci_u32_e64 v29, null, v29, v31, vcc_lo
	global_store_short v[28:29], v99, off
.LBB279_138:
	s_or_b32 exec_lo, exec_lo, s8
	v_add_nc_u32_e32 v99, 64, v83
	v_mad_i64_i32 v[28:29], null, v99, s14, 0
	v_mad_i64_i32 v[30:31], null, v99, s9, 0
	v_cmp_gt_i32_e64 s8, s13, v99
	v_lshlrev_b64 v[28:29], 1, v[28:29]
	s_and_b32 s15, s0, s8
	v_lshlrev_b64 v[99:100], 1, v[30:31]
	v_add_co_u32 v30, vcc_lo, s16, v28
	v_add_co_ci_u32_e64 v31, null, s17, v29, vcc_lo
	v_add_co_u32 v28, vcc_lo, s10, v99
	v_add_co_ci_u32_e64 v29, null, s11, v100, vcc_lo
	s_and_saveexec_b32 s12, s15
	s_cbranch_execnz .LBB279_146
; %bb.139:
	s_or_b32 exec_lo, exec_lo, s12
	s_and_b32 s15, s1, s8
	s_and_saveexec_b32 s12, s15
	s_cbranch_execnz .LBB279_150
.LBB279_140:
	s_or_b32 exec_lo, exec_lo, s12
	s_and_b32 s15, s2, s8
	s_and_saveexec_b32 s12, s15
	s_cbranch_execnz .LBB279_154
.LBB279_141:
	s_or_b32 exec_lo, exec_lo, s12
	s_and_b32 s15, s3, s8
	s_and_saveexec_b32 s12, s15
	s_cbranch_execnz .LBB279_158
.LBB279_142:
	s_or_b32 exec_lo, exec_lo, s12
	s_and_b32 s15, s4, s8
	s_and_saveexec_b32 s12, s15
	s_cbranch_execnz .LBB279_162
.LBB279_143:
	s_or_b32 exec_lo, exec_lo, s12
	s_and_b32 s15, s5, s8
	s_and_saveexec_b32 s12, s15
	s_cbranch_execnz .LBB279_166
.LBB279_144:
	s_or_b32 exec_lo, exec_lo, s12
	s_and_b32 s15, s6, s8
	s_and_saveexec_b32 s12, s15
	s_cbranch_execnz .LBB279_170
.LBB279_145:
	s_or_b32 exec_lo, exec_lo, s12
	s_and_b32 s12, s7, s8
	s_and_saveexec_b32 s8, s12
	s_cbranch_execnz .LBB279_174
	s_branch .LBB279_178
.LBB279_146:
	v_cmp_ne_u32_e32 vcc_lo, 1, v75
	s_cbranch_vccnz .LBB279_148
; %bb.147:
	v_lshlrev_b64 v[99:100], 1, v[32:33]
	v_add_co_u32 v99, vcc_lo, v30, v99
	v_add_co_ci_u32_e64 v100, null, v31, v100, vcc_lo
	global_load_ushort v99, v[99:100], off
	s_waitcnt vmcnt(0)
	v_mul_f16_e32 v99, v48, v99
	v_cvt_f32_f16_e32 v99, v99
	s_branch .LBB279_149
.LBB279_148:
	v_mov_b32_e32 v99, 0
.LBB279_149:
	v_pk_add_f16 v100, v16, v24
	v_pk_add_f16 v101, v17, v25
	v_max_f16_e32 v102, v98, v98
	v_lshrrev_b32_e32 v98, 16, v98
	v_max_f32_e32 v99, v99, v99
	v_lshrrev_b32_e32 v103, 16, v100
	v_lshrrev_b32_e32 v104, 16, v101
	v_min_f16_e32 v100, v102, v100
	v_min3_f16 v98, v98, v103, v104
	v_min3_f16 v98, v100, v101, v98
	v_cvt_f32_f16_e32 v98, v98
	v_min_f32_e32 v100, v99, v98
	v_lshlrev_b64 v[98:99], 1, v[32:33]
	v_cvt_f16_f32_e32 v100, v100
	v_add_co_u32 v98, vcc_lo, v28, v98
	v_add_co_ci_u32_e64 v99, null, v29, v99, vcc_lo
	global_store_short v[98:99], v100, off
	s_or_b32 exec_lo, exec_lo, s12
	s_and_b32 s15, s1, s8
	s_and_saveexec_b32 s12, s15
	s_cbranch_execz .LBB279_140
.LBB279_150:
	v_cmp_ne_u32_e32 vcc_lo, 1, v75
	s_cbranch_vccnz .LBB279_152
; %bb.151:
	v_lshlrev_b64 v[98:99], 1, v[34:35]
	v_add_co_u32 v98, vcc_lo, v30, v98
	v_add_co_ci_u32_e64 v99, null, v31, v99, vcc_lo
	global_load_ushort v98, v[98:99], off
	s_waitcnt vmcnt(0)
	v_mul_f16_e32 v98, v48, v98
	v_cvt_f32_f16_e32 v98, v98
	s_branch .LBB279_153
.LBB279_152:
	v_mov_b32_e32 v98, 0
.LBB279_153:
	v_pk_add_f16 v99, v18, v24
	v_pk_add_f16 v100, v19, v25
	v_max_f16_e32 v101, v97, v97
	v_lshrrev_b32_e32 v97, 16, v97
	v_max_f32_e32 v98, v98, v98
	v_lshrrev_b32_e32 v102, 16, v99
	v_lshrrev_b32_e32 v103, 16, v100
	v_min_f16_e32 v99, v101, v99
	v_min3_f16 v97, v97, v102, v103
	v_min3_f16 v97, v99, v100, v97
	v_cvt_f32_f16_e32 v97, v97
	v_min_f32_e32 v99, v98, v97
	v_lshlrev_b64 v[97:98], 1, v[34:35]
	v_cvt_f16_f32_e32 v99, v99
	v_add_co_u32 v97, vcc_lo, v28, v97
	v_add_co_ci_u32_e64 v98, null, v29, v98, vcc_lo
	global_store_short v[97:98], v99, off
	s_or_b32 exec_lo, exec_lo, s12
	s_and_b32 s15, s2, s8
	s_and_saveexec_b32 s12, s15
	s_cbranch_execz .LBB279_141
.LBB279_154:
	v_cmp_ne_u32_e32 vcc_lo, 1, v75
	s_cbranch_vccnz .LBB279_156
; %bb.155:
	v_lshlrev_b64 v[97:98], 1, v[36:37]
	v_add_co_u32 v97, vcc_lo, v30, v97
	v_add_co_ci_u32_e64 v98, null, v31, v98, vcc_lo
	global_load_ushort v97, v[97:98], off
	s_waitcnt vmcnt(0)
	v_mul_f16_e32 v97, v48, v97
	v_cvt_f32_f16_e32 v97, v97
	s_branch .LBB279_157
.LBB279_156:
	v_mov_b32_e32 v97, 0
.LBB279_157:
	v_pk_add_f16 v98, v12, v24
	v_pk_add_f16 v99, v13, v25
	v_max_f16_e32 v100, v96, v96
	v_lshrrev_b32_e32 v96, 16, v96
	v_max_f32_e32 v97, v97, v97
	v_lshrrev_b32_e32 v101, 16, v98
	v_lshrrev_b32_e32 v102, 16, v99
	v_min_f16_e32 v98, v100, v98
	v_min3_f16 v96, v96, v101, v102
	v_min3_f16 v96, v98, v99, v96
	v_cvt_f32_f16_e32 v96, v96
	v_min_f32_e32 v98, v97, v96
	v_lshlrev_b64 v[96:97], 1, v[36:37]
	v_cvt_f16_f32_e32 v98, v98
	v_add_co_u32 v96, vcc_lo, v28, v96
	v_add_co_ci_u32_e64 v97, null, v29, v97, vcc_lo
	global_store_short v[96:97], v98, off
	s_or_b32 exec_lo, exec_lo, s12
	s_and_b32 s15, s3, s8
	s_and_saveexec_b32 s12, s15
	s_cbranch_execz .LBB279_142
.LBB279_158:
	v_cmp_ne_u32_e32 vcc_lo, 1, v75
	s_cbranch_vccnz .LBB279_160
; %bb.159:
	v_lshlrev_b64 v[96:97], 1, v[38:39]
	v_add_co_u32 v96, vcc_lo, v30, v96
	v_add_co_ci_u32_e64 v97, null, v31, v97, vcc_lo
	global_load_ushort v96, v[96:97], off
	s_waitcnt vmcnt(0)
	v_mul_f16_e32 v96, v48, v96
	v_cvt_f32_f16_e32 v96, v96
	s_branch .LBB279_161
.LBB279_160:
	v_mov_b32_e32 v96, 0
.LBB279_161:
	v_pk_add_f16 v97, v14, v24
	v_pk_add_f16 v98, v15, v25
	v_max_f16_e32 v99, v95, v95
	v_lshrrev_b32_e32 v95, 16, v95
	v_max_f32_e32 v96, v96, v96
	v_lshrrev_b32_e32 v100, 16, v97
	v_lshrrev_b32_e32 v101, 16, v98
	v_min_f16_e32 v97, v99, v97
	v_min3_f16 v95, v95, v100, v101
	v_min3_f16 v95, v97, v98, v95
	v_cvt_f32_f16_e32 v95, v95
	v_min_f32_e32 v97, v96, v95
	v_lshlrev_b64 v[95:96], 1, v[38:39]
	v_cvt_f16_f32_e32 v97, v97
	v_add_co_u32 v95, vcc_lo, v28, v95
	v_add_co_ci_u32_e64 v96, null, v29, v96, vcc_lo
	global_store_short v[95:96], v97, off
	s_or_b32 exec_lo, exec_lo, s12
	s_and_b32 s15, s4, s8
	s_and_saveexec_b32 s12, s15
	s_cbranch_execz .LBB279_143
.LBB279_162:
	v_cmp_ne_u32_e32 vcc_lo, 1, v75
	s_cbranch_vccnz .LBB279_164
; %bb.163:
	v_lshlrev_b64 v[95:96], 1, v[40:41]
	v_add_co_u32 v95, vcc_lo, v30, v95
	v_add_co_ci_u32_e64 v96, null, v31, v96, vcc_lo
	global_load_ushort v95, v[95:96], off
	s_waitcnt vmcnt(0)
	v_mul_f16_e32 v95, v48, v95
	v_cvt_f32_f16_e32 v95, v95
	s_branch .LBB279_165
.LBB279_164:
	v_mov_b32_e32 v95, 0
.LBB279_165:
	v_pk_add_f16 v96, v8, v24
	v_pk_add_f16 v97, v9, v25
	v_max_f16_e32 v98, v94, v94
	v_lshrrev_b32_e32 v94, 16, v94
	v_max_f32_e32 v95, v95, v95
	v_lshrrev_b32_e32 v99, 16, v96
	v_lshrrev_b32_e32 v100, 16, v97
	v_min_f16_e32 v96, v98, v96
	v_min3_f16 v94, v94, v99, v100
	v_min3_f16 v94, v96, v97, v94
	v_cvt_f32_f16_e32 v94, v94
	v_min_f32_e32 v96, v95, v94
	v_lshlrev_b64 v[94:95], 1, v[40:41]
	v_cvt_f16_f32_e32 v96, v96
	v_add_co_u32 v94, vcc_lo, v28, v94
	v_add_co_ci_u32_e64 v95, null, v29, v95, vcc_lo
	global_store_short v[94:95], v96, off
	s_or_b32 exec_lo, exec_lo, s12
	s_and_b32 s15, s5, s8
	s_and_saveexec_b32 s12, s15
	s_cbranch_execz .LBB279_144
.LBB279_166:
	v_cmp_ne_u32_e32 vcc_lo, 1, v75
	s_cbranch_vccnz .LBB279_168
; %bb.167:
	v_lshlrev_b64 v[94:95], 1, v[42:43]
	v_add_co_u32 v94, vcc_lo, v30, v94
	v_add_co_ci_u32_e64 v95, null, v31, v95, vcc_lo
	global_load_ushort v94, v[94:95], off
	s_waitcnt vmcnt(0)
	v_mul_f16_e32 v94, v48, v94
	v_cvt_f32_f16_e32 v94, v94
	s_branch .LBB279_169
.LBB279_168:
	v_mov_b32_e32 v94, 0
.LBB279_169:
	v_pk_add_f16 v95, v10, v24
	v_pk_add_f16 v96, v11, v25
	v_max_f16_e32 v97, v93, v93
	v_lshrrev_b32_e32 v93, 16, v93
	v_max_f32_e32 v94, v94, v94
	v_lshrrev_b32_e32 v98, 16, v95
	v_lshrrev_b32_e32 v99, 16, v96
	v_min_f16_e32 v95, v97, v95
	v_min3_f16 v93, v93, v98, v99
	v_min3_f16 v93, v95, v96, v93
	v_cvt_f32_f16_e32 v93, v93
	v_min_f32_e32 v95, v94, v93
	v_lshlrev_b64 v[93:94], 1, v[42:43]
	v_cvt_f16_f32_e32 v95, v95
	v_add_co_u32 v93, vcc_lo, v28, v93
	v_add_co_ci_u32_e64 v94, null, v29, v94, vcc_lo
	global_store_short v[93:94], v95, off
	s_or_b32 exec_lo, exec_lo, s12
	s_and_b32 s15, s6, s8
	s_and_saveexec_b32 s12, s15
	s_cbranch_execz .LBB279_145
.LBB279_170:
	v_cmp_ne_u32_e32 vcc_lo, 1, v75
	s_cbranch_vccnz .LBB279_172
; %bb.171:
	v_lshlrev_b64 v[93:94], 1, v[44:45]
	v_add_co_u32 v93, vcc_lo, v30, v93
	v_add_co_ci_u32_e64 v94, null, v31, v94, vcc_lo
	global_load_ushort v93, v[93:94], off
	s_waitcnt vmcnt(0)
	v_mul_f16_e32 v93, v48, v93
	v_cvt_f32_f16_e32 v93, v93
	s_branch .LBB279_173
.LBB279_172:
	v_mov_b32_e32 v93, 0
.LBB279_173:
	v_pk_add_f16 v94, v0, v24
	v_pk_add_f16 v95, v1, v25
	v_max_f16_e32 v96, v92, v92
	v_lshrrev_b32_e32 v92, 16, v92
	v_max_f32_e32 v93, v93, v93
	v_lshrrev_b32_e32 v97, 16, v94
	v_lshrrev_b32_e32 v98, 16, v95
	v_min_f16_e32 v94, v96, v94
	v_min3_f16 v92, v92, v97, v98
	v_min3_f16 v92, v94, v95, v92
	v_cvt_f32_f16_e32 v92, v92
	v_min_f32_e32 v94, v93, v92
	v_lshlrev_b64 v[92:93], 1, v[44:45]
	v_cvt_f16_f32_e32 v94, v94
	v_add_co_u32 v92, vcc_lo, v28, v92
	v_add_co_ci_u32_e64 v93, null, v29, v93, vcc_lo
	global_store_short v[92:93], v94, off
	s_or_b32 exec_lo, exec_lo, s12
	s_and_b32 s12, s7, s8
	s_and_saveexec_b32 s8, s12
	s_cbranch_execz .LBB279_178
.LBB279_174:
	v_cmp_ne_u32_e32 vcc_lo, 1, v75
	s_cbranch_vccnz .LBB279_176
; %bb.175:
	v_lshlrev_b64 v[92:93], 1, v[46:47]
	v_add_co_u32 v30, vcc_lo, v30, v92
	v_add_co_ci_u32_e64 v31, null, v31, v93, vcc_lo
	global_load_ushort v30, v[30:31], off
	s_waitcnt vmcnt(0)
	v_mul_f16_e32 v30, v48, v30
	v_cvt_f32_f16_e32 v30, v30
	s_branch .LBB279_177
.LBB279_176:
	v_mov_b32_e32 v30, 0
.LBB279_177:
	v_pk_add_f16 v24, v2, v24
	v_pk_add_f16 v25, v3, v25
	v_max_f16_e32 v31, v91, v91
	v_lshrrev_b32_e32 v91, 16, v91
	v_lshrrev_b32_e32 v92, 16, v24
	;; [unrolled: 1-line block ×3, first 2 shown]
	v_min_f16_e32 v24, v31, v24
	v_min3_f16 v31, v91, v92, v93
	v_min3_f16 v24, v24, v25, v31
	v_max_f32_e32 v25, v30, v30
	v_cvt_f32_f16_e32 v24, v24
	v_min_f32_e32 v30, v25, v24
	v_lshlrev_b64 v[24:25], 1, v[46:47]
	v_cvt_f16_f32_e32 v30, v30
	v_add_co_u32 v24, vcc_lo, v28, v24
	v_add_co_ci_u32_e64 v25, null, v29, v25, vcc_lo
	global_store_short v[24:25], v30, off
.LBB279_178:
	s_or_b32 exec_lo, exec_lo, s8
	v_add_nc_u32_e32 v30, 0x60, v83
	v_mad_i64_i32 v[24:25], null, v30, s14, 0
	v_mad_i64_i32 v[28:29], null, v30, s9, 0
	v_cmp_gt_i32_e64 s8, s13, v30
	v_lshlrev_b64 v[24:25], 1, v[24:25]
	s_and_b32 s15, s0, s8
	v_lshlrev_b64 v[30:31], 1, v[28:29]
	v_add_co_u32 v28, vcc_lo, s16, v24
	v_add_co_ci_u32_e64 v29, null, s17, v25, vcc_lo
	v_add_co_u32 v24, vcc_lo, s10, v30
	v_add_co_ci_u32_e64 v25, null, s11, v31, vcc_lo
	s_and_saveexec_b32 s12, s15
	s_cbranch_execnz .LBB279_186
; %bb.179:
	s_or_b32 exec_lo, exec_lo, s12
	s_and_b32 s15, s1, s8
	s_and_saveexec_b32 s12, s15
	s_cbranch_execnz .LBB279_190
.LBB279_180:
	s_or_b32 exec_lo, exec_lo, s12
	s_and_b32 s15, s2, s8
	s_and_saveexec_b32 s12, s15
	s_cbranch_execnz .LBB279_194
.LBB279_181:
	s_or_b32 exec_lo, exec_lo, s12
	s_and_b32 s15, s3, s8
	s_and_saveexec_b32 s12, s15
	s_cbranch_execnz .LBB279_198
.LBB279_182:
	s_or_b32 exec_lo, exec_lo, s12
	s_and_b32 s15, s4, s8
	s_and_saveexec_b32 s12, s15
	s_cbranch_execnz .LBB279_202
.LBB279_183:
	s_or_b32 exec_lo, exec_lo, s12
	s_and_b32 s15, s5, s8
	s_and_saveexec_b32 s12, s15
	s_cbranch_execnz .LBB279_206
.LBB279_184:
	s_or_b32 exec_lo, exec_lo, s12
	s_and_b32 s15, s6, s8
	s_and_saveexec_b32 s12, s15
	s_cbranch_execnz .LBB279_210
.LBB279_185:
	s_or_b32 exec_lo, exec_lo, s12
	s_and_b32 s12, s7, s8
	s_and_saveexec_b32 s8, s12
	s_cbranch_execnz .LBB279_214
	s_branch .LBB279_218
.LBB279_186:
	v_cmp_ne_u32_e32 vcc_lo, 1, v75
	s_cbranch_vccnz .LBB279_188
; %bb.187:
	v_lshlrev_b64 v[30:31], 1, v[32:33]
	v_add_co_u32 v30, vcc_lo, v28, v30
	v_add_co_ci_u32_e64 v31, null, v29, v31, vcc_lo
	global_load_ushort v30, v[30:31], off
	s_waitcnt vmcnt(0)
	v_mul_f16_e32 v30, v48, v30
	v_cvt_f32_f16_e32 v30, v30
	s_branch .LBB279_189
.LBB279_188:
	v_mov_b32_e32 v30, 0
.LBB279_189:
	v_pk_add_f16 v31, v16, v26
	v_pk_add_f16 v91, v17, v27
	v_max_f16_e32 v92, v90, v90
	v_lshrrev_b32_e32 v90, 16, v90
	v_max_f32_e32 v30, v30, v30
	v_lshrrev_b32_e32 v93, 16, v31
	v_lshrrev_b32_e32 v94, 16, v91
	v_min_f16_e32 v31, v92, v31
	v_min3_f16 v90, v90, v93, v94
	v_min3_f16 v31, v31, v91, v90
	v_cvt_f32_f16_e32 v31, v31
	v_min_f32_e32 v90, v30, v31
	v_lshlrev_b64 v[30:31], 1, v[32:33]
	v_cvt_f16_f32_e32 v90, v90
	v_add_co_u32 v30, vcc_lo, v24, v30
	v_add_co_ci_u32_e64 v31, null, v25, v31, vcc_lo
	global_store_short v[30:31], v90, off
	s_or_b32 exec_lo, exec_lo, s12
	s_and_b32 s15, s1, s8
	s_and_saveexec_b32 s12, s15
	s_cbranch_execz .LBB279_180
.LBB279_190:
	v_cmp_ne_u32_e32 vcc_lo, 1, v75
	s_cbranch_vccnz .LBB279_192
; %bb.191:
	v_lshlrev_b64 v[30:31], 1, v[34:35]
	v_add_co_u32 v30, vcc_lo, v28, v30
	v_add_co_ci_u32_e64 v31, null, v29, v31, vcc_lo
	global_load_ushort v30, v[30:31], off
	s_waitcnt vmcnt(0)
	v_mul_f16_e32 v30, v48, v30
	v_cvt_f32_f16_e32 v30, v30
	s_branch .LBB279_193
.LBB279_192:
	v_mov_b32_e32 v30, 0
.LBB279_193:
	v_pk_add_f16 v31, v18, v26
	v_pk_add_f16 v90, v19, v27
	v_max_f16_e32 v91, v89, v89
	v_lshrrev_b32_e32 v89, 16, v89
	v_max_f32_e32 v30, v30, v30
	v_lshrrev_b32_e32 v92, 16, v31
	v_lshrrev_b32_e32 v93, 16, v90
	v_min_f16_e32 v31, v91, v31
	v_min3_f16 v89, v89, v92, v93
	v_min3_f16 v31, v31, v90, v89
	v_cvt_f32_f16_e32 v31, v31
	v_min_f32_e32 v89, v30, v31
	v_lshlrev_b64 v[30:31], 1, v[34:35]
	v_cvt_f16_f32_e32 v89, v89
	v_add_co_u32 v30, vcc_lo, v24, v30
	v_add_co_ci_u32_e64 v31, null, v25, v31, vcc_lo
	global_store_short v[30:31], v89, off
	s_or_b32 exec_lo, exec_lo, s12
	s_and_b32 s15, s2, s8
	s_and_saveexec_b32 s12, s15
	s_cbranch_execz .LBB279_181
.LBB279_194:
	v_cmp_ne_u32_e32 vcc_lo, 1, v75
	s_cbranch_vccnz .LBB279_196
; %bb.195:
	v_lshlrev_b64 v[30:31], 1, v[36:37]
	v_add_co_u32 v30, vcc_lo, v28, v30
	v_add_co_ci_u32_e64 v31, null, v29, v31, vcc_lo
	global_load_ushort v30, v[30:31], off
	s_waitcnt vmcnt(0)
	v_mul_f16_e32 v30, v48, v30
	v_cvt_f32_f16_e32 v30, v30
	s_branch .LBB279_197
.LBB279_196:
	v_mov_b32_e32 v30, 0
.LBB279_197:
	v_pk_add_f16 v31, v12, v26
	v_pk_add_f16 v89, v13, v27
	v_max_f16_e32 v90, v88, v88
	v_lshrrev_b32_e32 v88, 16, v88
	v_max_f32_e32 v30, v30, v30
	v_lshrrev_b32_e32 v91, 16, v31
	v_lshrrev_b32_e32 v92, 16, v89
	v_min_f16_e32 v31, v90, v31
	v_min3_f16 v88, v88, v91, v92
	v_min3_f16 v31, v31, v89, v88
	v_cvt_f32_f16_e32 v31, v31
	v_min_f32_e32 v88, v30, v31
	v_lshlrev_b64 v[30:31], 1, v[36:37]
	v_cvt_f16_f32_e32 v88, v88
	v_add_co_u32 v30, vcc_lo, v24, v30
	v_add_co_ci_u32_e64 v31, null, v25, v31, vcc_lo
	global_store_short v[30:31], v88, off
	s_or_b32 exec_lo, exec_lo, s12
	s_and_b32 s15, s3, s8
	s_and_saveexec_b32 s12, s15
	s_cbranch_execz .LBB279_182
.LBB279_198:
	v_cmp_ne_u32_e32 vcc_lo, 1, v75
	s_cbranch_vccnz .LBB279_200
; %bb.199:
	v_lshlrev_b64 v[30:31], 1, v[38:39]
	v_add_co_u32 v30, vcc_lo, v28, v30
	v_add_co_ci_u32_e64 v31, null, v29, v31, vcc_lo
	global_load_ushort v30, v[30:31], off
	s_waitcnt vmcnt(0)
	v_mul_f16_e32 v30, v48, v30
	v_cvt_f32_f16_e32 v30, v30
	s_branch .LBB279_201
.LBB279_200:
	v_mov_b32_e32 v30, 0
.LBB279_201:
	v_pk_add_f16 v31, v14, v26
	v_pk_add_f16 v88, v15, v27
	v_max_f16_e32 v89, v87, v87
	v_lshrrev_b32_e32 v87, 16, v87
	v_max_f32_e32 v30, v30, v30
	v_lshrrev_b32_e32 v90, 16, v31
	v_lshrrev_b32_e32 v91, 16, v88
	v_min_f16_e32 v31, v89, v31
	v_min3_f16 v87, v87, v90, v91
	v_min3_f16 v31, v31, v88, v87
	v_cvt_f32_f16_e32 v31, v31
	v_min_f32_e32 v87, v30, v31
	v_lshlrev_b64 v[30:31], 1, v[38:39]
	v_cvt_f16_f32_e32 v87, v87
	v_add_co_u32 v30, vcc_lo, v24, v30
	v_add_co_ci_u32_e64 v31, null, v25, v31, vcc_lo
	global_store_short v[30:31], v87, off
	s_or_b32 exec_lo, exec_lo, s12
	s_and_b32 s15, s4, s8
	s_and_saveexec_b32 s12, s15
	s_cbranch_execz .LBB279_183
.LBB279_202:
	v_cmp_ne_u32_e32 vcc_lo, 1, v75
	s_cbranch_vccnz .LBB279_204
; %bb.203:
	v_lshlrev_b64 v[30:31], 1, v[40:41]
	v_add_co_u32 v30, vcc_lo, v28, v30
	v_add_co_ci_u32_e64 v31, null, v29, v31, vcc_lo
	global_load_ushort v30, v[30:31], off
	s_waitcnt vmcnt(0)
	v_mul_f16_e32 v30, v48, v30
	v_cvt_f32_f16_e32 v30, v30
	s_branch .LBB279_205
.LBB279_204:
	v_mov_b32_e32 v30, 0
.LBB279_205:
	v_pk_add_f16 v31, v8, v26
	v_pk_add_f16 v87, v9, v27
	v_max_f16_e32 v88, v86, v86
	v_lshrrev_b32_e32 v86, 16, v86
	v_max_f32_e32 v30, v30, v30
	v_lshrrev_b32_e32 v89, 16, v31
	v_lshrrev_b32_e32 v90, 16, v87
	v_min_f16_e32 v31, v88, v31
	v_min3_f16 v86, v86, v89, v90
	v_min3_f16 v31, v31, v87, v86
	v_cvt_f32_f16_e32 v31, v31
	v_min_f32_e32 v86, v30, v31
	v_lshlrev_b64 v[30:31], 1, v[40:41]
	v_cvt_f16_f32_e32 v86, v86
	v_add_co_u32 v30, vcc_lo, v24, v30
	v_add_co_ci_u32_e64 v31, null, v25, v31, vcc_lo
	global_store_short v[30:31], v86, off
	s_or_b32 exec_lo, exec_lo, s12
	s_and_b32 s15, s5, s8
	s_and_saveexec_b32 s12, s15
	s_cbranch_execz .LBB279_184
.LBB279_206:
	v_cmp_ne_u32_e32 vcc_lo, 1, v75
	s_cbranch_vccnz .LBB279_208
; %bb.207:
	v_lshlrev_b64 v[30:31], 1, v[42:43]
	v_add_co_u32 v30, vcc_lo, v28, v30
	v_add_co_ci_u32_e64 v31, null, v29, v31, vcc_lo
	global_load_ushort v30, v[30:31], off
	s_waitcnt vmcnt(0)
	v_mul_f16_e32 v30, v48, v30
	v_cvt_f32_f16_e32 v30, v30
	s_branch .LBB279_209
.LBB279_208:
	v_mov_b32_e32 v30, 0
.LBB279_209:
	v_pk_add_f16 v31, v10, v26
	v_pk_add_f16 v86, v11, v27
	v_max_f16_e32 v87, v85, v85
	v_lshrrev_b32_e32 v85, 16, v85
	v_max_f32_e32 v30, v30, v30
	v_lshrrev_b32_e32 v88, 16, v31
	v_lshrrev_b32_e32 v89, 16, v86
	v_min_f16_e32 v31, v87, v31
	v_min3_f16 v85, v85, v88, v89
	v_min3_f16 v31, v31, v86, v85
	v_cvt_f32_f16_e32 v31, v31
	v_min_f32_e32 v85, v30, v31
	v_lshlrev_b64 v[30:31], 1, v[42:43]
	v_cvt_f16_f32_e32 v85, v85
	v_add_co_u32 v30, vcc_lo, v24, v30
	v_add_co_ci_u32_e64 v31, null, v25, v31, vcc_lo
	global_store_short v[30:31], v85, off
	s_or_b32 exec_lo, exec_lo, s12
	s_and_b32 s15, s6, s8
	s_and_saveexec_b32 s12, s15
	s_cbranch_execz .LBB279_185
.LBB279_210:
	v_cmp_ne_u32_e32 vcc_lo, 1, v75
	s_cbranch_vccnz .LBB279_212
; %bb.211:
	v_lshlrev_b64 v[30:31], 1, v[44:45]
	v_add_co_u32 v30, vcc_lo, v28, v30
	v_add_co_ci_u32_e64 v31, null, v29, v31, vcc_lo
	global_load_ushort v30, v[30:31], off
	s_waitcnt vmcnt(0)
	v_mul_f16_e32 v30, v48, v30
	v_cvt_f32_f16_e32 v30, v30
	s_branch .LBB279_213
.LBB279_212:
	v_mov_b32_e32 v30, 0
.LBB279_213:
	v_pk_add_f16 v31, v0, v26
	v_pk_add_f16 v85, v1, v27
	v_max_f16_e32 v86, v84, v84
	v_lshrrev_b32_e32 v84, 16, v84
	v_max_f32_e32 v30, v30, v30
	v_lshrrev_b32_e32 v87, 16, v31
	v_lshrrev_b32_e32 v88, 16, v85
	v_min_f16_e32 v31, v86, v31
	v_min3_f16 v84, v84, v87, v88
	v_min3_f16 v31, v31, v85, v84
	v_cvt_f32_f16_e32 v31, v31
	v_min_f32_e32 v84, v30, v31
	v_lshlrev_b64 v[30:31], 1, v[44:45]
	v_cvt_f16_f32_e32 v84, v84
	v_add_co_u32 v30, vcc_lo, v24, v30
	v_add_co_ci_u32_e64 v31, null, v25, v31, vcc_lo
	global_store_short v[30:31], v84, off
	s_or_b32 exec_lo, exec_lo, s12
	s_and_b32 s12, s7, s8
	s_and_saveexec_b32 s8, s12
	s_cbranch_execz .LBB279_218
.LBB279_214:
	v_cmp_ne_u32_e32 vcc_lo, 1, v75
	s_cbranch_vccnz .LBB279_216
; %bb.215:
	v_lshlrev_b64 v[30:31], 1, v[46:47]
	v_add_co_u32 v28, vcc_lo, v28, v30
	v_add_co_ci_u32_e64 v29, null, v29, v31, vcc_lo
	global_load_ushort v28, v[28:29], off
	s_waitcnt vmcnt(0)
	v_mul_f16_e32 v28, v48, v28
	v_cvt_f32_f16_e32 v28, v28
	s_branch .LBB279_217
.LBB279_216:
	v_mov_b32_e32 v28, 0
.LBB279_217:
	v_pk_add_f16 v26, v2, v26
	v_pk_add_f16 v27, v3, v27
	v_max_f16_e32 v29, v82, v82
	v_lshrrev_b32_e32 v30, 16, v82
	v_lshrrev_b32_e32 v31, 16, v26
	;; [unrolled: 1-line block ×3, first 2 shown]
	v_min_f16_e32 v26, v29, v26
	v_min3_f16 v29, v30, v31, v82
	v_min3_f16 v26, v26, v27, v29
	v_max_f32_e32 v27, v28, v28
	v_cvt_f32_f16_e32 v26, v26
	v_min_f32_e32 v28, v27, v26
	v_lshlrev_b64 v[26:27], 1, v[46:47]
	v_cvt_f16_f32_e32 v28, v28
	v_add_co_u32 v24, vcc_lo, v24, v26
	v_add_co_ci_u32_e64 v25, null, v25, v27, vcc_lo
	global_store_short v[24:25], v28, off
.LBB279_218:
	s_or_b32 exec_lo, exec_lo, s8
	v_add_nc_u32_e32 v28, 0x80, v83
	v_mad_i64_i32 v[24:25], null, v28, s14, 0
	v_mad_i64_i32 v[26:27], null, v28, s9, 0
	v_cmp_gt_i32_e64 s8, s13, v28
	v_lshlrev_b64 v[24:25], 1, v[24:25]
	s_and_b32 s15, s0, s8
	v_lshlrev_b64 v[28:29], 1, v[26:27]
	v_add_co_u32 v26, vcc_lo, s16, v24
	v_add_co_ci_u32_e64 v27, null, s17, v25, vcc_lo
	v_add_co_u32 v24, vcc_lo, s10, v28
	v_add_co_ci_u32_e64 v25, null, s11, v29, vcc_lo
	s_and_saveexec_b32 s12, s15
	s_cbranch_execnz .LBB279_226
; %bb.219:
	s_or_b32 exec_lo, exec_lo, s12
	s_and_b32 s15, s1, s8
	s_and_saveexec_b32 s12, s15
	s_cbranch_execnz .LBB279_230
.LBB279_220:
	s_or_b32 exec_lo, exec_lo, s12
	s_and_b32 s15, s2, s8
	s_and_saveexec_b32 s12, s15
	s_cbranch_execnz .LBB279_234
.LBB279_221:
	s_or_b32 exec_lo, exec_lo, s12
	s_and_b32 s15, s3, s8
	s_and_saveexec_b32 s12, s15
	s_cbranch_execnz .LBB279_238
.LBB279_222:
	s_or_b32 exec_lo, exec_lo, s12
	s_and_b32 s15, s4, s8
	s_and_saveexec_b32 s12, s15
	s_cbranch_execnz .LBB279_242
.LBB279_223:
	s_or_b32 exec_lo, exec_lo, s12
	s_and_b32 s15, s5, s8
	s_and_saveexec_b32 s12, s15
	s_cbranch_execnz .LBB279_246
.LBB279_224:
	s_or_b32 exec_lo, exec_lo, s12
	s_and_b32 s15, s6, s8
	s_and_saveexec_b32 s12, s15
	s_cbranch_execnz .LBB279_250
.LBB279_225:
	s_or_b32 exec_lo, exec_lo, s12
	s_and_b32 s12, s7, s8
	s_and_saveexec_b32 s8, s12
	s_cbranch_execnz .LBB279_254
	s_branch .LBB279_258
.LBB279_226:
	v_cmp_ne_u32_e32 vcc_lo, 1, v75
	s_cbranch_vccnz .LBB279_228
; %bb.227:
	v_lshlrev_b64 v[28:29], 1, v[32:33]
	v_add_co_u32 v28, vcc_lo, v26, v28
	v_add_co_ci_u32_e64 v29, null, v27, v29, vcc_lo
	global_load_ushort v28, v[28:29], off
	s_waitcnt vmcnt(0)
	v_mul_f16_e32 v28, v48, v28
	v_cvt_f32_f16_e32 v28, v28
	s_branch .LBB279_229
.LBB279_228:
	v_mov_b32_e32 v28, 0
.LBB279_229:
	v_pk_add_f16 v29, v16, v20
	v_pk_add_f16 v30, v17, v21
	v_max_f16_e32 v31, v81, v81
	v_lshrrev_b32_e32 v81, 16, v81
	v_max_f32_e32 v28, v28, v28
	v_lshrrev_b32_e32 v82, 16, v29
	v_lshrrev_b32_e32 v84, 16, v30
	v_min_f16_e32 v29, v31, v29
	v_min3_f16 v31, v81, v82, v84
	v_min3_f16 v29, v29, v30, v31
	v_cvt_f32_f16_e32 v29, v29
	v_min_f32_e32 v30, v28, v29
	v_lshlrev_b64 v[28:29], 1, v[32:33]
	v_cvt_f16_f32_e32 v30, v30
	v_add_co_u32 v28, vcc_lo, v24, v28
	v_add_co_ci_u32_e64 v29, null, v25, v29, vcc_lo
	global_store_short v[28:29], v30, off
	s_or_b32 exec_lo, exec_lo, s12
	s_and_b32 s15, s1, s8
	s_and_saveexec_b32 s12, s15
	s_cbranch_execz .LBB279_220
.LBB279_230:
	v_cmp_ne_u32_e32 vcc_lo, 1, v75
	s_cbranch_vccnz .LBB279_232
; %bb.231:
	v_lshlrev_b64 v[28:29], 1, v[34:35]
	v_add_co_u32 v28, vcc_lo, v26, v28
	v_add_co_ci_u32_e64 v29, null, v27, v29, vcc_lo
	global_load_ushort v28, v[28:29], off
	s_waitcnt vmcnt(0)
	v_mul_f16_e32 v28, v48, v28
	v_cvt_f32_f16_e32 v28, v28
	s_branch .LBB279_233
.LBB279_232:
	v_mov_b32_e32 v28, 0
.LBB279_233:
	v_pk_add_f16 v29, v18, v20
	v_pk_add_f16 v30, v19, v21
	v_max_f16_e32 v31, v80, v80
	v_lshrrev_b32_e32 v80, 16, v80
	v_max_f32_e32 v28, v28, v28
	v_lshrrev_b32_e32 v81, 16, v29
	v_lshrrev_b32_e32 v82, 16, v30
	v_min_f16_e32 v29, v31, v29
	v_min3_f16 v31, v80, v81, v82
	v_min3_f16 v29, v29, v30, v31
	v_cvt_f32_f16_e32 v29, v29
	v_min_f32_e32 v30, v28, v29
	v_lshlrev_b64 v[28:29], 1, v[34:35]
	v_cvt_f16_f32_e32 v30, v30
	v_add_co_u32 v28, vcc_lo, v24, v28
	v_add_co_ci_u32_e64 v29, null, v25, v29, vcc_lo
	global_store_short v[28:29], v30, off
	s_or_b32 exec_lo, exec_lo, s12
	s_and_b32 s15, s2, s8
	s_and_saveexec_b32 s12, s15
	s_cbranch_execz .LBB279_221
.LBB279_234:
	v_cmp_ne_u32_e32 vcc_lo, 1, v75
	s_cbranch_vccnz .LBB279_236
; %bb.235:
	v_lshlrev_b64 v[28:29], 1, v[36:37]
	v_add_co_u32 v28, vcc_lo, v26, v28
	v_add_co_ci_u32_e64 v29, null, v27, v29, vcc_lo
	global_load_ushort v28, v[28:29], off
	s_waitcnt vmcnt(0)
	v_mul_f16_e32 v28, v48, v28
	v_cvt_f32_f16_e32 v28, v28
	s_branch .LBB279_237
.LBB279_236:
	v_mov_b32_e32 v28, 0
.LBB279_237:
	v_pk_add_f16 v29, v12, v20
	v_pk_add_f16 v30, v13, v21
	v_max_f16_e32 v31, v79, v79
	v_lshrrev_b32_e32 v79, 16, v79
	v_max_f32_e32 v28, v28, v28
	v_lshrrev_b32_e32 v80, 16, v29
	v_lshrrev_b32_e32 v81, 16, v30
	v_min_f16_e32 v29, v31, v29
	v_min3_f16 v31, v79, v80, v81
	v_min3_f16 v29, v29, v30, v31
	v_cvt_f32_f16_e32 v29, v29
	v_min_f32_e32 v30, v28, v29
	v_lshlrev_b64 v[28:29], 1, v[36:37]
	v_cvt_f16_f32_e32 v30, v30
	v_add_co_u32 v28, vcc_lo, v24, v28
	v_add_co_ci_u32_e64 v29, null, v25, v29, vcc_lo
	global_store_short v[28:29], v30, off
	s_or_b32 exec_lo, exec_lo, s12
	s_and_b32 s15, s3, s8
	s_and_saveexec_b32 s12, s15
	s_cbranch_execz .LBB279_222
.LBB279_238:
	v_cmp_ne_u32_e32 vcc_lo, 1, v75
	s_cbranch_vccnz .LBB279_240
; %bb.239:
	v_lshlrev_b64 v[28:29], 1, v[38:39]
	v_add_co_u32 v28, vcc_lo, v26, v28
	v_add_co_ci_u32_e64 v29, null, v27, v29, vcc_lo
	global_load_ushort v28, v[28:29], off
	s_waitcnt vmcnt(0)
	v_mul_f16_e32 v28, v48, v28
	v_cvt_f32_f16_e32 v28, v28
	s_branch .LBB279_241
.LBB279_240:
	v_mov_b32_e32 v28, 0
.LBB279_241:
	v_pk_add_f16 v29, v14, v20
	v_pk_add_f16 v30, v15, v21
	v_max_f16_e32 v31, v78, v78
	v_lshrrev_b32_e32 v78, 16, v78
	v_max_f32_e32 v28, v28, v28
	v_lshrrev_b32_e32 v79, 16, v29
	v_lshrrev_b32_e32 v80, 16, v30
	v_min_f16_e32 v29, v31, v29
	v_min3_f16 v31, v78, v79, v80
	v_min3_f16 v29, v29, v30, v31
	v_cvt_f32_f16_e32 v29, v29
	v_min_f32_e32 v30, v28, v29
	v_lshlrev_b64 v[28:29], 1, v[38:39]
	v_cvt_f16_f32_e32 v30, v30
	v_add_co_u32 v28, vcc_lo, v24, v28
	v_add_co_ci_u32_e64 v29, null, v25, v29, vcc_lo
	global_store_short v[28:29], v30, off
	s_or_b32 exec_lo, exec_lo, s12
	s_and_b32 s15, s4, s8
	s_and_saveexec_b32 s12, s15
	s_cbranch_execz .LBB279_223
.LBB279_242:
	v_cmp_ne_u32_e32 vcc_lo, 1, v75
	s_cbranch_vccnz .LBB279_244
; %bb.243:
	v_lshlrev_b64 v[28:29], 1, v[40:41]
	v_add_co_u32 v28, vcc_lo, v26, v28
	v_add_co_ci_u32_e64 v29, null, v27, v29, vcc_lo
	global_load_ushort v28, v[28:29], off
	s_waitcnt vmcnt(0)
	v_mul_f16_e32 v28, v48, v28
	v_cvt_f32_f16_e32 v28, v28
	s_branch .LBB279_245
.LBB279_244:
	v_mov_b32_e32 v28, 0
.LBB279_245:
	v_pk_add_f16 v29, v8, v20
	v_pk_add_f16 v30, v9, v21
	v_max_f16_e32 v31, v77, v77
	v_lshrrev_b32_e32 v77, 16, v77
	v_max_f32_e32 v28, v28, v28
	v_lshrrev_b32_e32 v78, 16, v29
	v_lshrrev_b32_e32 v79, 16, v30
	v_min_f16_e32 v29, v31, v29
	v_min3_f16 v31, v77, v78, v79
	v_min3_f16 v29, v29, v30, v31
	v_cvt_f32_f16_e32 v29, v29
	v_min_f32_e32 v30, v28, v29
	v_lshlrev_b64 v[28:29], 1, v[40:41]
	v_cvt_f16_f32_e32 v30, v30
	v_add_co_u32 v28, vcc_lo, v24, v28
	v_add_co_ci_u32_e64 v29, null, v25, v29, vcc_lo
	global_store_short v[28:29], v30, off
	s_or_b32 exec_lo, exec_lo, s12
	s_and_b32 s15, s5, s8
	s_and_saveexec_b32 s12, s15
	s_cbranch_execz .LBB279_224
.LBB279_246:
	v_cmp_ne_u32_e32 vcc_lo, 1, v75
	s_cbranch_vccnz .LBB279_248
; %bb.247:
	v_lshlrev_b64 v[28:29], 1, v[42:43]
	v_add_co_u32 v28, vcc_lo, v26, v28
	v_add_co_ci_u32_e64 v29, null, v27, v29, vcc_lo
	global_load_ushort v28, v[28:29], off
	s_waitcnt vmcnt(0)
	v_mul_f16_e32 v28, v48, v28
	v_cvt_f32_f16_e32 v28, v28
	s_branch .LBB279_249
.LBB279_248:
	v_mov_b32_e32 v28, 0
.LBB279_249:
	v_pk_add_f16 v29, v10, v20
	v_pk_add_f16 v30, v11, v21
	v_max_f16_e32 v31, v76, v76
	v_lshrrev_b32_e32 v76, 16, v76
	v_max_f32_e32 v28, v28, v28
	v_lshrrev_b32_e32 v77, 16, v29
	v_lshrrev_b32_e32 v78, 16, v30
	v_min_f16_e32 v29, v31, v29
	v_min3_f16 v31, v76, v77, v78
	v_min3_f16 v29, v29, v30, v31
	v_cvt_f32_f16_e32 v29, v29
	v_min_f32_e32 v30, v28, v29
	v_lshlrev_b64 v[28:29], 1, v[42:43]
	v_cvt_f16_f32_e32 v30, v30
	v_add_co_u32 v28, vcc_lo, v24, v28
	v_add_co_ci_u32_e64 v29, null, v25, v29, vcc_lo
	global_store_short v[28:29], v30, off
	s_or_b32 exec_lo, exec_lo, s12
	s_and_b32 s15, s6, s8
	s_and_saveexec_b32 s12, s15
	s_cbranch_execz .LBB279_225
.LBB279_250:
	v_cmp_ne_u32_e32 vcc_lo, 1, v75
	s_cbranch_vccnz .LBB279_252
; %bb.251:
	v_lshlrev_b64 v[28:29], 1, v[44:45]
	v_add_co_u32 v28, vcc_lo, v26, v28
	v_add_co_ci_u32_e64 v29, null, v27, v29, vcc_lo
	global_load_ushort v28, v[28:29], off
	s_waitcnt vmcnt(0)
	v_mul_f16_e32 v28, v48, v28
	v_cvt_f32_f16_e32 v28, v28
	s_branch .LBB279_253
.LBB279_252:
	v_mov_b32_e32 v28, 0
.LBB279_253:
	v_pk_add_f16 v29, v0, v20
	v_pk_add_f16 v30, v1, v21
	v_max_f16_e32 v31, v74, v74
	v_lshrrev_b32_e32 v74, 16, v74
	v_max_f32_e32 v28, v28, v28
	v_lshrrev_b32_e32 v76, 16, v29
	v_lshrrev_b32_e32 v77, 16, v30
	v_min_f16_e32 v29, v31, v29
	v_min3_f16 v31, v74, v76, v77
	v_min3_f16 v29, v29, v30, v31
	v_cvt_f32_f16_e32 v29, v29
	v_min_f32_e32 v30, v28, v29
	v_lshlrev_b64 v[28:29], 1, v[44:45]
	v_cvt_f16_f32_e32 v30, v30
	v_add_co_u32 v28, vcc_lo, v24, v28
	v_add_co_ci_u32_e64 v29, null, v25, v29, vcc_lo
	global_store_short v[28:29], v30, off
	s_or_b32 exec_lo, exec_lo, s12
	s_and_b32 s12, s7, s8
	s_and_saveexec_b32 s8, s12
	s_cbranch_execz .LBB279_258
.LBB279_254:
	v_cmp_ne_u32_e32 vcc_lo, 1, v75
	s_cbranch_vccnz .LBB279_256
; %bb.255:
	v_lshlrev_b64 v[28:29], 1, v[46:47]
	v_add_co_u32 v26, vcc_lo, v26, v28
	v_add_co_ci_u32_e64 v27, null, v27, v29, vcc_lo
	global_load_ushort v26, v[26:27], off
	s_waitcnt vmcnt(0)
	v_mul_f16_e32 v26, v48, v26
	v_cvt_f32_f16_e32 v26, v26
	s_branch .LBB279_257
.LBB279_256:
	v_mov_b32_e32 v26, 0
.LBB279_257:
	v_pk_add_f16 v20, v2, v20
	v_pk_add_f16 v21, v3, v21
	v_max_f16_e32 v27, v73, v73
	v_lshrrev_b32_e32 v28, 16, v73
	v_lshrrev_b32_e32 v29, 16, v20
	;; [unrolled: 1-line block ×3, first 2 shown]
	v_min_f16_e32 v20, v27, v20
	v_min3_f16 v27, v28, v29, v30
	v_min3_f16 v20, v20, v21, v27
	v_max_f32_e32 v21, v26, v26
	v_cvt_f32_f16_e32 v20, v20
	v_min_f32_e32 v26, v21, v20
	v_lshlrev_b64 v[20:21], 1, v[46:47]
	v_cvt_f16_f32_e32 v26, v26
	v_add_co_u32 v20, vcc_lo, v24, v20
	v_add_co_ci_u32_e64 v21, null, v25, v21, vcc_lo
	global_store_short v[20:21], v26, off
.LBB279_258:
	s_or_b32 exec_lo, exec_lo, s8
	v_add_nc_u32_e32 v26, 0xa0, v83
	v_mad_i64_i32 v[20:21], null, v26, s14, 0
	v_mad_i64_i32 v[24:25], null, v26, s9, 0
	v_cmp_gt_i32_e64 s8, s13, v26
	v_lshlrev_b64 v[20:21], 1, v[20:21]
	s_and_b32 s15, s0, s8
	v_lshlrev_b64 v[26:27], 1, v[24:25]
	v_add_co_u32 v24, vcc_lo, s16, v20
	v_add_co_ci_u32_e64 v25, null, s17, v21, vcc_lo
	v_add_co_u32 v20, vcc_lo, s10, v26
	v_add_co_ci_u32_e64 v21, null, s11, v27, vcc_lo
	s_and_saveexec_b32 s12, s15
	s_cbranch_execnz .LBB279_266
; %bb.259:
	s_or_b32 exec_lo, exec_lo, s12
	s_and_b32 s15, s1, s8
	s_and_saveexec_b32 s12, s15
	s_cbranch_execnz .LBB279_270
.LBB279_260:
	s_or_b32 exec_lo, exec_lo, s12
	s_and_b32 s15, s2, s8
	s_and_saveexec_b32 s12, s15
	s_cbranch_execnz .LBB279_274
.LBB279_261:
	s_or_b32 exec_lo, exec_lo, s12
	s_and_b32 s15, s3, s8
	s_and_saveexec_b32 s12, s15
	s_cbranch_execnz .LBB279_278
.LBB279_262:
	s_or_b32 exec_lo, exec_lo, s12
	s_and_b32 s15, s4, s8
	s_and_saveexec_b32 s12, s15
	s_cbranch_execnz .LBB279_282
.LBB279_263:
	s_or_b32 exec_lo, exec_lo, s12
	s_and_b32 s15, s5, s8
	s_and_saveexec_b32 s12, s15
	s_cbranch_execnz .LBB279_286
.LBB279_264:
	s_or_b32 exec_lo, exec_lo, s12
	s_and_b32 s15, s6, s8
	s_and_saveexec_b32 s12, s15
	s_cbranch_execnz .LBB279_290
.LBB279_265:
	s_or_b32 exec_lo, exec_lo, s12
	s_and_b32 s12, s7, s8
	s_and_saveexec_b32 s8, s12
	s_cbranch_execnz .LBB279_294
	s_branch .LBB279_298
.LBB279_266:
	v_cmp_ne_u32_e32 vcc_lo, 1, v75
	s_cbranch_vccnz .LBB279_268
; %bb.267:
	v_lshlrev_b64 v[26:27], 1, v[32:33]
	v_add_co_u32 v26, vcc_lo, v24, v26
	v_add_co_ci_u32_e64 v27, null, v25, v27, vcc_lo
	global_load_ushort v26, v[26:27], off
	s_waitcnt vmcnt(0)
	v_mul_f16_e32 v26, v48, v26
	v_cvt_f32_f16_e32 v26, v26
	s_branch .LBB279_269
.LBB279_268:
	v_mov_b32_e32 v26, 0
.LBB279_269:
	v_pk_add_f16 v27, v16, v22
	v_pk_add_f16 v28, v17, v23
	v_max_f16_e32 v29, v72, v72
	v_lshrrev_b32_e32 v30, 16, v72
	v_max_f32_e32 v26, v26, v26
	v_lshrrev_b32_e32 v31, 16, v27
	v_lshrrev_b32_e32 v72, 16, v28
	v_min_f16_e32 v27, v29, v27
	v_min3_f16 v29, v30, v31, v72
	v_min3_f16 v27, v27, v28, v29
	v_cvt_f32_f16_e32 v27, v27
	v_min_f32_e32 v28, v26, v27
	v_lshlrev_b64 v[26:27], 1, v[32:33]
	v_cvt_f16_f32_e32 v28, v28
	v_add_co_u32 v26, vcc_lo, v20, v26
	v_add_co_ci_u32_e64 v27, null, v21, v27, vcc_lo
	global_store_short v[26:27], v28, off
	s_or_b32 exec_lo, exec_lo, s12
	s_and_b32 s15, s1, s8
	s_and_saveexec_b32 s12, s15
	s_cbranch_execz .LBB279_260
.LBB279_270:
	v_cmp_ne_u32_e32 vcc_lo, 1, v75
	s_cbranch_vccnz .LBB279_272
; %bb.271:
	v_lshlrev_b64 v[26:27], 1, v[34:35]
	v_add_co_u32 v26, vcc_lo, v24, v26
	v_add_co_ci_u32_e64 v27, null, v25, v27, vcc_lo
	global_load_ushort v26, v[26:27], off
	s_waitcnt vmcnt(0)
	v_mul_f16_e32 v26, v48, v26
	v_cvt_f32_f16_e32 v26, v26
	s_branch .LBB279_273
.LBB279_272:
	v_mov_b32_e32 v26, 0
.LBB279_273:
	v_pk_add_f16 v27, v18, v22
	v_pk_add_f16 v28, v19, v23
	v_max_f16_e32 v29, v71, v71
	v_lshrrev_b32_e32 v30, 16, v71
	v_max_f32_e32 v26, v26, v26
	v_lshrrev_b32_e32 v31, 16, v27
	v_lshrrev_b32_e32 v71, 16, v28
	v_min_f16_e32 v27, v29, v27
	v_min3_f16 v29, v30, v31, v71
	v_min3_f16 v27, v27, v28, v29
	v_cvt_f32_f16_e32 v27, v27
	v_min_f32_e32 v28, v26, v27
	v_lshlrev_b64 v[26:27], 1, v[34:35]
	v_cvt_f16_f32_e32 v28, v28
	v_add_co_u32 v26, vcc_lo, v20, v26
	v_add_co_ci_u32_e64 v27, null, v21, v27, vcc_lo
	global_store_short v[26:27], v28, off
	s_or_b32 exec_lo, exec_lo, s12
	s_and_b32 s15, s2, s8
	s_and_saveexec_b32 s12, s15
	s_cbranch_execz .LBB279_261
.LBB279_274:
	v_cmp_ne_u32_e32 vcc_lo, 1, v75
	s_cbranch_vccnz .LBB279_276
; %bb.275:
	v_lshlrev_b64 v[26:27], 1, v[36:37]
	v_add_co_u32 v26, vcc_lo, v24, v26
	v_add_co_ci_u32_e64 v27, null, v25, v27, vcc_lo
	global_load_ushort v26, v[26:27], off
	s_waitcnt vmcnt(0)
	v_mul_f16_e32 v26, v48, v26
	v_cvt_f32_f16_e32 v26, v26
	s_branch .LBB279_277
.LBB279_276:
	v_mov_b32_e32 v26, 0
.LBB279_277:
	v_pk_add_f16 v27, v12, v22
	v_pk_add_f16 v28, v13, v23
	v_max_f16_e32 v29, v70, v70
	v_lshrrev_b32_e32 v30, 16, v70
	v_max_f32_e32 v26, v26, v26
	v_lshrrev_b32_e32 v31, 16, v27
	v_lshrrev_b32_e32 v70, 16, v28
	v_min_f16_e32 v27, v29, v27
	v_min3_f16 v29, v30, v31, v70
	v_min3_f16 v27, v27, v28, v29
	v_cvt_f32_f16_e32 v27, v27
	v_min_f32_e32 v28, v26, v27
	v_lshlrev_b64 v[26:27], 1, v[36:37]
	v_cvt_f16_f32_e32 v28, v28
	v_add_co_u32 v26, vcc_lo, v20, v26
	v_add_co_ci_u32_e64 v27, null, v21, v27, vcc_lo
	global_store_short v[26:27], v28, off
	s_or_b32 exec_lo, exec_lo, s12
	s_and_b32 s15, s3, s8
	s_and_saveexec_b32 s12, s15
	s_cbranch_execz .LBB279_262
.LBB279_278:
	v_cmp_ne_u32_e32 vcc_lo, 1, v75
	s_cbranch_vccnz .LBB279_280
; %bb.279:
	v_lshlrev_b64 v[26:27], 1, v[38:39]
	v_add_co_u32 v26, vcc_lo, v24, v26
	v_add_co_ci_u32_e64 v27, null, v25, v27, vcc_lo
	global_load_ushort v26, v[26:27], off
	s_waitcnt vmcnt(0)
	v_mul_f16_e32 v26, v48, v26
	v_cvt_f32_f16_e32 v26, v26
	s_branch .LBB279_281
.LBB279_280:
	v_mov_b32_e32 v26, 0
.LBB279_281:
	v_pk_add_f16 v27, v14, v22
	v_pk_add_f16 v28, v15, v23
	v_max_f16_e32 v29, v69, v69
	v_lshrrev_b32_e32 v30, 16, v69
	v_max_f32_e32 v26, v26, v26
	v_lshrrev_b32_e32 v31, 16, v27
	v_lshrrev_b32_e32 v69, 16, v28
	v_min_f16_e32 v27, v29, v27
	v_min3_f16 v29, v30, v31, v69
	v_min3_f16 v27, v27, v28, v29
	v_cvt_f32_f16_e32 v27, v27
	v_min_f32_e32 v28, v26, v27
	v_lshlrev_b64 v[26:27], 1, v[38:39]
	v_cvt_f16_f32_e32 v28, v28
	v_add_co_u32 v26, vcc_lo, v20, v26
	v_add_co_ci_u32_e64 v27, null, v21, v27, vcc_lo
	global_store_short v[26:27], v28, off
	s_or_b32 exec_lo, exec_lo, s12
	s_and_b32 s15, s4, s8
	s_and_saveexec_b32 s12, s15
	s_cbranch_execz .LBB279_263
.LBB279_282:
	v_cmp_ne_u32_e32 vcc_lo, 1, v75
	s_cbranch_vccnz .LBB279_284
; %bb.283:
	v_lshlrev_b64 v[26:27], 1, v[40:41]
	v_add_co_u32 v26, vcc_lo, v24, v26
	v_add_co_ci_u32_e64 v27, null, v25, v27, vcc_lo
	global_load_ushort v26, v[26:27], off
	s_waitcnt vmcnt(0)
	v_mul_f16_e32 v26, v48, v26
	v_cvt_f32_f16_e32 v26, v26
	s_branch .LBB279_285
.LBB279_284:
	v_mov_b32_e32 v26, 0
.LBB279_285:
	v_pk_add_f16 v27, v8, v22
	v_pk_add_f16 v28, v9, v23
	v_max_f16_e32 v29, v68, v68
	v_lshrrev_b32_e32 v30, 16, v68
	v_max_f32_e32 v26, v26, v26
	v_lshrrev_b32_e32 v31, 16, v27
	v_lshrrev_b32_e32 v68, 16, v28
	v_min_f16_e32 v27, v29, v27
	v_min3_f16 v29, v30, v31, v68
	v_min3_f16 v27, v27, v28, v29
	v_cvt_f32_f16_e32 v27, v27
	v_min_f32_e32 v28, v26, v27
	v_lshlrev_b64 v[26:27], 1, v[40:41]
	v_cvt_f16_f32_e32 v28, v28
	v_add_co_u32 v26, vcc_lo, v20, v26
	v_add_co_ci_u32_e64 v27, null, v21, v27, vcc_lo
	global_store_short v[26:27], v28, off
	s_or_b32 exec_lo, exec_lo, s12
	s_and_b32 s15, s5, s8
	s_and_saveexec_b32 s12, s15
	s_cbranch_execz .LBB279_264
.LBB279_286:
	v_cmp_ne_u32_e32 vcc_lo, 1, v75
	s_cbranch_vccnz .LBB279_288
; %bb.287:
	v_lshlrev_b64 v[26:27], 1, v[42:43]
	v_add_co_u32 v26, vcc_lo, v24, v26
	v_add_co_ci_u32_e64 v27, null, v25, v27, vcc_lo
	global_load_ushort v26, v[26:27], off
	s_waitcnt vmcnt(0)
	v_mul_f16_e32 v26, v48, v26
	v_cvt_f32_f16_e32 v26, v26
	s_branch .LBB279_289
.LBB279_288:
	v_mov_b32_e32 v26, 0
.LBB279_289:
	v_pk_add_f16 v27, v10, v22
	v_pk_add_f16 v28, v11, v23
	v_max_f16_e32 v29, v67, v67
	v_lshrrev_b32_e32 v30, 16, v67
	v_max_f32_e32 v26, v26, v26
	v_lshrrev_b32_e32 v31, 16, v27
	v_lshrrev_b32_e32 v67, 16, v28
	v_min_f16_e32 v27, v29, v27
	v_min3_f16 v29, v30, v31, v67
	v_min3_f16 v27, v27, v28, v29
	v_cvt_f32_f16_e32 v27, v27
	v_min_f32_e32 v28, v26, v27
	v_lshlrev_b64 v[26:27], 1, v[42:43]
	v_cvt_f16_f32_e32 v28, v28
	v_add_co_u32 v26, vcc_lo, v20, v26
	v_add_co_ci_u32_e64 v27, null, v21, v27, vcc_lo
	global_store_short v[26:27], v28, off
	s_or_b32 exec_lo, exec_lo, s12
	s_and_b32 s15, s6, s8
	s_and_saveexec_b32 s12, s15
	s_cbranch_execz .LBB279_265
.LBB279_290:
	v_cmp_ne_u32_e32 vcc_lo, 1, v75
	s_cbranch_vccnz .LBB279_292
; %bb.291:
	v_lshlrev_b64 v[26:27], 1, v[44:45]
	v_add_co_u32 v26, vcc_lo, v24, v26
	v_add_co_ci_u32_e64 v27, null, v25, v27, vcc_lo
	global_load_ushort v26, v[26:27], off
	s_waitcnt vmcnt(0)
	v_mul_f16_e32 v26, v48, v26
	v_cvt_f32_f16_e32 v26, v26
	s_branch .LBB279_293
.LBB279_292:
	v_mov_b32_e32 v26, 0
.LBB279_293:
	v_pk_add_f16 v27, v0, v22
	v_pk_add_f16 v28, v1, v23
	v_max_f16_e32 v29, v66, v66
	v_lshrrev_b32_e32 v30, 16, v66
	v_max_f32_e32 v26, v26, v26
	v_lshrrev_b32_e32 v31, 16, v27
	v_lshrrev_b32_e32 v66, 16, v28
	v_min_f16_e32 v27, v29, v27
	v_min3_f16 v29, v30, v31, v66
	v_min3_f16 v27, v27, v28, v29
	v_cvt_f32_f16_e32 v27, v27
	v_min_f32_e32 v28, v26, v27
	v_lshlrev_b64 v[26:27], 1, v[44:45]
	v_cvt_f16_f32_e32 v28, v28
	v_add_co_u32 v26, vcc_lo, v20, v26
	v_add_co_ci_u32_e64 v27, null, v21, v27, vcc_lo
	global_store_short v[26:27], v28, off
	s_or_b32 exec_lo, exec_lo, s12
	s_and_b32 s12, s7, s8
	s_and_saveexec_b32 s8, s12
	s_cbranch_execz .LBB279_298
.LBB279_294:
	v_cmp_ne_u32_e32 vcc_lo, 1, v75
	s_cbranch_vccnz .LBB279_296
; %bb.295:
	v_lshlrev_b64 v[26:27], 1, v[46:47]
	v_add_co_u32 v24, vcc_lo, v24, v26
	v_add_co_ci_u32_e64 v25, null, v25, v27, vcc_lo
	global_load_ushort v24, v[24:25], off
	s_waitcnt vmcnt(0)
	v_mul_f16_e32 v24, v48, v24
	v_cvt_f32_f16_e32 v24, v24
	s_branch .LBB279_297
.LBB279_296:
	v_mov_b32_e32 v24, 0
.LBB279_297:
	v_pk_add_f16 v22, v2, v22
	v_pk_add_f16 v23, v3, v23
	v_max_f16_e32 v25, v65, v65
	v_lshrrev_b32_e32 v26, 16, v65
	v_lshrrev_b32_e32 v27, 16, v22
	;; [unrolled: 1-line block ×3, first 2 shown]
	v_min_f16_e32 v22, v25, v22
	v_min3_f16 v25, v26, v27, v28
	v_min3_f16 v22, v22, v23, v25
	v_max_f32_e32 v23, v24, v24
	v_cvt_f32_f16_e32 v22, v22
	v_min_f32_e32 v24, v23, v22
	v_lshlrev_b64 v[22:23], 1, v[46:47]
	v_cvt_f16_f32_e32 v24, v24
	v_add_co_u32 v20, vcc_lo, v20, v22
	v_add_co_ci_u32_e64 v21, null, v21, v23, vcc_lo
	global_store_short v[20:21], v24, off
.LBB279_298:
	s_or_b32 exec_lo, exec_lo, s8
	v_add_nc_u32_e32 v24, 0xc0, v83
	v_mad_i64_i32 v[20:21], null, v24, s14, 0
	v_mad_i64_i32 v[22:23], null, v24, s9, 0
	v_cmp_gt_i32_e64 s8, s13, v24
	v_lshlrev_b64 v[20:21], 1, v[20:21]
	s_and_b32 s15, s0, s8
	v_lshlrev_b64 v[24:25], 1, v[22:23]
	v_add_co_u32 v22, vcc_lo, s16, v20
	v_add_co_ci_u32_e64 v23, null, s17, v21, vcc_lo
	v_add_co_u32 v20, vcc_lo, s10, v24
	v_add_co_ci_u32_e64 v21, null, s11, v25, vcc_lo
	s_and_saveexec_b32 s12, s15
	s_cbranch_execnz .LBB279_306
; %bb.299:
	s_or_b32 exec_lo, exec_lo, s12
	s_and_b32 s15, s1, s8
	s_and_saveexec_b32 s12, s15
	s_cbranch_execnz .LBB279_310
.LBB279_300:
	s_or_b32 exec_lo, exec_lo, s12
	s_and_b32 s15, s2, s8
	s_and_saveexec_b32 s12, s15
	s_cbranch_execnz .LBB279_314
.LBB279_301:
	s_or_b32 exec_lo, exec_lo, s12
	s_and_b32 s15, s3, s8
	s_and_saveexec_b32 s12, s15
	s_cbranch_execnz .LBB279_318
.LBB279_302:
	s_or_b32 exec_lo, exec_lo, s12
	s_and_b32 s15, s4, s8
	s_and_saveexec_b32 s12, s15
	s_cbranch_execnz .LBB279_322
.LBB279_303:
	s_or_b32 exec_lo, exec_lo, s12
	s_and_b32 s15, s5, s8
	s_and_saveexec_b32 s12, s15
	s_cbranch_execnz .LBB279_326
.LBB279_304:
	s_or_b32 exec_lo, exec_lo, s12
	s_and_b32 s15, s6, s8
	s_and_saveexec_b32 s12, s15
	s_cbranch_execnz .LBB279_330
.LBB279_305:
	s_or_b32 exec_lo, exec_lo, s12
	s_and_b32 s12, s7, s8
	s_and_saveexec_b32 s8, s12
	s_cbranch_execnz .LBB279_334
	s_branch .LBB279_338
.LBB279_306:
	v_cmp_ne_u32_e32 vcc_lo, 1, v75
	s_cbranch_vccnz .LBB279_308
; %bb.307:
	v_lshlrev_b64 v[24:25], 1, v[32:33]
	v_add_co_u32 v24, vcc_lo, v22, v24
	v_add_co_ci_u32_e64 v25, null, v23, v25, vcc_lo
	global_load_ushort v24, v[24:25], off
	s_waitcnt vmcnt(0)
	v_mul_f16_e32 v24, v48, v24
	v_cvt_f32_f16_e32 v24, v24
	s_branch .LBB279_309
.LBB279_308:
	v_mov_b32_e32 v24, 0
.LBB279_309:
	v_pk_add_f16 v25, v16, v4
	v_pk_add_f16 v26, v17, v5
	v_max_f16_e32 v27, v64, v64
	v_lshrrev_b32_e32 v28, 16, v64
	v_max_f32_e32 v24, v24, v24
	v_lshrrev_b32_e32 v29, 16, v25
	v_lshrrev_b32_e32 v30, 16, v26
	v_min_f16_e32 v25, v27, v25
	v_min3_f16 v27, v28, v29, v30
	v_min3_f16 v25, v25, v26, v27
	v_cvt_f32_f16_e32 v25, v25
	v_min_f32_e32 v26, v24, v25
	v_lshlrev_b64 v[24:25], 1, v[32:33]
	v_cvt_f16_f32_e32 v26, v26
	v_add_co_u32 v24, vcc_lo, v20, v24
	v_add_co_ci_u32_e64 v25, null, v21, v25, vcc_lo
	global_store_short v[24:25], v26, off
	s_or_b32 exec_lo, exec_lo, s12
	s_and_b32 s15, s1, s8
	s_and_saveexec_b32 s12, s15
	s_cbranch_execz .LBB279_300
.LBB279_310:
	v_cmp_ne_u32_e32 vcc_lo, 1, v75
	s_cbranch_vccnz .LBB279_312
; %bb.311:
	v_lshlrev_b64 v[24:25], 1, v[34:35]
	v_add_co_u32 v24, vcc_lo, v22, v24
	v_add_co_ci_u32_e64 v25, null, v23, v25, vcc_lo
	global_load_ushort v24, v[24:25], off
	s_waitcnt vmcnt(0)
	v_mul_f16_e32 v24, v48, v24
	v_cvt_f32_f16_e32 v24, v24
	s_branch .LBB279_313
.LBB279_312:
	v_mov_b32_e32 v24, 0
.LBB279_313:
	v_pk_add_f16 v25, v18, v4
	v_pk_add_f16 v26, v19, v5
	v_max_f16_e32 v27, v63, v63
	v_lshrrev_b32_e32 v28, 16, v63
	v_max_f32_e32 v24, v24, v24
	v_lshrrev_b32_e32 v29, 16, v25
	v_lshrrev_b32_e32 v30, 16, v26
	v_min_f16_e32 v25, v27, v25
	v_min3_f16 v27, v28, v29, v30
	v_min3_f16 v25, v25, v26, v27
	v_cvt_f32_f16_e32 v25, v25
	v_min_f32_e32 v26, v24, v25
	v_lshlrev_b64 v[24:25], 1, v[34:35]
	v_cvt_f16_f32_e32 v26, v26
	v_add_co_u32 v24, vcc_lo, v20, v24
	v_add_co_ci_u32_e64 v25, null, v21, v25, vcc_lo
	global_store_short v[24:25], v26, off
	s_or_b32 exec_lo, exec_lo, s12
	s_and_b32 s15, s2, s8
	s_and_saveexec_b32 s12, s15
	s_cbranch_execz .LBB279_301
.LBB279_314:
	v_cmp_ne_u32_e32 vcc_lo, 1, v75
	s_cbranch_vccnz .LBB279_316
; %bb.315:
	v_lshlrev_b64 v[24:25], 1, v[36:37]
	v_add_co_u32 v24, vcc_lo, v22, v24
	v_add_co_ci_u32_e64 v25, null, v23, v25, vcc_lo
	global_load_ushort v24, v[24:25], off
	s_waitcnt vmcnt(0)
	v_mul_f16_e32 v24, v48, v24
	v_cvt_f32_f16_e32 v24, v24
	s_branch .LBB279_317
.LBB279_316:
	v_mov_b32_e32 v24, 0
.LBB279_317:
	v_pk_add_f16 v25, v12, v4
	v_pk_add_f16 v26, v13, v5
	v_max_f16_e32 v27, v62, v62
	v_lshrrev_b32_e32 v28, 16, v62
	v_max_f32_e32 v24, v24, v24
	v_lshrrev_b32_e32 v29, 16, v25
	v_lshrrev_b32_e32 v30, 16, v26
	v_min_f16_e32 v25, v27, v25
	v_min3_f16 v27, v28, v29, v30
	v_min3_f16 v25, v25, v26, v27
	v_cvt_f32_f16_e32 v25, v25
	v_min_f32_e32 v26, v24, v25
	v_lshlrev_b64 v[24:25], 1, v[36:37]
	v_cvt_f16_f32_e32 v26, v26
	v_add_co_u32 v24, vcc_lo, v20, v24
	v_add_co_ci_u32_e64 v25, null, v21, v25, vcc_lo
	global_store_short v[24:25], v26, off
	s_or_b32 exec_lo, exec_lo, s12
	s_and_b32 s15, s3, s8
	s_and_saveexec_b32 s12, s15
	s_cbranch_execz .LBB279_302
.LBB279_318:
	v_cmp_ne_u32_e32 vcc_lo, 1, v75
	s_cbranch_vccnz .LBB279_320
; %bb.319:
	v_lshlrev_b64 v[24:25], 1, v[38:39]
	v_add_co_u32 v24, vcc_lo, v22, v24
	v_add_co_ci_u32_e64 v25, null, v23, v25, vcc_lo
	global_load_ushort v24, v[24:25], off
	s_waitcnt vmcnt(0)
	v_mul_f16_e32 v24, v48, v24
	v_cvt_f32_f16_e32 v24, v24
	s_branch .LBB279_321
.LBB279_320:
	v_mov_b32_e32 v24, 0
.LBB279_321:
	v_pk_add_f16 v25, v14, v4
	v_pk_add_f16 v26, v15, v5
	v_max_f16_e32 v27, v61, v61
	v_lshrrev_b32_e32 v28, 16, v61
	v_max_f32_e32 v24, v24, v24
	v_lshrrev_b32_e32 v29, 16, v25
	v_lshrrev_b32_e32 v30, 16, v26
	v_min_f16_e32 v25, v27, v25
	v_min3_f16 v27, v28, v29, v30
	v_min3_f16 v25, v25, v26, v27
	v_cvt_f32_f16_e32 v25, v25
	v_min_f32_e32 v26, v24, v25
	v_lshlrev_b64 v[24:25], 1, v[38:39]
	v_cvt_f16_f32_e32 v26, v26
	v_add_co_u32 v24, vcc_lo, v20, v24
	v_add_co_ci_u32_e64 v25, null, v21, v25, vcc_lo
	global_store_short v[24:25], v26, off
	s_or_b32 exec_lo, exec_lo, s12
	s_and_b32 s15, s4, s8
	s_and_saveexec_b32 s12, s15
	s_cbranch_execz .LBB279_303
.LBB279_322:
	v_cmp_ne_u32_e32 vcc_lo, 1, v75
	s_cbranch_vccnz .LBB279_324
; %bb.323:
	v_lshlrev_b64 v[24:25], 1, v[40:41]
	v_add_co_u32 v24, vcc_lo, v22, v24
	v_add_co_ci_u32_e64 v25, null, v23, v25, vcc_lo
	global_load_ushort v24, v[24:25], off
	s_waitcnt vmcnt(0)
	v_mul_f16_e32 v24, v48, v24
	v_cvt_f32_f16_e32 v24, v24
	s_branch .LBB279_325
.LBB279_324:
	v_mov_b32_e32 v24, 0
.LBB279_325:
	v_pk_add_f16 v25, v8, v4
	v_pk_add_f16 v26, v9, v5
	v_max_f16_e32 v27, v60, v60
	v_lshrrev_b32_e32 v28, 16, v60
	v_max_f32_e32 v24, v24, v24
	v_lshrrev_b32_e32 v29, 16, v25
	v_lshrrev_b32_e32 v30, 16, v26
	v_min_f16_e32 v25, v27, v25
	v_min3_f16 v27, v28, v29, v30
	v_min3_f16 v25, v25, v26, v27
	v_cvt_f32_f16_e32 v25, v25
	v_min_f32_e32 v26, v24, v25
	v_lshlrev_b64 v[24:25], 1, v[40:41]
	v_cvt_f16_f32_e32 v26, v26
	v_add_co_u32 v24, vcc_lo, v20, v24
	v_add_co_ci_u32_e64 v25, null, v21, v25, vcc_lo
	global_store_short v[24:25], v26, off
	s_or_b32 exec_lo, exec_lo, s12
	s_and_b32 s15, s5, s8
	s_and_saveexec_b32 s12, s15
	s_cbranch_execz .LBB279_304
.LBB279_326:
	v_cmp_ne_u32_e32 vcc_lo, 1, v75
	s_cbranch_vccnz .LBB279_328
; %bb.327:
	v_lshlrev_b64 v[24:25], 1, v[42:43]
	v_add_co_u32 v24, vcc_lo, v22, v24
	v_add_co_ci_u32_e64 v25, null, v23, v25, vcc_lo
	global_load_ushort v24, v[24:25], off
	s_waitcnt vmcnt(0)
	v_mul_f16_e32 v24, v48, v24
	v_cvt_f32_f16_e32 v24, v24
	s_branch .LBB279_329
.LBB279_328:
	v_mov_b32_e32 v24, 0
.LBB279_329:
	v_pk_add_f16 v25, v10, v4
	v_pk_add_f16 v26, v11, v5
	v_max_f16_e32 v27, v59, v59
	v_lshrrev_b32_e32 v28, 16, v59
	v_max_f32_e32 v24, v24, v24
	v_lshrrev_b32_e32 v29, 16, v25
	v_lshrrev_b32_e32 v30, 16, v26
	v_min_f16_e32 v25, v27, v25
	v_min3_f16 v27, v28, v29, v30
	v_min3_f16 v25, v25, v26, v27
	v_cvt_f32_f16_e32 v25, v25
	v_min_f32_e32 v26, v24, v25
	v_lshlrev_b64 v[24:25], 1, v[42:43]
	v_cvt_f16_f32_e32 v26, v26
	v_add_co_u32 v24, vcc_lo, v20, v24
	v_add_co_ci_u32_e64 v25, null, v21, v25, vcc_lo
	global_store_short v[24:25], v26, off
	s_or_b32 exec_lo, exec_lo, s12
	s_and_b32 s15, s6, s8
	s_and_saveexec_b32 s12, s15
	s_cbranch_execz .LBB279_305
.LBB279_330:
	v_cmp_ne_u32_e32 vcc_lo, 1, v75
	s_cbranch_vccnz .LBB279_332
; %bb.331:
	v_lshlrev_b64 v[24:25], 1, v[44:45]
	v_add_co_u32 v24, vcc_lo, v22, v24
	v_add_co_ci_u32_e64 v25, null, v23, v25, vcc_lo
	global_load_ushort v24, v[24:25], off
	s_waitcnt vmcnt(0)
	v_mul_f16_e32 v24, v48, v24
	v_cvt_f32_f16_e32 v24, v24
	s_branch .LBB279_333
.LBB279_332:
	v_mov_b32_e32 v24, 0
.LBB279_333:
	v_pk_add_f16 v25, v0, v4
	v_pk_add_f16 v26, v1, v5
	v_max_f16_e32 v27, v58, v58
	v_lshrrev_b32_e32 v28, 16, v58
	v_max_f32_e32 v24, v24, v24
	v_lshrrev_b32_e32 v29, 16, v25
	v_lshrrev_b32_e32 v30, 16, v26
	v_min_f16_e32 v25, v27, v25
	v_min3_f16 v27, v28, v29, v30
	v_min3_f16 v25, v25, v26, v27
	v_cvt_f32_f16_e32 v25, v25
	v_min_f32_e32 v26, v24, v25
	v_lshlrev_b64 v[24:25], 1, v[44:45]
	v_cvt_f16_f32_e32 v26, v26
	v_add_co_u32 v24, vcc_lo, v20, v24
	v_add_co_ci_u32_e64 v25, null, v21, v25, vcc_lo
	global_store_short v[24:25], v26, off
	s_or_b32 exec_lo, exec_lo, s12
	s_and_b32 s12, s7, s8
	s_and_saveexec_b32 s8, s12
	s_cbranch_execz .LBB279_338
.LBB279_334:
	v_cmp_ne_u32_e32 vcc_lo, 1, v75
	s_cbranch_vccnz .LBB279_336
; %bb.335:
	v_lshlrev_b64 v[24:25], 1, v[46:47]
	v_add_co_u32 v22, vcc_lo, v22, v24
	v_add_co_ci_u32_e64 v23, null, v23, v25, vcc_lo
	global_load_ushort v22, v[22:23], off
	s_waitcnt vmcnt(0)
	v_mul_f16_e32 v22, v48, v22
	v_cvt_f32_f16_e32 v22, v22
	s_branch .LBB279_337
.LBB279_336:
	v_mov_b32_e32 v22, 0
.LBB279_337:
	v_pk_add_f16 v4, v2, v4
	v_pk_add_f16 v5, v3, v5
	v_max_f16_e32 v23, v57, v57
	v_lshrrev_b32_e32 v24, 16, v57
	v_lshrrev_b32_e32 v25, 16, v4
	;; [unrolled: 1-line block ×3, first 2 shown]
	v_min_f16_e32 v4, v23, v4
	v_min3_f16 v23, v24, v25, v26
	v_min3_f16 v4, v4, v5, v23
	v_max_f32_e32 v5, v22, v22
	v_cvt_f32_f16_e32 v4, v4
	v_min_f32_e32 v22, v5, v4
	v_lshlrev_b64 v[4:5], 1, v[46:47]
	v_cvt_f16_f32_e32 v22, v22
	v_add_co_u32 v4, vcc_lo, v20, v4
	v_add_co_ci_u32_e64 v5, null, v21, v5, vcc_lo
	global_store_short v[4:5], v22, off
.LBB279_338:
	s_or_b32 exec_lo, exec_lo, s8
	v_add_nc_u32_e32 v22, 0xe0, v83
	v_mad_i64_i32 v[4:5], null, v22, s14, 0
	v_mad_i64_i32 v[20:21], null, v22, s9, 0
	v_cmp_gt_i32_e64 s8, s13, v22
	v_lshlrev_b64 v[4:5], 1, v[4:5]
	s_and_b32 s9, s0, s8
	v_lshlrev_b64 v[20:21], 1, v[20:21]
	v_add_co_u32 v22, vcc_lo, s16, v4
	v_add_co_ci_u32_e64 v23, null, s17, v5, vcc_lo
	v_add_co_u32 v20, vcc_lo, s10, v20
	v_add_co_ci_u32_e64 v21, null, s11, v21, vcc_lo
	s_and_saveexec_b32 s0, s9
	s_cbranch_execnz .LBB279_347
; %bb.339:
	s_or_b32 exec_lo, exec_lo, s0
	s_and_b32 s1, s1, s8
	s_and_saveexec_b32 s0, s1
	s_cbranch_execnz .LBB279_351
.LBB279_340:
	s_or_b32 exec_lo, exec_lo, s0
	s_and_b32 s1, s2, s8
	s_and_saveexec_b32 s0, s1
	s_cbranch_execnz .LBB279_355
.LBB279_341:
	s_or_b32 exec_lo, exec_lo, s0
	s_and_b32 s1, s3, s8
	s_and_saveexec_b32 s0, s1
	s_cbranch_execnz .LBB279_359
.LBB279_342:
	s_or_b32 exec_lo, exec_lo, s0
	s_and_b32 s1, s4, s8
	s_and_saveexec_b32 s0, s1
	s_cbranch_execnz .LBB279_363
.LBB279_343:
	s_or_b32 exec_lo, exec_lo, s0
	s_and_b32 s1, s5, s8
	s_and_saveexec_b32 s0, s1
	s_cbranch_execnz .LBB279_367
.LBB279_344:
	s_or_b32 exec_lo, exec_lo, s0
	s_and_b32 s1, s6, s8
	s_and_saveexec_b32 s0, s1
	s_cbranch_execnz .LBB279_371
.LBB279_345:
	s_or_b32 exec_lo, exec_lo, s0
	s_and_b32 s0, s7, s8
	s_and_saveexec_b32 s1, s0
	s_cbranch_execnz .LBB279_375
.LBB279_346:
	s_endpgm
.LBB279_347:
	v_cmp_ne_u32_e32 vcc_lo, 1, v75
	v_lshlrev_b64 v[4:5], 1, v[32:33]
	s_cbranch_vccnz .LBB279_349
; %bb.348:
	v_add_co_u32 v24, vcc_lo, v22, v4
	v_add_co_ci_u32_e64 v25, null, v23, v5, vcc_lo
	global_load_ushort v24, v[24:25], off
	s_waitcnt vmcnt(0)
	v_mul_f16_e32 v24, v48, v24
	v_cvt_f32_f16_e32 v24, v24
	s_branch .LBB279_350
.LBB279_349:
	v_mov_b32_e32 v24, 0
.LBB279_350:
	v_pk_add_f16 v16, v16, v6
	v_pk_add_f16 v17, v17, v7
	v_max_f16_e32 v25, v55, v55
	v_lshrrev_b32_e32 v26, 16, v55
	v_add_co_u32 v4, vcc_lo, v20, v4
	v_lshrrev_b32_e32 v27, 16, v16
	v_lshrrev_b32_e32 v28, 16, v17
	v_min_f16_e32 v16, v25, v16
	v_add_co_ci_u32_e64 v5, null, v21, v5, vcc_lo
	v_min3_f16 v25, v26, v27, v28
	v_min3_f16 v16, v16, v17, v25
	v_max_f32_e32 v17, v24, v24
	v_cvt_f32_f16_e32 v16, v16
	v_min_f32_e32 v16, v17, v16
	v_cvt_f16_f32_e32 v16, v16
	global_store_short v[4:5], v16, off
	s_or_b32 exec_lo, exec_lo, s0
	s_and_b32 s1, s1, s8
	s_and_saveexec_b32 s0, s1
	s_cbranch_execz .LBB279_340
.LBB279_351:
	v_cmp_ne_u32_e32 vcc_lo, 1, v75
	v_lshlrev_b64 v[4:5], 1, v[34:35]
	s_cbranch_vccnz .LBB279_353
; %bb.352:
	v_add_co_u32 v16, vcc_lo, v22, v4
	v_add_co_ci_u32_e64 v17, null, v23, v5, vcc_lo
	global_load_ushort v16, v[16:17], off
	s_waitcnt vmcnt(0)
	v_mul_f16_e32 v16, v48, v16
	v_cvt_f32_f16_e32 v16, v16
	s_branch .LBB279_354
.LBB279_353:
	v_mov_b32_e32 v16, 0
.LBB279_354:
	v_pk_add_f16 v17, v18, v6
	v_pk_add_f16 v18, v19, v7
	v_max_f16_e32 v19, v53, v53
	v_lshrrev_b32_e32 v24, 16, v53
	v_max_f32_e32 v16, v16, v16
	v_lshrrev_b32_e32 v25, 16, v17
	v_lshrrev_b32_e32 v26, 16, v18
	v_min_f16_e32 v17, v19, v17
	v_add_co_u32 v4, vcc_lo, v20, v4
	v_add_co_ci_u32_e64 v5, null, v21, v5, vcc_lo
	v_min3_f16 v19, v24, v25, v26
	v_min3_f16 v17, v17, v18, v19
	v_cvt_f32_f16_e32 v17, v17
	v_min_f32_e32 v16, v16, v17
	v_cvt_f16_f32_e32 v16, v16
	global_store_short v[4:5], v16, off
	s_or_b32 exec_lo, exec_lo, s0
	s_and_b32 s1, s2, s8
	s_and_saveexec_b32 s0, s1
	s_cbranch_execz .LBB279_341
.LBB279_355:
	v_cmp_ne_u32_e32 vcc_lo, 1, v75
	v_lshlrev_b64 v[4:5], 1, v[36:37]
	s_cbranch_vccnz .LBB279_357
; %bb.356:
	v_add_co_u32 v16, vcc_lo, v22, v4
	v_add_co_ci_u32_e64 v17, null, v23, v5, vcc_lo
	global_load_ushort v16, v[16:17], off
	s_waitcnt vmcnt(0)
	v_mul_f16_e32 v16, v48, v16
	v_cvt_f32_f16_e32 v16, v16
	s_branch .LBB279_358
.LBB279_357:
	v_mov_b32_e32 v16, 0
.LBB279_358:
	v_pk_add_f16 v12, v12, v6
	v_pk_add_f16 v13, v13, v7
	v_max_f16_e32 v17, v51, v51
	v_lshrrev_b32_e32 v18, 16, v51
	v_add_co_u32 v4, vcc_lo, v20, v4
	v_lshrrev_b32_e32 v19, 16, v12
	v_lshrrev_b32_e32 v24, 16, v13
	v_min_f16_e32 v12, v17, v12
	v_add_co_ci_u32_e64 v5, null, v21, v5, vcc_lo
	v_min3_f16 v17, v18, v19, v24
	v_min3_f16 v12, v12, v13, v17
	v_max_f32_e32 v13, v16, v16
	v_cvt_f32_f16_e32 v12, v12
	v_min_f32_e32 v12, v13, v12
	v_cvt_f16_f32_e32 v12, v12
	global_store_short v[4:5], v12, off
	s_or_b32 exec_lo, exec_lo, s0
	s_and_b32 s1, s3, s8
	s_and_saveexec_b32 s0, s1
	s_cbranch_execz .LBB279_342
.LBB279_359:
	v_cmp_ne_u32_e32 vcc_lo, 1, v75
	v_lshlrev_b64 v[4:5], 1, v[38:39]
	s_cbranch_vccnz .LBB279_361
; %bb.360:
	v_add_co_u32 v12, vcc_lo, v22, v4
	v_add_co_ci_u32_e64 v13, null, v23, v5, vcc_lo
	global_load_ushort v12, v[12:13], off
	s_waitcnt vmcnt(0)
	v_mul_f16_e32 v12, v48, v12
	v_cvt_f32_f16_e32 v12, v12
	s_branch .LBB279_362
.LBB279_361:
	v_mov_b32_e32 v12, 0
.LBB279_362:
	v_pk_add_f16 v13, v14, v6
	v_pk_add_f16 v14, v15, v7
	v_max_f16_e32 v15, v56, v56
	v_lshrrev_b32_e32 v16, 16, v56
	v_max_f32_e32 v12, v12, v12
	v_lshrrev_b32_e32 v17, 16, v13
	v_lshrrev_b32_e32 v18, 16, v14
	v_min_f16_e32 v13, v15, v13
	v_add_co_u32 v4, vcc_lo, v20, v4
	v_add_co_ci_u32_e64 v5, null, v21, v5, vcc_lo
	v_min3_f16 v15, v16, v17, v18
	v_min3_f16 v13, v13, v14, v15
	v_cvt_f32_f16_e32 v13, v13
	v_min_f32_e32 v12, v12, v13
	v_cvt_f16_f32_e32 v12, v12
	global_store_short v[4:5], v12, off
	s_or_b32 exec_lo, exec_lo, s0
	s_and_b32 s1, s4, s8
	s_and_saveexec_b32 s0, s1
	s_cbranch_execz .LBB279_343
.LBB279_363:
	v_cmp_ne_u32_e32 vcc_lo, 1, v75
	v_lshlrev_b64 v[4:5], 1, v[40:41]
	s_cbranch_vccnz .LBB279_365
; %bb.364:
	v_add_co_u32 v12, vcc_lo, v22, v4
	v_add_co_ci_u32_e64 v13, null, v23, v5, vcc_lo
	global_load_ushort v12, v[12:13], off
	s_waitcnt vmcnt(0)
	v_mul_f16_e32 v12, v48, v12
	v_cvt_f32_f16_e32 v12, v12
	s_branch .LBB279_366
.LBB279_365:
	v_mov_b32_e32 v12, 0
.LBB279_366:
	v_pk_add_f16 v8, v8, v6
	v_pk_add_f16 v9, v9, v7
	v_max_f16_e32 v13, v54, v54
	v_lshrrev_b32_e32 v14, 16, v54
	v_add_co_u32 v4, vcc_lo, v20, v4
	v_lshrrev_b32_e32 v15, 16, v8
	v_lshrrev_b32_e32 v16, 16, v9
	v_min_f16_e32 v8, v13, v8
	v_add_co_ci_u32_e64 v5, null, v21, v5, vcc_lo
	v_min3_f16 v13, v14, v15, v16
	v_min3_f16 v8, v8, v9, v13
	v_max_f32_e32 v9, v12, v12
	v_cvt_f32_f16_e32 v8, v8
	v_min_f32_e32 v8, v9, v8
	v_cvt_f16_f32_e32 v8, v8
	global_store_short v[4:5], v8, off
	s_or_b32 exec_lo, exec_lo, s0
	s_and_b32 s1, s5, s8
	s_and_saveexec_b32 s0, s1
	s_cbranch_execz .LBB279_344
.LBB279_367:
	v_cmp_ne_u32_e32 vcc_lo, 1, v75
	v_lshlrev_b64 v[4:5], 1, v[42:43]
	s_cbranch_vccnz .LBB279_369
; %bb.368:
	v_add_co_u32 v8, vcc_lo, v22, v4
	v_add_co_ci_u32_e64 v9, null, v23, v5, vcc_lo
	global_load_ushort v8, v[8:9], off
	s_waitcnt vmcnt(0)
	v_mul_f16_e32 v8, v48, v8
	v_cvt_f32_f16_e32 v8, v8
	s_branch .LBB279_370
.LBB279_369:
	v_mov_b32_e32 v8, 0
.LBB279_370:
	v_pk_add_f16 v9, v10, v6
	v_pk_add_f16 v10, v11, v7
	v_max_f16_e32 v11, v52, v52
	v_lshrrev_b32_e32 v12, 16, v52
	v_max_f32_e32 v8, v8, v8
	v_lshrrev_b32_e32 v13, 16, v9
	v_lshrrev_b32_e32 v14, 16, v10
	v_min_f16_e32 v9, v11, v9
	v_add_co_u32 v4, vcc_lo, v20, v4
	v_add_co_ci_u32_e64 v5, null, v21, v5, vcc_lo
	v_min3_f16 v11, v12, v13, v14
	v_min3_f16 v9, v9, v10, v11
	v_cvt_f32_f16_e32 v9, v9
	v_min_f32_e32 v8, v8, v9
	v_cvt_f16_f32_e32 v8, v8
	global_store_short v[4:5], v8, off
	s_or_b32 exec_lo, exec_lo, s0
	s_and_b32 s1, s6, s8
	s_and_saveexec_b32 s0, s1
	s_cbranch_execz .LBB279_345
.LBB279_371:
	v_cmp_ne_u32_e32 vcc_lo, 1, v75
	v_lshlrev_b64 v[4:5], 1, v[44:45]
	s_cbranch_vccnz .LBB279_373
; %bb.372:
	v_add_co_u32 v8, vcc_lo, v22, v4
	v_add_co_ci_u32_e64 v9, null, v23, v5, vcc_lo
	global_load_ushort v8, v[8:9], off
	s_waitcnt vmcnt(0)
	v_mul_f16_e32 v8, v48, v8
	v_cvt_f32_f16_e32 v8, v8
	s_branch .LBB279_374
.LBB279_373:
	v_mov_b32_e32 v8, 0
.LBB279_374:
	v_pk_add_f16 v0, v0, v6
	v_pk_add_f16 v1, v1, v7
	v_max_f16_e32 v9, v50, v50
	v_lshrrev_b32_e32 v10, 16, v50
	v_lshrrev_b32_e32 v11, 16, v0
	;; [unrolled: 1-line block ×3, first 2 shown]
	v_min_f16_e32 v0, v9, v0
	v_min3_f16 v9, v10, v11, v12
	v_min3_f16 v0, v0, v1, v9
	v_max_f32_e32 v1, v8, v8
	v_cvt_f32_f16_e32 v0, v0
	v_min_f32_e32 v0, v1, v0
	v_cvt_f16_f32_e32 v8, v0
	v_add_co_u32 v0, vcc_lo, v20, v4
	v_add_co_ci_u32_e64 v1, null, v21, v5, vcc_lo
	global_store_short v[0:1], v8, off
	s_or_b32 exec_lo, exec_lo, s0
	s_and_b32 s0, s7, s8
	s_and_saveexec_b32 s1, s0
	s_cbranch_execz .LBB279_346
.LBB279_375:
	v_cmp_ne_u32_e32 vcc_lo, 1, v75
	v_lshlrev_b64 v[0:1], 1, v[46:47]
	s_cbranch_vccnz .LBB279_377
; %bb.376:
	v_add_co_u32 v4, vcc_lo, v22, v0
	v_add_co_ci_u32_e64 v5, null, v23, v1, vcc_lo
	global_load_ushort v4, v[4:5], off
	s_waitcnt vmcnt(0)
	v_mul_f16_e32 v4, v48, v4
	v_cvt_f32_f16_e32 v4, v4
	s_branch .LBB279_378
.LBB279_377:
	v_mov_b32_e32 v4, 0
.LBB279_378:
	v_pk_add_f16 v2, v2, v6
	v_pk_add_f16 v3, v3, v7
	v_max_f16_e32 v5, v49, v49
	v_lshrrev_b32_e32 v6, 16, v49
	v_add_co_u32 v0, vcc_lo, v20, v0
	v_lshrrev_b32_e32 v7, 16, v2
	v_lshrrev_b32_e32 v8, 16, v3
	v_min_f16_e32 v2, v5, v2
	v_add_co_ci_u32_e64 v1, null, v21, v1, vcc_lo
	v_min3_f16 v5, v6, v7, v8
	v_min3_f16 v2, v2, v3, v5
	v_max_f32_e32 v3, v4, v4
	v_cvt_f32_f16_e32 v2, v2
	v_min_f32_e32 v2, v3, v2
	v_cvt_f16_f32_e32 v2, v2
	global_store_short v[0:1], v2, off
	s_endpgm
	.section	.rodata,"a",@progbits
	.p2align	6, 0x0
	.amdhsa_kernel _ZN12_GLOBAL__N_120geam_min_plus_kernelIDF16_Dv2_DF16_S1_Li8ELi32ELi64ELi256ELi4ELi4ELi64ELi64ELi4ELc84ELc84ELb0ELb1ELb1EPKDF16_S2_DF16_EEviiiT16_PT17_ilS6_ilS4_S6_ilPT18_ili26rocblas_geam_ex_operation_
		.amdhsa_group_segment_fixed_size 5120
		.amdhsa_private_segment_fixed_size 0
		.amdhsa_kernarg_size 136
		.amdhsa_user_sgpr_count 6
		.amdhsa_user_sgpr_private_segment_buffer 1
		.amdhsa_user_sgpr_dispatch_ptr 0
		.amdhsa_user_sgpr_queue_ptr 0
		.amdhsa_user_sgpr_kernarg_segment_ptr 1
		.amdhsa_user_sgpr_dispatch_id 0
		.amdhsa_user_sgpr_flat_scratch_init 0
		.amdhsa_user_sgpr_private_segment_size 0
		.amdhsa_wavefront_size32 1
		.amdhsa_uses_dynamic_stack 0
		.amdhsa_system_sgpr_private_segment_wavefront_offset 0
		.amdhsa_system_sgpr_workgroup_id_x 1
		.amdhsa_system_sgpr_workgroup_id_y 0
		.amdhsa_system_sgpr_workgroup_id_z 1
		.amdhsa_system_sgpr_workgroup_info 0
		.amdhsa_system_vgpr_workitem_id 1
		.amdhsa_next_free_vgpr 167
		.amdhsa_next_free_sgpr 28
		.amdhsa_reserve_vcc 1
		.amdhsa_reserve_flat_scratch 0
		.amdhsa_float_round_mode_32 0
		.amdhsa_float_round_mode_16_64 0
		.amdhsa_float_denorm_mode_32 3
		.amdhsa_float_denorm_mode_16_64 3
		.amdhsa_dx10_clamp 1
		.amdhsa_ieee_mode 1
		.amdhsa_fp16_overflow 0
		.amdhsa_workgroup_processor_mode 1
		.amdhsa_memory_ordered 1
		.amdhsa_forward_progress 1
		.amdhsa_shared_vgpr_count 0
		.amdhsa_exception_fp_ieee_invalid_op 0
		.amdhsa_exception_fp_denorm_src 0
		.amdhsa_exception_fp_ieee_div_zero 0
		.amdhsa_exception_fp_ieee_overflow 0
		.amdhsa_exception_fp_ieee_underflow 0
		.amdhsa_exception_fp_ieee_inexact 0
		.amdhsa_exception_int_div_zero 0
	.end_amdhsa_kernel
	.section	.text._ZN12_GLOBAL__N_120geam_min_plus_kernelIDF16_Dv2_DF16_S1_Li8ELi32ELi64ELi256ELi4ELi4ELi64ELi64ELi4ELc84ELc84ELb0ELb1ELb1EPKDF16_S2_DF16_EEviiiT16_PT17_ilS6_ilS4_S6_ilPT18_ili26rocblas_geam_ex_operation_,"axG",@progbits,_ZN12_GLOBAL__N_120geam_min_plus_kernelIDF16_Dv2_DF16_S1_Li8ELi32ELi64ELi256ELi4ELi4ELi64ELi64ELi4ELc84ELc84ELb0ELb1ELb1EPKDF16_S2_DF16_EEviiiT16_PT17_ilS6_ilS4_S6_ilPT18_ili26rocblas_geam_ex_operation_,comdat
.Lfunc_end279:
	.size	_ZN12_GLOBAL__N_120geam_min_plus_kernelIDF16_Dv2_DF16_S1_Li8ELi32ELi64ELi256ELi4ELi4ELi64ELi64ELi4ELc84ELc84ELb0ELb1ELb1EPKDF16_S2_DF16_EEviiiT16_PT17_ilS6_ilS4_S6_ilPT18_ili26rocblas_geam_ex_operation_, .Lfunc_end279-_ZN12_GLOBAL__N_120geam_min_plus_kernelIDF16_Dv2_DF16_S1_Li8ELi32ELi64ELi256ELi4ELi4ELi64ELi64ELi4ELc84ELc84ELb0ELb1ELb1EPKDF16_S2_DF16_EEviiiT16_PT17_ilS6_ilS4_S6_ilPT18_ili26rocblas_geam_ex_operation_
                                        ; -- End function
	.set _ZN12_GLOBAL__N_120geam_min_plus_kernelIDF16_Dv2_DF16_S1_Li8ELi32ELi64ELi256ELi4ELi4ELi64ELi64ELi4ELc84ELc84ELb0ELb1ELb1EPKDF16_S2_DF16_EEviiiT16_PT17_ilS6_ilS4_S6_ilPT18_ili26rocblas_geam_ex_operation_.num_vgpr, 167
	.set _ZN12_GLOBAL__N_120geam_min_plus_kernelIDF16_Dv2_DF16_S1_Li8ELi32ELi64ELi256ELi4ELi4ELi64ELi64ELi4ELc84ELc84ELb0ELb1ELb1EPKDF16_S2_DF16_EEviiiT16_PT17_ilS6_ilS4_S6_ilPT18_ili26rocblas_geam_ex_operation_.num_agpr, 0
	.set _ZN12_GLOBAL__N_120geam_min_plus_kernelIDF16_Dv2_DF16_S1_Li8ELi32ELi64ELi256ELi4ELi4ELi64ELi64ELi4ELc84ELc84ELb0ELb1ELb1EPKDF16_S2_DF16_EEviiiT16_PT17_ilS6_ilS4_S6_ilPT18_ili26rocblas_geam_ex_operation_.numbered_sgpr, 28
	.set _ZN12_GLOBAL__N_120geam_min_plus_kernelIDF16_Dv2_DF16_S1_Li8ELi32ELi64ELi256ELi4ELi4ELi64ELi64ELi4ELc84ELc84ELb0ELb1ELb1EPKDF16_S2_DF16_EEviiiT16_PT17_ilS6_ilS4_S6_ilPT18_ili26rocblas_geam_ex_operation_.num_named_barrier, 0
	.set _ZN12_GLOBAL__N_120geam_min_plus_kernelIDF16_Dv2_DF16_S1_Li8ELi32ELi64ELi256ELi4ELi4ELi64ELi64ELi4ELc84ELc84ELb0ELb1ELb1EPKDF16_S2_DF16_EEviiiT16_PT17_ilS6_ilS4_S6_ilPT18_ili26rocblas_geam_ex_operation_.private_seg_size, 0
	.set _ZN12_GLOBAL__N_120geam_min_plus_kernelIDF16_Dv2_DF16_S1_Li8ELi32ELi64ELi256ELi4ELi4ELi64ELi64ELi4ELc84ELc84ELb0ELb1ELb1EPKDF16_S2_DF16_EEviiiT16_PT17_ilS6_ilS4_S6_ilPT18_ili26rocblas_geam_ex_operation_.uses_vcc, 1
	.set _ZN12_GLOBAL__N_120geam_min_plus_kernelIDF16_Dv2_DF16_S1_Li8ELi32ELi64ELi256ELi4ELi4ELi64ELi64ELi4ELc84ELc84ELb0ELb1ELb1EPKDF16_S2_DF16_EEviiiT16_PT17_ilS6_ilS4_S6_ilPT18_ili26rocblas_geam_ex_operation_.uses_flat_scratch, 0
	.set _ZN12_GLOBAL__N_120geam_min_plus_kernelIDF16_Dv2_DF16_S1_Li8ELi32ELi64ELi256ELi4ELi4ELi64ELi64ELi4ELc84ELc84ELb0ELb1ELb1EPKDF16_S2_DF16_EEviiiT16_PT17_ilS6_ilS4_S6_ilPT18_ili26rocblas_geam_ex_operation_.has_dyn_sized_stack, 0
	.set _ZN12_GLOBAL__N_120geam_min_plus_kernelIDF16_Dv2_DF16_S1_Li8ELi32ELi64ELi256ELi4ELi4ELi64ELi64ELi4ELc84ELc84ELb0ELb1ELb1EPKDF16_S2_DF16_EEviiiT16_PT17_ilS6_ilS4_S6_ilPT18_ili26rocblas_geam_ex_operation_.has_recursion, 0
	.set _ZN12_GLOBAL__N_120geam_min_plus_kernelIDF16_Dv2_DF16_S1_Li8ELi32ELi64ELi256ELi4ELi4ELi64ELi64ELi4ELc84ELc84ELb0ELb1ELb1EPKDF16_S2_DF16_EEviiiT16_PT17_ilS6_ilS4_S6_ilPT18_ili26rocblas_geam_ex_operation_.has_indirect_call, 0
	.section	.AMDGPU.csdata,"",@progbits
; Kernel info:
; codeLenInByte = 23276
; TotalNumSgprs: 30
; NumVgprs: 167
; ScratchSize: 0
; MemoryBound: 0
; FloatMode: 240
; IeeeMode: 1
; LDSByteSize: 5120 bytes/workgroup (compile time only)
; SGPRBlocks: 0
; VGPRBlocks: 20
; NumSGPRsForWavesPerEU: 30
; NumVGPRsForWavesPerEU: 167
; Occupancy: 5
; WaveLimiterHint : 0
; COMPUTE_PGM_RSRC2:SCRATCH_EN: 0
; COMPUTE_PGM_RSRC2:USER_SGPR: 6
; COMPUTE_PGM_RSRC2:TRAP_HANDLER: 0
; COMPUTE_PGM_RSRC2:TGID_X_EN: 1
; COMPUTE_PGM_RSRC2:TGID_Y_EN: 0
; COMPUTE_PGM_RSRC2:TGID_Z_EN: 1
; COMPUTE_PGM_RSRC2:TIDIG_COMP_CNT: 1
	.section	.text._ZN12_GLOBAL__N_120geam_min_plus_kernelIDF16_Dv2_DF16_S1_Li8ELi32ELi64ELi256ELi4ELi4ELi64ELi64ELi4ELc84ELc84ELb1ELb1ELb1EDF16_KDF16_DF16_EEviiiT16_PT17_ilS5_ilS3_S5_ilPT18_ili26rocblas_geam_ex_operation_,"axG",@progbits,_ZN12_GLOBAL__N_120geam_min_plus_kernelIDF16_Dv2_DF16_S1_Li8ELi32ELi64ELi256ELi4ELi4ELi64ELi64ELi4ELc84ELc84ELb1ELb1ELb1EDF16_KDF16_DF16_EEviiiT16_PT17_ilS5_ilS3_S5_ilPT18_ili26rocblas_geam_ex_operation_,comdat
	.globl	_ZN12_GLOBAL__N_120geam_min_plus_kernelIDF16_Dv2_DF16_S1_Li8ELi32ELi64ELi256ELi4ELi4ELi64ELi64ELi4ELc84ELc84ELb1ELb1ELb1EDF16_KDF16_DF16_EEviiiT16_PT17_ilS5_ilS3_S5_ilPT18_ili26rocblas_geam_ex_operation_ ; -- Begin function _ZN12_GLOBAL__N_120geam_min_plus_kernelIDF16_Dv2_DF16_S1_Li8ELi32ELi64ELi256ELi4ELi4ELi64ELi64ELi4ELc84ELc84ELb1ELb1ELb1EDF16_KDF16_DF16_EEviiiT16_PT17_ilS5_ilS3_S5_ilPT18_ili26rocblas_geam_ex_operation_
	.p2align	8
	.type	_ZN12_GLOBAL__N_120geam_min_plus_kernelIDF16_Dv2_DF16_S1_Li8ELi32ELi64ELi256ELi4ELi4ELi64ELi64ELi4ELc84ELc84ELb1ELb1ELb1EDF16_KDF16_DF16_EEviiiT16_PT17_ilS5_ilS3_S5_ilPT18_ili26rocblas_geam_ex_operation_,@function
_ZN12_GLOBAL__N_120geam_min_plus_kernelIDF16_Dv2_DF16_S1_Li8ELi32ELi64ELi256ELi4ELi4ELi64ELi64ELi4ELc84ELc84ELb1ELb1ELb1EDF16_KDF16_DF16_EEviiiT16_PT17_ilS5_ilS3_S5_ilPT18_ili26rocblas_geam_ex_operation_: ; @_ZN12_GLOBAL__N_120geam_min_plus_kernelIDF16_Dv2_DF16_S1_Li8ELi32ELi64ELi256ELi4ELi4ELi64ELi64ELi4ELc84ELc84ELb1ELb1ELb1EDF16_KDF16_DF16_EEviiiT16_PT17_ilS5_ilS3_S5_ilPT18_ili26rocblas_geam_ex_operation_
; %bb.0:
	s_clause 0x1
	s_load_dwordx4 s[12:15], s[4:5], 0x0
	s_load_dwordx4 s[0:3], s[4:5], 0x20
	s_waitcnt lgkmcnt(0)
	v_cmp_eq_f16_e64 s8, s15, 0
	s_and_b32 vcc_lo, exec_lo, s8
	s_cbranch_vccnz .LBB280_53
; %bb.1:
	s_load_dwordx2 s[10:11], s[4:5], 0x10
	s_mul_i32 s1, s1, s7
	s_mul_hi_u32 s9, s0, s7
	s_mul_i32 s0, s0, s7
	s_add_i32 s1, s9, s1
	s_lshl_b64 s[0:1], s[0:1], 1
	s_waitcnt lgkmcnt(0)
	s_add_u32 s18, s10, s0
	s_addc_u32 s19, s11, s1
	s_andn2_b32 vcc_lo, exec_lo, s8
	s_mov_b32 s0, -1
	s_cbranch_vccnz .LBB280_3
.LBB280_2:
	s_mov_b32 s0, 0
.LBB280_3:
	s_mov_b64 s[16:17], 0
	s_andn2_b32 vcc_lo, exec_lo, s0
	s_mov_b64 s[20:21], 0
	s_cbranch_vccnz .LBB280_5
; %bb.4:
	s_load_dwordx2 s[0:1], s[4:5], 0x38
	s_waitcnt lgkmcnt(0)
	s_mul_i32 s1, s1, s7
	s_mul_hi_u32 s8, s0, s7
	s_mul_i32 s0, s0, s7
	s_add_i32 s1, s8, s1
	s_lshl_b64 s[0:1], s[0:1], 1
	s_add_u32 s20, s2, s0
	s_addc_u32 s21, s3, s1
.LBB280_5:
	s_clause 0x1
	s_load_dword s15, s[4:5], 0x40
	s_load_dwordx4 s[8:11], s[4:5], 0x58
	s_waitcnt lgkmcnt(0)
	v_cmp_eq_f16_e64 s0, s15, 0
	v_cmp_neq_f16_e64 s24, s15, 0
	s_and_b32 vcc_lo, exec_lo, s0
	s_cbranch_vccnz .LBB280_7
; %bb.6:
	s_load_dwordx2 s[0:1], s[4:5], 0x48
	s_mul_i32 s2, s9, s7
	s_mul_hi_u32 s3, s8, s7
	s_add_i32 s3, s3, s2
	s_mul_i32 s2, s8, s7
	s_lshl_b64 s[2:3], s[2:3], 1
	s_waitcnt lgkmcnt(0)
	s_add_u32 s16, s0, s2
	s_addc_u32 s17, s1, s3
.LBB280_7:
	s_add_i32 s0, s12, -1
	v_lshl_add_u32 v4, v1, 3, v0
	s_ashr_i32 s1, s0, 31
	s_load_dword s9, s[4:5], 0x18
	s_lshr_b32 s1, s1, 26
	v_and_b32_e32 v43, 3, v0
	s_add_i32 s0, s0, s1
	v_lshrrev_b32_e32 v25, 2, v4
	s_ashr_i32 s0, s0, 6
	v_mov_b32_e32 v3, 0x7c00
	s_add_i32 s2, s0, 1
	s_not_b32 s0, s0
	v_cvt_f32_u32_e32 v2, s2
	v_cmp_gt_i32_e32 vcc_lo, s14, v43
	v_lshlrev_b32_e32 v24, 1, v43
	v_rcp_iflag_f32_e32 v2, v2
	v_mul_f32_e32 v2, 0x4f7ffffe, v2
	v_cvt_u32_f32_e32 v2, v2
	v_readfirstlane_b32 s1, v2
	v_mov_b32_e32 v2, 0x7c00
	s_mul_i32 s0, s0, s1
	s_mul_hi_u32 s0, s1, s0
	s_add_i32 s1, s1, s0
	s_mul_hi_u32 s0, s6, s1
	s_mul_i32 s1, s0, s2
	s_add_i32 s3, s0, 1
	s_sub_i32 s1, s6, s1
	s_sub_i32 s8, s1, s2
	s_cmp_ge_u32 s1, s2
	s_cselect_b32 s0, s3, s0
	s_cselect_b32 s1, s8, s1
	s_add_i32 s3, s0, 1
	s_cmp_ge_u32 s1, s2
	s_cselect_b32 s1, s3, s0
	s_mul_i32 s28, s1, s2
	s_sub_i32 s0, s6, s28
	s_lshl_b32 s25, s0, 6
	v_add_nc_u32_e32 v8, s25, v25
	v_cmp_gt_i32_e64 s0, s12, v8
	v_cmp_le_i32_e64 s3, s12, v8
	s_and_b32 s2, vcc_lo, s0
	s_and_saveexec_b32 s0, s2
	s_cbranch_execz .LBB280_9
; %bb.8:
	s_waitcnt lgkmcnt(0)
	v_mad_i64_i32 v[5:6], null, v8, s9, 0
	v_lshlrev_b64 v[5:6], 1, v[5:6]
	v_add_co_u32 v3, vcc_lo, s18, v5
	v_add_co_ci_u32_e64 v6, null, s19, v6, vcc_lo
	v_add_co_u32 v5, vcc_lo, v3, v24
	v_add_co_ci_u32_e64 v6, null, 0, v6, vcc_lo
	global_load_ushort v3, v[5:6], off
.LBB280_9:
	s_or_b32 exec_lo, exec_lo, s0
	s_load_dword s22, s[4:5], 0x30
	v_lshrrev_b32_e32 v44, 6, v4
	v_and_b32_e32 v4, 63, v4
	s_lshl_b32 s26, s1, 8
	v_cmp_le_i32_e64 s8, s14, v44
	v_or_b32_e32 v22, s26, v4
	v_cmp_le_i32_e32 vcc_lo, s13, v22
	v_ashrrev_i32_e32 v23, 31, v22
	s_waitcnt lgkmcnt(0)
	v_mad_i64_i32 v[5:6], null, s22, v44, 0
	v_lshlrev_b64 v[5:6], 1, v[5:6]
	v_add_co_u32 v9, s0, s20, v5
	v_add_co_ci_u32_e64 v10, null, s21, v6, s0
	s_nor_b32 s0, vcc_lo, s8
	s_and_saveexec_b32 s1, s0
	s_cbranch_execz .LBB280_11
; %bb.10:
	v_lshlrev_b64 v[5:6], 1, v[22:23]
	v_add_co_u32 v5, s0, v9, v5
	v_add_co_ci_u32_e64 v6, null, v10, v6, s0
	global_load_ushort v2, v[5:6], off
.LBB280_11:
	s_or_b32 exec_lo, exec_lo, s1
	v_or_b32_e32 v5, 64, v22
	v_mov_b32_e32 v6, 0x7c00
	v_cmp_le_i32_e64 s0, s13, v5
	v_mov_b32_e32 v5, 0x7c00
	s_nor_b32 s1, s0, s8
	s_and_saveexec_b32 s2, s1
	s_cbranch_execz .LBB280_13
; %bb.12:
	v_lshlrev_b64 v[6:7], 1, v[22:23]
	v_add_co_u32 v6, s1, v9, v6
	v_add_co_ci_u32_e64 v7, null, v10, v7, s1
	global_load_ushort v6, v[6:7], off offset:128
.LBB280_13:
	s_or_b32 exec_lo, exec_lo, s2
	v_or_b32_e32 v7, 0x80, v22
	s_ashr_i32 s23, s22, 31
	v_cmp_le_i32_e64 s1, s13, v7
	s_nor_b32 s2, s1, s8
	s_and_saveexec_b32 s27, s2
	s_cbranch_execz .LBB280_15
; %bb.14:
	v_lshlrev_b64 v[11:12], 1, v[22:23]
	v_add_co_u32 v11, s2, v9, v11
	v_add_co_ci_u32_e64 v12, null, v10, v12, s2
	global_load_ushort v5, v[11:12], off offset:256
.LBB280_15:
	s_or_b32 exec_lo, exec_lo, s27
	v_or_b32_e32 v7, 0xc0, v22
	v_mov_b32_e32 v26, 0x7c00
	v_cmp_le_i32_e64 s2, s13, v7
	v_mov_b32_e32 v7, 0x7c00
	s_nor_b32 s8, s2, s8
	s_and_saveexec_b32 s27, s8
	s_cbranch_execz .LBB280_17
; %bb.16:
	v_lshlrev_b64 v[11:12], 1, v[22:23]
	v_add_co_u32 v9, s8, v9, v11
	v_add_co_ci_u32_e64 v10, null, v10, v12, s8
	global_load_ushort v7, v[9:10], off offset:384
.LBB280_17:
	s_or_b32 exec_lo, exec_lo, s27
	v_or_b32_e32 v9, 4, v43
	s_xor_b32 s27, s3, -1
	v_cmp_gt_i32_e64 s8, s14, v9
	s_and_b32 s3, s8, s27
	s_and_saveexec_b32 s8, s3
	s_cbranch_execz .LBB280_19
; %bb.18:
	v_mad_i64_i32 v[8:9], null, v8, s9, 0
	v_lshlrev_b64 v[8:9], 1, v[8:9]
	v_add_co_u32 v8, s3, s18, v8
	v_add_co_ci_u32_e64 v9, null, s19, v9, s3
	v_add_co_u32 v8, s3, v8, v24
	v_add_co_ci_u32_e64 v9, null, 0, v9, s3
	global_load_ushort v26, v[8:9], off offset:8
.LBB280_19:
	s_or_b32 exec_lo, exec_lo, s8
	v_add_nc_u32_e32 v11, 4, v44
	v_mov_b32_e32 v27, 0x7c00
	v_mov_b32_e32 v28, 0x7c00
	v_mad_u64_u32 v[8:9], null, s22, v11, 0
	v_cmp_le_i32_e64 s3, s14, v11
	v_mad_u64_u32 v[9:10], null, s23, v11, v[9:10]
	v_lshlrev_b64 v[8:9], 1, v[8:9]
	v_add_co_u32 v8, s8, s20, v8
	v_add_co_ci_u32_e64 v9, null, s21, v9, s8
	s_nor_b32 s8, vcc_lo, s3
	s_and_saveexec_b32 s29, s8
	s_cbranch_execz .LBB280_21
; %bb.20:
	v_lshlrev_b64 v[10:11], 1, v[22:23]
	v_add_co_u32 v10, s8, v8, v10
	v_add_co_ci_u32_e64 v11, null, v9, v11, s8
	global_load_ushort v28, v[10:11], off
.LBB280_21:
	s_or_b32 exec_lo, exec_lo, s29
	s_nor_b32 s8, s0, s3
	s_and_saveexec_b32 s29, s8
	s_cbranch_execz .LBB280_23
; %bb.22:
	v_lshlrev_b64 v[10:11], 1, v[22:23]
	v_add_co_u32 v10, s8, v8, v10
	v_add_co_ci_u32_e64 v11, null, v9, v11, s8
	global_load_ushort v27, v[10:11], off offset:128
.LBB280_23:
	s_or_b32 exec_lo, exec_lo, s29
	v_mov_b32_e32 v29, 0x7c00
	v_mov_b32_e32 v30, 0x7c00
	s_nor_b32 s8, s1, s3
	s_and_saveexec_b32 s29, s8
	s_cbranch_execz .LBB280_25
; %bb.24:
	v_lshlrev_b64 v[10:11], 1, v[22:23]
	v_add_co_u32 v10, s8, v8, v10
	v_add_co_ci_u32_e64 v11, null, v9, v11, s8
	global_load_ushort v30, v[10:11], off offset:256
.LBB280_25:
	s_or_b32 exec_lo, exec_lo, s29
	s_nor_b32 s3, s2, s3
	s_and_saveexec_b32 s8, s3
	s_cbranch_execz .LBB280_27
; %bb.26:
	v_lshlrev_b64 v[10:11], 1, v[22:23]
	v_add_co_u32 v8, s3, v8, v10
	v_add_co_ci_u32_e64 v9, null, v9, v11, s3
	global_load_ushort v29, v[8:9], off offset:384
.LBB280_27:
	s_or_b32 exec_lo, exec_lo, s8
	v_lshlrev_b32_e32 v4, 3, v4
	v_lshl_or_b32 v31, v25, 3, v24
	v_lshlrev_b32_e32 v46, 3, v0
	v_lshlrev_b32_e32 v45, 3, v1
	s_cmp_lt_i32 s14, 9
	v_lshl_add_u32 v47, v44, 1, v4
	s_waitcnt vmcnt(0)
	ds_write_b16 v31, v3 offset:4096
	v_add_nc_u32_e32 v3, 0x1000, v46
	ds_write_b16 v47, v2
	ds_write_b16 v47, v6 offset:512
	ds_write_b16 v47, v5 offset:1024
	;; [unrolled: 1-line block ×3, first 2 shown]
	s_waitcnt lgkmcnt(0)
	s_barrier
	buffer_gl0_inv
	ds_read2_b64 v[18:21], v3 offset1:8
	ds_read2_b64 v[32:35], v45 offset1:32
	ds_read2_b64 v[14:17], v3 offset0:16 offset1:24
	ds_read2_b64 v[10:13], v3 offset0:32 offset1:40
	ds_read2_b64 v[2:5], v3 offset0:48 offset1:56
	ds_read2_b64 v[36:39], v45 offset0:64 offset1:96
	ds_read2_b64 v[48:51], v45 offset0:128 offset1:160
	ds_read2_b64 v[6:9], v45 offset0:192 offset1:224
	ds_write_b16 v31, v26 offset:4608
	ds_write_b16 v47, v28 offset:2048
	;; [unrolled: 1-line block ×5, first 2 shown]
	s_waitcnt lgkmcnt(0)
	s_barrier
	buffer_gl0_inv
	v_pk_add_f16 v40, v18, v32
	v_pk_add_f16 v41, v20, v32
	;; [unrolled: 1-line block ×64, first 2 shown]
	v_pk_min_f16 v40, 0x7c00, v40 op_sel_hi:[0,1]
	v_pk_add_f16 v80, v21, v33
	v_pk_min_f16 v41, 0x7c00, v41 op_sel_hi:[0,1]
	v_pk_add_f16 v81, v15, v33
	;; [unrolled: 2-line block ×3, first 2 shown]
	v_pk_add_f16 v4, v11, v33
	v_pk_min_f16 v8, 0x7c00, v53 op_sel_hi:[0,1]
	v_pk_add_f16 v82, v17, v33
	v_pk_min_f16 v52, 0x7c00, v52 op_sel_hi:[0,1]
	v_pk_min_f16 v119, v40, v79
	v_pk_min_f16 v118, v41, v80
	;; [unrolled: 1-line block ×3, first 2 shown]
	v_pk_add_f16 v40, v13, v33
	v_pk_min_f16 v41, 0x7c00, v54 op_sel_hi:[0,1]
	v_pk_add_f16 v42, v3, v33
	v_pk_add_f16 v33, v5, v33
	v_pk_min_f16 v32, 0x7c00, v32 op_sel_hi:[0,1]
	v_pk_min_f16 v116, v8, v4
	v_pk_add_f16 v4, v21, v35
	v_pk_min_f16 v8, 0x7c00, v57 op_sel_hi:[0,1]
	v_pk_min_f16 v115, v52, v82
	v_pk_min_f16 v52, 0x7c00, v55 op_sel_hi:[0,1]
	v_pk_add_f16 v53, v19, v35
	v_pk_min_f16 v54, 0x7c00, v56 op_sel_hi:[0,1]
	v_pk_min_f16 v114, v41, v40
	v_pk_min_f16 v106, v32, v33
	v_pk_add_f16 v32, v15, v35
	v_pk_min_f16 v33, 0x7c00, v58 op_sel_hi:[0,1]
	v_pk_add_f16 v40, v17, v35
	v_pk_min_f16 v41, 0x7c00, v59 op_sel_hi:[0,1]
	v_pk_min_f16 v104, v8, v4
	v_pk_add_f16 v4, v3, v35
	v_pk_min_f16 v8, 0x7c00, v62 op_sel_hi:[0,1]
	v_pk_min_f16 v110, v52, v42
	v_pk_min_f16 v105, v54, v53
	v_pk_add_f16 v42, v11, v35
	v_pk_min_f16 v52, 0x7c00, v60 op_sel_hi:[0,1]
	v_pk_add_f16 v53, v13, v35
	v_pk_min_f16 v102, v33, v32
	v_pk_min_f16 v101, v41, v40
	v_pk_add_f16 v32, v5, v35
	v_pk_min_f16 v33, 0x7c00, v34 op_sel_hi:[0,1]
	v_pk_add_f16 v34, v19, v37
	v_pk_min_f16 v35, 0x7c00, v63 op_sel_hi:[0,1]
	;; [unrolled: 2-line block ×3, first 2 shown]
	v_pk_min_f16 v97, v8, v4
	v_pk_add_f16 v4, v17, v37
	v_pk_min_f16 v8, 0x7c00, v66 op_sel_hi:[0,1]
	v_pk_min_f16 v100, v52, v42
	v_pk_add_f16 v42, v15, v37
	v_pk_min_f16 v94, v33, v32
	v_pk_min_f16 v93, v35, v34
	;; [unrolled: 1-line block ×3, first 2 shown]
	v_pk_add_f16 v32, v11, v37
	v_pk_min_f16 v33, 0x7c00, v67 op_sel_hi:[0,1]
	v_pk_add_f16 v34, v13, v37
	v_pk_min_f16 v35, 0x7c00, v68 op_sel_hi:[0,1]
	v_pk_add_f16 v40, v3, v37
	v_pk_add_f16 v37, v5, v37
	v_pk_min_f16 v36, 0x7c00, v36 op_sel_hi:[0,1]
	v_pk_min_f16 v86, v8, v4
	v_pk_add_f16 v4, v19, v39
	v_pk_min_f16 v8, 0x7c00, v70 op_sel_hi:[0,1]
	v_pk_min_f16 v41, 0x7c00, v69 op_sel_hi:[0,1]
	v_pk_min_f16 v98, v33, v32
	v_pk_min_f16 v96, v35, v34
	;; [unrolled: 1-line block ×3, first 2 shown]
	v_pk_add_f16 v32, v21, v39
	v_pk_min_f16 v33, 0x7c00, v71 op_sel_hi:[0,1]
	v_pk_add_f16 v34, v15, v39
	v_pk_min_f16 v35, 0x7c00, v72 op_sel_hi:[0,1]
	;; [unrolled: 2-line block ×3, first 2 shown]
	v_pk_min_f16 v90, v8, v4
	v_pk_add_f16 v4, v13, v39
	v_pk_min_f16 v8, 0x7c00, v75 op_sel_hi:[0,1]
	v_pk_min_f16 v95, v41, v40
	v_pk_add_f16 v40, v11, v39
	v_pk_min_f16 v88, v33, v32
	v_pk_min_f16 v85, v35, v34
	;; [unrolled: 1-line block ×3, first 2 shown]
	v_pk_add_f16 v32, v3, v39
	v_pk_min_f16 v33, 0x7c00, v76 op_sel_hi:[0,1]
	v_pk_add_f16 v34, v5, v39
	v_pk_min_f16 v35, 0x7c00, v38 op_sel_hi:[0,1]
	;; [unrolled: 2-line block ×4, first 2 shown]
	v_pk_min_f16 v82, v8, v4
	v_pk_add_f16 v4, v15, v49
	v_pk_min_f16 v8, 0x7c00, v89 op_sel_hi:[0,1]
	v_pk_min_f16 v81, v33, v32
	v_pk_min_f16 v80, v35, v34
	;; [unrolled: 1-line block ×4, first 2 shown]
	v_pk_add_f16 v32, v17, v49
	v_pk_min_f16 v33, 0x7c00, v103 op_sel_hi:[0,1]
	v_pk_add_f16 v34, v11, v49
	v_pk_min_f16 v35, 0x7c00, v107 op_sel_hi:[0,1]
	;; [unrolled: 2-line block ×4, first 2 shown]
	v_pk_min_f16 v78, v8, v4
	v_pk_add_f16 v4, v5, v49
	v_pk_min_f16 v8, 0x7c00, v48 op_sel_hi:[0,1]
	v_pk_min_f16 v41, 0x7c00, v74 op_sel_hi:[0,1]
	v_pk_min_f16 v76, v33, v32
	v_pk_min_f16 v75, v35, v34
	;; [unrolled: 1-line block ×4, first 2 shown]
	v_pk_add_f16 v32, v19, v51
	v_pk_min_f16 v33, 0x7c00, v111 op_sel_hi:[0,1]
	v_pk_add_f16 v34, v21, v51
	v_pk_min_f16 v35, 0x7c00, v112 op_sel_hi:[0,1]
	;; [unrolled: 2-line block ×4, first 2 shown]
	v_pk_min_f16 v72, v8, v4
	v_pk_add_f16 v4, v11, v51
	v_pk_min_f16 v8, 0x7c00, v121 op_sel_hi:[0,1]
	v_pk_min_f16 v71, v33, v32
	v_pk_min_f16 v70, v35, v34
	;; [unrolled: 1-line block ×4, first 2 shown]
	v_pk_add_f16 v32, v13, v51
	v_pk_min_f16 v33, 0x7c00, v122 op_sel_hi:[0,1]
	v_pk_add_f16 v34, v3, v51
	v_pk_min_f16 v35, 0x7c00, v123 op_sel_hi:[0,1]
	;; [unrolled: 2-line block ×4, first 2 shown]
	v_pk_min_f16 v67, v8, v4
	v_pk_add_f16 v4, v21, v7
	v_pk_min_f16 v8, 0x7c00, v125 op_sel_hi:[0,1]
	v_pk_min_f16 v54, 0x7c00, v61 op_sel_hi:[0,1]
	v_pk_min_f16 v52, 0x7c00, v65 op_sel_hi:[0,1]
	v_pk_min_f16 v66, v33, v32
	v_pk_min_f16 v63, v35, v34
	;; [unrolled: 1-line block ×4, first 2 shown]
	v_pk_add_f16 v32, v15, v7
	v_pk_add_f16 v34, v17, v7
	v_pk_add_f16 v36, v11, v7
	v_pk_add_f16 v38, v13, v7
	v_pk_min_f16 v59, v8, v4
	v_pk_add_f16 v4, v3, v7
	v_pk_min_f16 v8, 0x7c00, v130 op_sel_hi:[0,1]
	v_pk_add_f16 v7, v5, v7
	v_pk_min_f16 v6, 0x7c00, v6 op_sel_hi:[0,1]
	v_pk_min_f16 v87, v52, v42
	v_pk_min_f16 v33, 0x7c00, v126 op_sel_hi:[0,1]
	v_pk_min_f16 v35, 0x7c00, v127 op_sel_hi:[0,1]
	;; [unrolled: 1-line block ×4, first 2 shown]
	v_pk_add_f16 v19, v19, v9
	v_pk_min_f16 v18, 0x7c00, v18 op_sel_hi:[0,1]
	v_pk_add_f16 v21, v21, v9
	v_pk_min_f16 v20, 0x7c00, v20 op_sel_hi:[0,1]
	;; [unrolled: 2-line block ×3, first 2 shown]
	v_pk_min_f16 v51, v8, v4
	v_pk_min_f16 v52, v6, v7
	v_pk_add_f16 v4, v17, v9
	v_pk_min_f16 v6, 0x7c00, v16 op_sel_hi:[0,1]
	v_pk_add_f16 v7, v11, v9
	v_pk_min_f16 v8, 0x7c00, v10 op_sel_hi:[0,1]
	;; [unrolled: 2-line block ×5, first 2 shown]
	v_pk_min_f16 v99, v54, v53
	v_pk_min_f16 v83, v41, v40
	;; [unrolled: 1-line block ×14, first 2 shown]
	s_cbranch_scc1 .LBB280_50
; %bb.28:
	v_lshl_add_u32 v2, s6, 6, v25
	s_lshl_b32 s3, s28, 6
	v_add_nc_u32_e32 v4, 8, v44
	v_add_nc_u32_e32 v8, 12, v44
	v_lshlrev_b64 v[6:7], 1, v[22:23]
	v_subrev_nc_u32_e32 v2, s3, v2
	v_add_nc_u32_e32 v89, 0x1000, v31
	v_mad_i64_i32 v[4:5], null, v4, s22, 0
	v_mad_i64_i32 v[8:9], null, v8, s22, 0
	;; [unrolled: 1-line block ×3, first 2 shown]
	v_or_b32_e32 v103, 0x1000, v46
	v_add_nc_u32_e32 v107, 0x1200, v31
	v_lshlrev_b64 v[37:38], 1, v[4:5]
	v_add_nc_u32_e32 v108, 0x800, v47
	v_lshlrev_b64 v[39:40], 1, v[8:9]
	v_lshl_add_u32 v109, v0, 3, 0x1200
	v_lshlrev_b64 v[2:3], 1, v[2:3]
	v_lshl_or_b32 v111, v1, 3, 0x800
	s_lshl_b64 s[8:9], s[22:23], 4
	v_add_co_u32 v2, s3, v2, v24
	v_add_co_ci_u32_e64 v3, null, 0, v3, s3
	v_add_co_u32 v2, s3, s18, v2
	v_add_co_ci_u32_e64 v3, null, s19, v3, s3
	s_add_i32 s18, s14, -8
	v_add_co_u32 v41, s3, v2, 16
	v_add_co_ci_u32_e64 v42, null, 0, v3, s3
	v_add_co_u32 v112, s3, s20, v6
	v_add_co_ci_u32_e64 v113, null, s21, v7, s3
	s_mov_b32 s19, 0
	s_branch .LBB280_30
.LBB280_29:                             ;   in Loop: Header=BB280_30 Depth=1
	s_or_b32 exec_lo, exec_lo, s6
	v_pk_add_f16 v14, v2, v33
	v_pk_max_f16 v15, v119, v119
	v_pk_add_f16 v16, v4, v33
	v_pk_max_f16 v118, v118, v118
	v_pk_add_f16 v119, v29, v33
	v_pk_add_f16 v127, v31, v33
	v_pk_max_f16 v115, v115, v115
	v_pk_add_f16 v128, v21, v33
	v_pk_min_f16 v141, v15, v14
	v_pk_min_f16 v125, v118, v16
	v_pk_add_f16 v14, v23, v33
	v_pk_max_f16 v15, v114, v114
	v_pk_add_f16 v16, v17, v33
	v_pk_max_f16 v110, v110, v110
	;; [unrolled: 2-line block ×3, first 2 shown]
	v_pk_min_f16 v127, v115, v127
	v_pk_add_f16 v115, v4, v35
	v_pk_max_f16 v104, v104, v104
	v_pk_min_f16 v146, v15, v14
	v_pk_min_f16 v137, v110, v16
	;; [unrolled: 1-line block ×3, first 2 shown]
	v_pk_add_f16 v14, v29, v35
	v_pk_max_f16 v15, v102, v102
	v_pk_add_f16 v16, v31, v35
	v_pk_max_f16 v33, v101, v101
	v_pk_add_f16 v114, v2, v35
	v_pk_min_f16 v140, v104, v115
	v_pk_add_f16 v101, v21, v35
	v_pk_add_f16 v102, v23, v35
	v_pk_max_f16 v99, v99, v99
	v_pk_add_f16 v104, v17, v35
	v_pk_max_f16 v97, v97, v97
	v_pk_min_f16 v149, v15, v14
	v_pk_min_f16 v142, v33, v16
	v_pk_add_f16 v14, v19, v35
	v_pk_max_f16 v15, v94, v94
	v_pk_add_f16 v16, v2, v10
	v_pk_max_f16 v33, v93, v93
	;; [unrolled: 2-line block ×4, first 2 shown]
	v_pk_max_f16 v117, v117, v117
	v_pk_max_f16 v116, v116, v116
	v_pk_min_f16 v144, v99, v102
	v_pk_min_f16 v145, v97, v104
	v_pk_add_f16 v97, v31, v10
	v_pk_max_f16 v99, v86, v86
	v_pk_min_f16 v150, v15, v14
	v_pk_min_f16 v86, v33, v16
	;; [unrolled: 1-line block ×4, first 2 shown]
	v_pk_add_f16 v14, v21, v10
	v_pk_max_f16 v15, v98, v98
	v_pk_add_f16 v16, v23, v10
	v_pk_max_f16 v33, v96, v96
	;; [unrolled: 2-line block ×4, first 2 shown]
	v_pk_min_f16 v126, v117, v119
	v_pk_min_f16 v132, v116, v128
	;; [unrolled: 1-line block ×6, first 2 shown]
	v_pk_add_f16 v10, v4, v12
	v_pk_max_f16 v14, v88, v88
	v_pk_add_f16 v15, v29, v12
	v_pk_max_f16 v16, v85, v85
	v_pk_add_f16 v33, v31, v12
	v_pk_max_f16 v35, v84, v84
	v_pk_max_f16 v105, v105, v105
	v_pk_add_f16 v92, v2, v12
	v_pk_add_f16 v84, v21, v12
	;; [unrolled: 1-line block ×3, first 2 shown]
	v_pk_min_f16 v135, v14, v10
	v_pk_min_f16 v115, v16, v15
	v_pk_min_f16 v116, v35, v33
	v_pk_add_f16 v10, v17, v12
	v_pk_max_f16 v14, v81, v81
	v_pk_add_f16 v12, v19, v12
	v_pk_max_f16 v15, v80, v80
	;; [unrolled: 2-line block ×4, first 2 shown]
	v_pk_min_f16 v139, v105, v114
	v_pk_add_f16 v79, v29, v6
	v_pk_min_f16 v131, v14, v10
	v_pk_min_f16 v102, v15, v12
	v_pk_min_f16 v104, v33, v16
	v_pk_min_f16 v105, v77, v35
	v_pk_add_f16 v10, v31, v6
	v_pk_max_f16 v12, v76, v76
	v_pk_add_f16 v14, v21, v6
	v_pk_max_f16 v15, v75, v75
	;; [unrolled: 2-line block ×5, first 2 shown]
	v_pk_min_f16 v134, v99, v97
	v_pk_max_f16 v90, v90, v90
	v_pk_min_f16 v114, v12, v10
	v_pk_min_f16 v95, v15, v14
	;; [unrolled: 1-line block ×5, first 2 shown]
	v_pk_add_f16 v6, v2, v8
	v_pk_max_f16 v10, v71, v71
	v_pk_add_f16 v12, v4, v8
	v_pk_max_f16 v14, v70, v70
	;; [unrolled: 2-line block ×4, first 2 shown]
	v_pk_max_f16 v100, v100, v100
	v_pk_min_f16 v130, v90, v92
	v_pk_add_f16 v68, v21, v8
	v_pk_min_f16 v110, v10, v6
	v_pk_min_f16 v87, v14, v12
	;; [unrolled: 1-line block ×4, first 2 shown]
	v_pk_add_f16 v6, v23, v8
	v_pk_max_f16 v10, v66, v66
	v_pk_add_f16 v12, v17, v8
	v_pk_max_f16 v14, v63, v63
	;; [unrolled: 2-line block ×5, first 2 shown]
	v_pk_min_f16 v143, v100, v101
	v_pk_max_f16 v83, v83, v83
	v_pk_min_f16 v100, v10, v6
	v_pk_min_f16 v6, v14, v12
	v_pk_min_f16 v8, v15, v8
	v_pk_min_f16 v10, v33, v16
	v_pk_min_f16 v12, v59, v35
	v_pk_add_f16 v14, v29, v25
	v_pk_max_f16 v15, v57, v57
	v_pk_add_f16 v16, v31, v25
	v_pk_max_f16 v35, v55, v55
	;; [unrolled: 2-line block ×3, first 2 shown]
	v_pk_min_f16 v117, v83, v84
	v_pk_add_f16 v55, v21, v25
	v_pk_add_f16 v57, v23, v25
	v_pk_min_f16 v33, v15, v14
	v_pk_min_f16 v14, v35, v16
	;; [unrolled: 1-line block ×3, first 2 shown]
	v_pk_add_f16 v25, v19, v25
	v_pk_max_f16 v35, v52, v52
	v_pk_add_f16 v51, v4, v27
	v_pk_max_f16 v49, v49, v49
	v_pk_add_f16 v2, v2, v27
	v_pk_add_f16 v29, v29, v27
	v_pk_max_f16 v48, v48, v48
	v_pk_add_f16 v31, v31, v27
	v_pk_max_f16 v52, v65, v65
	v_pk_min_f16 v4, v35, v25
	v_pk_min_f16 v35, v49, v51
	v_pk_add_f16 v21, v21, v27
	v_pk_add_f16 v23, v23, v27
	v_pk_add_f16 v17, v17, v27
	v_pk_max_f16 v49, v58, v58
	v_pk_add_f16 v19, v19, v27
	v_pk_max_f16 v27, v56, v56
	v_pk_max_f16 v50, v50, v50
	v_pk_min_f16 v48, v48, v29
	v_pk_min_f16 v25, v52, v31
	v_pk_max_f16 v29, v62, v62
	v_pk_max_f16 v31, v60, v60
	v_pk_min_f16 v153, v49, v17
	v_pk_min_f16 v154, v27, v19
	v_pk_add_f16 v17, v5, v34
	v_pk_add_f16 v19, v30, v34
	;; [unrolled: 1-line block ×3, first 2 shown]
	v_pk_min_f16 v2, v50, v2
	v_pk_add_f16 v50, v3, v34
	v_pk_min_f16 v151, v29, v21
	v_pk_min_f16 v152, v31, v23
	v_pk_add_f16 v21, v32, v34
	v_pk_add_f16 v23, v22, v34
	v_pk_min_f16 v148, v125, v17
	v_pk_min_f16 v147, v126, v19
	;; [unrolled: 1-line block ×3, first 2 shown]
	v_pk_add_f16 v17, v18, v34
	v_pk_add_f16 v27, v3, v36
	v_pk_min_f16 v155, v141, v50
	v_pk_min_f16 v141, v127, v21
	;; [unrolled: 1-line block ×3, first 2 shown]
	v_pk_add_f16 v23, v20, v34
	v_pk_add_f16 v29, v5, v36
	;; [unrolled: 1-line block ×3, first 2 shown]
	v_pk_min_f16 v127, v137, v17
	v_pk_min_f16 v101, v139, v27
	v_pk_add_f16 v17, v32, v36
	v_pk_add_f16 v27, v24, v36
	v_pk_max_f16 v82, v82, v82
	v_pk_min_f16 v126, v138, v23
	v_pk_min_f16 v99, v140, v29
	;; [unrolled: 1-line block ×3, first 2 shown]
	v_pk_add_f16 v23, v22, v36
	v_pk_add_f16 v29, v18, v36
	;; [unrolled: 1-line block ×3, first 2 shown]
	v_pk_min_f16 v94, v142, v17
	v_pk_min_f16 v84, v144, v27
	v_pk_add_f16 v17, v3, v11
	v_pk_add_f16 v27, v30, v11
	v_pk_min_f16 v118, v82, v85
	v_pk_min_f16 v85, v143, v23
	;; [unrolled: 1-line block ×4, first 2 shown]
	v_pk_add_f16 v23, v5, v11
	v_pk_add_f16 v29, v32, v11
	v_pk_add_f16 v31, v22, v11
	v_pk_min_f16 v125, v86, v17
	v_pk_min_f16 v86, v133, v27
	v_pk_add_f16 v17, v24, v11
	v_pk_add_f16 v27, v18, v11
	v_pk_add_f16 v11, v20, v11
	v_pk_max_f16 v78, v78, v78
	v_pk_min_f16 v93, v93, v23
	v_pk_min_f16 v82, v134, v29
	v_pk_add_f16 v29, v3, v13
	v_pk_min_f16 v77, v129, v11
	v_pk_add_f16 v11, v30, v13
	v_pk_min_f16 v106, v78, v79
	v_pk_min_f16 v79, v136, v31
	v_pk_add_f16 v31, v5, v13
	v_pk_min_f16 v23, v119, v17
	v_pk_add_f16 v17, v32, v13
	;; [unrolled: 2-line block ×3, first 2 shown]
	v_pk_max_f16 v67, v67, v67
	v_pk_min_f16 v78, v128, v27
	v_pk_min_f16 v76, v130, v29
	;; [unrolled: 1-line block ×3, first 2 shown]
	v_pk_add_f16 v27, v22, v13
	v_pk_add_f16 v29, v24, v13
	;; [unrolled: 1-line block ×3, first 2 shown]
	v_pk_min_f16 v71, v116, v17
	v_pk_add_f16 v13, v3, v7
	v_pk_add_f16 v17, v5, v7
	v_pk_min_f16 v75, v102, v11
	v_pk_add_f16 v11, v22, v7
	v_pk_min_f16 v91, v67, v68
	v_pk_min_f16 v69, v117, v27
	;; [unrolled: 1-line block ×3, first 2 shown]
	v_pk_add_f16 v27, v30, v7
	v_pk_add_f16 v29, v32, v7
	v_pk_min_f16 v73, v104, v13
	v_pk_min_f16 v72, v105, v17
	v_pk_add_f16 v13, v24, v7
	v_pk_add_f16 v17, v18, v7
	;; [unrolled: 1-line block ×3, first 2 shown]
	v_pk_min_f16 v64, v95, v11
	v_pk_add_f16 v11, v30, v9
	v_pk_max_f16 v53, v53, v53
	v_pk_min_f16 v66, v106, v27
	v_pk_add_f16 v27, v3, v9
	v_pk_min_f16 v63, v96, v13
	v_pk_min_f16 v61, v98, v7
	v_pk_add_f16 v7, v5, v9
	v_pk_add_f16 v13, v32, v9
	v_pk_min_f16 v59, v88, v11
	v_pk_add_f16 v11, v3, v26
	v_pk_max_f16 v54, v54, v54
	v_pk_min_f16 v16, v53, v57
	v_pk_min_f16 v62, v97, v17
	;; [unrolled: 1-line block ×3, first 2 shown]
	v_pk_add_f16 v17, v22, v9
	v_pk_add_f16 v27, v24, v9
	v_pk_min_f16 v60, v87, v7
	v_pk_min_f16 v57, v90, v13
	v_pk_add_f16 v7, v18, v9
	v_pk_add_f16 v9, v20, v9
	;; [unrolled: 1-line block ×3, first 2 shown]
	v_pk_min_f16 v50, v10, v11
	v_pk_add_f16 v10, v20, v26
	v_pk_min_f16 v15, v54, v55
	v_pk_min_f16 v54, v91, v17
	v_pk_add_f16 v17, v30, v26
	v_pk_min_f16 v55, v6, v7
	v_pk_min_f16 v51, v8, v9
	;; [unrolled: 1-line block ×3, first 2 shown]
	v_pk_add_f16 v6, v32, v26
	v_pk_add_f16 v7, v22, v26
	;; [unrolled: 1-line block ×4, first 2 shown]
	v_pk_min_f16 v26, v4, v10
	ds_read2_b64 v[10:13], v103 offset1:8
	ds_read2_b64 v[95:98], v45 offset1:32
	v_pk_min_f16 v67, v131, v31
	v_pk_min_f16 v65, v114, v29
	;; [unrolled: 1-line block ×6, first 2 shown]
	ds_read2_b64 v[14:17], v103 offset0:16 offset1:24
	v_pk_min_f16 v53, v100, v27
	v_pk_min_f16 v27, v83, v9
	v_pk_add_f16 v36, v5, v28
	v_pk_add_f16 v30, v30, v28
	ds_read2_b64 v[6:9], v103 offset0:32 offset1:40
	v_pk_add_f16 v3, v3, v28
	v_pk_add_f16 v18, v18, v28
	v_pk_min_f16 v56, v35, v36
	v_pk_min_f16 v35, v48, v30
	v_pk_add_f16 v30, v32, v28
	v_pk_min_f16 v52, v2, v3
	ds_read2_b64 v[2:5], v103 offset0:48 offset1:56
	v_pk_add_f16 v22, v22, v28
	v_pk_add_f16 v24, v24, v28
	v_pk_add_f16 v20, v20, v28
	v_pk_min_f16 v48, v25, v30
	v_pk_min_f16 v30, v153, v18
	s_waitcnt lgkmcnt(3)
	v_pk_add_f16 v18, v10, v95
	v_pk_max_f16 v102, v155, v155
	v_pk_min_f16 v36, v151, v22
	v_pk_min_f16 v32, v152, v24
	v_pk_min_f16 v28, v154, v20
	v_pk_add_f16 v20, v12, v95
	s_waitcnt lgkmcnt(2)
	v_pk_add_f16 v22, v14, v95
	v_pk_add_f16 v24, v16, v95
	;; [unrolled: 1-line block ×3, first 2 shown]
	v_pk_max_f16 v105, v148, v148
	v_pk_min_f16 v18, v102, v18
	v_pk_max_f16 v102, v147, v147
	v_pk_max_f16 v110, v141, v141
	s_waitcnt lgkmcnt(1)
	v_pk_add_f16 v25, v6, v95
	v_pk_min_f16 v20, v105, v20
	v_pk_add_f16 v105, v15, v96
	v_pk_min_f16 v22, v102, v22
	;; [unrolled: 2-line block ×3, first 2 shown]
	v_pk_min_f16 v119, v18, v104
	v_pk_max_f16 v18, v21, v21
	v_pk_min_f16 v117, v22, v105
	v_pk_add_f16 v22, v7, v96
	v_pk_min_f16 v115, v24, v102
	s_waitcnt lgkmcnt(0)
	v_pk_add_f16 v87, v2, v95
	v_pk_min_f16 v24, v18, v25
	v_pk_add_f16 v83, v8, v95
	v_pk_max_f16 v102, v19, v19
	v_pk_add_f16 v104, v3, v96
	v_pk_add_f16 v88, v4, v95
	v_pk_min_f16 v116, v24, v22
	v_pk_max_f16 v22, v127, v127
	v_pk_add_f16 v90, v10, v97
	v_pk_add_f16 v25, v9, v96
	v_pk_min_f16 v83, v102, v83
	v_pk_max_f16 v102, v126, v126
	v_pk_min_f16 v22, v22, v87
	ds_read2_b64 v[128:131], v45 offset0:64 offset1:96
	v_pk_add_f16 v95, v14, v97
	v_pk_add_f16 v106, v13, v96
	;; [unrolled: 1-line block ×3, first 2 shown]
	v_pk_min_f16 v110, v22, v104
	v_pk_max_f16 v22, v101, v101
	v_pk_add_f16 v105, v11, v98
	v_pk_min_f16 v114, v83, v25
	v_pk_min_f16 v83, v102, v88
	v_pk_max_f16 v92, v92, v92
	v_pk_min_f16 v22, v22, v90
	v_pk_add_f16 v91, v12, v97
	v_pk_min_f16 v118, v20, v106
	v_pk_add_f16 v136, v15, v98
	v_pk_min_f16 v106, v83, v96
	v_pk_max_f16 v83, v99, v99
	v_pk_min_f16 v105, v22, v105
	v_pk_min_f16 v22, v92, v95
	v_pk_add_f16 v132, v6, v97
	v_pk_add_f16 v135, v13, v98
	v_pk_min_f16 v83, v83, v91
	v_pk_add_f16 v100, v16, v97
	v_pk_min_f16 v102, v22, v136
	v_pk_max_f16 v22, v85, v85
	v_pk_add_f16 v133, v8, v97
	v_pk_add_f16 v134, v2, v97
	;; [unrolled: 1-line block ×4, first 2 shown]
	v_pk_min_f16 v104, v83, v135
	v_pk_max_f16 v83, v94, v94
	v_pk_min_f16 v22, v22, v132
	v_pk_max_f16 v80, v80, v80
	v_pk_max_f16 v81, v81, v81
	v_pk_add_f16 v137, v17, v98
	v_pk_add_f16 v139, v9, v98
	;; [unrolled: 1-line block ×4, first 2 shown]
	ds_read2_b64 v[18:21], v45 offset0:128 offset1:160
	s_waitcnt lgkmcnt(1)
	v_pk_add_f16 v24, v10, v128
	v_pk_min_f16 v83, v83, v100
	v_pk_min_f16 v80, v80, v134
	;; [unrolled: 1-line block ×4, first 2 shown]
	v_pk_max_f16 v22, v125, v125
	v_pk_add_f16 v127, v12, v128
	v_pk_add_f16 v25, v16, v128
	v_pk_max_f16 v84, v84, v84
	v_pk_min_f16 v97, v80, v140
	v_pk_min_f16 v94, v81, v98
	v_pk_add_f16 v80, v11, v129
	v_pk_max_f16 v81, v93, v93
	v_pk_min_f16 v22, v22, v24
	v_pk_max_f16 v82, v82, v82
	v_pk_add_f16 v87, v14, v128
	v_pk_add_f16 v88, v6, v128
	;; [unrolled: 1-line block ×6, first 2 shown]
	v_pk_min_f16 v84, v84, v133
	v_pk_min_f16 v101, v83, v137
	v_pk_max_f16 v24, v86, v86
	v_pk_add_f16 v83, v13, v129
	v_pk_min_f16 v81, v81, v127
	v_pk_min_f16 v25, v82, v25
	;; [unrolled: 1-line block ×3, first 2 shown]
	v_pk_max_f16 v22, v79, v79
	v_pk_max_f16 v82, v23, v23
	;; [unrolled: 1-line block ×5, first 2 shown]
	v_pk_add_f16 v141, v2, v128
	v_pk_add_f16 v90, v4, v128
	;; [unrolled: 1-line block ×4, first 2 shown]
	v_pk_min_f16 v99, v84, v139
	v_pk_add_f16 v84, v15, v129
	v_pk_min_f16 v24, v24, v87
	v_pk_min_f16 v91, v81, v83
	;; [unrolled: 1-line block ×3, first 2 shown]
	v_pk_add_f16 v81, v9, v129
	v_pk_add_f16 v88, v13, v131
	;; [unrolled: 1-line block ×4, first 2 shown]
	v_pk_min_f16 v82, v82, v126
	v_pk_max_f16 v78, v78, v78
	v_pk_max_f16 v77, v77, v77
	v_pk_min_f16 v70, v70, v142
	v_pk_max_f16 v71, v71, v71
	v_pk_max_f16 v69, v69, v69
	v_pk_min_f16 v68, v68, v144
	v_pk_min_f16 v67, v67, v132
	v_pk_add_f16 v128, v10, v130
	v_pk_add_f16 v143, v14, v130
	;; [unrolled: 1-line block ×4, first 2 shown]
	v_pk_min_f16 v87, v24, v84
	v_pk_add_f16 v79, v7, v129
	v_pk_add_f16 v83, v3, v129
	;; [unrolled: 1-line block ×5, first 2 shown]
	s_waitcnt lgkmcnt(0)
	v_pk_add_f16 v126, v10, v18
	v_pk_min_f16 v96, v82, v81
	v_pk_min_f16 v78, v78, v141
	;; [unrolled: 1-line block ×7, first 2 shown]
	v_pk_max_f16 v68, v75, v75
	v_pk_min_f16 v81, v67, v134
	v_pk_max_f16 v67, v73, v73
	v_pk_min_f16 v86, v25, v85
	v_pk_add_f16 v85, v11, v131
	v_pk_add_f16 v125, v15, v131
	;; [unrolled: 1-line block ×3, first 2 shown]
	ds_read2_b64 v[22:25], v45 offset0:192 offset1:224
	v_pk_min_f16 v98, v80, v79
	v_pk_add_f16 v79, v12, v18
	v_pk_add_f16 v137, v14, v18
	v_pk_min_f16 v95, v78, v83
	v_pk_min_f16 v92, v77, v84
	;; [unrolled: 1-line block ×5, first 2 shown]
	v_pk_max_f16 v69, v72, v72
	v_pk_min_f16 v67, v67, v126
	v_pk_add_f16 v70, v11, v19
	v_pk_max_f16 v66, v66, v66
	v_pk_add_f16 v138, v16, v18
	v_pk_max_f16 v76, v76, v76
	v_pk_add_f16 v139, v6, v18
	v_pk_min_f16 v80, v68, v131
	v_pk_add_f16 v68, v13, v19
	v_pk_min_f16 v69, v69, v79
	v_pk_min_f16 v79, v67, v70
	v_pk_max_f16 v65, v65, v65
	v_pk_add_f16 v67, v15, v19
	v_pk_min_f16 v66, v66, v137
	v_pk_max_f16 v64, v64, v64
	v_pk_add_f16 v140, v8, v18
	v_pk_min_f16 v76, v76, v128
	v_pk_add_f16 v128, v2, v18
	v_pk_add_f16 v18, v4, v18
	v_pk_min_f16 v77, v69, v68
	v_pk_min_f16 v65, v65, v138
	v_pk_add_f16 v68, v17, v19
	v_pk_min_f16 v78, v66, v67
	v_pk_add_f16 v66, v7, v19
	v_pk_min_f16 v64, v64, v139
	v_pk_max_f16 v61, v61, v61
	v_pk_min_f16 v90, v76, v85
	v_pk_max_f16 v74, v74, v74
	v_pk_min_f16 v76, v65, v68
	v_pk_min_f16 v75, v64, v66
	v_pk_add_f16 v64, v9, v19
	v_pk_add_f16 v65, v3, v19
	;; [unrolled: 1-line block ×3, first 2 shown]
	v_pk_min_f16 v18, v61, v18
	v_pk_add_f16 v142, v12, v20
	v_pk_min_f16 v74, v74, v143
	v_pk_add_f16 v143, v14, v20
	v_pk_add_f16 v127, v2, v20
	s_waitcnt lgkmcnt(0)
	v_pk_add_f16 v126, v2, v22
	v_pk_min_f16 v72, v18, v19
	v_pk_max_f16 v18, v60, v60
	v_pk_add_f16 v19, v2, v24
	v_pk_max_f16 v2, v59, v59
	v_pk_add_f16 v141, v10, v20
	v_pk_add_f16 v145, v16, v20
	v_pk_add_f16 v135, v6, v20
	v_pk_min_f16 v85, v74, v125
	v_pk_add_f16 v125, v8, v20
	v_pk_add_f16 v20, v4, v20
	;; [unrolled: 1-line block ×9, first 2 shown]
	v_pk_min_f16 v18, v18, v142
	v_pk_add_f16 v60, v13, v21
	v_pk_min_f16 v61, v2, v143
	v_pk_add_f16 v2, v4, v24
	v_pk_max_f16 v4, v57, v57
	v_pk_max_f16 v62, v62, v62
	v_pk_min_f16 v70, v18, v60
	v_pk_add_f16 v18, v17, v21
	v_pk_max_f16 v58, v58, v58
	v_pk_min_f16 v4, v4, v145
	v_pk_add_f16 v10, v10, v24
	v_pk_add_f16 v12, v12, v24
	;; [unrolled: 1-line block ×4, first 2 shown]
	v_pk_min_f16 v68, v4, v18
	v_pk_max_f16 v4, v51, v51
	v_pk_min_f16 v62, v62, v128
	v_pk_add_f16 v6, v6, v24
	v_pk_add_f16 v8, v8, v24
	v_pk_min_f16 v58, v58, v141
	v_pk_add_f16 v59, v11, v21
	v_pk_max_f16 v24, v54, v54
	v_pk_min_f16 v4, v4, v20
	v_pk_max_f16 v20, v49, v49
	v_pk_max_f16 v63, v63, v63
	v_pk_min_f16 v73, v62, v65
	v_pk_add_f16 v62, v15, v21
	v_pk_min_f16 v71, v58, v59
	v_pk_add_f16 v54, v7, v21
	;; [unrolled: 2-line block ×3, first 2 shown]
	v_pk_add_f16 v58, v3, v21
	v_pk_add_f16 v18, v5, v21
	v_pk_max_f16 v21, v50, v50
	v_pk_add_f16 v49, v13, v23
	v_pk_min_f16 v20, v20, v129
	v_pk_min_f16 v63, v63, v140
	;; [unrolled: 1-line block ×3, first 2 shown]
	v_pk_add_f16 v24, v11, v23
	v_pk_min_f16 v21, v21, v136
	v_pk_min_f16 v59, v20, v49
	v_pk_max_f16 v20, v31, v31
	v_pk_min_f16 v74, v63, v64
	v_pk_min_f16 v69, v61, v62
	v_pk_max_f16 v53, v53, v53
	v_pk_max_f16 v55, v55, v55
	v_pk_min_f16 v64, v4, v18
	v_pk_min_f16 v61, v21, v24
	v_pk_max_f16 v4, v33, v33
	v_pk_max_f16 v21, v29, v29
	v_pk_add_f16 v24, v7, v23
	v_pk_min_f16 v20, v20, v134
	v_pk_min_f16 v53, v53, v125
	;; [unrolled: 1-line block ×3, first 2 shown]
	v_pk_max_f16 v34, v34, v34
	v_pk_add_f16 v18, v17, v23
	v_pk_min_f16 v4, v4, v133
	v_pk_add_f16 v29, v9, v23
	v_pk_min_f16 v21, v21, v130
	v_pk_min_f16 v54, v20, v24
	v_pk_max_f16 v20, v52, v52
	v_pk_min_f16 v66, v53, v57
	v_pk_min_f16 v63, v55, v58
	v_pk_add_f16 v50, v15, v23
	v_pk_min_f16 v34, v34, v132
	v_pk_min_f16 v55, v4, v18
	v_pk_max_f16 v4, v26, v26
	v_pk_min_f16 v53, v21, v29
	v_pk_max_f16 v21, v56, v56
	v_pk_add_f16 v11, v11, v25
	v_pk_min_f16 v10, v20, v10
	v_pk_min_f16 v57, v34, v50
	v_pk_add_f16 v18, v5, v23
	v_pk_min_f16 v4, v4, v22
	v_pk_add_f16 v13, v13, v25
	v_pk_min_f16 v12, v21, v12
	v_pk_min_f16 v50, v10, v11
	v_pk_max_f16 v10, v36, v36
	v_pk_max_f16 v27, v27, v27
	v_pk_max_f16 v22, v35, v35
	v_pk_min_f16 v52, v4, v18
	v_pk_max_f16 v4, v48, v48
	v_pk_min_f16 v49, v12, v13
	v_pk_max_f16 v12, v32, v32
	;; [unrolled: 2-line block ×3, first 2 shown]
	v_pk_max_f16 v13, v28, v28
	v_pk_add_f16 v31, v3, v23
	v_pk_min_f16 v27, v27, v126
	v_pk_add_f16 v15, v15, v25
	v_pk_min_f16 v14, v22, v14
	;; [unrolled: 2-line block ×3, first 2 shown]
	v_pk_add_f16 v7, v7, v25
	v_pk_add_f16 v9, v9, v25
	v_pk_min_f16 v8, v12, v8
	v_pk_add_f16 v3, v3, v25
	v_pk_min_f16 v10, v10, v19
	;; [unrolled: 2-line block ×3, first 2 shown]
	v_add_co_u32 v41, s3, v41, 16
	v_add_co_ci_u32_e64 v42, null, 0, v42, s3
	v_add_co_u32 v112, s3, v112, s8
	v_pk_min_f16 v51, v27, v31
	v_pk_min_f16 v48, v14, v15
	;; [unrolled: 1-line block ×7, first 2 shown]
	v_add_co_ci_u32_e64 v113, null, s9, v113, s3
	s_add_i32 s19, s19, 8
	s_waitcnt vmcnt(0)
	ds_write_b16 v107, v120
	ds_write_b16 v108, v122
	ds_write_b16 v108, v121 offset:512
	ds_write_b16 v108, v124 offset:1024
	;; [unrolled: 1-line block ×3, first 2 shown]
	s_cmp_ge_i32 s19, s18
	s_waitcnt lgkmcnt(0)
	s_barrier
	buffer_gl0_inv
	s_cbranch_scc1 .LBB280_50
.LBB280_30:                             ; =>This Inner Loop Header: Depth=1
	v_add_nc_u32_e32 v15, s19, v43
	v_mov_b32_e32 v121, 0x7c00
	v_mov_b32_e32 v16, 0x7c00
	v_add_nc_u32_e32 v2, 8, v15
	v_cmp_gt_i32_e64 s3, s14, v2
	s_and_b32 s6, s3, s27
	s_and_saveexec_b32 s3, s6
	s_cbranch_execz .LBB280_32
; %bb.31:                               ;   in Loop: Header=BB280_30 Depth=1
	global_load_ushort v16, v[41:42], off
.LBB280_32:                             ;   in Loop: Header=BB280_30 Depth=1
	s_or_b32 exec_lo, exec_lo, s3
	v_add_nc_u32_e32 v14, s19, v44
	v_add_nc_u32_e32 v2, 8, v14
	v_cmp_le_i32_e64 s3, s14, v2
	s_nor_b32 s6, vcc_lo, s3
	s_and_saveexec_b32 s20, s6
	s_cbranch_execz .LBB280_34
; %bb.33:                               ;   in Loop: Header=BB280_30 Depth=1
	v_add_co_u32 v2, s6, v112, v37
	v_add_co_ci_u32_e64 v3, null, v113, v38, s6
	global_load_ushort v121, v[2:3], off
.LBB280_34:                             ;   in Loop: Header=BB280_30 Depth=1
	s_or_b32 exec_lo, exec_lo, s20
	v_mov_b32_e32 v122, 0x7c00
	v_mov_b32_e32 v123, 0x7c00
	s_nor_b32 s6, s0, s3
	s_and_saveexec_b32 s20, s6
	s_cbranch_execz .LBB280_36
; %bb.35:                               ;   in Loop: Header=BB280_30 Depth=1
	v_add_co_u32 v2, s6, v112, v37
	v_add_co_ci_u32_e64 v3, null, v113, v38, s6
	global_load_ushort v123, v[2:3], off offset:128
.LBB280_36:                             ;   in Loop: Header=BB280_30 Depth=1
	s_or_b32 exec_lo, exec_lo, s20
	s_nor_b32 s6, s1, s3
	s_and_saveexec_b32 s20, s6
	s_cbranch_execz .LBB280_38
; %bb.37:                               ;   in Loop: Header=BB280_30 Depth=1
	v_add_co_u32 v2, s6, v112, v37
	v_add_co_ci_u32_e64 v3, null, v113, v38, s6
	global_load_ushort v122, v[2:3], off offset:256
.LBB280_38:                             ;   in Loop: Header=BB280_30 Depth=1
	s_or_b32 exec_lo, exec_lo, s20
	v_mov_b32_e32 v120, 0x7c00
	v_mov_b32_e32 v124, 0x7c00
	s_nor_b32 s3, s2, s3
	s_and_saveexec_b32 s6, s3
	s_cbranch_execz .LBB280_40
; %bb.39:                               ;   in Loop: Header=BB280_30 Depth=1
	v_add_co_u32 v2, s3, v112, v37
	v_add_co_ci_u32_e64 v3, null, v113, v38, s3
	global_load_ushort v124, v[2:3], off offset:384
.LBB280_40:                             ;   in Loop: Header=BB280_30 Depth=1
	s_or_b32 exec_lo, exec_lo, s6
	ds_read2_b64 v[2:5], v109 offset1:8
	ds_read2_b64 v[29:32], v109 offset0:16 offset1:24
	ds_read2_b64 v[21:24], v109 offset0:32 offset1:40
	;; [unrolled: 1-line block ×3, first 2 shown]
	ds_read2_b64 v[33:36], v111 offset1:32
	ds_read2_b64 v[10:13], v111 offset0:64 offset1:96
	ds_read2_b64 v[6:9], v111 offset0:128 offset1:160
	ds_read2_b64 v[25:28], v111 offset0:192 offset1:224
	v_add_nc_u32_e32 v15, 12, v15
	s_waitcnt vmcnt(0)
	ds_write_b16 v89, v16
	ds_write_b16 v47, v121
	ds_write_b16 v47, v123 offset:512
	ds_write_b16 v47, v122 offset:1024
	;; [unrolled: 1-line block ×3, first 2 shown]
	s_waitcnt lgkmcnt(0)
	s_barrier
	v_cmp_gt_i32_e64 s3, s14, v15
	buffer_gl0_inv
	s_and_b32 s6, s3, s27
	s_and_saveexec_b32 s3, s6
	s_cbranch_execz .LBB280_42
; %bb.41:                               ;   in Loop: Header=BB280_30 Depth=1
	global_load_ushort v120, v[41:42], off offset:8
.LBB280_42:                             ;   in Loop: Header=BB280_30 Depth=1
	s_or_b32 exec_lo, exec_lo, s3
	v_add_nc_u32_e32 v14, 12, v14
	v_mov_b32_e32 v121, 0x7c00
	v_mov_b32_e32 v122, 0x7c00
	v_cmp_le_i32_e64 s3, s14, v14
	s_nor_b32 s6, vcc_lo, s3
	s_and_saveexec_b32 s20, s6
	s_cbranch_execz .LBB280_44
; %bb.43:                               ;   in Loop: Header=BB280_30 Depth=1
	v_add_co_u32 v14, s6, v112, v39
	v_add_co_ci_u32_e64 v15, null, v113, v40, s6
	global_load_ushort v122, v[14:15], off
.LBB280_44:                             ;   in Loop: Header=BB280_30 Depth=1
	s_or_b32 exec_lo, exec_lo, s20
	s_nor_b32 s6, s0, s3
	s_and_saveexec_b32 s20, s6
	s_cbranch_execz .LBB280_46
; %bb.45:                               ;   in Loop: Header=BB280_30 Depth=1
	v_add_co_u32 v14, s6, v112, v39
	v_add_co_ci_u32_e64 v15, null, v113, v40, s6
	global_load_ushort v121, v[14:15], off offset:128
.LBB280_46:                             ;   in Loop: Header=BB280_30 Depth=1
	s_or_b32 exec_lo, exec_lo, s20
	v_mov_b32_e32 v123, 0x7c00
	v_mov_b32_e32 v124, 0x7c00
	s_nor_b32 s6, s1, s3
	s_and_saveexec_b32 s20, s6
	s_cbranch_execz .LBB280_48
; %bb.47:                               ;   in Loop: Header=BB280_30 Depth=1
	v_add_co_u32 v14, s6, v112, v39
	v_add_co_ci_u32_e64 v15, null, v113, v40, s6
	global_load_ushort v124, v[14:15], off offset:256
.LBB280_48:                             ;   in Loop: Header=BB280_30 Depth=1
	s_or_b32 exec_lo, exec_lo, s20
	s_nor_b32 s3, s2, s3
	s_and_saveexec_b32 s6, s3
	s_cbranch_execz .LBB280_29
; %bb.49:                               ;   in Loop: Header=BB280_30 Depth=1
	v_add_co_u32 v14, s3, v112, v39
	v_add_co_ci_u32_e64 v15, null, v113, v40, s3
	global_load_ushort v123, v[14:15], off offset:384
	s_branch .LBB280_29
.LBB280_50:
	s_clause 0x2
	s_load_dwordx2 s[2:3], s[4:5], 0x70
	s_load_dword s14, s[4:5], 0x50
	s_load_dword s9, s[4:5], 0x68
	v_add_nc_u32_e32 v2, 0x1000, v46
	v_add_nc_u32_e32 v103, s26, v1
	;; [unrolled: 1-line block ×4, first 2 shown]
	ds_read2_b64 v[16:19], v2 offset0:64 offset1:72
	ds_read2_b64 v[12:15], v2 offset0:80 offset1:88
	;; [unrolled: 1-line block ×4, first 2 shown]
	ds_read2_b64 v[28:31], v4 offset1:32
	ds_read2_b64 v[24:27], v4 offset0:64 offset1:96
	ds_read2_b64 v[20:23], v4 offset0:128 offset1:160
	;; [unrolled: 1-line block ×3, first 2 shown]
	v_cmp_gt_i32_e64 s8, s13, v103
	v_cndmask_b32_e64 v89, 0, 1, s24
	v_cmp_gt_i32_e64 s0, s12, v32
	v_ashrrev_i32_e32 v33, 31, v32
	s_waitcnt lgkmcnt(0)
	s_mul_i32 s1, s3, s7
	v_mad_i64_i32 v[34:35], null, v103, s14, 0
	v_mad_i64_i32 v[36:37], null, v103, s9, 0
	s_mul_hi_u32 s3, s2, s7
	s_mul_i32 s2, s2, s7
	s_add_i32 s3, s3, s1
	s_lshl_b64 s[2:3], s[2:3], 1
	v_lshlrev_b64 v[34:35], 1, v[34:35]
	v_lshlrev_b64 v[36:37], 1, v[36:37]
	s_add_u32 s10, s10, s2
	s_addc_u32 s11, s11, s3
	s_and_b32 s2, s0, s8
	v_add_co_u32 v109, vcc_lo, s16, v34
	v_add_co_ci_u32_e64 v111, null, s17, v35, vcc_lo
	v_add_co_u32 v107, vcc_lo, s10, v36
	v_add_co_ci_u32_e64 v108, null, s11, v37, vcc_lo
	s_and_saveexec_b32 s1, s2
	s_cbranch_execz .LBB280_56
; %bb.51:
	s_andn2_b32 vcc_lo, exec_lo, s24
	s_cbranch_vccnz .LBB280_54
; %bb.52:
	v_lshlrev_b64 v[34:35], 1, v[32:33]
	v_add_co_u32 v34, vcc_lo, v109, v34
	v_add_co_ci_u32_e64 v35, null, v111, v35, vcc_lo
	global_load_ushort v34, v[34:35], off
	s_waitcnt vmcnt(0)
	v_mul_f16_e32 v34, s15, v34
	v_cvt_f32_f16_e32 v34, v34
	s_branch .LBB280_55
.LBB280_53:
	s_mov_b64 s[18:19], 0
	s_andn2_b32 vcc_lo, exec_lo, s8
	s_mov_b32 s0, -1
	s_cbranch_vccz .LBB280_2
	s_branch .LBB280_3
.LBB280_54:
	v_mov_b32_e32 v34, 0
.LBB280_55:
	v_pk_add_f16 v35, v16, v28
	v_pk_add_f16 v36, v17, v29
	v_max_f16_e32 v37, v119, v119
	v_lshrrev_b32_e32 v38, 16, v119
	v_max_f32_e32 v34, v34, v34
	v_lshrrev_b32_e32 v39, 16, v35
	v_lshrrev_b32_e32 v40, 16, v36
	v_min_f16_e32 v35, v37, v35
	v_min3_f16 v37, v38, v39, v40
	v_min3_f16 v35, v35, v36, v37
	v_cvt_f32_f16_e32 v35, v35
	v_min_f32_e32 v36, v34, v35
	v_lshlrev_b64 v[34:35], 1, v[32:33]
	v_cvt_f16_f32_e32 v36, v36
	v_add_co_u32 v34, vcc_lo, v107, v34
	v_add_co_ci_u32_e64 v35, null, v108, v35, vcc_lo
	global_store_short v[34:35], v36, off
.LBB280_56:
	s_or_b32 exec_lo, exec_lo, s1
	v_add_nc_u32_e32 v34, 8, v32
	v_cmp_gt_i32_e64 s1, s12, v34
	v_ashrrev_i32_e32 v35, 31, v34
	s_and_b32 s3, s1, s8
	s_and_saveexec_b32 s2, s3
	s_cbranch_execz .LBB280_61
; %bb.57:
	v_cmp_ne_u32_e32 vcc_lo, 1, v89
	s_cbranch_vccnz .LBB280_59
; %bb.58:
	v_lshlrev_b64 v[36:37], 1, v[34:35]
	v_add_co_u32 v36, vcc_lo, v109, v36
	v_add_co_ci_u32_e64 v37, null, v111, v37, vcc_lo
	global_load_ushort v36, v[36:37], off
	s_waitcnt vmcnt(0)
	v_mul_f16_e32 v36, s15, v36
	v_cvt_f32_f16_e32 v36, v36
	s_branch .LBB280_60
.LBB280_59:
	v_mov_b32_e32 v36, 0
.LBB280_60:
	v_pk_add_f16 v37, v18, v28
	v_pk_add_f16 v38, v19, v29
	v_max_f16_e32 v39, v118, v118
	v_lshrrev_b32_e32 v40, 16, v118
	v_max_f32_e32 v36, v36, v36
	v_lshrrev_b32_e32 v41, 16, v37
	v_lshrrev_b32_e32 v42, 16, v38
	v_min_f16_e32 v37, v39, v37
	v_min3_f16 v39, v40, v41, v42
	v_min3_f16 v37, v37, v38, v39
	v_cvt_f32_f16_e32 v37, v37
	v_min_f32_e32 v38, v36, v37
	v_lshlrev_b64 v[36:37], 1, v[34:35]
	v_cvt_f16_f32_e32 v38, v38
	v_add_co_u32 v36, vcc_lo, v107, v36
	v_add_co_ci_u32_e64 v37, null, v108, v37, vcc_lo
	global_store_short v[36:37], v38, off
.LBB280_61:
	s_or_b32 exec_lo, exec_lo, s2
	v_add_nc_u32_e32 v36, 16, v32
	v_cmp_gt_i32_e64 s2, s12, v36
	v_ashrrev_i32_e32 v37, 31, v36
	s_and_b32 s4, s2, s8
	s_and_saveexec_b32 s3, s4
	s_cbranch_execz .LBB280_66
; %bb.62:
	v_cmp_ne_u32_e32 vcc_lo, 1, v89
	s_cbranch_vccnz .LBB280_64
; %bb.63:
	v_lshlrev_b64 v[38:39], 1, v[36:37]
	v_add_co_u32 v38, vcc_lo, v109, v38
	v_add_co_ci_u32_e64 v39, null, v111, v39, vcc_lo
	global_load_ushort v38, v[38:39], off
	s_waitcnt vmcnt(0)
	v_mul_f16_e32 v38, s15, v38
	v_cvt_f32_f16_e32 v38, v38
	s_branch .LBB280_65
.LBB280_64:
	v_mov_b32_e32 v38, 0
.LBB280_65:
	v_pk_add_f16 v39, v12, v28
	v_pk_add_f16 v40, v13, v29
	v_max_f16_e32 v41, v117, v117
	v_lshrrev_b32_e32 v42, 16, v117
	v_max_f32_e32 v38, v38, v38
	v_lshrrev_b32_e32 v43, 16, v39
	v_lshrrev_b32_e32 v44, 16, v40
	v_min_f16_e32 v39, v41, v39
	v_min3_f16 v41, v42, v43, v44
	v_min3_f16 v39, v39, v40, v41
	v_cvt_f32_f16_e32 v39, v39
	v_min_f32_e32 v40, v38, v39
	v_lshlrev_b64 v[38:39], 1, v[36:37]
	v_cvt_f16_f32_e32 v40, v40
	v_add_co_u32 v38, vcc_lo, v107, v38
	v_add_co_ci_u32_e64 v39, null, v108, v39, vcc_lo
	global_store_short v[38:39], v40, off
.LBB280_66:
	;; [unrolled: 40-line block ×6, first 2 shown]
	s_or_b32 exec_lo, exec_lo, s7
	v_add_nc_u32_e32 v46, 56, v32
	v_cmp_gt_i32_e64 s7, s12, v46
	v_ashrrev_i32_e32 v47, 31, v46
	s_and_b32 s12, s7, s8
	s_and_saveexec_b32 s8, s12
	s_cbranch_execz .LBB280_91
; %bb.87:
	v_cmp_ne_u32_e32 vcc_lo, 1, v89
	s_cbranch_vccnz .LBB280_89
; %bb.88:
	v_lshlrev_b64 v[112:113], 1, v[46:47]
	v_add_co_u32 v109, vcc_lo, v109, v112
	v_add_co_ci_u32_e64 v110, null, v111, v113, vcc_lo
	global_load_ushort v109, v[109:110], off
	s_waitcnt vmcnt(0)
	v_mul_f16_e32 v109, s15, v109
	v_cvt_f32_f16_e32 v109, v109
	s_branch .LBB280_90
.LBB280_89:
	v_mov_b32_e32 v109, 0
.LBB280_90:
	v_pk_add_f16 v28, v2, v28
	v_pk_add_f16 v29, v3, v29
	v_max_f16_e32 v110, v106, v106
	v_lshrrev_b32_e32 v106, 16, v106
	v_lshrrev_b32_e32 v111, 16, v28
	;; [unrolled: 1-line block ×3, first 2 shown]
	v_min_f16_e32 v28, v110, v28
	v_min3_f16 v106, v106, v111, v112
	v_min3_f16 v28, v28, v29, v106
	v_max_f32_e32 v29, v109, v109
	v_cvt_f32_f16_e32 v28, v28
	v_min_f32_e32 v106, v29, v28
	v_lshlrev_b64 v[28:29], 1, v[46:47]
	v_cvt_f16_f32_e32 v106, v106
	v_add_co_u32 v28, vcc_lo, v107, v28
	v_add_co_ci_u32_e64 v29, null, v108, v29, vcc_lo
	global_store_short v[28:29], v106, off
.LBB280_91:
	s_or_b32 exec_lo, exec_lo, s8
	v_add_nc_u32_e32 v108, 32, v103
	v_mad_i64_i32 v[28:29], null, v108, s14, 0
	v_mad_i64_i32 v[106:107], null, v108, s9, 0
	v_cmp_gt_i32_e64 s8, s13, v108
	v_lshlrev_b64 v[28:29], 1, v[28:29]
	s_and_b32 s18, s0, s8
	v_lshlrev_b64 v[108:109], 1, v[106:107]
	v_add_co_u32 v106, vcc_lo, s16, v28
	v_add_co_ci_u32_e64 v107, null, s17, v29, vcc_lo
	v_add_co_u32 v28, vcc_lo, s10, v108
	v_add_co_ci_u32_e64 v29, null, s11, v109, vcc_lo
	s_and_saveexec_b32 s12, s18
	s_cbranch_execnz .LBB280_99
; %bb.92:
	s_or_b32 exec_lo, exec_lo, s12
	s_and_b32 s18, s1, s8
	s_and_saveexec_b32 s12, s18
	s_cbranch_execnz .LBB280_103
.LBB280_93:
	s_or_b32 exec_lo, exec_lo, s12
	s_and_b32 s18, s2, s8
	s_and_saveexec_b32 s12, s18
	s_cbranch_execnz .LBB280_107
.LBB280_94:
	s_or_b32 exec_lo, exec_lo, s12
	s_and_b32 s18, s3, s8
	s_and_saveexec_b32 s12, s18
	s_cbranch_execnz .LBB280_111
.LBB280_95:
	s_or_b32 exec_lo, exec_lo, s12
	s_and_b32 s18, s4, s8
	s_and_saveexec_b32 s12, s18
	s_cbranch_execnz .LBB280_115
.LBB280_96:
	s_or_b32 exec_lo, exec_lo, s12
	s_and_b32 s18, s5, s8
	s_and_saveexec_b32 s12, s18
	s_cbranch_execnz .LBB280_119
.LBB280_97:
	s_or_b32 exec_lo, exec_lo, s12
	s_and_b32 s18, s6, s8
	s_and_saveexec_b32 s12, s18
	s_cbranch_execnz .LBB280_123
.LBB280_98:
	s_or_b32 exec_lo, exec_lo, s12
	s_and_b32 s12, s7, s8
	s_and_saveexec_b32 s8, s12
	s_cbranch_execnz .LBB280_127
	s_branch .LBB280_131
.LBB280_99:
	v_cmp_ne_u32_e32 vcc_lo, 1, v89
	s_cbranch_vccnz .LBB280_101
; %bb.100:
	v_lshlrev_b64 v[108:109], 1, v[32:33]
	v_add_co_u32 v108, vcc_lo, v106, v108
	v_add_co_ci_u32_e64 v109, null, v107, v109, vcc_lo
	global_load_ushort v108, v[108:109], off
	s_waitcnt vmcnt(0)
	v_mul_f16_e32 v108, s15, v108
	v_cvt_f32_f16_e32 v108, v108
	s_branch .LBB280_102
.LBB280_101:
	v_mov_b32_e32 v108, 0
.LBB280_102:
	v_pk_add_f16 v109, v16, v30
	v_pk_add_f16 v110, v17, v31
	v_max_f16_e32 v111, v105, v105
	v_lshrrev_b32_e32 v105, 16, v105
	v_max_f32_e32 v108, v108, v108
	v_lshrrev_b32_e32 v112, 16, v109
	v_lshrrev_b32_e32 v113, 16, v110
	v_min_f16_e32 v109, v111, v109
	v_min3_f16 v105, v105, v112, v113
	v_min3_f16 v105, v109, v110, v105
	v_cvt_f32_f16_e32 v105, v105
	v_min_f32_e32 v105, v108, v105
	v_lshlrev_b64 v[108:109], 1, v[32:33]
	v_cvt_f16_f32_e32 v105, v105
	v_add_co_u32 v108, vcc_lo, v28, v108
	v_add_co_ci_u32_e64 v109, null, v29, v109, vcc_lo
	global_store_short v[108:109], v105, off
	s_or_b32 exec_lo, exec_lo, s12
	s_and_b32 s18, s1, s8
	s_and_saveexec_b32 s12, s18
	s_cbranch_execz .LBB280_93
.LBB280_103:
	v_cmp_ne_u32_e32 vcc_lo, 1, v89
	s_cbranch_vccnz .LBB280_105
; %bb.104:
	v_lshlrev_b64 v[108:109], 1, v[34:35]
	v_add_co_u32 v108, vcc_lo, v106, v108
	v_add_co_ci_u32_e64 v109, null, v107, v109, vcc_lo
	global_load_ushort v105, v[108:109], off
	s_waitcnt vmcnt(0)
	v_mul_f16_e32 v105, s15, v105
	v_cvt_f32_f16_e32 v105, v105
	s_branch .LBB280_106
.LBB280_105:
	v_mov_b32_e32 v105, 0
.LBB280_106:
	v_pk_add_f16 v108, v18, v30
	v_pk_add_f16 v109, v19, v31
	v_max_f16_e32 v110, v104, v104
	v_lshrrev_b32_e32 v104, 16, v104
	v_max_f32_e32 v105, v105, v105
	v_lshrrev_b32_e32 v111, 16, v108
	v_lshrrev_b32_e32 v112, 16, v109
	v_min_f16_e32 v108, v110, v108
	v_min3_f16 v104, v104, v111, v112
	v_min3_f16 v104, v108, v109, v104
	v_cvt_f32_f16_e32 v104, v104
	v_min_f32_e32 v108, v105, v104
	v_lshlrev_b64 v[104:105], 1, v[34:35]
	v_cvt_f16_f32_e32 v108, v108
	v_add_co_u32 v104, vcc_lo, v28, v104
	v_add_co_ci_u32_e64 v105, null, v29, v105, vcc_lo
	global_store_short v[104:105], v108, off
	s_or_b32 exec_lo, exec_lo, s12
	s_and_b32 s18, s2, s8
	s_and_saveexec_b32 s12, s18
	s_cbranch_execz .LBB280_94
.LBB280_107:
	v_cmp_ne_u32_e32 vcc_lo, 1, v89
	s_cbranch_vccnz .LBB280_109
; %bb.108:
	v_lshlrev_b64 v[104:105], 1, v[36:37]
	v_add_co_u32 v104, vcc_lo, v106, v104
	v_add_co_ci_u32_e64 v105, null, v107, v105, vcc_lo
	global_load_ushort v104, v[104:105], off
	s_waitcnt vmcnt(0)
	v_mul_f16_e32 v104, s15, v104
	v_cvt_f32_f16_e32 v104, v104
	s_branch .LBB280_110
.LBB280_109:
	v_mov_b32_e32 v104, 0
.LBB280_110:
	v_pk_add_f16 v105, v12, v30
	v_pk_add_f16 v108, v13, v31
	v_max_f16_e32 v109, v102, v102
	v_lshrrev_b32_e32 v102, 16, v102
	v_max_f32_e32 v104, v104, v104
	v_lshrrev_b32_e32 v110, 16, v105
	v_lshrrev_b32_e32 v111, 16, v108
	v_min_f16_e32 v105, v109, v105
	v_min3_f16 v102, v102, v110, v111
	v_min3_f16 v102, v105, v108, v102
	v_cvt_f32_f16_e32 v102, v102
	v_min_f32_e32 v102, v104, v102
	v_lshlrev_b64 v[104:105], 1, v[36:37]
	v_cvt_f16_f32_e32 v102, v102
	v_add_co_u32 v104, vcc_lo, v28, v104
	v_add_co_ci_u32_e64 v105, null, v29, v105, vcc_lo
	global_store_short v[104:105], v102, off
	s_or_b32 exec_lo, exec_lo, s12
	s_and_b32 s18, s3, s8
	s_and_saveexec_b32 s12, s18
	s_cbranch_execz .LBB280_95
.LBB280_111:
	v_cmp_ne_u32_e32 vcc_lo, 1, v89
	s_cbranch_vccnz .LBB280_113
; %bb.112:
	v_lshlrev_b64 v[104:105], 1, v[38:39]
	v_add_co_u32 v104, vcc_lo, v106, v104
	v_add_co_ci_u32_e64 v105, null, v107, v105, vcc_lo
	global_load_ushort v102, v[104:105], off
	s_waitcnt vmcnt(0)
	v_mul_f16_e32 v102, s15, v102
	v_cvt_f32_f16_e32 v102, v102
	s_branch .LBB280_114
.LBB280_113:
	v_mov_b32_e32 v102, 0
.LBB280_114:
	v_pk_add_f16 v104, v14, v30
	v_pk_add_f16 v105, v15, v31
	v_max_f16_e32 v108, v101, v101
	v_lshrrev_b32_e32 v101, 16, v101
	v_max_f32_e32 v102, v102, v102
	v_lshrrev_b32_e32 v109, 16, v104
	v_lshrrev_b32_e32 v110, 16, v105
	v_min_f16_e32 v104, v108, v104
	v_min3_f16 v101, v101, v109, v110
	v_min3_f16 v101, v104, v105, v101
	v_cvt_f32_f16_e32 v101, v101
	v_min_f32_e32 v104, v102, v101
	v_lshlrev_b64 v[101:102], 1, v[38:39]
	v_cvt_f16_f32_e32 v104, v104
	v_add_co_u32 v101, vcc_lo, v28, v101
	v_add_co_ci_u32_e64 v102, null, v29, v102, vcc_lo
	global_store_short v[101:102], v104, off
	s_or_b32 exec_lo, exec_lo, s12
	s_and_b32 s18, s4, s8
	s_and_saveexec_b32 s12, s18
	s_cbranch_execz .LBB280_96
.LBB280_115:
	v_cmp_ne_u32_e32 vcc_lo, 1, v89
	s_cbranch_vccnz .LBB280_117
; %bb.116:
	v_lshlrev_b64 v[101:102], 1, v[40:41]
	v_add_co_u32 v101, vcc_lo, v106, v101
	v_add_co_ci_u32_e64 v102, null, v107, v102, vcc_lo
	global_load_ushort v101, v[101:102], off
	s_waitcnt vmcnt(0)
	v_mul_f16_e32 v101, s15, v101
	v_cvt_f32_f16_e32 v101, v101
	s_branch .LBB280_118
.LBB280_117:
	v_mov_b32_e32 v101, 0
.LBB280_118:
	v_pk_add_f16 v102, v8, v30
	v_pk_add_f16 v104, v9, v31
	v_max_f16_e32 v105, v100, v100
	v_lshrrev_b32_e32 v100, 16, v100
	v_max_f32_e32 v101, v101, v101
	v_lshrrev_b32_e32 v108, 16, v102
	v_lshrrev_b32_e32 v109, 16, v104
	v_min_f16_e32 v102, v105, v102
	v_min3_f16 v100, v100, v108, v109
	v_min3_f16 v100, v102, v104, v100
	v_cvt_f32_f16_e32 v100, v100
	v_min_f32_e32 v102, v101, v100
	v_lshlrev_b64 v[100:101], 1, v[40:41]
	v_cvt_f16_f32_e32 v102, v102
	v_add_co_u32 v100, vcc_lo, v28, v100
	v_add_co_ci_u32_e64 v101, null, v29, v101, vcc_lo
	global_store_short v[100:101], v102, off
	s_or_b32 exec_lo, exec_lo, s12
	s_and_b32 s18, s5, s8
	s_and_saveexec_b32 s12, s18
	s_cbranch_execz .LBB280_97
.LBB280_119:
	v_cmp_ne_u32_e32 vcc_lo, 1, v89
	s_cbranch_vccnz .LBB280_121
; %bb.120:
	v_lshlrev_b64 v[100:101], 1, v[42:43]
	v_add_co_u32 v100, vcc_lo, v106, v100
	v_add_co_ci_u32_e64 v101, null, v107, v101, vcc_lo
	global_load_ushort v100, v[100:101], off
	s_waitcnt vmcnt(0)
	v_mul_f16_e32 v100, s15, v100
	v_cvt_f32_f16_e32 v100, v100
	s_branch .LBB280_122
.LBB280_121:
	v_mov_b32_e32 v100, 0
.LBB280_122:
	v_pk_add_f16 v101, v10, v30
	v_pk_add_f16 v102, v11, v31
	v_max_f16_e32 v104, v99, v99
	v_lshrrev_b32_e32 v99, 16, v99
	v_max_f32_e32 v100, v100, v100
	v_lshrrev_b32_e32 v105, 16, v101
	v_lshrrev_b32_e32 v108, 16, v102
	v_min_f16_e32 v101, v104, v101
	v_min3_f16 v99, v99, v105, v108
	v_min3_f16 v99, v101, v102, v99
	v_cvt_f32_f16_e32 v99, v99
	v_min_f32_e32 v101, v100, v99
	v_lshlrev_b64 v[99:100], 1, v[42:43]
	v_cvt_f16_f32_e32 v101, v101
	v_add_co_u32 v99, vcc_lo, v28, v99
	v_add_co_ci_u32_e64 v100, null, v29, v100, vcc_lo
	global_store_short v[99:100], v101, off
	s_or_b32 exec_lo, exec_lo, s12
	s_and_b32 s18, s6, s8
	s_and_saveexec_b32 s12, s18
	s_cbranch_execz .LBB280_98
.LBB280_123:
	v_cmp_ne_u32_e32 vcc_lo, 1, v89
	s_cbranch_vccnz .LBB280_125
; %bb.124:
	v_lshlrev_b64 v[99:100], 1, v[44:45]
	v_add_co_u32 v99, vcc_lo, v106, v99
	v_add_co_ci_u32_e64 v100, null, v107, v100, vcc_lo
	global_load_ushort v99, v[99:100], off
	s_waitcnt vmcnt(0)
	v_mul_f16_e32 v99, s15, v99
	v_cvt_f32_f16_e32 v99, v99
	s_branch .LBB280_126
.LBB280_125:
	v_mov_b32_e32 v99, 0
.LBB280_126:
	v_pk_add_f16 v100, v0, v30
	v_pk_add_f16 v101, v1, v31
	v_max_f16_e32 v102, v97, v97
	v_lshrrev_b32_e32 v97, 16, v97
	v_max_f32_e32 v99, v99, v99
	v_lshrrev_b32_e32 v104, 16, v100
	v_lshrrev_b32_e32 v105, 16, v101
	v_min_f16_e32 v100, v102, v100
	v_min3_f16 v97, v97, v104, v105
	v_min3_f16 v97, v100, v101, v97
	v_cvt_f32_f16_e32 v97, v97
	v_min_f32_e32 v97, v99, v97
	v_lshlrev_b64 v[99:100], 1, v[44:45]
	v_cvt_f16_f32_e32 v97, v97
	v_add_co_u32 v99, vcc_lo, v28, v99
	v_add_co_ci_u32_e64 v100, null, v29, v100, vcc_lo
	global_store_short v[99:100], v97, off
	s_or_b32 exec_lo, exec_lo, s12
	s_and_b32 s12, s7, s8
	s_and_saveexec_b32 s8, s12
	s_cbranch_execz .LBB280_131
.LBB280_127:
	v_cmp_ne_u32_e32 vcc_lo, 1, v89
	s_cbranch_vccnz .LBB280_129
; %bb.128:
	v_lshlrev_b64 v[99:100], 1, v[46:47]
	v_add_co_u32 v99, vcc_lo, v106, v99
	v_add_co_ci_u32_e64 v100, null, v107, v100, vcc_lo
	global_load_ushort v97, v[99:100], off
	s_waitcnt vmcnt(0)
	v_mul_f16_e32 v97, s15, v97
	v_cvt_f32_f16_e32 v97, v97
	s_branch .LBB280_130
.LBB280_129:
	v_mov_b32_e32 v97, 0
.LBB280_130:
	v_pk_add_f16 v30, v2, v30
	v_pk_add_f16 v31, v3, v31
	v_max_f16_e32 v99, v94, v94
	v_lshrrev_b32_e32 v94, 16, v94
	v_lshrrev_b32_e32 v100, 16, v30
	;; [unrolled: 1-line block ×3, first 2 shown]
	v_min_f16_e32 v30, v99, v30
	v_min3_f16 v94, v94, v100, v101
	v_min3_f16 v30, v30, v31, v94
	v_max_f32_e32 v31, v97, v97
	v_cvt_f32_f16_e32 v30, v30
	v_min_f32_e32 v94, v31, v30
	v_lshlrev_b64 v[30:31], 1, v[46:47]
	v_cvt_f16_f32_e32 v94, v94
	v_add_co_u32 v28, vcc_lo, v28, v30
	v_add_co_ci_u32_e64 v29, null, v29, v31, vcc_lo
	global_store_short v[28:29], v94, off
.LBB280_131:
	s_or_b32 exec_lo, exec_lo, s8
	v_add_nc_u32_e32 v94, 64, v103
	v_mad_i64_i32 v[28:29], null, v94, s14, 0
	v_mad_i64_i32 v[30:31], null, v94, s9, 0
	v_cmp_gt_i32_e64 s8, s13, v94
	v_lshlrev_b64 v[28:29], 1, v[28:29]
	s_and_b32 s18, s0, s8
	v_lshlrev_b64 v[99:100], 1, v[30:31]
	v_add_co_u32 v30, vcc_lo, s16, v28
	v_add_co_ci_u32_e64 v31, null, s17, v29, vcc_lo
	v_add_co_u32 v28, vcc_lo, s10, v99
	v_add_co_ci_u32_e64 v29, null, s11, v100, vcc_lo
	s_and_saveexec_b32 s12, s18
	s_cbranch_execnz .LBB280_139
; %bb.132:
	s_or_b32 exec_lo, exec_lo, s12
	s_and_b32 s18, s1, s8
	s_and_saveexec_b32 s12, s18
	s_cbranch_execnz .LBB280_143
.LBB280_133:
	s_or_b32 exec_lo, exec_lo, s12
	s_and_b32 s18, s2, s8
	s_and_saveexec_b32 s12, s18
	s_cbranch_execnz .LBB280_147
.LBB280_134:
	s_or_b32 exec_lo, exec_lo, s12
	s_and_b32 s18, s3, s8
	s_and_saveexec_b32 s12, s18
	s_cbranch_execnz .LBB280_151
.LBB280_135:
	s_or_b32 exec_lo, exec_lo, s12
	s_and_b32 s18, s4, s8
	s_and_saveexec_b32 s12, s18
	s_cbranch_execnz .LBB280_155
.LBB280_136:
	s_or_b32 exec_lo, exec_lo, s12
	s_and_b32 s18, s5, s8
	s_and_saveexec_b32 s12, s18
	s_cbranch_execnz .LBB280_159
.LBB280_137:
	s_or_b32 exec_lo, exec_lo, s12
	s_and_b32 s18, s6, s8
	s_and_saveexec_b32 s12, s18
	s_cbranch_execnz .LBB280_163
.LBB280_138:
	s_or_b32 exec_lo, exec_lo, s12
	s_and_b32 s12, s7, s8
	s_and_saveexec_b32 s8, s12
	s_cbranch_execnz .LBB280_167
	s_branch .LBB280_171
.LBB280_139:
	v_cmp_ne_u32_e32 vcc_lo, 1, v89
	s_cbranch_vccnz .LBB280_141
; %bb.140:
	v_lshlrev_b64 v[99:100], 1, v[32:33]
	v_add_co_u32 v99, vcc_lo, v30, v99
	v_add_co_ci_u32_e64 v100, null, v31, v100, vcc_lo
	global_load_ushort v94, v[99:100], off
	s_waitcnt vmcnt(0)
	v_mul_f16_e32 v94, s15, v94
	v_cvt_f32_f16_e32 v94, v94
	s_branch .LBB280_142
.LBB280_141:
	v_mov_b32_e32 v94, 0
.LBB280_142:
	v_pk_add_f16 v97, v16, v24
	v_pk_add_f16 v99, v17, v25
	v_max_f16_e32 v100, v93, v93
	v_lshrrev_b32_e32 v93, 16, v93
	v_max_f32_e32 v94, v94, v94
	v_lshrrev_b32_e32 v101, 16, v97
	v_lshrrev_b32_e32 v102, 16, v99
	v_min_f16_e32 v97, v100, v97
	v_min3_f16 v93, v93, v101, v102
	v_min3_f16 v93, v97, v99, v93
	v_cvt_f32_f16_e32 v93, v93
	v_min_f32_e32 v97, v94, v93
	v_lshlrev_b64 v[93:94], 1, v[32:33]
	v_cvt_f16_f32_e32 v97, v97
	v_add_co_u32 v93, vcc_lo, v28, v93
	v_add_co_ci_u32_e64 v94, null, v29, v94, vcc_lo
	global_store_short v[93:94], v97, off
	s_or_b32 exec_lo, exec_lo, s12
	s_and_b32 s18, s1, s8
	s_and_saveexec_b32 s12, s18
	s_cbranch_execz .LBB280_133
.LBB280_143:
	v_cmp_ne_u32_e32 vcc_lo, 1, v89
	s_cbranch_vccnz .LBB280_145
; %bb.144:
	v_lshlrev_b64 v[93:94], 1, v[34:35]
	v_add_co_u32 v93, vcc_lo, v30, v93
	v_add_co_ci_u32_e64 v94, null, v31, v94, vcc_lo
	global_load_ushort v93, v[93:94], off
	s_waitcnt vmcnt(0)
	v_mul_f16_e32 v93, s15, v93
	v_cvt_f32_f16_e32 v93, v93
	s_branch .LBB280_146
.LBB280_145:
	v_mov_b32_e32 v93, 0
.LBB280_146:
	v_pk_add_f16 v94, v18, v24
	v_pk_add_f16 v97, v19, v25
	v_max_f16_e32 v99, v91, v91
	v_lshrrev_b32_e32 v91, 16, v91
	v_max_f32_e32 v93, v93, v93
	v_lshrrev_b32_e32 v100, 16, v94
	v_lshrrev_b32_e32 v101, 16, v97
	v_min_f16_e32 v94, v99, v94
	v_min3_f16 v91, v91, v100, v101
	v_min3_f16 v91, v94, v97, v91
	v_cvt_f32_f16_e32 v91, v91
	v_min_f32_e32 v91, v93, v91
	v_lshlrev_b64 v[93:94], 1, v[34:35]
	v_cvt_f16_f32_e32 v91, v91
	v_add_co_u32 v93, vcc_lo, v28, v93
	v_add_co_ci_u32_e64 v94, null, v29, v94, vcc_lo
	global_store_short v[93:94], v91, off
	s_or_b32 exec_lo, exec_lo, s12
	s_and_b32 s18, s2, s8
	s_and_saveexec_b32 s12, s18
	s_cbranch_execz .LBB280_134
.LBB280_147:
	v_cmp_ne_u32_e32 vcc_lo, 1, v89
	s_cbranch_vccnz .LBB280_149
; %bb.148:
	v_lshlrev_b64 v[93:94], 1, v[36:37]
	v_add_co_u32 v93, vcc_lo, v30, v93
	v_add_co_ci_u32_e64 v94, null, v31, v94, vcc_lo
	global_load_ushort v91, v[93:94], off
	s_waitcnt vmcnt(0)
	v_mul_f16_e32 v91, s15, v91
	v_cvt_f32_f16_e32 v91, v91
	s_branch .LBB280_150
.LBB280_149:
	v_mov_b32_e32 v91, 0
.LBB280_150:
	v_pk_add_f16 v93, v12, v24
	v_pk_add_f16 v94, v13, v25
	v_max_f16_e32 v97, v87, v87
	v_lshrrev_b32_e32 v87, 16, v87
	v_max_f32_e32 v91, v91, v91
	v_lshrrev_b32_e32 v99, 16, v93
	v_lshrrev_b32_e32 v100, 16, v94
	v_min_f16_e32 v93, v97, v93
	v_min3_f16 v87, v87, v99, v100
	v_min3_f16 v87, v93, v94, v87
	v_lshlrev_b64 v[93:94], 1, v[36:37]
	v_cvt_f32_f16_e32 v87, v87
	v_add_co_u32 v93, vcc_lo, v28, v93
	v_add_co_ci_u32_e64 v94, null, v29, v94, vcc_lo
	v_min_f32_e32 v87, v91, v87
	v_cvt_f16_f32_e32 v87, v87
	global_store_short v[93:94], v87, off
	s_or_b32 exec_lo, exec_lo, s12
	s_and_b32 s18, s3, s8
	s_and_saveexec_b32 s12, s18
	s_cbranch_execz .LBB280_135
.LBB280_151:
	v_cmp_ne_u32_e32 vcc_lo, 1, v89
	s_cbranch_vccnz .LBB280_153
; %bb.152:
	v_lshlrev_b64 v[93:94], 1, v[38:39]
	v_add_co_u32 v93, vcc_lo, v30, v93
	v_add_co_ci_u32_e64 v94, null, v31, v94, vcc_lo
	global_load_ushort v87, v[93:94], off
	s_waitcnt vmcnt(0)
	v_mul_f16_e32 v87, s15, v87
	v_cvt_f32_f16_e32 v87, v87
	s_branch .LBB280_154
.LBB280_153:
	v_mov_b32_e32 v87, 0
.LBB280_154:
	v_pk_add_f16 v91, v14, v24
	v_pk_add_f16 v93, v15, v25
	v_max_f16_e32 v94, v86, v86
	v_lshrrev_b32_e32 v86, 16, v86
	v_max_f32_e32 v87, v87, v87
	v_lshrrev_b32_e32 v97, 16, v91
	v_lshrrev_b32_e32 v99, 16, v93
	v_min_f16_e32 v91, v94, v91
	v_min3_f16 v86, v86, v97, v99
	v_min3_f16 v86, v91, v93, v86
	v_cvt_f32_f16_e32 v86, v86
	v_min_f32_e32 v91, v87, v86
	v_lshlrev_b64 v[86:87], 1, v[38:39]
	v_cvt_f16_f32_e32 v91, v91
	v_add_co_u32 v86, vcc_lo, v28, v86
	v_add_co_ci_u32_e64 v87, null, v29, v87, vcc_lo
	global_store_short v[86:87], v91, off
	s_or_b32 exec_lo, exec_lo, s12
	s_and_b32 s18, s4, s8
	s_and_saveexec_b32 s12, s18
	s_cbranch_execz .LBB280_136
.LBB280_155:
	v_cmp_ne_u32_e32 vcc_lo, 1, v89
	s_cbranch_vccnz .LBB280_157
; %bb.156:
	v_lshlrev_b64 v[86:87], 1, v[40:41]
	v_add_co_u32 v86, vcc_lo, v30, v86
	v_add_co_ci_u32_e64 v87, null, v31, v87, vcc_lo
	global_load_ushort v86, v[86:87], off
	s_waitcnt vmcnt(0)
	v_mul_f16_e32 v86, s15, v86
	v_cvt_f32_f16_e32 v86, v86
	s_branch .LBB280_158
.LBB280_157:
	v_mov_b32_e32 v86, 0
.LBB280_158:
	v_pk_add_f16 v87, v8, v24
	v_pk_add_f16 v91, v9, v25
	v_max_f16_e32 v93, v98, v98
	v_lshrrev_b32_e32 v94, 16, v98
	v_max_f32_e32 v86, v86, v86
	v_lshrrev_b32_e32 v97, 16, v87
	v_lshrrev_b32_e32 v98, 16, v91
	v_min_f16_e32 v87, v93, v87
	v_min3_f16 v93, v94, v97, v98
	v_min3_f16 v87, v87, v91, v93
	v_cvt_f32_f16_e32 v87, v87
	v_min_f32_e32 v91, v86, v87
	v_lshlrev_b64 v[86:87], 1, v[40:41]
	v_cvt_f16_f32_e32 v91, v91
	v_add_co_u32 v86, vcc_lo, v28, v86
	v_add_co_ci_u32_e64 v87, null, v29, v87, vcc_lo
	global_store_short v[86:87], v91, off
	s_or_b32 exec_lo, exec_lo, s12
	s_and_b32 s18, s5, s8
	s_and_saveexec_b32 s12, s18
	s_cbranch_execz .LBB280_137
.LBB280_159:
	v_cmp_ne_u32_e32 vcc_lo, 1, v89
	s_cbranch_vccnz .LBB280_161
; %bb.160:
	v_lshlrev_b64 v[86:87], 1, v[42:43]
	v_add_co_u32 v86, vcc_lo, v30, v86
	v_add_co_ci_u32_e64 v87, null, v31, v87, vcc_lo
	global_load_ushort v86, v[86:87], off
	s_waitcnt vmcnt(0)
	v_mul_f16_e32 v86, s15, v86
	v_cvt_f32_f16_e32 v86, v86
	s_branch .LBB280_162
.LBB280_161:
	v_mov_b32_e32 v86, 0
.LBB280_162:
	v_pk_add_f16 v87, v10, v24
	v_pk_add_f16 v91, v11, v25
	v_max_f16_e32 v93, v96, v96
	v_lshrrev_b32_e32 v94, 16, v96
	v_max_f32_e32 v86, v86, v86
	v_lshrrev_b32_e32 v96, 16, v87
	v_lshrrev_b32_e32 v97, 16, v91
	v_min_f16_e32 v87, v93, v87
	v_min3_f16 v93, v94, v96, v97
	v_min3_f16 v87, v87, v91, v93
	v_cvt_f32_f16_e32 v87, v87
	v_min_f32_e32 v91, v86, v87
	v_lshlrev_b64 v[86:87], 1, v[42:43]
	v_cvt_f16_f32_e32 v91, v91
	v_add_co_u32 v86, vcc_lo, v28, v86
	v_add_co_ci_u32_e64 v87, null, v29, v87, vcc_lo
	global_store_short v[86:87], v91, off
	s_or_b32 exec_lo, exec_lo, s12
	s_and_b32 s18, s6, s8
	s_and_saveexec_b32 s12, s18
	s_cbranch_execz .LBB280_138
.LBB280_163:
	v_cmp_ne_u32_e32 vcc_lo, 1, v89
	s_cbranch_vccnz .LBB280_165
; %bb.164:
	v_lshlrev_b64 v[86:87], 1, v[44:45]
	v_add_co_u32 v86, vcc_lo, v30, v86
	v_add_co_ci_u32_e64 v87, null, v31, v87, vcc_lo
	global_load_ushort v86, v[86:87], off
	s_waitcnt vmcnt(0)
	v_mul_f16_e32 v86, s15, v86
	v_cvt_f32_f16_e32 v86, v86
	s_branch .LBB280_166
.LBB280_165:
	v_mov_b32_e32 v86, 0
.LBB280_166:
	v_pk_add_f16 v87, v0, v24
	v_pk_add_f16 v91, v1, v25
	v_max_f16_e32 v93, v95, v95
	v_lshrrev_b32_e32 v94, 16, v95
	v_max_f32_e32 v86, v86, v86
	v_lshrrev_b32_e32 v95, 16, v87
	v_lshrrev_b32_e32 v96, 16, v91
	v_min_f16_e32 v87, v93, v87
	v_min3_f16 v93, v94, v95, v96
	v_min3_f16 v87, v87, v91, v93
	v_cvt_f32_f16_e32 v87, v87
	v_min_f32_e32 v91, v86, v87
	v_lshlrev_b64 v[86:87], 1, v[44:45]
	v_cvt_f16_f32_e32 v91, v91
	v_add_co_u32 v86, vcc_lo, v28, v86
	v_add_co_ci_u32_e64 v87, null, v29, v87, vcc_lo
	global_store_short v[86:87], v91, off
	s_or_b32 exec_lo, exec_lo, s12
	s_and_b32 s12, s7, s8
	s_and_saveexec_b32 s8, s12
	s_cbranch_execz .LBB280_171
.LBB280_167:
	v_cmp_ne_u32_e32 vcc_lo, 1, v89
	s_cbranch_vccnz .LBB280_169
; %bb.168:
	v_lshlrev_b64 v[86:87], 1, v[46:47]
	v_add_co_u32 v30, vcc_lo, v30, v86
	v_add_co_ci_u32_e64 v31, null, v31, v87, vcc_lo
	global_load_ushort v30, v[30:31], off
	s_waitcnt vmcnt(0)
	v_mul_f16_e32 v30, s15, v30
	v_cvt_f32_f16_e32 v30, v30
	s_branch .LBB280_170
.LBB280_169:
	v_mov_b32_e32 v30, 0
.LBB280_170:
	v_pk_add_f16 v24, v2, v24
	v_pk_add_f16 v25, v3, v25
	v_max_f16_e32 v31, v92, v92
	v_lshrrev_b32_e32 v86, 16, v92
	v_lshrrev_b32_e32 v87, 16, v24
	;; [unrolled: 1-line block ×3, first 2 shown]
	v_min_f16_e32 v24, v31, v24
	v_min3_f16 v31, v86, v87, v91
	v_min3_f16 v24, v24, v25, v31
	v_max_f32_e32 v25, v30, v30
	v_cvt_f32_f16_e32 v24, v24
	v_min_f32_e32 v30, v25, v24
	v_lshlrev_b64 v[24:25], 1, v[46:47]
	v_cvt_f16_f32_e32 v30, v30
	v_add_co_u32 v24, vcc_lo, v28, v24
	v_add_co_ci_u32_e64 v25, null, v29, v25, vcc_lo
	global_store_short v[24:25], v30, off
.LBB280_171:
	s_or_b32 exec_lo, exec_lo, s8
	v_add_nc_u32_e32 v30, 0x60, v103
	v_mad_i64_i32 v[24:25], null, v30, s14, 0
	v_mad_i64_i32 v[28:29], null, v30, s9, 0
	v_cmp_gt_i32_e64 s8, s13, v30
	v_lshlrev_b64 v[24:25], 1, v[24:25]
	s_and_b32 s18, s0, s8
	v_lshlrev_b64 v[30:31], 1, v[28:29]
	v_add_co_u32 v28, vcc_lo, s16, v24
	v_add_co_ci_u32_e64 v29, null, s17, v25, vcc_lo
	v_add_co_u32 v24, vcc_lo, s10, v30
	v_add_co_ci_u32_e64 v25, null, s11, v31, vcc_lo
	s_and_saveexec_b32 s12, s18
	s_cbranch_execnz .LBB280_179
; %bb.172:
	s_or_b32 exec_lo, exec_lo, s12
	s_and_b32 s18, s1, s8
	s_and_saveexec_b32 s12, s18
	s_cbranch_execnz .LBB280_183
.LBB280_173:
	s_or_b32 exec_lo, exec_lo, s12
	s_and_b32 s18, s2, s8
	s_and_saveexec_b32 s12, s18
	s_cbranch_execnz .LBB280_187
.LBB280_174:
	s_or_b32 exec_lo, exec_lo, s12
	s_and_b32 s18, s3, s8
	s_and_saveexec_b32 s12, s18
	s_cbranch_execnz .LBB280_191
.LBB280_175:
	s_or_b32 exec_lo, exec_lo, s12
	s_and_b32 s18, s4, s8
	s_and_saveexec_b32 s12, s18
	s_cbranch_execnz .LBB280_195
.LBB280_176:
	s_or_b32 exec_lo, exec_lo, s12
	s_and_b32 s18, s5, s8
	s_and_saveexec_b32 s12, s18
	s_cbranch_execnz .LBB280_199
.LBB280_177:
	s_or_b32 exec_lo, exec_lo, s12
	s_and_b32 s18, s6, s8
	s_and_saveexec_b32 s12, s18
	s_cbranch_execnz .LBB280_203
.LBB280_178:
	s_or_b32 exec_lo, exec_lo, s12
	s_and_b32 s12, s7, s8
	s_and_saveexec_b32 s8, s12
	s_cbranch_execnz .LBB280_207
	s_branch .LBB280_211
.LBB280_179:
	v_cmp_ne_u32_e32 vcc_lo, 1, v89
	s_cbranch_vccnz .LBB280_181
; %bb.180:
	v_lshlrev_b64 v[30:31], 1, v[32:33]
	v_add_co_u32 v30, vcc_lo, v28, v30
	v_add_co_ci_u32_e64 v31, null, v29, v31, vcc_lo
	global_load_ushort v30, v[30:31], off
	s_waitcnt vmcnt(0)
	v_mul_f16_e32 v30, s15, v30
	v_cvt_f32_f16_e32 v30, v30
	s_branch .LBB280_182
.LBB280_181:
	v_mov_b32_e32 v30, 0
.LBB280_182:
	v_pk_add_f16 v31, v16, v26
	v_pk_add_f16 v86, v17, v27
	v_max_f16_e32 v87, v90, v90
	v_lshrrev_b32_e32 v90, 16, v90
	v_max_f32_e32 v30, v30, v30
	v_lshrrev_b32_e32 v91, 16, v31
	v_lshrrev_b32_e32 v92, 16, v86
	v_min_f16_e32 v31, v87, v31
	v_min3_f16 v87, v90, v91, v92
	v_min3_f16 v31, v31, v86, v87
	v_cvt_f32_f16_e32 v31, v31
	v_min_f32_e32 v86, v30, v31
	v_lshlrev_b64 v[30:31], 1, v[32:33]
	v_cvt_f16_f32_e32 v86, v86
	v_add_co_u32 v30, vcc_lo, v24, v30
	v_add_co_ci_u32_e64 v31, null, v25, v31, vcc_lo
	global_store_short v[30:31], v86, off
	s_or_b32 exec_lo, exec_lo, s12
	s_and_b32 s18, s1, s8
	s_and_saveexec_b32 s12, s18
	s_cbranch_execz .LBB280_173
.LBB280_183:
	v_cmp_ne_u32_e32 vcc_lo, 1, v89
	s_cbranch_vccnz .LBB280_185
; %bb.184:
	v_lshlrev_b64 v[30:31], 1, v[34:35]
	v_add_co_u32 v30, vcc_lo, v28, v30
	v_add_co_ci_u32_e64 v31, null, v29, v31, vcc_lo
	global_load_ushort v30, v[30:31], off
	s_waitcnt vmcnt(0)
	v_mul_f16_e32 v30, s15, v30
	v_cvt_f32_f16_e32 v30, v30
	s_branch .LBB280_186
.LBB280_185:
	v_mov_b32_e32 v30, 0
.LBB280_186:
	v_pk_add_f16 v31, v18, v26
	v_pk_add_f16 v86, v19, v27
	v_max_f16_e32 v87, v88, v88
	v_lshrrev_b32_e32 v88, 16, v88
	v_max_f32_e32 v30, v30, v30
	v_lshrrev_b32_e32 v90, 16, v31
	v_lshrrev_b32_e32 v91, 16, v86
	v_min_f16_e32 v31, v87, v31
	v_min3_f16 v87, v88, v90, v91
	v_min3_f16 v31, v31, v86, v87
	v_cvt_f32_f16_e32 v31, v31
	v_min_f32_e32 v86, v30, v31
	v_lshlrev_b64 v[30:31], 1, v[34:35]
	v_cvt_f16_f32_e32 v86, v86
	v_add_co_u32 v30, vcc_lo, v24, v30
	v_add_co_ci_u32_e64 v31, null, v25, v31, vcc_lo
	global_store_short v[30:31], v86, off
	s_or_b32 exec_lo, exec_lo, s12
	s_and_b32 s18, s2, s8
	s_and_saveexec_b32 s12, s18
	s_cbranch_execz .LBB280_174
.LBB280_187:
	v_cmp_ne_u32_e32 vcc_lo, 1, v89
	s_cbranch_vccnz .LBB280_189
; %bb.188:
	v_lshlrev_b64 v[30:31], 1, v[36:37]
	v_add_co_u32 v30, vcc_lo, v28, v30
	v_add_co_ci_u32_e64 v31, null, v29, v31, vcc_lo
	global_load_ushort v30, v[30:31], off
	s_waitcnt vmcnt(0)
	v_mul_f16_e32 v30, s15, v30
	v_cvt_f32_f16_e32 v30, v30
	s_branch .LBB280_190
.LBB280_189:
	v_mov_b32_e32 v30, 0
.LBB280_190:
	v_pk_add_f16 v31, v12, v26
	v_pk_add_f16 v86, v13, v27
	v_max_f16_e32 v87, v85, v85
	v_lshrrev_b32_e32 v85, 16, v85
	v_max_f32_e32 v30, v30, v30
	v_lshrrev_b32_e32 v88, 16, v31
	v_lshrrev_b32_e32 v90, 16, v86
	v_min_f16_e32 v31, v87, v31
	v_min3_f16 v85, v85, v88, v90
	v_min3_f16 v31, v31, v86, v85
	v_cvt_f32_f16_e32 v31, v31
	v_min_f32_e32 v85, v30, v31
	v_lshlrev_b64 v[30:31], 1, v[36:37]
	v_cvt_f16_f32_e32 v85, v85
	v_add_co_u32 v30, vcc_lo, v24, v30
	v_add_co_ci_u32_e64 v31, null, v25, v31, vcc_lo
	global_store_short v[30:31], v85, off
	s_or_b32 exec_lo, exec_lo, s12
	s_and_b32 s18, s3, s8
	s_and_saveexec_b32 s12, s18
	s_cbranch_execz .LBB280_175
.LBB280_191:
	v_cmp_ne_u32_e32 vcc_lo, 1, v89
	s_cbranch_vccnz .LBB280_193
; %bb.192:
	v_lshlrev_b64 v[30:31], 1, v[38:39]
	v_add_co_u32 v30, vcc_lo, v28, v30
	v_add_co_ci_u32_e64 v31, null, v29, v31, vcc_lo
	global_load_ushort v30, v[30:31], off
	s_waitcnt vmcnt(0)
	v_mul_f16_e32 v30, s15, v30
	v_cvt_f32_f16_e32 v30, v30
	s_branch .LBB280_194
.LBB280_193:
	v_mov_b32_e32 v30, 0
.LBB280_194:
	v_pk_add_f16 v31, v14, v26
	v_pk_add_f16 v85, v15, v27
	v_max_f16_e32 v86, v84, v84
	v_lshrrev_b32_e32 v84, 16, v84
	v_max_f32_e32 v30, v30, v30
	v_lshrrev_b32_e32 v87, 16, v31
	v_lshrrev_b32_e32 v88, 16, v85
	v_min_f16_e32 v31, v86, v31
	v_min3_f16 v84, v84, v87, v88
	v_min3_f16 v31, v31, v85, v84
	v_cvt_f32_f16_e32 v31, v31
	v_min_f32_e32 v84, v30, v31
	v_lshlrev_b64 v[30:31], 1, v[38:39]
	v_cvt_f16_f32_e32 v84, v84
	v_add_co_u32 v30, vcc_lo, v24, v30
	v_add_co_ci_u32_e64 v31, null, v25, v31, vcc_lo
	global_store_short v[30:31], v84, off
	s_or_b32 exec_lo, exec_lo, s12
	s_and_b32 s18, s4, s8
	s_and_saveexec_b32 s12, s18
	s_cbranch_execz .LBB280_176
.LBB280_195:
	v_cmp_ne_u32_e32 vcc_lo, 1, v89
	s_cbranch_vccnz .LBB280_197
; %bb.196:
	v_lshlrev_b64 v[30:31], 1, v[40:41]
	v_add_co_u32 v30, vcc_lo, v28, v30
	v_add_co_ci_u32_e64 v31, null, v29, v31, vcc_lo
	global_load_ushort v30, v[30:31], off
	s_waitcnt vmcnt(0)
	v_mul_f16_e32 v30, s15, v30
	v_cvt_f32_f16_e32 v30, v30
	s_branch .LBB280_198
.LBB280_197:
	v_mov_b32_e32 v30, 0
.LBB280_198:
	v_pk_add_f16 v31, v8, v26
	v_pk_add_f16 v84, v9, v27
	v_max_f16_e32 v85, v83, v83
	v_lshrrev_b32_e32 v83, 16, v83
	v_max_f32_e32 v30, v30, v30
	v_lshrrev_b32_e32 v86, 16, v31
	v_lshrrev_b32_e32 v87, 16, v84
	v_min_f16_e32 v31, v85, v31
	v_min3_f16 v83, v83, v86, v87
	v_min3_f16 v31, v31, v84, v83
	v_cvt_f32_f16_e32 v31, v31
	v_min_f32_e32 v83, v30, v31
	v_lshlrev_b64 v[30:31], 1, v[40:41]
	v_cvt_f16_f32_e32 v83, v83
	v_add_co_u32 v30, vcc_lo, v24, v30
	v_add_co_ci_u32_e64 v31, null, v25, v31, vcc_lo
	global_store_short v[30:31], v83, off
	s_or_b32 exec_lo, exec_lo, s12
	s_and_b32 s18, s5, s8
	s_and_saveexec_b32 s12, s18
	s_cbranch_execz .LBB280_177
.LBB280_199:
	v_cmp_ne_u32_e32 vcc_lo, 1, v89
	s_cbranch_vccnz .LBB280_201
; %bb.200:
	v_lshlrev_b64 v[30:31], 1, v[42:43]
	v_add_co_u32 v30, vcc_lo, v28, v30
	v_add_co_ci_u32_e64 v31, null, v29, v31, vcc_lo
	global_load_ushort v30, v[30:31], off
	s_waitcnt vmcnt(0)
	v_mul_f16_e32 v30, s15, v30
	v_cvt_f32_f16_e32 v30, v30
	s_branch .LBB280_202
.LBB280_201:
	v_mov_b32_e32 v30, 0
.LBB280_202:
	v_pk_add_f16 v31, v10, v26
	v_pk_add_f16 v83, v11, v27
	v_max_f16_e32 v84, v82, v82
	v_lshrrev_b32_e32 v82, 16, v82
	v_max_f32_e32 v30, v30, v30
	v_lshrrev_b32_e32 v85, 16, v31
	v_lshrrev_b32_e32 v86, 16, v83
	v_min_f16_e32 v31, v84, v31
	v_min3_f16 v82, v82, v85, v86
	v_min3_f16 v31, v31, v83, v82
	v_cvt_f32_f16_e32 v31, v31
	v_min_f32_e32 v82, v30, v31
	v_lshlrev_b64 v[30:31], 1, v[42:43]
	v_cvt_f16_f32_e32 v82, v82
	v_add_co_u32 v30, vcc_lo, v24, v30
	v_add_co_ci_u32_e64 v31, null, v25, v31, vcc_lo
	global_store_short v[30:31], v82, off
	s_or_b32 exec_lo, exec_lo, s12
	s_and_b32 s18, s6, s8
	s_and_saveexec_b32 s12, s18
	s_cbranch_execz .LBB280_178
.LBB280_203:
	v_cmp_ne_u32_e32 vcc_lo, 1, v89
	s_cbranch_vccnz .LBB280_205
; %bb.204:
	v_lshlrev_b64 v[30:31], 1, v[44:45]
	v_add_co_u32 v30, vcc_lo, v28, v30
	v_add_co_ci_u32_e64 v31, null, v29, v31, vcc_lo
	global_load_ushort v30, v[30:31], off
	s_waitcnt vmcnt(0)
	v_mul_f16_e32 v30, s15, v30
	v_cvt_f32_f16_e32 v30, v30
	s_branch .LBB280_206
.LBB280_205:
	v_mov_b32_e32 v30, 0
.LBB280_206:
	v_pk_add_f16 v31, v0, v26
	v_pk_add_f16 v82, v1, v27
	v_max_f16_e32 v83, v81, v81
	v_lshrrev_b32_e32 v81, 16, v81
	v_max_f32_e32 v30, v30, v30
	v_lshrrev_b32_e32 v84, 16, v31
	v_lshrrev_b32_e32 v85, 16, v82
	v_min_f16_e32 v31, v83, v31
	v_min3_f16 v81, v81, v84, v85
	v_min3_f16 v31, v31, v82, v81
	v_cvt_f32_f16_e32 v31, v31
	v_min_f32_e32 v81, v30, v31
	v_lshlrev_b64 v[30:31], 1, v[44:45]
	v_cvt_f16_f32_e32 v81, v81
	v_add_co_u32 v30, vcc_lo, v24, v30
	v_add_co_ci_u32_e64 v31, null, v25, v31, vcc_lo
	global_store_short v[30:31], v81, off
	s_or_b32 exec_lo, exec_lo, s12
	s_and_b32 s12, s7, s8
	s_and_saveexec_b32 s8, s12
	s_cbranch_execz .LBB280_211
.LBB280_207:
	v_cmp_ne_u32_e32 vcc_lo, 1, v89
	s_cbranch_vccnz .LBB280_209
; %bb.208:
	v_lshlrev_b64 v[30:31], 1, v[46:47]
	v_add_co_u32 v28, vcc_lo, v28, v30
	v_add_co_ci_u32_e64 v29, null, v29, v31, vcc_lo
	global_load_ushort v28, v[28:29], off
	s_waitcnt vmcnt(0)
	v_mul_f16_e32 v28, s15, v28
	v_cvt_f32_f16_e32 v28, v28
	s_branch .LBB280_210
.LBB280_209:
	v_mov_b32_e32 v28, 0
.LBB280_210:
	v_pk_add_f16 v26, v2, v26
	v_pk_add_f16 v27, v3, v27
	v_max_f16_e32 v29, v80, v80
	v_lshrrev_b32_e32 v30, 16, v80
	v_lshrrev_b32_e32 v31, 16, v26
	;; [unrolled: 1-line block ×3, first 2 shown]
	v_min_f16_e32 v26, v29, v26
	v_min3_f16 v29, v30, v31, v80
	v_min3_f16 v26, v26, v27, v29
	v_max_f32_e32 v27, v28, v28
	v_cvt_f32_f16_e32 v26, v26
	v_min_f32_e32 v28, v27, v26
	v_lshlrev_b64 v[26:27], 1, v[46:47]
	v_cvt_f16_f32_e32 v28, v28
	v_add_co_u32 v24, vcc_lo, v24, v26
	v_add_co_ci_u32_e64 v25, null, v25, v27, vcc_lo
	global_store_short v[24:25], v28, off
.LBB280_211:
	s_or_b32 exec_lo, exec_lo, s8
	v_add_nc_u32_e32 v28, 0x80, v103
	v_mad_i64_i32 v[24:25], null, v28, s14, 0
	v_mad_i64_i32 v[26:27], null, v28, s9, 0
	v_cmp_gt_i32_e64 s8, s13, v28
	v_lshlrev_b64 v[24:25], 1, v[24:25]
	s_and_b32 s18, s0, s8
	v_lshlrev_b64 v[28:29], 1, v[26:27]
	v_add_co_u32 v26, vcc_lo, s16, v24
	v_add_co_ci_u32_e64 v27, null, s17, v25, vcc_lo
	v_add_co_u32 v24, vcc_lo, s10, v28
	v_add_co_ci_u32_e64 v25, null, s11, v29, vcc_lo
	s_and_saveexec_b32 s12, s18
	s_cbranch_execnz .LBB280_219
; %bb.212:
	s_or_b32 exec_lo, exec_lo, s12
	s_and_b32 s18, s1, s8
	s_and_saveexec_b32 s12, s18
	s_cbranch_execnz .LBB280_223
.LBB280_213:
	s_or_b32 exec_lo, exec_lo, s12
	s_and_b32 s18, s2, s8
	s_and_saveexec_b32 s12, s18
	s_cbranch_execnz .LBB280_227
.LBB280_214:
	s_or_b32 exec_lo, exec_lo, s12
	s_and_b32 s18, s3, s8
	s_and_saveexec_b32 s12, s18
	s_cbranch_execnz .LBB280_231
.LBB280_215:
	s_or_b32 exec_lo, exec_lo, s12
	s_and_b32 s18, s4, s8
	s_and_saveexec_b32 s12, s18
	s_cbranch_execnz .LBB280_235
.LBB280_216:
	s_or_b32 exec_lo, exec_lo, s12
	s_and_b32 s18, s5, s8
	s_and_saveexec_b32 s12, s18
	s_cbranch_execnz .LBB280_239
.LBB280_217:
	s_or_b32 exec_lo, exec_lo, s12
	s_and_b32 s18, s6, s8
	s_and_saveexec_b32 s12, s18
	s_cbranch_execnz .LBB280_243
.LBB280_218:
	s_or_b32 exec_lo, exec_lo, s12
	s_and_b32 s12, s7, s8
	s_and_saveexec_b32 s8, s12
	s_cbranch_execnz .LBB280_247
	s_branch .LBB280_251
.LBB280_219:
	v_cmp_ne_u32_e32 vcc_lo, 1, v89
	s_cbranch_vccnz .LBB280_221
; %bb.220:
	v_lshlrev_b64 v[28:29], 1, v[32:33]
	v_add_co_u32 v28, vcc_lo, v26, v28
	v_add_co_ci_u32_e64 v29, null, v27, v29, vcc_lo
	global_load_ushort v28, v[28:29], off
	s_waitcnt vmcnt(0)
	v_mul_f16_e32 v28, s15, v28
	v_cvt_f32_f16_e32 v28, v28
	s_branch .LBB280_222
.LBB280_221:
	v_mov_b32_e32 v28, 0
.LBB280_222:
	v_pk_add_f16 v29, v16, v20
	v_pk_add_f16 v30, v17, v21
	v_max_f16_e32 v31, v79, v79
	v_lshrrev_b32_e32 v79, 16, v79
	v_max_f32_e32 v28, v28, v28
	v_lshrrev_b32_e32 v80, 16, v29
	v_lshrrev_b32_e32 v81, 16, v30
	v_min_f16_e32 v29, v31, v29
	v_min3_f16 v31, v79, v80, v81
	v_min3_f16 v29, v29, v30, v31
	v_cvt_f32_f16_e32 v29, v29
	v_min_f32_e32 v30, v28, v29
	v_lshlrev_b64 v[28:29], 1, v[32:33]
	v_cvt_f16_f32_e32 v30, v30
	v_add_co_u32 v28, vcc_lo, v24, v28
	v_add_co_ci_u32_e64 v29, null, v25, v29, vcc_lo
	global_store_short v[28:29], v30, off
	s_or_b32 exec_lo, exec_lo, s12
	s_and_b32 s18, s1, s8
	s_and_saveexec_b32 s12, s18
	s_cbranch_execz .LBB280_213
.LBB280_223:
	v_cmp_ne_u32_e32 vcc_lo, 1, v89
	s_cbranch_vccnz .LBB280_225
; %bb.224:
	v_lshlrev_b64 v[28:29], 1, v[34:35]
	v_add_co_u32 v28, vcc_lo, v26, v28
	v_add_co_ci_u32_e64 v29, null, v27, v29, vcc_lo
	global_load_ushort v28, v[28:29], off
	s_waitcnt vmcnt(0)
	v_mul_f16_e32 v28, s15, v28
	v_cvt_f32_f16_e32 v28, v28
	s_branch .LBB280_226
.LBB280_225:
	v_mov_b32_e32 v28, 0
.LBB280_226:
	v_pk_add_f16 v29, v18, v20
	v_pk_add_f16 v30, v19, v21
	v_max_f16_e32 v31, v77, v77
	v_lshrrev_b32_e32 v77, 16, v77
	v_max_f32_e32 v28, v28, v28
	v_lshrrev_b32_e32 v79, 16, v29
	v_lshrrev_b32_e32 v80, 16, v30
	v_min_f16_e32 v29, v31, v29
	v_min3_f16 v31, v77, v79, v80
	v_min3_f16 v29, v29, v30, v31
	v_cvt_f32_f16_e32 v29, v29
	v_min_f32_e32 v30, v28, v29
	v_lshlrev_b64 v[28:29], 1, v[34:35]
	v_cvt_f16_f32_e32 v30, v30
	v_add_co_u32 v28, vcc_lo, v24, v28
	v_add_co_ci_u32_e64 v29, null, v25, v29, vcc_lo
	global_store_short v[28:29], v30, off
	s_or_b32 exec_lo, exec_lo, s12
	s_and_b32 s18, s2, s8
	s_and_saveexec_b32 s12, s18
	s_cbranch_execz .LBB280_214
.LBB280_227:
	v_cmp_ne_u32_e32 vcc_lo, 1, v89
	s_cbranch_vccnz .LBB280_229
; %bb.228:
	v_lshlrev_b64 v[28:29], 1, v[36:37]
	v_add_co_u32 v28, vcc_lo, v26, v28
	v_add_co_ci_u32_e64 v29, null, v27, v29, vcc_lo
	global_load_ushort v28, v[28:29], off
	s_waitcnt vmcnt(0)
	v_mul_f16_e32 v28, s15, v28
	v_cvt_f32_f16_e32 v28, v28
	s_branch .LBB280_230
.LBB280_229:
	v_mov_b32_e32 v28, 0
.LBB280_230:
	v_pk_add_f16 v29, v12, v20
	v_pk_add_f16 v30, v13, v21
	v_max_f16_e32 v31, v78, v78
	v_lshrrev_b32_e32 v77, 16, v78
	v_max_f32_e32 v28, v28, v28
	v_lshrrev_b32_e32 v78, 16, v29
	v_lshrrev_b32_e32 v79, 16, v30
	v_min_f16_e32 v29, v31, v29
	v_min3_f16 v31, v77, v78, v79
	v_min3_f16 v29, v29, v30, v31
	v_cvt_f32_f16_e32 v29, v29
	v_min_f32_e32 v30, v28, v29
	v_lshlrev_b64 v[28:29], 1, v[36:37]
	v_cvt_f16_f32_e32 v30, v30
	v_add_co_u32 v28, vcc_lo, v24, v28
	v_add_co_ci_u32_e64 v29, null, v25, v29, vcc_lo
	global_store_short v[28:29], v30, off
	s_or_b32 exec_lo, exec_lo, s12
	s_and_b32 s18, s3, s8
	s_and_saveexec_b32 s12, s18
	s_cbranch_execz .LBB280_215
.LBB280_231:
	v_cmp_ne_u32_e32 vcc_lo, 1, v89
	s_cbranch_vccnz .LBB280_233
; %bb.232:
	v_lshlrev_b64 v[28:29], 1, v[38:39]
	v_add_co_u32 v28, vcc_lo, v26, v28
	v_add_co_ci_u32_e64 v29, null, v27, v29, vcc_lo
	global_load_ushort v28, v[28:29], off
	s_waitcnt vmcnt(0)
	v_mul_f16_e32 v28, s15, v28
	v_cvt_f32_f16_e32 v28, v28
	s_branch .LBB280_234
.LBB280_233:
	v_mov_b32_e32 v28, 0
.LBB280_234:
	v_pk_add_f16 v29, v14, v20
	v_pk_add_f16 v30, v15, v21
	v_max_f16_e32 v31, v76, v76
	v_lshrrev_b32_e32 v76, 16, v76
	v_max_f32_e32 v28, v28, v28
	v_lshrrev_b32_e32 v77, 16, v29
	v_lshrrev_b32_e32 v78, 16, v30
	v_min_f16_e32 v29, v31, v29
	v_min3_f16 v31, v76, v77, v78
	v_min3_f16 v29, v29, v30, v31
	v_cvt_f32_f16_e32 v29, v29
	v_min_f32_e32 v30, v28, v29
	v_lshlrev_b64 v[28:29], 1, v[38:39]
	v_cvt_f16_f32_e32 v30, v30
	v_add_co_u32 v28, vcc_lo, v24, v28
	v_add_co_ci_u32_e64 v29, null, v25, v29, vcc_lo
	global_store_short v[28:29], v30, off
	s_or_b32 exec_lo, exec_lo, s12
	s_and_b32 s18, s4, s8
	s_and_saveexec_b32 s12, s18
	s_cbranch_execz .LBB280_216
.LBB280_235:
	v_cmp_ne_u32_e32 vcc_lo, 1, v89
	s_cbranch_vccnz .LBB280_237
; %bb.236:
	v_lshlrev_b64 v[28:29], 1, v[40:41]
	v_add_co_u32 v28, vcc_lo, v26, v28
	v_add_co_ci_u32_e64 v29, null, v27, v29, vcc_lo
	global_load_ushort v28, v[28:29], off
	s_waitcnt vmcnt(0)
	v_mul_f16_e32 v28, s15, v28
	v_cvt_f32_f16_e32 v28, v28
	s_branch .LBB280_238
.LBB280_237:
	v_mov_b32_e32 v28, 0
.LBB280_238:
	v_pk_add_f16 v29, v8, v20
	v_pk_add_f16 v30, v9, v21
	v_max_f16_e32 v31, v75, v75
	v_lshrrev_b32_e32 v75, 16, v75
	v_max_f32_e32 v28, v28, v28
	v_lshrrev_b32_e32 v76, 16, v29
	v_lshrrev_b32_e32 v77, 16, v30
	v_min_f16_e32 v29, v31, v29
	v_min3_f16 v31, v75, v76, v77
	v_min3_f16 v29, v29, v30, v31
	v_cvt_f32_f16_e32 v29, v29
	v_min_f32_e32 v30, v28, v29
	v_lshlrev_b64 v[28:29], 1, v[40:41]
	v_cvt_f16_f32_e32 v30, v30
	v_add_co_u32 v28, vcc_lo, v24, v28
	v_add_co_ci_u32_e64 v29, null, v25, v29, vcc_lo
	global_store_short v[28:29], v30, off
	s_or_b32 exec_lo, exec_lo, s12
	s_and_b32 s18, s5, s8
	s_and_saveexec_b32 s12, s18
	s_cbranch_execz .LBB280_217
.LBB280_239:
	v_cmp_ne_u32_e32 vcc_lo, 1, v89
	s_cbranch_vccnz .LBB280_241
; %bb.240:
	v_lshlrev_b64 v[28:29], 1, v[42:43]
	v_add_co_u32 v28, vcc_lo, v26, v28
	v_add_co_ci_u32_e64 v29, null, v27, v29, vcc_lo
	global_load_ushort v28, v[28:29], off
	s_waitcnt vmcnt(0)
	v_mul_f16_e32 v28, s15, v28
	v_cvt_f32_f16_e32 v28, v28
	s_branch .LBB280_242
.LBB280_241:
	v_mov_b32_e32 v28, 0
.LBB280_242:
	v_pk_add_f16 v29, v10, v20
	v_pk_add_f16 v30, v11, v21
	v_max_f16_e32 v31, v74, v74
	v_lshrrev_b32_e32 v74, 16, v74
	v_max_f32_e32 v28, v28, v28
	v_lshrrev_b32_e32 v75, 16, v29
	v_lshrrev_b32_e32 v76, 16, v30
	v_min_f16_e32 v29, v31, v29
	v_min3_f16 v31, v74, v75, v76
	v_min3_f16 v29, v29, v30, v31
	v_cvt_f32_f16_e32 v29, v29
	v_min_f32_e32 v30, v28, v29
	v_lshlrev_b64 v[28:29], 1, v[42:43]
	v_cvt_f16_f32_e32 v30, v30
	v_add_co_u32 v28, vcc_lo, v24, v28
	v_add_co_ci_u32_e64 v29, null, v25, v29, vcc_lo
	global_store_short v[28:29], v30, off
	s_or_b32 exec_lo, exec_lo, s12
	s_and_b32 s18, s6, s8
	s_and_saveexec_b32 s12, s18
	s_cbranch_execz .LBB280_218
.LBB280_243:
	v_cmp_ne_u32_e32 vcc_lo, 1, v89
	s_cbranch_vccnz .LBB280_245
; %bb.244:
	v_lshlrev_b64 v[28:29], 1, v[44:45]
	v_add_co_u32 v28, vcc_lo, v26, v28
	v_add_co_ci_u32_e64 v29, null, v27, v29, vcc_lo
	global_load_ushort v28, v[28:29], off
	s_waitcnt vmcnt(0)
	v_mul_f16_e32 v28, s15, v28
	v_cvt_f32_f16_e32 v28, v28
	s_branch .LBB280_246
.LBB280_245:
	v_mov_b32_e32 v28, 0
.LBB280_246:
	v_pk_add_f16 v29, v0, v20
	v_pk_add_f16 v30, v1, v21
	v_max_f16_e32 v31, v73, v73
	v_lshrrev_b32_e32 v73, 16, v73
	v_max_f32_e32 v28, v28, v28
	v_lshrrev_b32_e32 v74, 16, v29
	v_lshrrev_b32_e32 v75, 16, v30
	v_min_f16_e32 v29, v31, v29
	v_min3_f16 v31, v73, v74, v75
	v_min3_f16 v29, v29, v30, v31
	v_cvt_f32_f16_e32 v29, v29
	v_min_f32_e32 v30, v28, v29
	v_lshlrev_b64 v[28:29], 1, v[44:45]
	v_cvt_f16_f32_e32 v30, v30
	v_add_co_u32 v28, vcc_lo, v24, v28
	v_add_co_ci_u32_e64 v29, null, v25, v29, vcc_lo
	global_store_short v[28:29], v30, off
	s_or_b32 exec_lo, exec_lo, s12
	s_and_b32 s12, s7, s8
	s_and_saveexec_b32 s8, s12
	s_cbranch_execz .LBB280_251
.LBB280_247:
	v_cmp_ne_u32_e32 vcc_lo, 1, v89
	s_cbranch_vccnz .LBB280_249
; %bb.248:
	v_lshlrev_b64 v[28:29], 1, v[46:47]
	v_add_co_u32 v26, vcc_lo, v26, v28
	v_add_co_ci_u32_e64 v27, null, v27, v29, vcc_lo
	global_load_ushort v26, v[26:27], off
	s_waitcnt vmcnt(0)
	v_mul_f16_e32 v26, s15, v26
	v_cvt_f32_f16_e32 v26, v26
	s_branch .LBB280_250
.LBB280_249:
	v_mov_b32_e32 v26, 0
.LBB280_250:
	v_pk_add_f16 v20, v2, v20
	v_pk_add_f16 v21, v3, v21
	v_max_f16_e32 v27, v72, v72
	v_lshrrev_b32_e32 v28, 16, v72
	v_lshrrev_b32_e32 v29, 16, v20
	v_lshrrev_b32_e32 v30, 16, v21
	v_min_f16_e32 v20, v27, v20
	v_min3_f16 v27, v28, v29, v30
	v_min3_f16 v20, v20, v21, v27
	v_max_f32_e32 v21, v26, v26
	v_cvt_f32_f16_e32 v20, v20
	v_min_f32_e32 v26, v21, v20
	v_lshlrev_b64 v[20:21], 1, v[46:47]
	v_cvt_f16_f32_e32 v26, v26
	v_add_co_u32 v20, vcc_lo, v24, v20
	v_add_co_ci_u32_e64 v21, null, v25, v21, vcc_lo
	global_store_short v[20:21], v26, off
.LBB280_251:
	s_or_b32 exec_lo, exec_lo, s8
	v_add_nc_u32_e32 v26, 0xa0, v103
	v_mad_i64_i32 v[20:21], null, v26, s14, 0
	v_mad_i64_i32 v[24:25], null, v26, s9, 0
	v_cmp_gt_i32_e64 s8, s13, v26
	v_lshlrev_b64 v[20:21], 1, v[20:21]
	s_and_b32 s18, s0, s8
	v_lshlrev_b64 v[26:27], 1, v[24:25]
	v_add_co_u32 v24, vcc_lo, s16, v20
	v_add_co_ci_u32_e64 v25, null, s17, v21, vcc_lo
	v_add_co_u32 v20, vcc_lo, s10, v26
	v_add_co_ci_u32_e64 v21, null, s11, v27, vcc_lo
	s_and_saveexec_b32 s12, s18
	s_cbranch_execnz .LBB280_259
; %bb.252:
	s_or_b32 exec_lo, exec_lo, s12
	s_and_b32 s18, s1, s8
	s_and_saveexec_b32 s12, s18
	s_cbranch_execnz .LBB280_263
.LBB280_253:
	s_or_b32 exec_lo, exec_lo, s12
	s_and_b32 s18, s2, s8
	s_and_saveexec_b32 s12, s18
	s_cbranch_execnz .LBB280_267
.LBB280_254:
	s_or_b32 exec_lo, exec_lo, s12
	s_and_b32 s18, s3, s8
	s_and_saveexec_b32 s12, s18
	s_cbranch_execnz .LBB280_271
.LBB280_255:
	s_or_b32 exec_lo, exec_lo, s12
	s_and_b32 s18, s4, s8
	s_and_saveexec_b32 s12, s18
	s_cbranch_execnz .LBB280_275
.LBB280_256:
	s_or_b32 exec_lo, exec_lo, s12
	s_and_b32 s18, s5, s8
	s_and_saveexec_b32 s12, s18
	s_cbranch_execnz .LBB280_279
.LBB280_257:
	s_or_b32 exec_lo, exec_lo, s12
	s_and_b32 s18, s6, s8
	s_and_saveexec_b32 s12, s18
	s_cbranch_execnz .LBB280_283
.LBB280_258:
	s_or_b32 exec_lo, exec_lo, s12
	s_and_b32 s12, s7, s8
	s_and_saveexec_b32 s8, s12
	s_cbranch_execnz .LBB280_287
	s_branch .LBB280_291
.LBB280_259:
	v_cmp_ne_u32_e32 vcc_lo, 1, v89
	s_cbranch_vccnz .LBB280_261
; %bb.260:
	v_lshlrev_b64 v[26:27], 1, v[32:33]
	v_add_co_u32 v26, vcc_lo, v24, v26
	v_add_co_ci_u32_e64 v27, null, v25, v27, vcc_lo
	global_load_ushort v26, v[26:27], off
	s_waitcnt vmcnt(0)
	v_mul_f16_e32 v26, s15, v26
	v_cvt_f32_f16_e32 v26, v26
	s_branch .LBB280_262
.LBB280_261:
	v_mov_b32_e32 v26, 0
.LBB280_262:
	v_pk_add_f16 v27, v16, v22
	v_pk_add_f16 v28, v17, v23
	v_max_f16_e32 v29, v71, v71
	v_lshrrev_b32_e32 v30, 16, v71
	v_max_f32_e32 v26, v26, v26
	v_lshrrev_b32_e32 v31, 16, v27
	v_lshrrev_b32_e32 v71, 16, v28
	v_min_f16_e32 v27, v29, v27
	v_min3_f16 v29, v30, v31, v71
	v_min3_f16 v27, v27, v28, v29
	v_cvt_f32_f16_e32 v27, v27
	v_min_f32_e32 v28, v26, v27
	v_lshlrev_b64 v[26:27], 1, v[32:33]
	v_cvt_f16_f32_e32 v28, v28
	v_add_co_u32 v26, vcc_lo, v20, v26
	v_add_co_ci_u32_e64 v27, null, v21, v27, vcc_lo
	global_store_short v[26:27], v28, off
	s_or_b32 exec_lo, exec_lo, s12
	s_and_b32 s18, s1, s8
	s_and_saveexec_b32 s12, s18
	s_cbranch_execz .LBB280_253
.LBB280_263:
	v_cmp_ne_u32_e32 vcc_lo, 1, v89
	s_cbranch_vccnz .LBB280_265
; %bb.264:
	v_lshlrev_b64 v[26:27], 1, v[34:35]
	v_add_co_u32 v26, vcc_lo, v24, v26
	v_add_co_ci_u32_e64 v27, null, v25, v27, vcc_lo
	global_load_ushort v26, v[26:27], off
	s_waitcnt vmcnt(0)
	v_mul_f16_e32 v26, s15, v26
	v_cvt_f32_f16_e32 v26, v26
	s_branch .LBB280_266
.LBB280_265:
	v_mov_b32_e32 v26, 0
.LBB280_266:
	v_pk_add_f16 v27, v18, v22
	v_pk_add_f16 v28, v19, v23
	v_max_f16_e32 v29, v70, v70
	v_lshrrev_b32_e32 v30, 16, v70
	v_max_f32_e32 v26, v26, v26
	v_lshrrev_b32_e32 v31, 16, v27
	v_lshrrev_b32_e32 v70, 16, v28
	v_min_f16_e32 v27, v29, v27
	v_min3_f16 v29, v30, v31, v70
	v_min3_f16 v27, v27, v28, v29
	v_cvt_f32_f16_e32 v27, v27
	v_min_f32_e32 v28, v26, v27
	v_lshlrev_b64 v[26:27], 1, v[34:35]
	v_cvt_f16_f32_e32 v28, v28
	v_add_co_u32 v26, vcc_lo, v20, v26
	v_add_co_ci_u32_e64 v27, null, v21, v27, vcc_lo
	global_store_short v[26:27], v28, off
	s_or_b32 exec_lo, exec_lo, s12
	s_and_b32 s18, s2, s8
	s_and_saveexec_b32 s12, s18
	s_cbranch_execz .LBB280_254
.LBB280_267:
	v_cmp_ne_u32_e32 vcc_lo, 1, v89
	s_cbranch_vccnz .LBB280_269
; %bb.268:
	v_lshlrev_b64 v[26:27], 1, v[36:37]
	v_add_co_u32 v26, vcc_lo, v24, v26
	v_add_co_ci_u32_e64 v27, null, v25, v27, vcc_lo
	global_load_ushort v26, v[26:27], off
	s_waitcnt vmcnt(0)
	v_mul_f16_e32 v26, s15, v26
	v_cvt_f32_f16_e32 v26, v26
	s_branch .LBB280_270
.LBB280_269:
	v_mov_b32_e32 v26, 0
.LBB280_270:
	v_pk_add_f16 v27, v12, v22
	v_pk_add_f16 v28, v13, v23
	v_max_f16_e32 v29, v69, v69
	v_lshrrev_b32_e32 v30, 16, v69
	v_max_f32_e32 v26, v26, v26
	v_lshrrev_b32_e32 v31, 16, v27
	v_lshrrev_b32_e32 v69, 16, v28
	v_min_f16_e32 v27, v29, v27
	v_min3_f16 v29, v30, v31, v69
	v_min3_f16 v27, v27, v28, v29
	v_cvt_f32_f16_e32 v27, v27
	v_min_f32_e32 v28, v26, v27
	v_lshlrev_b64 v[26:27], 1, v[36:37]
	v_cvt_f16_f32_e32 v28, v28
	v_add_co_u32 v26, vcc_lo, v20, v26
	v_add_co_ci_u32_e64 v27, null, v21, v27, vcc_lo
	global_store_short v[26:27], v28, off
	s_or_b32 exec_lo, exec_lo, s12
	s_and_b32 s18, s3, s8
	s_and_saveexec_b32 s12, s18
	s_cbranch_execz .LBB280_255
.LBB280_271:
	v_cmp_ne_u32_e32 vcc_lo, 1, v89
	s_cbranch_vccnz .LBB280_273
; %bb.272:
	v_lshlrev_b64 v[26:27], 1, v[38:39]
	v_add_co_u32 v26, vcc_lo, v24, v26
	v_add_co_ci_u32_e64 v27, null, v25, v27, vcc_lo
	global_load_ushort v26, v[26:27], off
	s_waitcnt vmcnt(0)
	v_mul_f16_e32 v26, s15, v26
	v_cvt_f32_f16_e32 v26, v26
	s_branch .LBB280_274
.LBB280_273:
	v_mov_b32_e32 v26, 0
.LBB280_274:
	v_pk_add_f16 v27, v14, v22
	v_pk_add_f16 v28, v15, v23
	v_max_f16_e32 v29, v68, v68
	v_lshrrev_b32_e32 v30, 16, v68
	v_max_f32_e32 v26, v26, v26
	v_lshrrev_b32_e32 v31, 16, v27
	v_lshrrev_b32_e32 v68, 16, v28
	v_min_f16_e32 v27, v29, v27
	v_min3_f16 v29, v30, v31, v68
	v_min3_f16 v27, v27, v28, v29
	v_cvt_f32_f16_e32 v27, v27
	v_min_f32_e32 v28, v26, v27
	v_lshlrev_b64 v[26:27], 1, v[38:39]
	v_cvt_f16_f32_e32 v28, v28
	v_add_co_u32 v26, vcc_lo, v20, v26
	v_add_co_ci_u32_e64 v27, null, v21, v27, vcc_lo
	global_store_short v[26:27], v28, off
	s_or_b32 exec_lo, exec_lo, s12
	s_and_b32 s18, s4, s8
	s_and_saveexec_b32 s12, s18
	s_cbranch_execz .LBB280_256
.LBB280_275:
	v_cmp_ne_u32_e32 vcc_lo, 1, v89
	s_cbranch_vccnz .LBB280_277
; %bb.276:
	v_lshlrev_b64 v[26:27], 1, v[40:41]
	v_add_co_u32 v26, vcc_lo, v24, v26
	v_add_co_ci_u32_e64 v27, null, v25, v27, vcc_lo
	global_load_ushort v26, v[26:27], off
	s_waitcnt vmcnt(0)
	v_mul_f16_e32 v26, s15, v26
	v_cvt_f32_f16_e32 v26, v26
	s_branch .LBB280_278
.LBB280_277:
	v_mov_b32_e32 v26, 0
.LBB280_278:
	v_pk_add_f16 v27, v8, v22
	v_pk_add_f16 v28, v9, v23
	v_max_f16_e32 v29, v67, v67
	v_lshrrev_b32_e32 v30, 16, v67
	v_max_f32_e32 v26, v26, v26
	v_lshrrev_b32_e32 v31, 16, v27
	v_lshrrev_b32_e32 v67, 16, v28
	v_min_f16_e32 v27, v29, v27
	v_min3_f16 v29, v30, v31, v67
	v_min3_f16 v27, v27, v28, v29
	v_cvt_f32_f16_e32 v27, v27
	v_min_f32_e32 v28, v26, v27
	v_lshlrev_b64 v[26:27], 1, v[40:41]
	v_cvt_f16_f32_e32 v28, v28
	v_add_co_u32 v26, vcc_lo, v20, v26
	v_add_co_ci_u32_e64 v27, null, v21, v27, vcc_lo
	global_store_short v[26:27], v28, off
	s_or_b32 exec_lo, exec_lo, s12
	s_and_b32 s18, s5, s8
	s_and_saveexec_b32 s12, s18
	s_cbranch_execz .LBB280_257
.LBB280_279:
	v_cmp_ne_u32_e32 vcc_lo, 1, v89
	s_cbranch_vccnz .LBB280_281
; %bb.280:
	v_lshlrev_b64 v[26:27], 1, v[42:43]
	v_add_co_u32 v26, vcc_lo, v24, v26
	v_add_co_ci_u32_e64 v27, null, v25, v27, vcc_lo
	global_load_ushort v26, v[26:27], off
	s_waitcnt vmcnt(0)
	v_mul_f16_e32 v26, s15, v26
	v_cvt_f32_f16_e32 v26, v26
	s_branch .LBB280_282
.LBB280_281:
	v_mov_b32_e32 v26, 0
.LBB280_282:
	v_pk_add_f16 v27, v10, v22
	v_pk_add_f16 v28, v11, v23
	v_max_f16_e32 v29, v66, v66
	v_lshrrev_b32_e32 v30, 16, v66
	v_max_f32_e32 v26, v26, v26
	v_lshrrev_b32_e32 v31, 16, v27
	v_lshrrev_b32_e32 v66, 16, v28
	v_min_f16_e32 v27, v29, v27
	v_min3_f16 v29, v30, v31, v66
	v_min3_f16 v27, v27, v28, v29
	v_cvt_f32_f16_e32 v27, v27
	v_min_f32_e32 v28, v26, v27
	v_lshlrev_b64 v[26:27], 1, v[42:43]
	v_cvt_f16_f32_e32 v28, v28
	v_add_co_u32 v26, vcc_lo, v20, v26
	v_add_co_ci_u32_e64 v27, null, v21, v27, vcc_lo
	global_store_short v[26:27], v28, off
	s_or_b32 exec_lo, exec_lo, s12
	s_and_b32 s18, s6, s8
	s_and_saveexec_b32 s12, s18
	s_cbranch_execz .LBB280_258
.LBB280_283:
	v_cmp_ne_u32_e32 vcc_lo, 1, v89
	s_cbranch_vccnz .LBB280_285
; %bb.284:
	v_lshlrev_b64 v[26:27], 1, v[44:45]
	v_add_co_u32 v26, vcc_lo, v24, v26
	v_add_co_ci_u32_e64 v27, null, v25, v27, vcc_lo
	global_load_ushort v26, v[26:27], off
	s_waitcnt vmcnt(0)
	v_mul_f16_e32 v26, s15, v26
	v_cvt_f32_f16_e32 v26, v26
	s_branch .LBB280_286
.LBB280_285:
	v_mov_b32_e32 v26, 0
.LBB280_286:
	v_pk_add_f16 v27, v0, v22
	v_pk_add_f16 v28, v1, v23
	v_max_f16_e32 v29, v63, v63
	v_lshrrev_b32_e32 v30, 16, v63
	v_max_f32_e32 v26, v26, v26
	v_lshrrev_b32_e32 v31, 16, v27
	v_lshrrev_b32_e32 v63, 16, v28
	v_min_f16_e32 v27, v29, v27
	v_min3_f16 v29, v30, v31, v63
	v_min3_f16 v27, v27, v28, v29
	v_cvt_f32_f16_e32 v27, v27
	v_min_f32_e32 v28, v26, v27
	v_lshlrev_b64 v[26:27], 1, v[44:45]
	v_cvt_f16_f32_e32 v28, v28
	v_add_co_u32 v26, vcc_lo, v20, v26
	v_add_co_ci_u32_e64 v27, null, v21, v27, vcc_lo
	global_store_short v[26:27], v28, off
	s_or_b32 exec_lo, exec_lo, s12
	s_and_b32 s12, s7, s8
	s_and_saveexec_b32 s8, s12
	s_cbranch_execz .LBB280_291
.LBB280_287:
	v_cmp_ne_u32_e32 vcc_lo, 1, v89
	s_cbranch_vccnz .LBB280_289
; %bb.288:
	v_lshlrev_b64 v[26:27], 1, v[46:47]
	v_add_co_u32 v24, vcc_lo, v24, v26
	v_add_co_ci_u32_e64 v25, null, v25, v27, vcc_lo
	global_load_ushort v24, v[24:25], off
	s_waitcnt vmcnt(0)
	v_mul_f16_e32 v24, s15, v24
	v_cvt_f32_f16_e32 v24, v24
	s_branch .LBB280_290
.LBB280_289:
	v_mov_b32_e32 v24, 0
.LBB280_290:
	v_pk_add_f16 v22, v2, v22
	v_pk_add_f16 v23, v3, v23
	v_max_f16_e32 v25, v64, v64
	v_lshrrev_b32_e32 v26, 16, v64
	v_lshrrev_b32_e32 v27, 16, v22
	v_lshrrev_b32_e32 v28, 16, v23
	v_min_f16_e32 v22, v25, v22
	v_min3_f16 v25, v26, v27, v28
	v_min3_f16 v22, v22, v23, v25
	v_max_f32_e32 v23, v24, v24
	v_cvt_f32_f16_e32 v22, v22
	v_min_f32_e32 v24, v23, v22
	v_lshlrev_b64 v[22:23], 1, v[46:47]
	v_cvt_f16_f32_e32 v24, v24
	v_add_co_u32 v20, vcc_lo, v20, v22
	v_add_co_ci_u32_e64 v21, null, v21, v23, vcc_lo
	global_store_short v[20:21], v24, off
.LBB280_291:
	s_or_b32 exec_lo, exec_lo, s8
	v_add_nc_u32_e32 v24, 0xc0, v103
	v_mad_i64_i32 v[20:21], null, v24, s14, 0
	v_mad_i64_i32 v[22:23], null, v24, s9, 0
	v_cmp_gt_i32_e64 s8, s13, v24
	v_lshlrev_b64 v[20:21], 1, v[20:21]
	s_and_b32 s18, s0, s8
	v_lshlrev_b64 v[24:25], 1, v[22:23]
	v_add_co_u32 v22, vcc_lo, s16, v20
	v_add_co_ci_u32_e64 v23, null, s17, v21, vcc_lo
	v_add_co_u32 v20, vcc_lo, s10, v24
	v_add_co_ci_u32_e64 v21, null, s11, v25, vcc_lo
	s_and_saveexec_b32 s12, s18
	s_cbranch_execnz .LBB280_299
; %bb.292:
	s_or_b32 exec_lo, exec_lo, s12
	s_and_b32 s18, s1, s8
	s_and_saveexec_b32 s12, s18
	s_cbranch_execnz .LBB280_303
.LBB280_293:
	s_or_b32 exec_lo, exec_lo, s12
	s_and_b32 s18, s2, s8
	s_and_saveexec_b32 s12, s18
	s_cbranch_execnz .LBB280_307
.LBB280_294:
	s_or_b32 exec_lo, exec_lo, s12
	s_and_b32 s18, s3, s8
	s_and_saveexec_b32 s12, s18
	s_cbranch_execnz .LBB280_311
.LBB280_295:
	s_or_b32 exec_lo, exec_lo, s12
	s_and_b32 s18, s4, s8
	s_and_saveexec_b32 s12, s18
	s_cbranch_execnz .LBB280_315
.LBB280_296:
	s_or_b32 exec_lo, exec_lo, s12
	s_and_b32 s18, s5, s8
	s_and_saveexec_b32 s12, s18
	s_cbranch_execnz .LBB280_319
.LBB280_297:
	s_or_b32 exec_lo, exec_lo, s12
	s_and_b32 s18, s6, s8
	s_and_saveexec_b32 s12, s18
	s_cbranch_execnz .LBB280_323
.LBB280_298:
	s_or_b32 exec_lo, exec_lo, s12
	s_and_b32 s12, s7, s8
	s_and_saveexec_b32 s8, s12
	s_cbranch_execnz .LBB280_327
	s_branch .LBB280_331
.LBB280_299:
	v_cmp_ne_u32_e32 vcc_lo, 1, v89
	s_cbranch_vccnz .LBB280_301
; %bb.300:
	v_lshlrev_b64 v[24:25], 1, v[32:33]
	v_add_co_u32 v24, vcc_lo, v22, v24
	v_add_co_ci_u32_e64 v25, null, v23, v25, vcc_lo
	global_load_ushort v24, v[24:25], off
	s_waitcnt vmcnt(0)
	v_mul_f16_e32 v24, s15, v24
	v_cvt_f32_f16_e32 v24, v24
	s_branch .LBB280_302
.LBB280_301:
	v_mov_b32_e32 v24, 0
.LBB280_302:
	v_pk_add_f16 v25, v16, v4
	v_pk_add_f16 v26, v17, v5
	v_max_f16_e32 v27, v61, v61
	v_lshrrev_b32_e32 v28, 16, v61
	v_max_f32_e32 v24, v24, v24
	v_lshrrev_b32_e32 v29, 16, v25
	v_lshrrev_b32_e32 v30, 16, v26
	v_min_f16_e32 v25, v27, v25
	v_min3_f16 v27, v28, v29, v30
	v_min3_f16 v25, v25, v26, v27
	v_cvt_f32_f16_e32 v25, v25
	v_min_f32_e32 v26, v24, v25
	v_lshlrev_b64 v[24:25], 1, v[32:33]
	v_cvt_f16_f32_e32 v26, v26
	v_add_co_u32 v24, vcc_lo, v20, v24
	v_add_co_ci_u32_e64 v25, null, v21, v25, vcc_lo
	global_store_short v[24:25], v26, off
	s_or_b32 exec_lo, exec_lo, s12
	s_and_b32 s18, s1, s8
	s_and_saveexec_b32 s12, s18
	s_cbranch_execz .LBB280_293
.LBB280_303:
	v_cmp_ne_u32_e32 vcc_lo, 1, v89
	s_cbranch_vccnz .LBB280_305
; %bb.304:
	v_lshlrev_b64 v[24:25], 1, v[34:35]
	v_add_co_u32 v24, vcc_lo, v22, v24
	v_add_co_ci_u32_e64 v25, null, v23, v25, vcc_lo
	global_load_ushort v24, v[24:25], off
	s_waitcnt vmcnt(0)
	v_mul_f16_e32 v24, s15, v24
	v_cvt_f32_f16_e32 v24, v24
	s_branch .LBB280_306
.LBB280_305:
	v_mov_b32_e32 v24, 0
.LBB280_306:
	v_pk_add_f16 v25, v18, v4
	v_pk_add_f16 v26, v19, v5
	v_max_f16_e32 v27, v59, v59
	v_lshrrev_b32_e32 v28, 16, v59
	v_max_f32_e32 v24, v24, v24
	v_lshrrev_b32_e32 v29, 16, v25
	v_lshrrev_b32_e32 v30, 16, v26
	v_min_f16_e32 v25, v27, v25
	v_min3_f16 v27, v28, v29, v30
	v_min3_f16 v25, v25, v26, v27
	v_cvt_f32_f16_e32 v25, v25
	v_min_f32_e32 v26, v24, v25
	v_lshlrev_b64 v[24:25], 1, v[34:35]
	v_cvt_f16_f32_e32 v26, v26
	v_add_co_u32 v24, vcc_lo, v20, v24
	v_add_co_ci_u32_e64 v25, null, v21, v25, vcc_lo
	global_store_short v[24:25], v26, off
	s_or_b32 exec_lo, exec_lo, s12
	s_and_b32 s18, s2, s8
	s_and_saveexec_b32 s12, s18
	s_cbranch_execz .LBB280_294
.LBB280_307:
	v_cmp_ne_u32_e32 vcc_lo, 1, v89
	s_cbranch_vccnz .LBB280_309
; %bb.308:
	v_lshlrev_b64 v[24:25], 1, v[36:37]
	v_add_co_u32 v24, vcc_lo, v22, v24
	v_add_co_ci_u32_e64 v25, null, v23, v25, vcc_lo
	global_load_ushort v24, v[24:25], off
	s_waitcnt vmcnt(0)
	v_mul_f16_e32 v24, s15, v24
	v_cvt_f32_f16_e32 v24, v24
	s_branch .LBB280_310
.LBB280_309:
	v_mov_b32_e32 v24, 0
.LBB280_310:
	v_pk_add_f16 v25, v12, v4
	v_pk_add_f16 v26, v13, v5
	v_max_f16_e32 v27, v57, v57
	v_lshrrev_b32_e32 v28, 16, v57
	v_max_f32_e32 v24, v24, v24
	v_lshrrev_b32_e32 v29, 16, v25
	v_lshrrev_b32_e32 v30, 16, v26
	v_min_f16_e32 v25, v27, v25
	v_min3_f16 v27, v28, v29, v30
	v_min3_f16 v25, v25, v26, v27
	v_cvt_f32_f16_e32 v25, v25
	v_min_f32_e32 v26, v24, v25
	v_lshlrev_b64 v[24:25], 1, v[36:37]
	v_cvt_f16_f32_e32 v26, v26
	v_add_co_u32 v24, vcc_lo, v20, v24
	v_add_co_ci_u32_e64 v25, null, v21, v25, vcc_lo
	global_store_short v[24:25], v26, off
	s_or_b32 exec_lo, exec_lo, s12
	s_and_b32 s18, s3, s8
	s_and_saveexec_b32 s12, s18
	s_cbranch_execz .LBB280_295
.LBB280_311:
	v_cmp_ne_u32_e32 vcc_lo, 1, v89
	s_cbranch_vccnz .LBB280_313
; %bb.312:
	v_lshlrev_b64 v[24:25], 1, v[38:39]
	v_add_co_u32 v24, vcc_lo, v22, v24
	v_add_co_ci_u32_e64 v25, null, v23, v25, vcc_lo
	global_load_ushort v24, v[24:25], off
	s_waitcnt vmcnt(0)
	v_mul_f16_e32 v24, s15, v24
	v_cvt_f32_f16_e32 v24, v24
	s_branch .LBB280_314
.LBB280_313:
	v_mov_b32_e32 v24, 0
.LBB280_314:
	v_pk_add_f16 v25, v14, v4
	v_pk_add_f16 v26, v15, v5
	v_max_f16_e32 v27, v55, v55
	v_lshrrev_b32_e32 v28, 16, v55
	v_max_f32_e32 v24, v24, v24
	v_lshrrev_b32_e32 v29, 16, v25
	v_lshrrev_b32_e32 v30, 16, v26
	v_min_f16_e32 v25, v27, v25
	v_min3_f16 v27, v28, v29, v30
	v_min3_f16 v25, v25, v26, v27
	v_cvt_f32_f16_e32 v25, v25
	v_min_f32_e32 v26, v24, v25
	v_lshlrev_b64 v[24:25], 1, v[38:39]
	v_cvt_f16_f32_e32 v26, v26
	v_add_co_u32 v24, vcc_lo, v20, v24
	v_add_co_ci_u32_e64 v25, null, v21, v25, vcc_lo
	global_store_short v[24:25], v26, off
	s_or_b32 exec_lo, exec_lo, s12
	s_and_b32 s18, s4, s8
	s_and_saveexec_b32 s12, s18
	s_cbranch_execz .LBB280_296
.LBB280_315:
	v_cmp_ne_u32_e32 vcc_lo, 1, v89
	s_cbranch_vccnz .LBB280_317
; %bb.316:
	v_lshlrev_b64 v[24:25], 1, v[40:41]
	v_add_co_u32 v24, vcc_lo, v22, v24
	v_add_co_ci_u32_e64 v25, null, v23, v25, vcc_lo
	global_load_ushort v24, v[24:25], off
	s_waitcnt vmcnt(0)
	v_mul_f16_e32 v24, s15, v24
	v_cvt_f32_f16_e32 v24, v24
	s_branch .LBB280_318
.LBB280_317:
	v_mov_b32_e32 v24, 0
.LBB280_318:
	v_pk_add_f16 v25, v8, v4
	v_pk_add_f16 v26, v9, v5
	v_max_f16_e32 v27, v54, v54
	v_lshrrev_b32_e32 v28, 16, v54
	v_max_f32_e32 v24, v24, v24
	v_lshrrev_b32_e32 v29, 16, v25
	v_lshrrev_b32_e32 v30, 16, v26
	v_min_f16_e32 v25, v27, v25
	v_min3_f16 v27, v28, v29, v30
	v_min3_f16 v25, v25, v26, v27
	v_cvt_f32_f16_e32 v25, v25
	v_min_f32_e32 v26, v24, v25
	v_lshlrev_b64 v[24:25], 1, v[40:41]
	v_cvt_f16_f32_e32 v26, v26
	v_add_co_u32 v24, vcc_lo, v20, v24
	v_add_co_ci_u32_e64 v25, null, v21, v25, vcc_lo
	global_store_short v[24:25], v26, off
	s_or_b32 exec_lo, exec_lo, s12
	s_and_b32 s18, s5, s8
	s_and_saveexec_b32 s12, s18
	s_cbranch_execz .LBB280_297
.LBB280_319:
	v_cmp_ne_u32_e32 vcc_lo, 1, v89
	s_cbranch_vccnz .LBB280_321
; %bb.320:
	v_lshlrev_b64 v[24:25], 1, v[42:43]
	v_add_co_u32 v24, vcc_lo, v22, v24
	v_add_co_ci_u32_e64 v25, null, v23, v25, vcc_lo
	global_load_ushort v24, v[24:25], off
	s_waitcnt vmcnt(0)
	v_mul_f16_e32 v24, s15, v24
	v_cvt_f32_f16_e32 v24, v24
	s_branch .LBB280_322
.LBB280_321:
	v_mov_b32_e32 v24, 0
.LBB280_322:
	v_pk_add_f16 v25, v10, v4
	v_pk_add_f16 v26, v11, v5
	v_max_f16_e32 v27, v53, v53
	v_lshrrev_b32_e32 v28, 16, v53
	v_max_f32_e32 v24, v24, v24
	v_lshrrev_b32_e32 v29, 16, v25
	v_lshrrev_b32_e32 v30, 16, v26
	v_min_f16_e32 v25, v27, v25
	v_min3_f16 v27, v28, v29, v30
	v_min3_f16 v25, v25, v26, v27
	v_cvt_f32_f16_e32 v25, v25
	v_min_f32_e32 v26, v24, v25
	v_lshlrev_b64 v[24:25], 1, v[42:43]
	v_cvt_f16_f32_e32 v26, v26
	v_add_co_u32 v24, vcc_lo, v20, v24
	v_add_co_ci_u32_e64 v25, null, v21, v25, vcc_lo
	global_store_short v[24:25], v26, off
	s_or_b32 exec_lo, exec_lo, s12
	s_and_b32 s18, s6, s8
	s_and_saveexec_b32 s12, s18
	s_cbranch_execz .LBB280_298
.LBB280_323:
	v_cmp_ne_u32_e32 vcc_lo, 1, v89
	s_cbranch_vccnz .LBB280_325
; %bb.324:
	v_lshlrev_b64 v[24:25], 1, v[44:45]
	v_add_co_u32 v24, vcc_lo, v22, v24
	v_add_co_ci_u32_e64 v25, null, v23, v25, vcc_lo
	global_load_ushort v24, v[24:25], off
	s_waitcnt vmcnt(0)
	v_mul_f16_e32 v24, s15, v24
	v_cvt_f32_f16_e32 v24, v24
	s_branch .LBB280_326
.LBB280_325:
	v_mov_b32_e32 v24, 0
.LBB280_326:
	v_pk_add_f16 v25, v0, v4
	v_pk_add_f16 v26, v1, v5
	v_max_f16_e32 v27, v51, v51
	v_lshrrev_b32_e32 v28, 16, v51
	v_max_f32_e32 v24, v24, v24
	v_lshrrev_b32_e32 v29, 16, v25
	v_lshrrev_b32_e32 v30, 16, v26
	v_min_f16_e32 v25, v27, v25
	v_min3_f16 v27, v28, v29, v30
	v_min3_f16 v25, v25, v26, v27
	v_cvt_f32_f16_e32 v25, v25
	v_min_f32_e32 v26, v24, v25
	v_lshlrev_b64 v[24:25], 1, v[44:45]
	v_cvt_f16_f32_e32 v26, v26
	v_add_co_u32 v24, vcc_lo, v20, v24
	v_add_co_ci_u32_e64 v25, null, v21, v25, vcc_lo
	global_store_short v[24:25], v26, off
	s_or_b32 exec_lo, exec_lo, s12
	s_and_b32 s12, s7, s8
	s_and_saveexec_b32 s8, s12
	s_cbranch_execz .LBB280_331
.LBB280_327:
	v_cmp_ne_u32_e32 vcc_lo, 1, v89
	s_cbranch_vccnz .LBB280_329
; %bb.328:
	v_lshlrev_b64 v[24:25], 1, v[46:47]
	v_add_co_u32 v22, vcc_lo, v22, v24
	v_add_co_ci_u32_e64 v23, null, v23, v25, vcc_lo
	global_load_ushort v22, v[22:23], off
	s_waitcnt vmcnt(0)
	v_mul_f16_e32 v22, s15, v22
	v_cvt_f32_f16_e32 v22, v22
	s_branch .LBB280_330
.LBB280_329:
	v_mov_b32_e32 v22, 0
.LBB280_330:
	v_pk_add_f16 v4, v2, v4
	v_pk_add_f16 v5, v3, v5
	v_max_f16_e32 v23, v52, v52
	v_lshrrev_b32_e32 v24, 16, v52
	v_lshrrev_b32_e32 v25, 16, v4
	;; [unrolled: 1-line block ×3, first 2 shown]
	v_min_f16_e32 v4, v23, v4
	v_min3_f16 v23, v24, v25, v26
	v_min3_f16 v4, v4, v5, v23
	v_max_f32_e32 v5, v22, v22
	v_cvt_f32_f16_e32 v4, v4
	v_min_f32_e32 v22, v5, v4
	v_lshlrev_b64 v[4:5], 1, v[46:47]
	v_cvt_f16_f32_e32 v22, v22
	v_add_co_u32 v4, vcc_lo, v20, v4
	v_add_co_ci_u32_e64 v5, null, v21, v5, vcc_lo
	global_store_short v[4:5], v22, off
.LBB280_331:
	s_or_b32 exec_lo, exec_lo, s8
	v_add_nc_u32_e32 v22, 0xe0, v103
	v_mad_i64_i32 v[4:5], null, v22, s14, 0
	v_mad_i64_i32 v[20:21], null, v22, s9, 0
	v_cmp_gt_i32_e64 s8, s13, v22
	v_lshlrev_b64 v[4:5], 1, v[4:5]
	s_and_b32 s9, s0, s8
	v_lshlrev_b64 v[20:21], 1, v[20:21]
	v_add_co_u32 v22, vcc_lo, s16, v4
	v_add_co_ci_u32_e64 v23, null, s17, v5, vcc_lo
	v_add_co_u32 v20, vcc_lo, s10, v20
	v_add_co_ci_u32_e64 v21, null, s11, v21, vcc_lo
	s_and_saveexec_b32 s0, s9
	s_cbranch_execnz .LBB280_340
; %bb.332:
	s_or_b32 exec_lo, exec_lo, s0
	s_and_b32 s1, s1, s8
	s_and_saveexec_b32 s0, s1
	s_cbranch_execnz .LBB280_344
.LBB280_333:
	s_or_b32 exec_lo, exec_lo, s0
	s_and_b32 s1, s2, s8
	s_and_saveexec_b32 s0, s1
	s_cbranch_execnz .LBB280_348
.LBB280_334:
	s_or_b32 exec_lo, exec_lo, s0
	s_and_b32 s1, s3, s8
	s_and_saveexec_b32 s0, s1
	s_cbranch_execnz .LBB280_352
.LBB280_335:
	s_or_b32 exec_lo, exec_lo, s0
	s_and_b32 s1, s4, s8
	s_and_saveexec_b32 s0, s1
	s_cbranch_execnz .LBB280_356
.LBB280_336:
	s_or_b32 exec_lo, exec_lo, s0
	s_and_b32 s1, s5, s8
	s_and_saveexec_b32 s0, s1
	s_cbranch_execnz .LBB280_360
.LBB280_337:
	s_or_b32 exec_lo, exec_lo, s0
	s_and_b32 s1, s6, s8
	s_and_saveexec_b32 s0, s1
	s_cbranch_execnz .LBB280_364
.LBB280_338:
	s_or_b32 exec_lo, exec_lo, s0
	s_and_b32 s0, s7, s8
	s_and_saveexec_b32 s1, s0
	s_cbranch_execnz .LBB280_368
.LBB280_339:
	s_endpgm
.LBB280_340:
	v_cmp_ne_u32_e32 vcc_lo, 1, v89
	v_lshlrev_b64 v[4:5], 1, v[32:33]
	s_cbranch_vccnz .LBB280_342
; %bb.341:
	v_add_co_u32 v24, vcc_lo, v22, v4
	v_add_co_ci_u32_e64 v25, null, v23, v5, vcc_lo
	global_load_ushort v24, v[24:25], off
	s_waitcnt vmcnt(0)
	v_mul_f16_e32 v24, s15, v24
	v_cvt_f32_f16_e32 v24, v24
	s_branch .LBB280_343
.LBB280_342:
	v_mov_b32_e32 v24, 0
.LBB280_343:
	v_pk_add_f16 v16, v16, v6
	v_pk_add_f16 v17, v17, v7
	v_max_f16_e32 v25, v50, v50
	v_lshrrev_b32_e32 v26, 16, v50
	v_add_co_u32 v4, vcc_lo, v20, v4
	v_lshrrev_b32_e32 v27, 16, v16
	v_lshrrev_b32_e32 v28, 16, v17
	v_min_f16_e32 v16, v25, v16
	v_add_co_ci_u32_e64 v5, null, v21, v5, vcc_lo
	v_min3_f16 v25, v26, v27, v28
	v_min3_f16 v16, v16, v17, v25
	v_max_f32_e32 v17, v24, v24
	v_cvt_f32_f16_e32 v16, v16
	v_min_f32_e32 v16, v17, v16
	v_cvt_f16_f32_e32 v16, v16
	global_store_short v[4:5], v16, off
	s_or_b32 exec_lo, exec_lo, s0
	s_and_b32 s1, s1, s8
	s_and_saveexec_b32 s0, s1
	s_cbranch_execz .LBB280_333
.LBB280_344:
	v_cmp_ne_u32_e32 vcc_lo, 1, v89
	v_lshlrev_b64 v[4:5], 1, v[34:35]
	s_cbranch_vccnz .LBB280_346
; %bb.345:
	v_add_co_u32 v16, vcc_lo, v22, v4
	v_add_co_ci_u32_e64 v17, null, v23, v5, vcc_lo
	global_load_ushort v16, v[16:17], off
	s_waitcnt vmcnt(0)
	v_mul_f16_e32 v16, s15, v16
	v_cvt_f32_f16_e32 v16, v16
	s_branch .LBB280_347
.LBB280_346:
	v_mov_b32_e32 v16, 0
.LBB280_347:
	v_pk_add_f16 v17, v18, v6
	v_pk_add_f16 v18, v19, v7
	v_max_f16_e32 v19, v49, v49
	v_lshrrev_b32_e32 v24, 16, v49
	v_max_f32_e32 v16, v16, v16
	v_lshrrev_b32_e32 v25, 16, v17
	v_lshrrev_b32_e32 v26, 16, v18
	v_min_f16_e32 v17, v19, v17
	v_add_co_u32 v4, vcc_lo, v20, v4
	v_add_co_ci_u32_e64 v5, null, v21, v5, vcc_lo
	v_min3_f16 v19, v24, v25, v26
	v_min3_f16 v17, v17, v18, v19
	v_cvt_f32_f16_e32 v17, v17
	v_min_f32_e32 v16, v16, v17
	v_cvt_f16_f32_e32 v16, v16
	global_store_short v[4:5], v16, off
	s_or_b32 exec_lo, exec_lo, s0
	s_and_b32 s1, s2, s8
	s_and_saveexec_b32 s0, s1
	s_cbranch_execz .LBB280_334
.LBB280_348:
	v_cmp_ne_u32_e32 vcc_lo, 1, v89
	v_lshlrev_b64 v[4:5], 1, v[36:37]
	s_cbranch_vccnz .LBB280_350
; %bb.349:
	v_add_co_u32 v16, vcc_lo, v22, v4
	v_add_co_ci_u32_e64 v17, null, v23, v5, vcc_lo
	global_load_ushort v16, v[16:17], off
	s_waitcnt vmcnt(0)
	v_mul_f16_e32 v16, s15, v16
	v_cvt_f32_f16_e32 v16, v16
	s_branch .LBB280_351
.LBB280_350:
	v_mov_b32_e32 v16, 0
.LBB280_351:
	v_pk_add_f16 v12, v12, v6
	v_pk_add_f16 v13, v13, v7
	v_max_f16_e32 v17, v48, v48
	v_lshrrev_b32_e32 v18, 16, v48
	v_add_co_u32 v4, vcc_lo, v20, v4
	v_lshrrev_b32_e32 v19, 16, v12
	v_lshrrev_b32_e32 v24, 16, v13
	v_min_f16_e32 v12, v17, v12
	v_add_co_ci_u32_e64 v5, null, v21, v5, vcc_lo
	v_min3_f16 v17, v18, v19, v24
	v_min3_f16 v12, v12, v13, v17
	v_max_f32_e32 v13, v16, v16
	v_cvt_f32_f16_e32 v12, v12
	v_min_f32_e32 v12, v13, v12
	v_cvt_f16_f32_e32 v12, v12
	global_store_short v[4:5], v12, off
	s_or_b32 exec_lo, exec_lo, s0
	s_and_b32 s1, s3, s8
	s_and_saveexec_b32 s0, s1
	s_cbranch_execz .LBB280_335
.LBB280_352:
	v_cmp_ne_u32_e32 vcc_lo, 1, v89
	v_lshlrev_b64 v[4:5], 1, v[38:39]
	s_cbranch_vccnz .LBB280_354
; %bb.353:
	v_add_co_u32 v12, vcc_lo, v22, v4
	v_add_co_ci_u32_e64 v13, null, v23, v5, vcc_lo
	global_load_ushort v12, v[12:13], off
	s_waitcnt vmcnt(0)
	v_mul_f16_e32 v12, s15, v12
	v_cvt_f32_f16_e32 v12, v12
	s_branch .LBB280_355
.LBB280_354:
	v_mov_b32_e32 v12, 0
.LBB280_355:
	v_pk_add_f16 v13, v14, v6
	v_pk_add_f16 v14, v15, v7
	v_max_f16_e32 v15, v65, v65
	v_lshrrev_b32_e32 v16, 16, v65
	v_max_f32_e32 v12, v12, v12
	v_lshrrev_b32_e32 v17, 16, v13
	v_lshrrev_b32_e32 v18, 16, v14
	v_min_f16_e32 v13, v15, v13
	v_add_co_u32 v4, vcc_lo, v20, v4
	v_add_co_ci_u32_e64 v5, null, v21, v5, vcc_lo
	v_min3_f16 v15, v16, v17, v18
	v_min3_f16 v13, v13, v14, v15
	v_cvt_f32_f16_e32 v13, v13
	v_min_f32_e32 v12, v12, v13
	v_cvt_f16_f32_e32 v12, v12
	global_store_short v[4:5], v12, off
	s_or_b32 exec_lo, exec_lo, s0
	s_and_b32 s1, s4, s8
	s_and_saveexec_b32 s0, s1
	s_cbranch_execz .LBB280_336
.LBB280_356:
	v_cmp_ne_u32_e32 vcc_lo, 1, v89
	v_lshlrev_b64 v[4:5], 1, v[40:41]
	s_cbranch_vccnz .LBB280_358
; %bb.357:
	v_add_co_u32 v12, vcc_lo, v22, v4
	v_add_co_ci_u32_e64 v13, null, v23, v5, vcc_lo
	global_load_ushort v12, v[12:13], off
	s_waitcnt vmcnt(0)
	v_mul_f16_e32 v12, s15, v12
	v_cvt_f32_f16_e32 v12, v12
	s_branch .LBB280_359
.LBB280_358:
	v_mov_b32_e32 v12, 0
.LBB280_359:
	v_pk_add_f16 v8, v8, v6
	v_pk_add_f16 v9, v9, v7
	v_max_f16_e32 v13, v62, v62
	v_lshrrev_b32_e32 v14, 16, v62
	v_add_co_u32 v4, vcc_lo, v20, v4
	v_lshrrev_b32_e32 v15, 16, v8
	v_lshrrev_b32_e32 v16, 16, v9
	v_min_f16_e32 v8, v13, v8
	v_add_co_ci_u32_e64 v5, null, v21, v5, vcc_lo
	v_min3_f16 v13, v14, v15, v16
	v_min3_f16 v8, v8, v9, v13
	v_max_f32_e32 v9, v12, v12
	v_cvt_f32_f16_e32 v8, v8
	v_min_f32_e32 v8, v9, v8
	v_cvt_f16_f32_e32 v8, v8
	global_store_short v[4:5], v8, off
	s_or_b32 exec_lo, exec_lo, s0
	s_and_b32 s1, s5, s8
	s_and_saveexec_b32 s0, s1
	s_cbranch_execz .LBB280_337
.LBB280_360:
	v_cmp_ne_u32_e32 vcc_lo, 1, v89
	v_lshlrev_b64 v[4:5], 1, v[42:43]
	s_cbranch_vccnz .LBB280_362
; %bb.361:
	v_add_co_u32 v8, vcc_lo, v22, v4
	v_add_co_ci_u32_e64 v9, null, v23, v5, vcc_lo
	global_load_ushort v8, v[8:9], off
	s_waitcnt vmcnt(0)
	v_mul_f16_e32 v8, s15, v8
	v_cvt_f32_f16_e32 v8, v8
	s_branch .LBB280_363
.LBB280_362:
	v_mov_b32_e32 v8, 0
.LBB280_363:
	v_pk_add_f16 v9, v10, v6
	v_pk_add_f16 v10, v11, v7
	v_max_f16_e32 v11, v60, v60
	v_lshrrev_b32_e32 v12, 16, v60
	v_max_f32_e32 v8, v8, v8
	v_lshrrev_b32_e32 v13, 16, v9
	v_lshrrev_b32_e32 v14, 16, v10
	v_min_f16_e32 v9, v11, v9
	v_add_co_u32 v4, vcc_lo, v20, v4
	v_add_co_ci_u32_e64 v5, null, v21, v5, vcc_lo
	v_min3_f16 v11, v12, v13, v14
	v_min3_f16 v9, v9, v10, v11
	v_cvt_f32_f16_e32 v9, v9
	v_min_f32_e32 v8, v8, v9
	v_cvt_f16_f32_e32 v8, v8
	global_store_short v[4:5], v8, off
	s_or_b32 exec_lo, exec_lo, s0
	s_and_b32 s1, s6, s8
	s_and_saveexec_b32 s0, s1
	s_cbranch_execz .LBB280_338
.LBB280_364:
	v_cmp_ne_u32_e32 vcc_lo, 1, v89
	v_lshlrev_b64 v[4:5], 1, v[44:45]
	s_cbranch_vccnz .LBB280_366
; %bb.365:
	v_add_co_u32 v8, vcc_lo, v22, v4
	v_add_co_ci_u32_e64 v9, null, v23, v5, vcc_lo
	global_load_ushort v8, v[8:9], off
	s_waitcnt vmcnt(0)
	v_mul_f16_e32 v8, s15, v8
	v_cvt_f32_f16_e32 v8, v8
	s_branch .LBB280_367
.LBB280_366:
	v_mov_b32_e32 v8, 0
.LBB280_367:
	v_pk_add_f16 v0, v0, v6
	v_pk_add_f16 v1, v1, v7
	v_max_f16_e32 v9, v58, v58
	v_lshrrev_b32_e32 v10, 16, v58
	v_lshrrev_b32_e32 v11, 16, v0
	;; [unrolled: 1-line block ×3, first 2 shown]
	v_min_f16_e32 v0, v9, v0
	v_min3_f16 v9, v10, v11, v12
	v_min3_f16 v0, v0, v1, v9
	v_max_f32_e32 v1, v8, v8
	v_cvt_f32_f16_e32 v0, v0
	v_min_f32_e32 v0, v1, v0
	v_cvt_f16_f32_e32 v8, v0
	v_add_co_u32 v0, vcc_lo, v20, v4
	v_add_co_ci_u32_e64 v1, null, v21, v5, vcc_lo
	global_store_short v[0:1], v8, off
	s_or_b32 exec_lo, exec_lo, s0
	s_and_b32 s0, s7, s8
	s_and_saveexec_b32 s1, s0
	s_cbranch_execz .LBB280_339
.LBB280_368:
	v_cmp_ne_u32_e32 vcc_lo, 1, v89
	v_lshlrev_b64 v[0:1], 1, v[46:47]
	s_cbranch_vccnz .LBB280_370
; %bb.369:
	v_add_co_u32 v4, vcc_lo, v22, v0
	v_add_co_ci_u32_e64 v5, null, v23, v1, vcc_lo
	global_load_ushort v4, v[4:5], off
	s_waitcnt vmcnt(0)
	v_mul_f16_e32 v4, s15, v4
	v_cvt_f32_f16_e32 v4, v4
	s_branch .LBB280_371
.LBB280_370:
	v_mov_b32_e32 v4, 0
.LBB280_371:
	v_pk_add_f16 v2, v2, v6
	v_pk_add_f16 v3, v3, v7
	v_max_f16_e32 v5, v56, v56
	v_lshrrev_b32_e32 v6, 16, v56
	v_add_co_u32 v0, vcc_lo, v20, v0
	v_lshrrev_b32_e32 v7, 16, v2
	v_lshrrev_b32_e32 v8, 16, v3
	v_min_f16_e32 v2, v5, v2
	v_add_co_ci_u32_e64 v1, null, v21, v1, vcc_lo
	v_min3_f16 v5, v6, v7, v8
	v_min3_f16 v2, v2, v3, v5
	v_max_f32_e32 v3, v4, v4
	v_cvt_f32_f16_e32 v2, v2
	v_min_f32_e32 v2, v3, v2
	v_cvt_f16_f32_e32 v2, v2
	global_store_short v[0:1], v2, off
	s_endpgm
	.section	.rodata,"a",@progbits
	.p2align	6, 0x0
	.amdhsa_kernel _ZN12_GLOBAL__N_120geam_min_plus_kernelIDF16_Dv2_DF16_S1_Li8ELi32ELi64ELi256ELi4ELi4ELi64ELi64ELi4ELc84ELc84ELb1ELb1ELb1EDF16_KDF16_DF16_EEviiiT16_PT17_ilS5_ilS3_S5_ilPT18_ili26rocblas_geam_ex_operation_
		.amdhsa_group_segment_fixed_size 5120
		.amdhsa_private_segment_fixed_size 0
		.amdhsa_kernarg_size 128
		.amdhsa_user_sgpr_count 6
		.amdhsa_user_sgpr_private_segment_buffer 1
		.amdhsa_user_sgpr_dispatch_ptr 0
		.amdhsa_user_sgpr_queue_ptr 0
		.amdhsa_user_sgpr_kernarg_segment_ptr 1
		.amdhsa_user_sgpr_dispatch_id 0
		.amdhsa_user_sgpr_flat_scratch_init 0
		.amdhsa_user_sgpr_private_segment_size 0
		.amdhsa_wavefront_size32 1
		.amdhsa_uses_dynamic_stack 0
		.amdhsa_system_sgpr_private_segment_wavefront_offset 0
		.amdhsa_system_sgpr_workgroup_id_x 1
		.amdhsa_system_sgpr_workgroup_id_y 0
		.amdhsa_system_sgpr_workgroup_id_z 1
		.amdhsa_system_sgpr_workgroup_info 0
		.amdhsa_system_vgpr_workitem_id 1
		.amdhsa_next_free_vgpr 156
		.amdhsa_next_free_sgpr 30
		.amdhsa_reserve_vcc 1
		.amdhsa_reserve_flat_scratch 0
		.amdhsa_float_round_mode_32 0
		.amdhsa_float_round_mode_16_64 0
		.amdhsa_float_denorm_mode_32 3
		.amdhsa_float_denorm_mode_16_64 3
		.amdhsa_dx10_clamp 1
		.amdhsa_ieee_mode 1
		.amdhsa_fp16_overflow 0
		.amdhsa_workgroup_processor_mode 1
		.amdhsa_memory_ordered 1
		.amdhsa_forward_progress 1
		.amdhsa_shared_vgpr_count 0
		.amdhsa_exception_fp_ieee_invalid_op 0
		.amdhsa_exception_fp_denorm_src 0
		.amdhsa_exception_fp_ieee_div_zero 0
		.amdhsa_exception_fp_ieee_overflow 0
		.amdhsa_exception_fp_ieee_underflow 0
		.amdhsa_exception_fp_ieee_inexact 0
		.amdhsa_exception_int_div_zero 0
	.end_amdhsa_kernel
	.section	.text._ZN12_GLOBAL__N_120geam_min_plus_kernelIDF16_Dv2_DF16_S1_Li8ELi32ELi64ELi256ELi4ELi4ELi64ELi64ELi4ELc84ELc84ELb1ELb1ELb1EDF16_KDF16_DF16_EEviiiT16_PT17_ilS5_ilS3_S5_ilPT18_ili26rocblas_geam_ex_operation_,"axG",@progbits,_ZN12_GLOBAL__N_120geam_min_plus_kernelIDF16_Dv2_DF16_S1_Li8ELi32ELi64ELi256ELi4ELi4ELi64ELi64ELi4ELc84ELc84ELb1ELb1ELb1EDF16_KDF16_DF16_EEviiiT16_PT17_ilS5_ilS3_S5_ilPT18_ili26rocblas_geam_ex_operation_,comdat
.Lfunc_end280:
	.size	_ZN12_GLOBAL__N_120geam_min_plus_kernelIDF16_Dv2_DF16_S1_Li8ELi32ELi64ELi256ELi4ELi4ELi64ELi64ELi4ELc84ELc84ELb1ELb1ELb1EDF16_KDF16_DF16_EEviiiT16_PT17_ilS5_ilS3_S5_ilPT18_ili26rocblas_geam_ex_operation_, .Lfunc_end280-_ZN12_GLOBAL__N_120geam_min_plus_kernelIDF16_Dv2_DF16_S1_Li8ELi32ELi64ELi256ELi4ELi4ELi64ELi64ELi4ELc84ELc84ELb1ELb1ELb1EDF16_KDF16_DF16_EEviiiT16_PT17_ilS5_ilS3_S5_ilPT18_ili26rocblas_geam_ex_operation_
                                        ; -- End function
	.set _ZN12_GLOBAL__N_120geam_min_plus_kernelIDF16_Dv2_DF16_S1_Li8ELi32ELi64ELi256ELi4ELi4ELi64ELi64ELi4ELc84ELc84ELb1ELb1ELb1EDF16_KDF16_DF16_EEviiiT16_PT17_ilS5_ilS3_S5_ilPT18_ili26rocblas_geam_ex_operation_.num_vgpr, 156
	.set _ZN12_GLOBAL__N_120geam_min_plus_kernelIDF16_Dv2_DF16_S1_Li8ELi32ELi64ELi256ELi4ELi4ELi64ELi64ELi4ELc84ELc84ELb1ELb1ELb1EDF16_KDF16_DF16_EEviiiT16_PT17_ilS5_ilS3_S5_ilPT18_ili26rocblas_geam_ex_operation_.num_agpr, 0
	.set _ZN12_GLOBAL__N_120geam_min_plus_kernelIDF16_Dv2_DF16_S1_Li8ELi32ELi64ELi256ELi4ELi4ELi64ELi64ELi4ELc84ELc84ELb1ELb1ELb1EDF16_KDF16_DF16_EEviiiT16_PT17_ilS5_ilS3_S5_ilPT18_ili26rocblas_geam_ex_operation_.numbered_sgpr, 30
	.set _ZN12_GLOBAL__N_120geam_min_plus_kernelIDF16_Dv2_DF16_S1_Li8ELi32ELi64ELi256ELi4ELi4ELi64ELi64ELi4ELc84ELc84ELb1ELb1ELb1EDF16_KDF16_DF16_EEviiiT16_PT17_ilS5_ilS3_S5_ilPT18_ili26rocblas_geam_ex_operation_.num_named_barrier, 0
	.set _ZN12_GLOBAL__N_120geam_min_plus_kernelIDF16_Dv2_DF16_S1_Li8ELi32ELi64ELi256ELi4ELi4ELi64ELi64ELi4ELc84ELc84ELb1ELb1ELb1EDF16_KDF16_DF16_EEviiiT16_PT17_ilS5_ilS3_S5_ilPT18_ili26rocblas_geam_ex_operation_.private_seg_size, 0
	.set _ZN12_GLOBAL__N_120geam_min_plus_kernelIDF16_Dv2_DF16_S1_Li8ELi32ELi64ELi256ELi4ELi4ELi64ELi64ELi4ELc84ELc84ELb1ELb1ELb1EDF16_KDF16_DF16_EEviiiT16_PT17_ilS5_ilS3_S5_ilPT18_ili26rocblas_geam_ex_operation_.uses_vcc, 1
	.set _ZN12_GLOBAL__N_120geam_min_plus_kernelIDF16_Dv2_DF16_S1_Li8ELi32ELi64ELi256ELi4ELi4ELi64ELi64ELi4ELc84ELc84ELb1ELb1ELb1EDF16_KDF16_DF16_EEviiiT16_PT17_ilS5_ilS3_S5_ilPT18_ili26rocblas_geam_ex_operation_.uses_flat_scratch, 0
	.set _ZN12_GLOBAL__N_120geam_min_plus_kernelIDF16_Dv2_DF16_S1_Li8ELi32ELi64ELi256ELi4ELi4ELi64ELi64ELi4ELc84ELc84ELb1ELb1ELb1EDF16_KDF16_DF16_EEviiiT16_PT17_ilS5_ilS3_S5_ilPT18_ili26rocblas_geam_ex_operation_.has_dyn_sized_stack, 0
	.set _ZN12_GLOBAL__N_120geam_min_plus_kernelIDF16_Dv2_DF16_S1_Li8ELi32ELi64ELi256ELi4ELi4ELi64ELi64ELi4ELc84ELc84ELb1ELb1ELb1EDF16_KDF16_DF16_EEviiiT16_PT17_ilS5_ilS3_S5_ilPT18_ili26rocblas_geam_ex_operation_.has_recursion, 0
	.set _ZN12_GLOBAL__N_120geam_min_plus_kernelIDF16_Dv2_DF16_S1_Li8ELi32ELi64ELi256ELi4ELi4ELi64ELi64ELi4ELc84ELc84ELb1ELb1ELb1EDF16_KDF16_DF16_EEviiiT16_PT17_ilS5_ilS3_S5_ilPT18_ili26rocblas_geam_ex_operation_.has_indirect_call, 0
	.section	.AMDGPU.csdata,"",@progbits
; Kernel info:
; codeLenInByte = 22844
; TotalNumSgprs: 32
; NumVgprs: 156
; ScratchSize: 0
; MemoryBound: 0
; FloatMode: 240
; IeeeMode: 1
; LDSByteSize: 5120 bytes/workgroup (compile time only)
; SGPRBlocks: 0
; VGPRBlocks: 19
; NumSGPRsForWavesPerEU: 32
; NumVGPRsForWavesPerEU: 156
; Occupancy: 6
; WaveLimiterHint : 0
; COMPUTE_PGM_RSRC2:SCRATCH_EN: 0
; COMPUTE_PGM_RSRC2:USER_SGPR: 6
; COMPUTE_PGM_RSRC2:TRAP_HANDLER: 0
; COMPUTE_PGM_RSRC2:TGID_X_EN: 1
; COMPUTE_PGM_RSRC2:TGID_Y_EN: 0
; COMPUTE_PGM_RSRC2:TGID_Z_EN: 1
; COMPUTE_PGM_RSRC2:TIDIG_COMP_CNT: 1
	.section	.text._ZN12_GLOBAL__N_120geam_min_plus_kernelIDF16_Dv2_DF16_S1_Li8ELi32ELi64ELi256ELi4ELi4ELi64ELi64ELi4ELc84ELc84ELb0ELb1ELb1EDF16_KDF16_DF16_EEviiiT16_PT17_ilS5_ilS3_S5_ilPT18_ili26rocblas_geam_ex_operation_,"axG",@progbits,_ZN12_GLOBAL__N_120geam_min_plus_kernelIDF16_Dv2_DF16_S1_Li8ELi32ELi64ELi256ELi4ELi4ELi64ELi64ELi4ELc84ELc84ELb0ELb1ELb1EDF16_KDF16_DF16_EEviiiT16_PT17_ilS5_ilS3_S5_ilPT18_ili26rocblas_geam_ex_operation_,comdat
	.globl	_ZN12_GLOBAL__N_120geam_min_plus_kernelIDF16_Dv2_DF16_S1_Li8ELi32ELi64ELi256ELi4ELi4ELi64ELi64ELi4ELc84ELc84ELb0ELb1ELb1EDF16_KDF16_DF16_EEviiiT16_PT17_ilS5_ilS3_S5_ilPT18_ili26rocblas_geam_ex_operation_ ; -- Begin function _ZN12_GLOBAL__N_120geam_min_plus_kernelIDF16_Dv2_DF16_S1_Li8ELi32ELi64ELi256ELi4ELi4ELi64ELi64ELi4ELc84ELc84ELb0ELb1ELb1EDF16_KDF16_DF16_EEviiiT16_PT17_ilS5_ilS3_S5_ilPT18_ili26rocblas_geam_ex_operation_
	.p2align	8
	.type	_ZN12_GLOBAL__N_120geam_min_plus_kernelIDF16_Dv2_DF16_S1_Li8ELi32ELi64ELi256ELi4ELi4ELi64ELi64ELi4ELc84ELc84ELb0ELb1ELb1EDF16_KDF16_DF16_EEviiiT16_PT17_ilS5_ilS3_S5_ilPT18_ili26rocblas_geam_ex_operation_,@function
_ZN12_GLOBAL__N_120geam_min_plus_kernelIDF16_Dv2_DF16_S1_Li8ELi32ELi64ELi256ELi4ELi4ELi64ELi64ELi4ELc84ELc84ELb0ELb1ELb1EDF16_KDF16_DF16_EEviiiT16_PT17_ilS5_ilS3_S5_ilPT18_ili26rocblas_geam_ex_operation_: ; @_ZN12_GLOBAL__N_120geam_min_plus_kernelIDF16_Dv2_DF16_S1_Li8ELi32ELi64ELi256ELi4ELi4ELi64ELi64ELi4ELc84ELc84ELb0ELb1ELb1EDF16_KDF16_DF16_EEviiiT16_PT17_ilS5_ilS3_S5_ilPT18_ili26rocblas_geam_ex_operation_
; %bb.0:
	s_clause 0x1
	s_load_dwordx4 s[12:15], s[4:5], 0x0
	s_load_dwordx4 s[0:3], s[4:5], 0x20
	s_waitcnt lgkmcnt(0)
	v_cmp_eq_f16_e64 s8, s15, 0
	s_and_b32 vcc_lo, exec_lo, s8
	s_cbranch_vccnz .LBB281_61
; %bb.1:
	s_load_dwordx2 s[10:11], s[4:5], 0x10
	s_mul_i32 s1, s1, s7
	s_mul_hi_u32 s9, s0, s7
	s_mul_i32 s0, s0, s7
	s_add_i32 s1, s9, s1
	s_lshl_b64 s[0:1], s[0:1], 1
	s_waitcnt lgkmcnt(0)
	s_add_u32 s20, s10, s0
	s_addc_u32 s21, s11, s1
	s_andn2_b32 vcc_lo, exec_lo, s8
	s_mov_b32 s0, -1
	s_cbranch_vccnz .LBB281_3
.LBB281_2:
	s_mov_b32 s0, 0
.LBB281_3:
	s_mov_b64 s[16:17], 0
	s_andn2_b32 vcc_lo, exec_lo, s0
	s_mov_b64 s[18:19], 0
	s_cbranch_vccnz .LBB281_5
; %bb.4:
	s_load_dwordx2 s[0:1], s[4:5], 0x38
	s_waitcnt lgkmcnt(0)
	s_mul_i32 s1, s1, s7
	s_mul_hi_u32 s8, s0, s7
	s_mul_i32 s0, s0, s7
	s_add_i32 s1, s8, s1
	s_lshl_b64 s[0:1], s[0:1], 1
	s_add_u32 s18, s2, s0
	s_addc_u32 s19, s3, s1
.LBB281_5:
	s_clause 0x1
	s_load_dword s22, s[4:5], 0x40
	s_load_dwordx4 s[8:11], s[4:5], 0x58
	s_waitcnt lgkmcnt(0)
	v_cmp_eq_f16_e64 s0, s22, 0
	v_cmp_neq_f16_e64 s23, s22, 0
	s_and_b32 vcc_lo, exec_lo, s0
	s_cbranch_vccnz .LBB281_7
; %bb.6:
	s_load_dwordx2 s[0:1], s[4:5], 0x48
	s_mul_i32 s2, s9, s7
	s_mul_hi_u32 s3, s8, s7
	s_add_i32 s3, s3, s2
	s_mul_i32 s2, s8, s7
	s_lshl_b64 s[2:3], s[2:3], 1
	s_waitcnt lgkmcnt(0)
	s_add_u32 s16, s0, s2
	s_addc_u32 s17, s1, s3
.LBB281_7:
	s_add_i32 s0, s12, -1
	v_lshl_add_u32 v4, v1, 3, v0
	s_ashr_i32 s1, s0, 31
	s_load_dword s27, s[4:5], 0x18
	s_lshr_b32 s1, s1, 26
	v_and_b32_e32 v47, 3, v0
	s_add_i32 s0, s0, s1
	v_cmp_eq_f16_e64 s25, s15, 0
	s_ashr_i32 s0, s0, 6
                                        ; implicit-def: $vgpr3
	s_add_i32 s2, s0, 1
	s_not_b32 s0, s0
	v_cvt_f32_u32_e32 v2, s2
	v_rcp_iflag_f32_e32 v2, v2
	v_mul_f32_e32 v2, 0x4f7ffffe, v2
	v_cvt_u32_f32_e32 v2, v2
	v_readfirstlane_b32 s1, v2
	v_lshrrev_b32_e32 v2, 2, v4
	s_mul_i32 s0, s0, s1
	s_mul_hi_u32 s0, s1, s0
	s_add_i32 s1, s1, s0
	s_mul_hi_u32 s0, s6, s1
	s_mul_i32 s1, s0, s2
	s_add_i32 s3, s0, 1
	s_sub_i32 s1, s6, s1
	s_sub_i32 s8, s1, s2
	s_cmp_ge_u32 s1, s2
	s_cselect_b32 s0, s3, s0
	s_cselect_b32 s1, s8, s1
	s_add_i32 s3, s0, 1
	s_cmp_ge_u32 s1, s2
	s_cselect_b32 s1, s3, s0
	s_mul_i32 s0, s1, s2
	s_sub_i32 s0, s6, s0
                                        ; implicit-def: $sgpr6
	s_lshl_b32 s9, s0, 6
	v_cmp_le_i32_e64 s0, s14, v47
	v_add_nc_u32_e32 v30, s9, v2
	v_cmp_le_i32_e32 vcc_lo, s12, v30
	s_or_b32 s2, s0, vcc_lo
	s_nor_b32 s0, s25, s2
	s_and_saveexec_b32 s3, s0
	s_xor_b32 s3, exec_lo, s3
	s_cbranch_execz .LBB281_9
; %bb.8:
	s_waitcnt lgkmcnt(0)
	v_mad_i64_i32 v[5:6], null, v30, s27, 0
	s_add_i32 s6, s14, -1
	v_min_u32_e32 v3, s6, v47
	v_lshlrev_b64 v[5:6], 1, v[5:6]
	v_lshlrev_b32_e32 v3, 1, v3
	v_add_co_u32 v5, s0, s20, v5
	v_add_co_ci_u32_e64 v6, null, s21, v6, s0
	v_add_co_u32 v5, s0, v5, v3
	v_add_co_ci_u32_e64 v6, null, 0, v6, s0
	global_load_ushort v3, v[5:6], off
	s_waitcnt vmcnt(0)
	v_mul_f16_e32 v3, s15, v3
.LBB281_9:
	s_or_saveexec_b32 s0, s3
	v_mov_b32_e32 v5, s6
	s_xor_b32 exec_lo, exec_lo, s0
; %bb.10:
	s_add_i32 s3, s14, -1
	v_cndmask_b32_e64 v3, 0, 0x7c00, s2
	v_mov_b32_e32 v5, s3
; %bb.11:
	s_or_b32 exec_lo, exec_lo, s0
	s_load_dword s26, s[4:5], 0x30
	v_lshrrev_b32_e32 v72, 6, v4
	s_lshl_b32 s24, s1, 8
	v_min_i32_e32 v6, v72, v5
	v_and_b32_e32 v5, 63, v4
	v_cmp_le_i32_e64 s6, s14, v72
	v_or_b32_e32 v22, s24, v5
	v_cmp_le_i32_e64 s0, s13, v22
	v_ashrrev_i32_e32 v23, 31, v22
	s_waitcnt lgkmcnt(0)
	v_mad_i64_i32 v[6:7], null, v6, s26, 0
	s_or_b32 s2, s0, s6
	v_cndmask_b32_e64 v4, 0, 0x7c00, s2
	v_lshlrev_b64 v[6:7], 1, v[6:7]
	v_add_co_u32 v9, s1, s18, v6
	v_add_co_ci_u32_e64 v10, null, s19, v7, s1
	s_nor_b32 s1, s25, s2
	s_and_saveexec_b32 s2, s1
	s_cbranch_execz .LBB281_13
; %bb.12:
	v_lshlrev_b64 v[6:7], 1, v[22:23]
	v_add_co_u32 v6, s1, v9, v6
	v_add_co_ci_u32_e64 v7, null, v10, v7, s1
	global_load_ushort v4, v[6:7], off
	s_waitcnt vmcnt(0)
	v_mul_f16_e32 v4, s15, v4
.LBB281_13:
	s_or_b32 exec_lo, exec_lo, s2
	v_or_b32_e32 v6, 64, v22
	s_add_i32 s8, s13, -1
	v_cmp_le_i32_e64 s1, s13, v6
	v_min_i32_e32 v24, s8, v6
	s_or_b32 s2, s1, s6
	v_ashrrev_i32_e32 v25, 31, v24
	v_cndmask_b32_e64 v6, 0, 0x7c00, s2
	s_nor_b32 s2, s2, s25
	s_and_saveexec_b32 s3, s2
	s_cbranch_execz .LBB281_15
; %bb.14:
	v_lshlrev_b64 v[6:7], 1, v[24:25]
	v_add_co_u32 v6, s2, v9, v6
	v_add_co_ci_u32_e64 v7, null, v10, v7, s2
	global_load_ushort v6, v[6:7], off
	s_waitcnt vmcnt(0)
	v_mul_f16_e32 v6, s15, v6
.LBB281_15:
	s_or_b32 exec_lo, exec_lo, s3
	v_or_b32_e32 v7, 0x80, v22
	v_cmp_le_i32_e64 s2, s13, v7
	v_min_i32_e32 v26, s8, v7
	s_or_b32 s3, s2, s6
	v_ashrrev_i32_e32 v27, 31, v26
	v_cndmask_b32_e64 v7, 0, 0x7c00, s3
	s_nor_b32 s3, s3, s25
	s_and_saveexec_b32 s28, s3
	s_cbranch_execz .LBB281_17
; %bb.16:
	v_lshlrev_b64 v[7:8], 1, v[26:27]
	v_add_co_u32 v7, s3, v9, v7
	v_add_co_ci_u32_e64 v8, null, v10, v8, s3
	global_load_ushort v7, v[7:8], off
	s_waitcnt vmcnt(0)
	v_mul_f16_e32 v7, s15, v7
.LBB281_17:
	s_or_b32 exec_lo, exec_lo, s28
	v_or_b32_e32 v8, 0xc0, v22
	;; [unrolled: 18-line block ×3, first 2 shown]
                                        ; implicit-def: $vgpr31
                                        ; implicit-def: $sgpr29
	v_cmp_le_i32_e64 s6, s14, v9
	s_or_b32 s8, s6, vcc_lo
	s_nor_b32 s6, s25, s8
	s_and_saveexec_b32 s28, s6
	s_xor_b32 s28, exec_lo, s28
	s_cbranch_execz .LBB281_21
; %bb.20:
	v_mad_i64_i32 v[10:11], null, v30, s27, 0
	s_add_i32 s29, s14, -1
	v_min_u32_e32 v12, s29, v9
	v_lshlrev_b64 v[9:10], 1, v[10:11]
	v_lshlrev_b32_e32 v11, 1, v12
	v_add_co_u32 v9, s6, s20, v9
	v_add_co_ci_u32_e64 v10, null, s21, v10, s6
	v_add_co_u32 v9, s6, v9, v11
	v_add_co_ci_u32_e64 v10, null, 0, v10, s6
	global_load_ushort v9, v[9:10], off
	s_waitcnt vmcnt(0)
	v_mul_f16_e32 v31, s15, v9
.LBB281_21:
	s_or_saveexec_b32 s6, s28
	v_mov_b32_e32 v9, s29
	s_xor_b32 exec_lo, exec_lo, s6
; %bb.22:
	s_add_i32 s28, s14, -1
	v_cndmask_b32_e64 v31, 0, 0x7c00, s8
	v_mov_b32_e32 v9, s28
; %bb.23:
	s_or_b32 exec_lo, exec_lo, s6
	v_add_nc_u32_e32 v11, 4, v72
	v_min_i32_e32 v9, v11, v9
	v_cmp_le_i32_e64 s6, s14, v11
	v_mad_i64_i32 v[9:10], null, v9, s26, 0
	v_lshlrev_b64 v[9:10], 1, v[9:10]
	v_add_co_u32 v9, s8, s18, v9
	v_add_co_ci_u32_e64 v10, null, s19, v10, s8
	s_or_b32 s8, s0, s6
	v_cndmask_b32_e64 v32, 0, 0x7c00, s8
	s_nor_b32 s8, s25, s8
	s_and_saveexec_b32 s28, s8
	s_cbranch_execz .LBB281_25
; %bb.24:
	v_lshlrev_b64 v[11:12], 1, v[22:23]
	v_add_co_u32 v11, s8, v9, v11
	v_add_co_ci_u32_e64 v12, null, v10, v12, s8
	global_load_ushort v11, v[11:12], off
	s_waitcnt vmcnt(0)
	v_mul_f16_e32 v32, s15, v11
.LBB281_25:
	s_or_b32 exec_lo, exec_lo, s28
	s_or_b32 s8, s1, s6
	v_cndmask_b32_e64 v33, 0, 0x7c00, s8
	s_nor_b32 s8, s8, s25
	s_and_saveexec_b32 s28, s8
	s_cbranch_execz .LBB281_27
; %bb.26:
	v_lshlrev_b64 v[11:12], 1, v[24:25]
	v_add_co_u32 v11, s8, v9, v11
	v_add_co_ci_u32_e64 v12, null, v10, v12, s8
	global_load_ushort v11, v[11:12], off
	s_waitcnt vmcnt(0)
	v_mul_f16_e32 v33, s15, v11
.LBB281_27:
	s_or_b32 exec_lo, exec_lo, s28
	;; [unrolled: 14-line block ×4, first 2 shown]
	v_lshlrev_b32_e32 v34, 1, v47
	v_lshlrev_b32_e32 v77, 3, v0
	;; [unrolled: 1-line block ×4, first 2 shown]
	s_cmp_lt_i32 s14, 9
	v_lshl_or_b32 v37, v2, 3, v34
	v_add_nc_u32_e32 v2, 0x1000, v77
	v_lshl_add_u32 v83, v72, 1, v5
	ds_write_b16 v37, v3 offset:4096
	ds_write_b16 v83, v4
	ds_write_b16 v83, v6 offset:512
	ds_write_b16 v83, v7 offset:1024
	;; [unrolled: 1-line block ×3, first 2 shown]
	s_waitcnt lgkmcnt(0)
	s_barrier
	buffer_gl0_inv
	ds_read2_b64 v[18:21], v2 offset1:8
	ds_read2_b64 v[38:41], v76 offset1:32
	ds_read2_b64 v[14:17], v2 offset0:16 offset1:24
	ds_read2_b64 v[10:13], v2 offset0:32 offset1:40
	;; [unrolled: 1-line block ×6, first 2 shown]
	ds_write_b16 v37, v31 offset:4608
	ds_write_b16 v83, v32 offset:2048
	;; [unrolled: 1-line block ×5, first 2 shown]
	s_waitcnt lgkmcnt(0)
	s_barrier
	buffer_gl0_inv
	v_pk_add_f16 v46, v18, v38
	v_pk_add_f16 v52, v20, v38
	;; [unrolled: 1-line block ×64, first 2 shown]
	v_pk_min_f16 v46, 0x7c00, v46 op_sel_hi:[0,1]
	v_pk_add_f16 v86, v21, v39
	v_pk_min_f16 v52, 0x7c00, v52 op_sel_hi:[0,1]
	v_pk_add_f16 v87, v15, v39
	;; [unrolled: 2-line block ×3, first 2 shown]
	v_pk_add_f16 v4, v11, v39
	v_pk_min_f16 v8, 0x7c00, v55 op_sel_hi:[0,1]
	v_pk_add_f16 v88, v17, v39
	v_pk_min_f16 v54, 0x7c00, v54 op_sel_hi:[0,1]
	v_pk_min_f16 v121, v46, v85
	v_pk_min_f16 v120, v52, v86
	;; [unrolled: 1-line block ×3, first 2 shown]
	v_pk_add_f16 v46, v13, v39
	v_pk_min_f16 v52, 0x7c00, v56 op_sel_hi:[0,1]
	v_pk_add_f16 v53, v3, v39
	v_pk_add_f16 v39, v5, v39
	v_pk_min_f16 v38, 0x7c00, v38 op_sel_hi:[0,1]
	v_pk_min_f16 v117, v8, v4
	v_pk_add_f16 v4, v21, v41
	v_pk_min_f16 v8, 0x7c00, v59 op_sel_hi:[0,1]
	v_pk_min_f16 v118, v54, v88
	v_pk_min_f16 v54, 0x7c00, v57 op_sel_hi:[0,1]
	v_pk_add_f16 v55, v19, v41
	v_pk_min_f16 v56, 0x7c00, v58 op_sel_hi:[0,1]
	v_pk_min_f16 v116, v52, v46
	v_pk_min_f16 v108, v38, v39
	v_pk_add_f16 v38, v15, v41
	v_pk_min_f16 v39, 0x7c00, v60 op_sel_hi:[0,1]
	v_pk_add_f16 v46, v17, v41
	v_pk_min_f16 v52, 0x7c00, v61 op_sel_hi:[0,1]
	v_pk_min_f16 v106, v8, v4
	v_pk_add_f16 v4, v3, v41
	v_pk_min_f16 v8, 0x7c00, v64 op_sel_hi:[0,1]
	v_pk_min_f16 v109, v54, v53
	v_pk_min_f16 v107, v56, v55
	v_pk_add_f16 v53, v11, v41
	v_pk_min_f16 v54, 0x7c00, v62 op_sel_hi:[0,1]
	v_pk_add_f16 v55, v13, v41
	v_pk_min_f16 v105, v39, v38
	v_pk_min_f16 v104, v52, v46
	v_pk_add_f16 v38, v5, v41
	v_pk_min_f16 v39, 0x7c00, v40 op_sel_hi:[0,1]
	v_pk_add_f16 v40, v19, v43
	v_pk_min_f16 v41, 0x7c00, v65 op_sel_hi:[0,1]
	;; [unrolled: 2-line block ×3, first 2 shown]
	v_pk_min_f16 v98, v8, v4
	v_pk_add_f16 v4, v17, v43
	v_pk_min_f16 v8, 0x7c00, v68 op_sel_hi:[0,1]
	v_pk_min_f16 v103, v54, v53
	v_pk_add_f16 v53, v15, v43
	v_pk_min_f16 v99, v39, v38
	v_pk_min_f16 v96, v41, v40
	;; [unrolled: 1-line block ×3, first 2 shown]
	v_pk_add_f16 v38, v11, v43
	v_pk_min_f16 v39, 0x7c00, v69 op_sel_hi:[0,1]
	v_pk_add_f16 v40, v13, v43
	v_pk_min_f16 v41, 0x7c00, v70 op_sel_hi:[0,1]
	v_pk_add_f16 v46, v3, v43
	v_pk_add_f16 v43, v5, v43
	v_pk_min_f16 v42, 0x7c00, v42 op_sel_hi:[0,1]
	v_pk_min_f16 v92, v8, v4
	v_pk_add_f16 v4, v19, v45
	v_pk_min_f16 v8, 0x7c00, v73 op_sel_hi:[0,1]
	v_pk_min_f16 v52, 0x7c00, v71 op_sel_hi:[0,1]
	v_pk_min_f16 v102, v39, v38
	v_pk_min_f16 v101, v41, v40
	;; [unrolled: 1-line block ×3, first 2 shown]
	v_pk_add_f16 v38, v21, v45
	v_pk_min_f16 v39, 0x7c00, v74 op_sel_hi:[0,1]
	v_pk_add_f16 v40, v15, v45
	v_pk_min_f16 v41, 0x7c00, v75 op_sel_hi:[0,1]
	;; [unrolled: 2-line block ×3, first 2 shown]
	v_pk_min_f16 v94, v8, v4
	v_pk_add_f16 v4, v13, v45
	v_pk_min_f16 v8, 0x7c00, v80 op_sel_hi:[0,1]
	v_pk_min_f16 v97, v52, v46
	v_pk_add_f16 v46, v11, v45
	v_pk_min_f16 v91, v39, v38
	v_pk_min_f16 v89, v41, v40
	;; [unrolled: 1-line block ×3, first 2 shown]
	v_pk_add_f16 v38, v3, v45
	v_pk_min_f16 v39, 0x7c00, v81 op_sel_hi:[0,1]
	v_pk_add_f16 v40, v5, v45
	v_pk_min_f16 v41, 0x7c00, v44 op_sel_hi:[0,1]
	v_pk_add_f16 v42, v19, v49
	v_pk_min_f16 v43, 0x7c00, v82 op_sel_hi:[0,1]
	v_pk_add_f16 v44, v21, v49
	v_pk_min_f16 v45, 0x7c00, v84 op_sel_hi:[0,1]
	v_pk_min_f16 v86, v8, v4
	v_pk_add_f16 v4, v15, v49
	v_pk_min_f16 v8, 0x7c00, v110 op_sel_hi:[0,1]
	v_pk_min_f16 v85, v39, v38
	v_pk_min_f16 v84, v41, v40
	v_pk_min_f16 v82, v43, v42
	v_pk_min_f16 v81, v45, v44
	v_pk_add_f16 v38, v17, v49
	v_pk_min_f16 v39, 0x7c00, v111 op_sel_hi:[0,1]
	v_pk_add_f16 v40, v11, v49
	v_pk_min_f16 v41, 0x7c00, v112 op_sel_hi:[0,1]
	v_pk_add_f16 v42, v13, v49
	v_pk_min_f16 v43, 0x7c00, v113 op_sel_hi:[0,1]
	v_pk_add_f16 v44, v3, v49
	v_pk_min_f16 v45, 0x7c00, v114 op_sel_hi:[0,1]
	v_pk_min_f16 v80, v8, v4
	v_pk_add_f16 v4, v5, v49
	v_pk_min_f16 v8, 0x7c00, v48 op_sel_hi:[0,1]
	v_pk_min_f16 v52, 0x7c00, v79 op_sel_hi:[0,1]
	v_pk_min_f16 v79, v39, v38
	v_pk_min_f16 v78, v41, v40
	v_pk_min_f16 v75, v43, v42
	v_pk_min_f16 v73, v45, v44
	v_pk_add_f16 v38, v19, v51
	v_pk_min_f16 v39, 0x7c00, v115 op_sel_hi:[0,1]
	v_pk_add_f16 v40, v21, v51
	v_pk_min_f16 v41, 0x7c00, v122 op_sel_hi:[0,1]
	v_pk_add_f16 v42, v15, v51
	v_pk_min_f16 v43, 0x7c00, v123 op_sel_hi:[0,1]
	v_pk_add_f16 v44, v17, v51
	v_pk_min_f16 v45, 0x7c00, v124 op_sel_hi:[0,1]
	v_pk_min_f16 v74, v8, v4
	v_pk_add_f16 v4, v11, v51
	v_pk_min_f16 v8, 0x7c00, v125 op_sel_hi:[0,1]
	;; [unrolled: 16-line block ×3, first 2 shown]
	v_pk_min_f16 v56, 0x7c00, v63 op_sel_hi:[0,1]
	v_pk_min_f16 v66, v39, v38
	v_pk_min_f16 v65, v41, v40
	v_pk_min_f16 v63, v43, v42
	v_pk_min_f16 v61, v45, v44
	v_pk_add_f16 v38, v15, v7
	v_pk_add_f16 v40, v17, v7
	;; [unrolled: 1-line block ×4, first 2 shown]
	v_pk_min_f16 v59, v8, v4
	v_pk_add_f16 v4, v3, v7
	v_pk_min_f16 v8, 0x7c00, v134 op_sel_hi:[0,1]
	v_pk_add_f16 v7, v5, v7
	v_pk_min_f16 v6, 0x7c00, v6 op_sel_hi:[0,1]
	v_pk_min_f16 v90, v54, v53
	v_pk_min_f16 v39, 0x7c00, v130 op_sel_hi:[0,1]
	v_pk_min_f16 v41, 0x7c00, v131 op_sel_hi:[0,1]
	;; [unrolled: 1-line block ×4, first 2 shown]
	v_pk_add_f16 v19, v19, v9
	v_pk_min_f16 v18, 0x7c00, v18 op_sel_hi:[0,1]
	v_pk_add_f16 v21, v21, v9
	v_pk_min_f16 v20, 0x7c00, v20 op_sel_hi:[0,1]
	;; [unrolled: 2-line block ×3, first 2 shown]
	v_pk_min_f16 v51, v8, v4
	v_pk_min_f16 v53, v6, v7
	v_pk_add_f16 v4, v17, v9
	v_pk_min_f16 v6, 0x7c00, v16 op_sel_hi:[0,1]
	v_pk_add_f16 v7, v11, v9
	v_pk_min_f16 v8, 0x7c00, v10 op_sel_hi:[0,1]
	;; [unrolled: 2-line block ×5, first 2 shown]
	v_pk_min_f16 v100, v56, v55
	v_pk_min_f16 v87, v52, v46
	;; [unrolled: 1-line block ×14, first 2 shown]
	s_cbranch_scc1 .LBB281_58
; %bb.32:
	v_mad_i64_i32 v[2:3], null, s27, v30, 0
	v_add_nc_u32_e32 v110, 0x1000, v37
	v_add_nc_u32_e32 v112, 0x1200, v37
	v_lshlrev_b64 v[37:38], 1, v[22:23]
	v_lshlrev_b64 v[39:40], 1, v[24:25]
	;; [unrolled: 1-line block ×5, first 2 shown]
	v_or_b32_e32 v111, 0x1000, v77
	v_add_nc_u32_e32 v113, 0x800, v83
	v_lshl_add_u32 v114, v0, 3, 0x1200
	v_lshl_or_b32 v115, v1, 3, 0x800
	s_mov_b32 s27, 0
	v_add_co_u32 v2, s6, v2, v34
	v_add_co_ci_u32_e64 v3, null, 0, v3, s6
	v_add_co_u32 v2, s6, s20, v2
	v_add_co_ci_u32_e64 v3, null, s21, v3, s6
	s_add_i32 s20, s14, -8
	v_add_co_u32 v45, s6, v2, 16
	v_add_co_ci_u32_e64 v46, null, 0, v3, s6
	s_add_i32 s21, s14, -1
	s_branch .LBB281_34
.LBB281_33:                             ;   in Loop: Header=BB281_34 Depth=1
	s_or_b32 exec_lo, exec_lo, s8
	v_pk_add_f16 v6, v7, v33
	v_pk_max_f16 v15, v121, v121
	v_pk_add_f16 v16, v9, v33
	v_pk_max_f16 v120, v120, v120
	;; [unrolled: 2-line block ×3, first 2 shown]
	v_pk_min_f16 v139, v15, v6
	v_pk_max_f16 v6, v119, v119
	v_pk_add_f16 v15, v4, v33
	v_pk_add_f16 v119, v25, v33
	v_pk_max_f16 v117, v117, v117
	v_pk_add_f16 v127, v27, v33
	v_pk_max_f16 v116, v116, v116
	v_pk_min_f16 v146, v120, v16
	v_pk_min_f16 v128, v6, v121
	;; [unrolled: 1-line block ×4, first 2 shown]
	v_pk_add_f16 v6, v17, v33
	v_pk_max_f16 v15, v109, v109
	v_pk_add_f16 v16, v19, v33
	v_pk_max_f16 v33, v108, v108
	;; [unrolled: 2-line block ×3, first 2 shown]
	v_pk_min_f16 v131, v116, v127
	v_pk_add_f16 v108, v7, v35
	v_pk_max_f16 v109, v107, v107
	v_pk_add_f16 v116, v9, v35
	v_pk_min_f16 v148, v15, v6
	v_pk_min_f16 v107, v33, v16
	;; [unrolled: 1-line block ×3, first 2 shown]
	v_pk_add_f16 v6, v4, v35
	v_pk_max_f16 v15, v104, v104
	v_pk_add_f16 v16, v25, v35
	v_pk_max_f16 v33, v103, v103
	v_pk_add_f16 v103, v27, v35
	v_pk_add_f16 v105, v17, v35
	;; [unrolled: 1-line block ×3, first 2 shown]
	v_pk_max_f16 v99, v99, v99
	v_pk_max_f16 v104, v100, v100
	v_pk_min_f16 v149, v15, v6
	v_pk_min_f16 v100, v33, v16
	v_pk_add_f16 v6, v7, v29
	v_pk_min_f16 v141, v99, v35
	v_pk_max_f16 v15, v96, v96
	v_pk_add_f16 v16, v9, v29
	v_pk_max_f16 v33, v93, v93
	v_pk_add_f16 v35, v2, v29
	;; [unrolled: 2-line block ×3, first 2 shown]
	v_pk_add_f16 v96, v25, v29
	v_pk_min_f16 v143, v15, v6
	v_pk_min_f16 v134, v33, v16
	;; [unrolled: 1-line block ×3, first 2 shown]
	v_pk_add_f16 v6, v27, v29
	v_pk_max_f16 v15, v101, v101
	v_pk_add_f16 v16, v17, v29
	v_pk_max_f16 v33, v97, v97
	;; [unrolled: 2-line block ×3, first 2 shown]
	v_pk_max_f16 v106, v106, v106
	v_pk_max_f16 v92, v92, v92
	v_pk_min_f16 v142, v15, v6
	v_pk_min_f16 v119, v33, v16
	;; [unrolled: 1-line block ×3, first 2 shown]
	v_pk_add_f16 v6, v2, v31
	v_pk_max_f16 v15, v89, v89
	v_pk_add_f16 v16, v4, v31
	v_pk_max_f16 v29, v88, v88
	;; [unrolled: 2-line block ×3, first 2 shown]
	v_pk_min_f16 v108, v109, v108
	v_pk_min_f16 v144, v106, v116
	v_pk_max_f16 v98, v98, v98
	v_pk_min_f16 v136, v92, v93
	v_pk_add_f16 v90, v7, v31
	v_pk_add_f16 v93, v9, v31
	;; [unrolled: 1-line block ×4, first 2 shown]
	v_pk_min_f16 v138, v15, v6
	v_pk_min_f16 v109, v29, v16
	;; [unrolled: 1-line block ×3, first 2 shown]
	v_pk_add_f16 v6, v19, v31
	v_pk_max_f16 v15, v84, v84
	v_pk_add_f16 v16, v7, v11
	v_pk_max_f16 v29, v82, v82
	;; [unrolled: 2-line block ×4, first 2 shown]
	v_pk_min_f16 v127, v104, v103
	v_pk_min_f16 v140, v98, v105
	v_pk_max_f16 v98, v102, v102
	v_pk_add_f16 v81, v4, v11
	v_pk_max_f16 v82, v79, v79
	v_pk_min_f16 v133, v15, v6
	v_pk_min_f16 v79, v29, v16
	;; [unrolled: 1-line block ×4, first 2 shown]
	v_pk_add_f16 v6, v25, v11
	v_pk_max_f16 v15, v78, v78
	v_pk_add_f16 v16, v27, v11
	v_pk_max_f16 v29, v75, v75
	v_pk_add_f16 v31, v17, v11
	v_pk_add_f16 v11, v19, v11
	v_pk_max_f16 v35, v74, v74
	v_pk_max_f16 v33, v73, v73
	v_pk_min_f16 v106, v15, v6
	v_pk_min_f16 v95, v29, v16
	v_pk_add_f16 v6, v9, v13
	v_pk_min_f16 v97, v35, v11
	v_pk_max_f16 v11, v70, v70
	v_pk_add_f16 v15, v2, v13
	v_pk_max_f16 v16, v69, v69
	v_pk_min_f16 v137, v98, v96
	v_pk_max_f16 v92, v94, v94
	v_pk_max_f16 v91, v91, v91
	v_pk_add_f16 v73, v7, v13
	v_pk_min_f16 v96, v33, v31
	v_pk_add_f16 v29, v4, v13
	v_pk_max_f16 v31, v68, v68
	v_pk_add_f16 v35, v25, v13
	v_pk_max_f16 v67, v67, v67
	v_pk_add_f16 v68, v27, v13
	v_pk_min_f16 v105, v11, v6
	v_pk_min_f16 v33, v16, v15
	v_pk_add_f16 v6, v17, v13
	v_pk_max_f16 v11, v65, v65
	v_pk_add_f16 v13, v19, v13
	v_pk_max_f16 v15, v63, v63
	v_pk_min_f16 v121, v92, v90
	v_pk_min_f16 v132, v91, v93
	v_pk_max_f16 v85, v85, v85
	v_pk_min_f16 v92, v31, v29
	v_pk_min_f16 v93, v67, v35
	v_pk_add_f16 v29, v7, v21
	v_pk_max_f16 v31, v61, v61
	v_pk_add_f16 v35, v9, v21
	v_pk_add_f16 v61, v2, v21
	v_pk_min_f16 v99, v11, v6
	v_pk_min_f16 v16, v15, v13
	v_pk_add_f16 v6, v4, v21
	v_pk_max_f16 v11, v55, v55
	v_pk_add_f16 v13, v25, v21
	v_pk_max_f16 v15, v54, v54
	v_pk_add_f16 v54, v27, v21
	v_pk_add_f16 v55, v17, v21
	v_pk_max_f16 v51, v51, v51
	v_pk_add_f16 v21, v19, v21
	v_pk_max_f16 v53, v53, v53
	v_pk_min_f16 v118, v85, v88
	v_pk_max_f16 v52, v52, v52
	v_pk_min_f16 v88, v11, v6
	v_pk_min_f16 v6, v15, v13
	;; [unrolled: 1-line block ×4, first 2 shown]
	v_pk_add_f16 v7, v7, v23
	v_pk_max_f16 v21, v50, v50
	v_pk_add_f16 v9, v9, v23
	v_pk_max_f16 v49, v49, v49
	;; [unrolled: 2-line block ×3, first 2 shown]
	v_pk_min_f16 v11, v52, v54
	v_pk_add_f16 v50, v2, v23
	v_pk_max_f16 v48, v48, v48
	v_pk_add_f16 v52, v25, v23
	v_pk_min_f16 v2, v21, v7
	v_pk_min_f16 v49, v49, v9
	;; [unrolled: 1-line block ×3, first 2 shown]
	v_pk_add_f16 v4, v27, v23
	v_pk_max_f16 v7, v60, v60
	v_pk_add_f16 v9, v17, v23
	v_pk_max_f16 v17, v58, v58
	v_pk_min_f16 v84, v48, v50
	v_pk_add_f16 v27, v8, v34
	v_pk_add_f16 v48, v10, v34
	v_pk_min_f16 v150, v7, v4
	v_pk_min_f16 v151, v17, v9
	v_pk_add_f16 v4, v3, v34
	v_pk_add_f16 v7, v5, v34
	;; [unrolled: 1-line block ×3, first 2 shown]
	v_pk_min_f16 v152, v139, v27
	v_pk_min_f16 v153, v146, v48
	;; [unrolled: 1-line block ×5, first 2 shown]
	v_pk_add_f16 v4, v20, v34
	v_pk_add_f16 v7, v8, v36
	;; [unrolled: 1-line block ×4, first 2 shown]
	v_pk_max_f16 v23, v56, v56
	v_pk_add_f16 v17, v28, v34
	v_pk_min_f16 v129, v107, v4
	v_pk_min_f16 v108, v108, v7
	;; [unrolled: 1-line block ×3, first 2 shown]
	v_pk_add_f16 v4, v26, v36
	v_pk_add_f16 v7, v28, v36
	;; [unrolled: 1-line block ×3, first 2 shown]
	v_pk_max_f16 v86, v86, v86
	v_pk_min_f16 v19, v23, v19
	v_pk_add_f16 v23, v18, v34
	v_pk_min_f16 v131, v131, v17
	v_pk_add_f16 v17, v3, v36
	v_pk_min_f16 v128, v100, v4
	v_pk_min_f16 v127, v127, v7
	v_pk_min_f16 v100, v140, v9
	v_pk_add_f16 v4, v10, v30
	v_pk_add_f16 v7, v3, v30
	;; [unrolled: 1-line block ×3, first 2 shown]
	v_pk_min_f16 v117, v86, v87
	v_pk_min_f16 v130, v148, v23
	v_pk_add_f16 v23, v5, v36
	v_pk_min_f16 v101, v145, v17
	v_pk_add_f16 v17, v20, v36
	v_pk_min_f16 v91, v134, v4
	v_pk_min_f16 v86, v135, v7
	;; [unrolled: 1-line block ×3, first 2 shown]
	v_pk_add_f16 v4, v18, v30
	v_pk_add_f16 v7, v20, v30
	;; [unrolled: 1-line block ×3, first 2 shown]
	v_pk_min_f16 v104, v82, v81
	v_pk_max_f16 v71, v71, v71
	v_pk_min_f16 v90, v149, v23
	v_pk_add_f16 v23, v8, v30
	v_pk_min_f16 v89, v141, v17
	v_pk_add_f16 v17, v26, v30
	v_pk_add_f16 v27, v28, v30
	v_pk_min_f16 v81, v119, v4
	v_pk_min_f16 v80, v120, v7
	;; [unrolled: 1-line block ×3, first 2 shown]
	v_pk_add_f16 v4, v5, v32
	v_pk_add_f16 v7, v26, v32
	;; [unrolled: 1-line block ×3, first 2 shown]
	v_pk_min_f16 v98, v71, v73
	v_pk_min_f16 v87, v143, v23
	;; [unrolled: 1-line block ×4, first 2 shown]
	v_pk_add_f16 v17, v10, v32
	v_pk_add_f16 v27, v3, v32
	v_pk_min_f16 v74, v109, v4
	v_pk_min_f16 v71, v116, v7
	;; [unrolled: 1-line block ×3, first 2 shown]
	v_pk_add_f16 v4, v8, v12
	v_pk_add_f16 v7, v10, v12
	;; [unrolled: 1-line block ×3, first 2 shown]
	v_pk_max_f16 v66, v66, v66
	v_pk_max_f16 v59, v59, v59
	;; [unrolled: 1-line block ×3, first 2 shown]
	v_pk_min_f16 v75, v132, v17
	v_pk_min_f16 v73, v138, v27
	v_pk_add_f16 v17, v18, v32
	v_pk_add_f16 v27, v20, v32
	v_pk_min_f16 v79, v79, v4
	v_pk_min_f16 v69, v102, v7
	;; [unrolled: 1-line block ×3, first 2 shown]
	v_pk_add_f16 v4, v28, v12
	v_pk_add_f16 v7, v18, v12
	;; [unrolled: 1-line block ×3, first 2 shown]
	v_pk_min_f16 v94, v66, v68
	v_pk_min_f16 v29, v31, v29
	;; [unrolled: 1-line block ×4, first 2 shown]
	v_pk_max_f16 v53, v62, v62
	v_pk_min_f16 v68, v118, v17
	v_pk_min_f16 v66, v133, v27
	v_pk_add_f16 v17, v5, v12
	v_pk_add_f16 v27, v26, v12
	;; [unrolled: 1-line block ×3, first 2 shown]
	v_pk_min_f16 v65, v95, v4
	v_pk_min_f16 v62, v96, v7
	;; [unrolled: 1-line block ×3, first 2 shown]
	v_pk_add_f16 v4, v3, v14
	v_pk_add_f16 v7, v5, v14
	;; [unrolled: 1-line block ×3, first 2 shown]
	v_pk_min_f16 v21, v53, v52
	v_pk_min_f16 v64, v104, v17
	v_pk_add_f16 v17, v10, v14
	v_pk_min_f16 v59, v98, v12
	v_pk_add_f16 v12, v28, v14
	v_pk_min_f16 v55, v33, v4
	v_pk_min_f16 v54, v92, v7
	;; [unrolled: 1-line block ×3, first 2 shown]
	v_pk_add_f16 v4, v20, v14
	v_pk_add_f16 v7, v8, v22
	;; [unrolled: 1-line block ×3, first 2 shown]
	v_pk_min_f16 v57, v105, v17
	v_pk_add_f16 v17, v18, v14
	v_pk_min_f16 v52, v94, v12
	v_pk_add_f16 v12, v3, v22
	v_pk_min_f16 v51, v16, v4
	v_pk_min_f16 v34, v29, v7
	;; [unrolled: 1-line block ×3, first 2 shown]
	v_pk_add_f16 v4, v26, v22
	v_pk_add_f16 v7, v28, v22
	;; [unrolled: 1-line block ×4, first 2 shown]
	v_pk_min_f16 v50, v99, v17
	v_pk_min_f16 v29, v35, v12
	;; [unrolled: 1-line block ×6, first 2 shown]
	ds_read2_b64 v[6:9], v111 offset1:8
	ds_read2_b64 v[96:99], v76 offset1:32
	v_pk_add_f16 v14, v5, v22
	v_pk_add_f16 v12, v20, v22
	v_pk_min_f16 v63, v106, v27
	v_pk_add_f16 v22, v10, v24
	v_pk_add_f16 v32, v3, v24
	v_pk_min_f16 v27, v88, v14
	v_pk_min_f16 v31, v15, v12
	ds_read2_b64 v[14:17], v111 offset0:16 offset1:24
	ds_read2_b64 v[10:13], v111 offset0:32 offset1:40
	v_pk_add_f16 v56, v5, v24
	ds_read2_b64 v[2:5], v111 offset0:48 offset1:56
	v_pk_min_f16 v60, v49, v22
	v_pk_add_f16 v22, v26, v24
	v_pk_min_f16 v49, v84, v32
	v_pk_max_f16 v84, v152, v152
	v_pk_add_f16 v26, v28, v24
	v_pk_add_f16 v18, v18, v24
	v_pk_min_f16 v58, v21, v22
	v_pk_add_f16 v20, v20, v24
	s_waitcnt lgkmcnt(3)
	v_pk_add_f16 v22, v6, v96
	v_pk_add_f16 v24, v8, v96
	v_pk_max_f16 v94, v153, v153
	v_pk_add_f16 v95, v7, v97
	v_pk_min_f16 v56, v25, v56
	v_pk_min_f16 v22, v84, v22
	v_pk_add_f16 v103, v6, v98
	v_pk_add_f16 v104, v8, v98
	s_waitcnt lgkmcnt(2)
	v_pk_add_f16 v25, v14, v96
	v_pk_add_f16 v105, v14, v98
	;; [unrolled: 1-line block ×3, first 2 shown]
	s_waitcnt lgkmcnt(1)
	v_pk_add_f16 v141, v10, v98
	v_pk_add_f16 v142, v12, v98
	s_waitcnt lgkmcnt(0)
	v_pk_add_f16 v143, v2, v98
	v_pk_add_f16 v144, v4, v98
	;; [unrolled: 1-line block ×3, first 2 shown]
	v_pk_min_f16 v24, v94, v24
	v_pk_min_f16 v121, v22, v95
	v_pk_max_f16 v22, v147, v147
	v_pk_add_f16 v88, v16, v96
	v_pk_add_f16 v92, v10, v96
	v_pk_min_f16 v120, v24, v98
	v_pk_max_f16 v24, v146, v146
	v_pk_add_f16 v95, v15, v97
	v_pk_min_f16 v22, v22, v25
	v_pk_max_f16 v25, v139, v139
	v_pk_add_f16 v93, v12, v96
	v_pk_min_f16 v24, v24, v88
	v_pk_add_f16 v88, v17, v97
	v_pk_min_f16 v119, v22, v95
	;; [unrolled: 2-line block ×4, first 2 shown]
	v_pk_max_f16 v24, v131, v131
	v_pk_add_f16 v96, v4, v96
	v_pk_min_f16 v117, v25, v22
	v_pk_max_f16 v22, v130, v130
	v_pk_add_f16 v25, v13, v97
	v_pk_min_f16 v24, v24, v93
	;; [unrolled: 3-line block ×3, first 2 shown]
	ds_read2_b64 v[135:138], v76 offset0:64 offset1:96
	v_pk_min_f16 v116, v24, v25
	v_pk_add_f16 v24, v5, v97
	v_pk_min_f16 v25, v92, v96
	v_pk_min_f16 v109, v22, v93
	v_pk_max_f16 v22, v108, v108
	v_pk_max_f16 v92, v101, v101
	v_pk_add_f16 v93, v9, v99
	v_pk_min_f16 v108, v25, v24
	v_pk_add_f16 v25, v7, v99
	v_pk_min_f16 v22, v22, v103
	v_pk_max_f16 v24, v107, v107
	v_pk_min_f16 v28, v150, v26
	v_pk_min_f16 v32, v151, v18
	v_pk_min_f16 v26, v19, v20
	v_pk_min_f16 v107, v22, v25
	v_pk_add_f16 v22, v15, v99
	v_pk_min_f16 v25, v92, v105
	v_pk_min_f16 v24, v24, v104
	ds_read2_b64 v[18:21], v76 offset0:128 offset1:160
	v_pk_add_f16 v96, v13, v99
	s_waitcnt lgkmcnt(1)
	v_pk_add_f16 v148, v8, v135
	v_pk_min_f16 v105, v25, v22
	v_pk_max_f16 v22, v128, v128
	v_pk_min_f16 v106, v24, v93
	v_pk_max_f16 v24, v90, v90
	v_pk_max_f16 v25, v127, v127
	v_pk_add_f16 v93, v11, v99
	v_pk_min_f16 v22, v22, v141
	v_pk_add_f16 v90, v17, v99
	v_pk_min_f16 v24, v24, v140
	v_pk_min_f16 v25, v25, v142
	v_pk_add_f16 v149, v14, v135
	v_pk_min_f16 v103, v22, v93
	v_pk_max_f16 v22, v89, v89
	v_pk_max_f16 v92, v100, v100
	v_pk_min_f16 v104, v24, v90
	v_pk_min_f16 v100, v25, v96
	v_pk_add_f16 v24, v5, v99
	v_pk_max_f16 v25, v87, v87
	v_pk_min_f16 v22, v22, v144
	v_pk_max_f16 v87, v91, v91
	v_pk_max_f16 v86, v86, v86
	v_pk_add_f16 v145, v6, v135
	v_pk_add_f16 v150, v16, v135
	;; [unrolled: 1-line block ×9, first 2 shown]
	v_pk_min_f16 v87, v87, v148
	v_pk_add_f16 v91, v15, v136
	v_pk_min_f16 v86, v86, v149
	v_pk_min_f16 v99, v22, v24
	v_pk_max_f16 v22, v85, v85
	v_pk_max_f16 v70, v70, v70
	v_pk_add_f16 v134, v2, v137
	v_pk_add_f16 v133, v4, v137
	v_pk_min_f16 v92, v92, v143
	v_pk_min_f16 v93, v87, v90
	;; [unrolled: 1-line block ×3, first 2 shown]
	v_pk_add_f16 v85, v17, v136
	v_pk_min_f16 v86, v22, v150
	v_pk_add_f16 v141, v13, v138
	v_pk_min_f16 v70, v70, v135
	v_pk_max_f16 v68, v68, v68
	v_pk_max_f16 v66, v66, v66
	v_pk_add_f16 v88, v6, v137
	v_pk_add_f16 v130, v8, v137
	;; [unrolled: 1-line block ×5, first 2 shown]
	v_pk_min_f16 v98, v92, v97
	v_pk_add_f16 v89, v7, v136
	v_pk_add_f16 v87, v11, v136
	;; [unrolled: 1-line block ×12, first 2 shown]
	s_waitcnt lgkmcnt(0)
	v_pk_add_f16 v143, v6, v18
	v_pk_min_f16 v92, v86, v85
	v_pk_max_f16 v82, v82, v82
	v_pk_min_f16 v86, v70, v141
	v_pk_min_f16 v68, v68, v134
	v_pk_max_f16 v70, v79, v79
	v_pk_min_f16 v66, v66, v133
	v_pk_min_f16 v25, v25, v145
	v_pk_add_f16 v144, v8, v18
	v_pk_max_f16 v81, v81, v81
	v_pk_min_f16 v82, v82, v84
	v_pk_min_f16 v85, v68, v142
	v_pk_add_f16 v68, v7, v19
	v_pk_min_f16 v70, v70, v143
	v_pk_min_f16 v84, v66, v138
	v_pk_max_f16 v66, v69, v69
	v_pk_min_f16 v96, v25, v89
	v_pk_max_f16 v89, v23, v23
	ds_read2_b64 v[22:25], v76 offset0:192 offset1:224
	v_pk_add_f16 v146, v16, v18
	v_pk_min_f16 v81, v81, v94
	v_pk_min_f16 v101, v82, v91
	;; [unrolled: 1-line block ×3, first 2 shown]
	v_pk_add_f16 v68, v9, v19
	v_pk_min_f16 v66, v66, v144
	v_pk_max_f16 v64, v64, v64
	v_pk_min_f16 v97, v81, v97
	v_pk_max_f16 v73, v73, v73
	v_pk_min_f16 v89, v89, v151
	v_pk_min_f16 v81, v66, v68
	v_pk_add_f16 v66, v17, v19
	v_pk_min_f16 v64, v64, v146
	v_pk_max_f16 v80, v80, v80
	v_pk_add_f16 v148, v12, v18
	v_pk_max_f16 v78, v78, v78
	v_pk_max_f16 v75, v75, v75
	v_pk_min_f16 v73, v73, v131
	v_pk_max_f16 v74, v74, v74
	v_pk_max_f16 v71, v71, v71
	v_pk_min_f16 v79, v64, v66
	v_pk_max_f16 v64, v65, v65
	v_pk_min_f16 v102, v89, v87
	v_pk_add_f16 v147, v10, v18
	v_pk_min_f16 v80, v80, v95
	v_pk_min_f16 v78, v78, v88
	;; [unrolled: 1-line block ×6, first 2 shown]
	v_pk_max_f16 v63, v63, v63
	v_pk_min_f16 v64, v64, v148
	v_pk_add_f16 v66, v13, v19
	v_pk_add_f16 v145, v14, v18
	;; [unrolled: 1-line block ×4, first 2 shown]
	v_pk_min_f16 v95, v80, v127
	v_pk_add_f16 v127, v6, v20
	v_pk_add_f16 v150, v8, v20
	;; [unrolled: 1-line block ×3, first 2 shown]
	v_pk_min_f16 v94, v78, v128
	v_pk_add_f16 v128, v16, v20
	v_pk_add_f16 v131, v10, v20
	v_pk_min_f16 v91, v75, v136
	v_pk_add_f16 v136, v12, v20
	v_pk_add_f16 v137, v2, v20
	;; [unrolled: 1-line block ×3, first 2 shown]
	s_waitcnt lgkmcnt(0)
	v_pk_add_f16 v129, v6, v22
	v_pk_min_f16 v88, v73, v139
	v_pk_add_f16 v132, v8, v22
	v_pk_add_f16 v135, v14, v22
	v_pk_min_f16 v87, v71, v140
	v_pk_add_f16 v139, v16, v22
	v_pk_add_f16 v140, v10, v22
	;; [unrolled: 1-line block ×6, first 2 shown]
	v_pk_min_f16 v63, v63, v147
	v_pk_min_f16 v75, v64, v66
	v_pk_max_f16 v61, v61, v61
	v_pk_add_f16 v64, v2, v24
	v_pk_add_f16 v2, v4, v24
	v_pk_max_f16 v4, v59, v59
	v_pk_add_f16 v6, v6, v24
	v_pk_add_f16 v8, v8, v24
	;; [unrolled: 1-line block ×6, first 2 shown]
	v_pk_min_f16 v78, v63, v65
	v_pk_add_f16 v63, v3, v19
	v_pk_add_f16 v12, v12, v24
	v_pk_min_f16 v18, v61, v18
	v_pk_max_f16 v24, v57, v57
	v_pk_add_f16 v19, v5, v19
	v_pk_min_f16 v4, v4, v127
	v_pk_add_f16 v57, v7, v21
	v_pk_max_f16 v67, v67, v67
	v_pk_min_f16 v24, v24, v150
	v_pk_add_f16 v59, v9, v21
	v_pk_min_f16 v74, v18, v19
	v_pk_min_f16 v71, v4, v57
	v_pk_max_f16 v4, v54, v54
	v_pk_max_f16 v19, v53, v53
	v_pk_min_f16 v67, v67, v145
	v_pk_min_f16 v70, v24, v59
	v_pk_add_f16 v18, v17, v21
	v_pk_min_f16 v4, v4, v128
	v_pk_max_f16 v24, v52, v52
	v_pk_add_f16 v52, v11, v21
	v_pk_min_f16 v19, v19, v131
	v_pk_min_f16 v80, v67, v69
	v_pk_max_f16 v55, v55, v55
	v_pk_min_f16 v68, v4, v18
	v_pk_max_f16 v4, v51, v51
	;; [unrolled: 2-line block ×3, first 2 shown]
	v_pk_max_f16 v62, v62, v62
	v_pk_min_f16 v55, v55, v130
	v_pk_add_f16 v61, v15, v21
	v_pk_add_f16 v53, v13, v21
	v_pk_min_f16 v24, v24, v136
	v_pk_add_f16 v54, v3, v21
	v_pk_add_f16 v18, v5, v21
	v_pk_min_f16 v4, v4, v20
	v_pk_max_f16 v20, v33, v33
	v_pk_add_f16 v21, v7, v23
	v_pk_min_f16 v19, v19, v129
	v_pk_min_f16 v62, v62, v149
	;; [unrolled: 1-line block ×3, first 2 shown]
	v_pk_max_f16 v50, v50, v50
	v_pk_min_f16 v66, v24, v53
	v_pk_max_f16 v24, v29, v29
	v_pk_add_f16 v29, v9, v23
	v_pk_min_f16 v20, v20, v132
	v_pk_min_f16 v61, v19, v21
	v_pk_max_f16 v19, v48, v48
	v_pk_min_f16 v73, v62, v63
	v_pk_min_f16 v50, v50, v137
	;; [unrolled: 1-line block ×3, first 2 shown]
	v_pk_max_f16 v4, v27, v27
	v_pk_min_f16 v59, v20, v29
	v_pk_max_f16 v20, v36, v36
	v_pk_add_f16 v21, v11, v23
	v_pk_min_f16 v19, v19, v140
	v_pk_min_f16 v65, v50, v54
	v_pk_add_f16 v18, v17, v23
	v_pk_min_f16 v4, v4, v139
	v_pk_add_f16 v27, v13, v23
	v_pk_min_f16 v20, v20, v134
	v_pk_min_f16 v54, v19, v21
	v_pk_max_f16 v19, v30, v30
	v_pk_min_f16 v55, v4, v18
	v_pk_max_f16 v4, v31, v31
	;; [unrolled: 2-line block ×3, first 2 shown]
	v_pk_add_f16 v7, v7, v25
	v_pk_min_f16 v6, v19, v6
	v_pk_add_f16 v33, v15, v23
	v_pk_min_f16 v24, v24, v135
	;; [unrolled: 2-line block ×4, first 2 shown]
	v_pk_min_f16 v50, v6, v7
	v_pk_max_f16 v6, v58, v58
	v_pk_min_f16 v57, v24, v33
	v_pk_max_f16 v24, v35, v35
	v_pk_max_f16 v21, v49, v49
	v_pk_min_f16 v53, v4, v18
	v_pk_max_f16 v4, v56, v56
	v_pk_min_f16 v49, v8, v9
	v_pk_add_f16 v8, v11, v25
	v_pk_max_f16 v9, v28, v28
	v_pk_min_f16 v6, v6, v10
	v_pk_max_f16 v10, v32, v32
	v_pk_add_f16 v11, v13, v25
	v_pk_max_f16 v13, v26, v26
	v_pk_add_f16 v29, v3, v23
	v_pk_min_f16 v24, v24, v133
	v_pk_add_f16 v15, v15, v25
	v_pk_min_f16 v14, v21, v14
	;; [unrolled: 2-line block ×3, first 2 shown]
	v_pk_min_f16 v9, v9, v12
	v_pk_add_f16 v3, v3, v25
	v_pk_min_f16 v10, v10, v64
	v_pk_add_f16 v5, v5, v25
	v_pk_min_f16 v2, v13, v2
	v_add_co_u32 v45, s6, v45, 16
	v_pk_min_f16 v51, v24, v29
	v_pk_min_f16 v48, v14, v15
	;; [unrolled: 1-line block ×7, first 2 shown]
	v_add_co_ci_u32_e64 v46, null, 0, v46, s6
	s_add_i32 s27, s27, 8
	ds_write_b16 v112, v122
	ds_write_b16 v113, v123
	ds_write_b16 v113, v124 offset:512
	ds_write_b16 v113, v125 offset:1024
	;; [unrolled: 1-line block ×3, first 2 shown]
	s_cmp_ge_i32 s27, s20
	s_waitcnt lgkmcnt(0)
	s_barrier
	buffer_gl0_inv
	s_cbranch_scc1 .LBB281_58
.LBB281_34:                             ; =>This Inner Loop Header: Depth=1
	v_add_nc_u32_e32 v15, s27, v47
                                        ; implicit-def: $vgpr16
	v_add_nc_u32_e32 v2, 8, v15
	v_cmp_le_i32_e64 s6, s14, v2
	s_or_b32 s6, s6, vcc_lo
	s_nor_b32 s8, s25, s6
	s_and_saveexec_b32 s28, s8
	s_xor_b32 s8, exec_lo, s28
	s_cbranch_execz .LBB281_36
; %bb.35:                               ;   in Loop: Header=BB281_34 Depth=1
	global_load_ushort v2, v[45:46], off
	s_waitcnt vmcnt(0)
	v_mul_f16_e32 v16, s15, v2
.LBB281_36:                             ;   in Loop: Header=BB281_34 Depth=1
	s_andn2_saveexec_b32 s8, s8
; %bb.37:                               ;   in Loop: Header=BB281_34 Depth=1
	v_cndmask_b32_e64 v16, 0, 0x7c00, s6
; %bb.38:                               ;   in Loop: Header=BB281_34 Depth=1
	s_or_b32 exec_lo, exec_lo, s8
	v_add_nc_u32_e32 v6, s27, v72
	v_add_nc_u32_e32 v4, 8, v6
	v_min_i32_e32 v2, s21, v4
	v_cmp_le_i32_e64 s6, s14, v4
	v_mad_i64_i32 v[2:3], null, v2, s26, 0
	v_lshlrev_b64 v[2:3], 1, v[2:3]
	v_add_co_u32 v2, s8, s18, v2
	v_add_co_ci_u32_e64 v3, null, s19, v3, s8
	s_or_b32 s8, s0, s6
	v_cndmask_b32_e64 v122, 0, 0x7c00, s8
	s_nor_b32 s8, s25, s8
	s_and_saveexec_b32 s28, s8
	s_cbranch_execz .LBB281_40
; %bb.39:                               ;   in Loop: Header=BB281_34 Depth=1
	v_add_co_u32 v4, s8, v2, v37
	v_add_co_ci_u32_e64 v5, null, v3, v38, s8
	global_load_ushort v4, v[4:5], off
	s_waitcnt vmcnt(0)
	v_mul_f16_e32 v122, s15, v4
.LBB281_40:                             ;   in Loop: Header=BB281_34 Depth=1
	s_or_b32 exec_lo, exec_lo, s28
	s_or_b32 s8, s1, s6
	v_cndmask_b32_e64 v123, 0, 0x7c00, s8
	s_nor_b32 s8, s8, s25
	s_and_saveexec_b32 s28, s8
	s_cbranch_execz .LBB281_42
; %bb.41:                               ;   in Loop: Header=BB281_34 Depth=1
	v_add_co_u32 v4, s8, v2, v39
	v_add_co_ci_u32_e64 v5, null, v3, v40, s8
	global_load_ushort v4, v[4:5], off
	s_waitcnt vmcnt(0)
	v_mul_f16_e32 v123, s15, v4
.LBB281_42:                             ;   in Loop: Header=BB281_34 Depth=1
	s_or_b32 exec_lo, exec_lo, s28
	;; [unrolled: 13-line block ×4, first 2 shown]
	ds_read2_b64 v[7:10], v114 offset1:8
	ds_read2_b64 v[2:5], v114 offset0:16 offset1:24
	ds_read2_b64 v[25:28], v114 offset0:32 offset1:40
	;; [unrolled: 1-line block ×3, first 2 shown]
	ds_read2_b64 v[33:36], v115 offset1:32
	ds_read2_b64 v[29:32], v115 offset0:64 offset1:96
	ds_read2_b64 v[11:14], v115 offset0:128 offset1:160
	;; [unrolled: 1-line block ×3, first 2 shown]
	v_add_nc_u32_e32 v15, 12, v15
	ds_write_b16 v110, v16
	ds_write_b16 v83, v122
	ds_write_b16 v83, v123 offset:512
	ds_write_b16 v83, v124 offset:1024
	;; [unrolled: 1-line block ×3, first 2 shown]
	s_waitcnt lgkmcnt(0)
	s_barrier
	v_cmp_le_i32_e64 s6, s14, v15
	buffer_gl0_inv
                                        ; implicit-def: $vgpr122
	s_or_b32 s6, s6, vcc_lo
	s_nor_b32 s8, s25, s6
	s_and_saveexec_b32 s28, s8
	s_xor_b32 s8, exec_lo, s28
	s_cbranch_execz .LBB281_48
; %bb.47:                               ;   in Loop: Header=BB281_34 Depth=1
	global_load_ushort v15, v[45:46], off offset:8
	s_waitcnt vmcnt(0)
	v_mul_f16_e32 v122, s15, v15
.LBB281_48:                             ;   in Loop: Header=BB281_34 Depth=1
	s_andn2_saveexec_b32 s8, s8
; %bb.49:                               ;   in Loop: Header=BB281_34 Depth=1
	v_cndmask_b32_e64 v122, 0, 0x7c00, s6
; %bb.50:                               ;   in Loop: Header=BB281_34 Depth=1
	s_or_b32 exec_lo, exec_lo, s8
	v_add_nc_u32_e32 v6, 12, v6
	v_min_i32_e32 v15, s21, v6
	v_cmp_le_i32_e64 s6, s14, v6
	v_mad_i64_i32 v[15:16], null, v15, s26, 0
	v_lshlrev_b64 v[15:16], 1, v[15:16]
	v_add_co_u32 v6, s8, s18, v15
	v_add_co_ci_u32_e64 v15, null, s19, v16, s8
	s_or_b32 s8, s0, s6
	v_cndmask_b32_e64 v123, 0, 0x7c00, s8
	s_nor_b32 s8, s25, s8
	s_and_saveexec_b32 s28, s8
	s_cbranch_execz .LBB281_52
; %bb.51:                               ;   in Loop: Header=BB281_34 Depth=1
	v_add_co_u32 v123, s8, v6, v37
	v_add_co_ci_u32_e64 v124, null, v15, v38, s8
	global_load_ushort v16, v[123:124], off
	s_waitcnt vmcnt(0)
	v_mul_f16_e32 v123, s15, v16
.LBB281_52:                             ;   in Loop: Header=BB281_34 Depth=1
	s_or_b32 exec_lo, exec_lo, s28
	s_or_b32 s8, s1, s6
	v_cndmask_b32_e64 v124, 0, 0x7c00, s8
	s_nor_b32 s8, s8, s25
	s_and_saveexec_b32 s28, s8
	s_cbranch_execz .LBB281_54
; %bb.53:                               ;   in Loop: Header=BB281_34 Depth=1
	v_add_co_u32 v124, s8, v6, v39
	v_add_co_ci_u32_e64 v125, null, v15, v40, s8
	global_load_ushort v16, v[124:125], off
	s_waitcnt vmcnt(0)
	v_mul_f16_e32 v124, s15, v16
.LBB281_54:                             ;   in Loop: Header=BB281_34 Depth=1
	s_or_b32 exec_lo, exec_lo, s28
	;; [unrolled: 13-line block ×3, first 2 shown]
	s_or_b32 s6, s3, s6
	v_cndmask_b32_e64 v126, 0, 0x7c00, s6
	s_nor_b32 s6, s6, s25
	s_and_saveexec_b32 s8, s6
	s_cbranch_execz .LBB281_33
; %bb.57:                               ;   in Loop: Header=BB281_34 Depth=1
	v_add_co_u32 v126, s6, v6, v43
	v_add_co_ci_u32_e64 v127, null, v15, v44, s6
	global_load_ushort v6, v[126:127], off
	s_waitcnt vmcnt(0)
	v_mul_f16_e32 v126, s15, v6
	s_branch .LBB281_33
.LBB281_58:
	s_clause 0x2
	s_load_dwordx2 s[2:3], s[4:5], 0x70
	s_load_dword s15, s[4:5], 0x50
	s_load_dword s14, s[4:5], 0x68
	v_add_nc_u32_e32 v2, 0x1000, v77
	v_add_nc_u32_e32 v4, 0x800, v76
	;; [unrolled: 1-line block ×4, first 2 shown]
	ds_read2_b64 v[16:19], v2 offset0:64 offset1:72
	ds_read2_b64 v[12:15], v2 offset0:80 offset1:88
	;; [unrolled: 1-line block ×4, first 2 shown]
	ds_read2_b64 v[28:31], v4 offset1:32
	ds_read2_b64 v[24:27], v4 offset0:64 offset1:96
	ds_read2_b64 v[20:23], v4 offset0:128 offset1:160
	;; [unrolled: 1-line block ×3, first 2 shown]
	v_cndmask_b32_e64 v72, 0, 1, s23
	v_cmp_gt_i32_e64 s8, s13, v76
	v_cmp_gt_i32_e64 s0, s12, v32
	v_ashrrev_i32_e32 v33, 31, v32
	s_waitcnt lgkmcnt(0)
	s_mul_i32 s1, s3, s7
	v_mad_i64_i32 v[34:35], null, v76, s15, 0
	v_mad_i64_i32 v[36:37], null, v76, s14, 0
	s_mul_hi_u32 s3, s2, s7
	s_mul_i32 s2, s2, s7
	s_add_i32 s3, s3, s1
	s_lshl_b64 s[2:3], s[2:3], 1
	v_lshlrev_b64 v[34:35], 1, v[34:35]
	v_lshlrev_b64 v[36:37], 1, v[36:37]
	s_add_u32 s9, s10, s2
	s_addc_u32 s10, s11, s3
	s_and_b32 s2, s0, s8
	v_add_co_u32 v110, vcc_lo, s16, v34
	v_add_co_ci_u32_e64 v111, null, s17, v35, vcc_lo
	v_add_co_u32 v77, vcc_lo, s9, v36
	v_add_co_ci_u32_e64 v83, null, s10, v37, vcc_lo
	s_and_saveexec_b32 s1, s2
	s_cbranch_execz .LBB281_64
; %bb.59:
	s_andn2_b32 vcc_lo, exec_lo, s23
	s_cbranch_vccnz .LBB281_62
; %bb.60:
	v_lshlrev_b64 v[34:35], 1, v[32:33]
	v_add_co_u32 v34, vcc_lo, v110, v34
	v_add_co_ci_u32_e64 v35, null, v111, v35, vcc_lo
	global_load_ushort v34, v[34:35], off
	s_waitcnt vmcnt(0)
	v_mul_f16_e32 v34, s22, v34
	v_cvt_f32_f16_e32 v34, v34
	s_branch .LBB281_63
.LBB281_61:
	s_mov_b64 s[20:21], 0
	s_andn2_b32 vcc_lo, exec_lo, s8
	s_mov_b32 s0, -1
	s_cbranch_vccz .LBB281_2
	s_branch .LBB281_3
.LBB281_62:
	v_mov_b32_e32 v34, 0
.LBB281_63:
	v_pk_add_f16 v35, v16, v28
	v_pk_add_f16 v36, v17, v29
	v_max_f16_e32 v37, v121, v121
	v_lshrrev_b32_e32 v38, 16, v121
	v_max_f32_e32 v34, v34, v34
	v_lshrrev_b32_e32 v39, 16, v35
	v_lshrrev_b32_e32 v40, 16, v36
	v_min_f16_e32 v35, v37, v35
	v_min3_f16 v37, v38, v39, v40
	v_min3_f16 v35, v35, v36, v37
	v_cvt_f32_f16_e32 v35, v35
	v_min_f32_e32 v36, v34, v35
	v_lshlrev_b64 v[34:35], 1, v[32:33]
	v_cvt_f16_f32_e32 v36, v36
	v_add_co_u32 v34, vcc_lo, v77, v34
	v_add_co_ci_u32_e64 v35, null, v83, v35, vcc_lo
	global_store_short v[34:35], v36, off
.LBB281_64:
	s_or_b32 exec_lo, exec_lo, s1
	v_add_nc_u32_e32 v34, 8, v32
	v_cmp_gt_i32_e64 s1, s12, v34
	v_ashrrev_i32_e32 v35, 31, v34
	s_and_b32 s3, s1, s8
	s_and_saveexec_b32 s2, s3
	s_cbranch_execz .LBB281_69
; %bb.65:
	v_cmp_ne_u32_e32 vcc_lo, 1, v72
	s_cbranch_vccnz .LBB281_67
; %bb.66:
	v_lshlrev_b64 v[36:37], 1, v[34:35]
	v_add_co_u32 v36, vcc_lo, v110, v36
	v_add_co_ci_u32_e64 v37, null, v111, v37, vcc_lo
	global_load_ushort v36, v[36:37], off
	s_waitcnt vmcnt(0)
	v_mul_f16_e32 v36, s22, v36
	v_cvt_f32_f16_e32 v36, v36
	s_branch .LBB281_68
.LBB281_67:
	v_mov_b32_e32 v36, 0
.LBB281_68:
	v_pk_add_f16 v37, v18, v28
	v_pk_add_f16 v38, v19, v29
	v_max_f16_e32 v39, v120, v120
	v_lshrrev_b32_e32 v40, 16, v120
	v_max_f32_e32 v36, v36, v36
	v_lshrrev_b32_e32 v41, 16, v37
	v_lshrrev_b32_e32 v42, 16, v38
	v_min_f16_e32 v37, v39, v37
	v_min3_f16 v39, v40, v41, v42
	v_min3_f16 v37, v37, v38, v39
	v_cvt_f32_f16_e32 v37, v37
	v_min_f32_e32 v38, v36, v37
	v_lshlrev_b64 v[36:37], 1, v[34:35]
	v_cvt_f16_f32_e32 v38, v38
	v_add_co_u32 v36, vcc_lo, v77, v36
	v_add_co_ci_u32_e64 v37, null, v83, v37, vcc_lo
	global_store_short v[36:37], v38, off
.LBB281_69:
	s_or_b32 exec_lo, exec_lo, s2
	v_add_nc_u32_e32 v36, 16, v32
	v_cmp_gt_i32_e64 s2, s12, v36
	v_ashrrev_i32_e32 v37, 31, v36
	s_and_b32 s4, s2, s8
	s_and_saveexec_b32 s3, s4
	s_cbranch_execz .LBB281_74
; %bb.70:
	v_cmp_ne_u32_e32 vcc_lo, 1, v72
	s_cbranch_vccnz .LBB281_72
; %bb.71:
	v_lshlrev_b64 v[38:39], 1, v[36:37]
	v_add_co_u32 v38, vcc_lo, v110, v38
	v_add_co_ci_u32_e64 v39, null, v111, v39, vcc_lo
	global_load_ushort v38, v[38:39], off
	s_waitcnt vmcnt(0)
	v_mul_f16_e32 v38, s22, v38
	v_cvt_f32_f16_e32 v38, v38
	s_branch .LBB281_73
.LBB281_72:
	v_mov_b32_e32 v38, 0
.LBB281_73:
	v_pk_add_f16 v39, v12, v28
	v_pk_add_f16 v40, v13, v29
	v_max_f16_e32 v41, v119, v119
	v_lshrrev_b32_e32 v42, 16, v119
	v_max_f32_e32 v38, v38, v38
	v_lshrrev_b32_e32 v43, 16, v39
	v_lshrrev_b32_e32 v44, 16, v40
	v_min_f16_e32 v39, v41, v39
	v_min3_f16 v41, v42, v43, v44
	v_min3_f16 v39, v39, v40, v41
	v_cvt_f32_f16_e32 v39, v39
	v_min_f32_e32 v40, v38, v39
	v_lshlrev_b64 v[38:39], 1, v[36:37]
	v_cvt_f16_f32_e32 v40, v40
	v_add_co_u32 v38, vcc_lo, v77, v38
	v_add_co_ci_u32_e64 v39, null, v83, v39, vcc_lo
	global_store_short v[38:39], v40, off
.LBB281_74:
	;; [unrolled: 40-line block ×6, first 2 shown]
	s_or_b32 exec_lo, exec_lo, s7
	v_add_nc_u32_e32 v46, 56, v32
	v_cmp_gt_i32_e64 s7, s12, v46
	v_ashrrev_i32_e32 v47, 31, v46
	s_and_b32 s11, s7, s8
	s_and_saveexec_b32 s8, s11
	s_cbranch_execz .LBB281_99
; %bb.95:
	v_cmp_ne_u32_e32 vcc_lo, 1, v72
	s_cbranch_vccnz .LBB281_97
; %bb.96:
	v_lshlrev_b64 v[112:113], 1, v[46:47]
	v_add_co_u32 v109, vcc_lo, v110, v112
	v_add_co_ci_u32_e64 v110, null, v111, v113, vcc_lo
	global_load_ushort v109, v[109:110], off
	s_waitcnt vmcnt(0)
	v_mul_f16_e32 v109, s22, v109
	v_cvt_f32_f16_e32 v109, v109
	s_branch .LBB281_98
.LBB281_97:
	v_mov_b32_e32 v109, 0
.LBB281_98:
	v_pk_add_f16 v28, v2, v28
	v_pk_add_f16 v29, v3, v29
	v_max_f16_e32 v110, v108, v108
	v_lshrrev_b32_e32 v108, 16, v108
	v_lshrrev_b32_e32 v111, 16, v28
	;; [unrolled: 1-line block ×3, first 2 shown]
	v_min_f16_e32 v28, v110, v28
	v_min3_f16 v108, v108, v111, v112
	v_min3_f16 v28, v28, v29, v108
	v_max_f32_e32 v29, v109, v109
	v_cvt_f32_f16_e32 v28, v28
	v_min_f32_e32 v108, v29, v28
	v_lshlrev_b64 v[28:29], 1, v[46:47]
	v_cvt_f16_f32_e32 v108, v108
	v_add_co_u32 v28, vcc_lo, v77, v28
	v_add_co_ci_u32_e64 v29, null, v83, v29, vcc_lo
	global_store_short v[28:29], v108, off
.LBB281_99:
	s_or_b32 exec_lo, exec_lo, s8
	v_add_nc_u32_e32 v77, 32, v76
	v_mad_i64_i32 v[28:29], null, v77, s15, 0
	v_mad_i64_i32 v[108:109], null, v77, s14, 0
	v_cmp_gt_i32_e64 s8, s13, v77
	v_lshlrev_b64 v[28:29], 1, v[28:29]
	s_and_b32 s12, s0, s8
	v_lshlrev_b64 v[108:109], 1, v[108:109]
	v_add_co_u32 v77, vcc_lo, s16, v28
	v_add_co_ci_u32_e64 v83, null, s17, v29, vcc_lo
	v_add_co_u32 v28, vcc_lo, s9, v108
	v_add_co_ci_u32_e64 v29, null, s10, v109, vcc_lo
	s_and_saveexec_b32 s11, s12
	s_cbranch_execnz .LBB281_107
; %bb.100:
	s_or_b32 exec_lo, exec_lo, s11
	s_and_b32 s12, s1, s8
	s_and_saveexec_b32 s11, s12
	s_cbranch_execnz .LBB281_111
.LBB281_101:
	s_or_b32 exec_lo, exec_lo, s11
	s_and_b32 s12, s2, s8
	s_and_saveexec_b32 s11, s12
	s_cbranch_execnz .LBB281_115
.LBB281_102:
	s_or_b32 exec_lo, exec_lo, s11
	s_and_b32 s12, s3, s8
	s_and_saveexec_b32 s11, s12
	s_cbranch_execnz .LBB281_119
.LBB281_103:
	s_or_b32 exec_lo, exec_lo, s11
	s_and_b32 s12, s4, s8
	s_and_saveexec_b32 s11, s12
	s_cbranch_execnz .LBB281_123
.LBB281_104:
	s_or_b32 exec_lo, exec_lo, s11
	s_and_b32 s12, s5, s8
	s_and_saveexec_b32 s11, s12
	s_cbranch_execnz .LBB281_127
.LBB281_105:
	s_or_b32 exec_lo, exec_lo, s11
	s_and_b32 s12, s6, s8
	s_and_saveexec_b32 s11, s12
	s_cbranch_execnz .LBB281_131
.LBB281_106:
	s_or_b32 exec_lo, exec_lo, s11
	s_and_b32 s11, s7, s8
	s_and_saveexec_b32 s8, s11
	s_cbranch_execnz .LBB281_135
	s_branch .LBB281_139
.LBB281_107:
	v_cmp_ne_u32_e32 vcc_lo, 1, v72
	s_cbranch_vccnz .LBB281_109
; %bb.108:
	v_lshlrev_b64 v[108:109], 1, v[32:33]
	v_add_co_u32 v108, vcc_lo, v77, v108
	v_add_co_ci_u32_e64 v109, null, v83, v109, vcc_lo
	global_load_ushort v108, v[108:109], off
	s_waitcnt vmcnt(0)
	v_mul_f16_e32 v108, s22, v108
	v_cvt_f32_f16_e32 v108, v108
	s_branch .LBB281_110
.LBB281_109:
	v_mov_b32_e32 v108, 0
.LBB281_110:
	v_pk_add_f16 v109, v16, v30
	v_pk_add_f16 v110, v17, v31
	v_max_f16_e32 v111, v107, v107
	v_lshrrev_b32_e32 v107, 16, v107
	v_max_f32_e32 v108, v108, v108
	v_lshrrev_b32_e32 v112, 16, v109
	v_lshrrev_b32_e32 v113, 16, v110
	v_min_f16_e32 v109, v111, v109
	v_min3_f16 v107, v107, v112, v113
	v_min3_f16 v107, v109, v110, v107
	v_cvt_f32_f16_e32 v107, v107
	v_min_f32_e32 v109, v108, v107
	v_lshlrev_b64 v[107:108], 1, v[32:33]
	v_cvt_f16_f32_e32 v109, v109
	v_add_co_u32 v107, vcc_lo, v28, v107
	v_add_co_ci_u32_e64 v108, null, v29, v108, vcc_lo
	global_store_short v[107:108], v109, off
	s_or_b32 exec_lo, exec_lo, s11
	s_and_b32 s12, s1, s8
	s_and_saveexec_b32 s11, s12
	s_cbranch_execz .LBB281_101
.LBB281_111:
	v_cmp_ne_u32_e32 vcc_lo, 1, v72
	s_cbranch_vccnz .LBB281_113
; %bb.112:
	v_lshlrev_b64 v[107:108], 1, v[34:35]
	v_add_co_u32 v107, vcc_lo, v77, v107
	v_add_co_ci_u32_e64 v108, null, v83, v108, vcc_lo
	global_load_ushort v107, v[107:108], off
	s_waitcnt vmcnt(0)
	v_mul_f16_e32 v107, s22, v107
	v_cvt_f32_f16_e32 v107, v107
	s_branch .LBB281_114
.LBB281_113:
	v_mov_b32_e32 v107, 0
.LBB281_114:
	v_pk_add_f16 v108, v18, v30
	v_pk_add_f16 v109, v19, v31
	v_max_f16_e32 v110, v106, v106
	v_lshrrev_b32_e32 v106, 16, v106
	v_max_f32_e32 v107, v107, v107
	v_lshrrev_b32_e32 v111, 16, v108
	v_lshrrev_b32_e32 v112, 16, v109
	v_min_f16_e32 v108, v110, v108
	v_min3_f16 v106, v106, v111, v112
	v_min3_f16 v106, v108, v109, v106
	v_cvt_f32_f16_e32 v106, v106
	v_min_f32_e32 v108, v107, v106
	v_lshlrev_b64 v[106:107], 1, v[34:35]
	v_cvt_f16_f32_e32 v108, v108
	v_add_co_u32 v106, vcc_lo, v28, v106
	v_add_co_ci_u32_e64 v107, null, v29, v107, vcc_lo
	global_store_short v[106:107], v108, off
	s_or_b32 exec_lo, exec_lo, s11
	s_and_b32 s12, s2, s8
	s_and_saveexec_b32 s11, s12
	s_cbranch_execz .LBB281_102
.LBB281_115:
	v_cmp_ne_u32_e32 vcc_lo, 1, v72
	s_cbranch_vccnz .LBB281_117
; %bb.116:
	v_lshlrev_b64 v[106:107], 1, v[36:37]
	v_add_co_u32 v106, vcc_lo, v77, v106
	v_add_co_ci_u32_e64 v107, null, v83, v107, vcc_lo
	global_load_ushort v106, v[106:107], off
	s_waitcnt vmcnt(0)
	v_mul_f16_e32 v106, s22, v106
	v_cvt_f32_f16_e32 v106, v106
	s_branch .LBB281_118
.LBB281_117:
	v_mov_b32_e32 v106, 0
.LBB281_118:
	v_pk_add_f16 v107, v12, v30
	v_pk_add_f16 v108, v13, v31
	v_max_f16_e32 v109, v105, v105
	v_lshrrev_b32_e32 v105, 16, v105
	v_max_f32_e32 v106, v106, v106
	v_lshrrev_b32_e32 v110, 16, v107
	v_lshrrev_b32_e32 v111, 16, v108
	v_min_f16_e32 v107, v109, v107
	v_min3_f16 v105, v105, v110, v111
	v_min3_f16 v105, v107, v108, v105
	v_cvt_f32_f16_e32 v105, v105
	v_min_f32_e32 v107, v106, v105
	v_lshlrev_b64 v[105:106], 1, v[36:37]
	v_cvt_f16_f32_e32 v107, v107
	v_add_co_u32 v105, vcc_lo, v28, v105
	v_add_co_ci_u32_e64 v106, null, v29, v106, vcc_lo
	global_store_short v[105:106], v107, off
	s_or_b32 exec_lo, exec_lo, s11
	s_and_b32 s12, s3, s8
	s_and_saveexec_b32 s11, s12
	s_cbranch_execz .LBB281_103
.LBB281_119:
	v_cmp_ne_u32_e32 vcc_lo, 1, v72
	s_cbranch_vccnz .LBB281_121
; %bb.120:
	v_lshlrev_b64 v[105:106], 1, v[38:39]
	v_add_co_u32 v105, vcc_lo, v77, v105
	v_add_co_ci_u32_e64 v106, null, v83, v106, vcc_lo
	global_load_ushort v105, v[105:106], off
	s_waitcnt vmcnt(0)
	v_mul_f16_e32 v105, s22, v105
	v_cvt_f32_f16_e32 v105, v105
	s_branch .LBB281_122
.LBB281_121:
	v_mov_b32_e32 v105, 0
.LBB281_122:
	v_pk_add_f16 v106, v14, v30
	v_pk_add_f16 v107, v15, v31
	v_max_f16_e32 v108, v104, v104
	v_lshrrev_b32_e32 v104, 16, v104
	v_max_f32_e32 v105, v105, v105
	v_lshrrev_b32_e32 v109, 16, v106
	v_lshrrev_b32_e32 v110, 16, v107
	v_min_f16_e32 v106, v108, v106
	v_min3_f16 v104, v104, v109, v110
	v_min3_f16 v104, v106, v107, v104
	v_cvt_f32_f16_e32 v104, v104
	v_min_f32_e32 v106, v105, v104
	v_lshlrev_b64 v[104:105], 1, v[38:39]
	v_cvt_f16_f32_e32 v106, v106
	v_add_co_u32 v104, vcc_lo, v28, v104
	v_add_co_ci_u32_e64 v105, null, v29, v105, vcc_lo
	global_store_short v[104:105], v106, off
	s_or_b32 exec_lo, exec_lo, s11
	s_and_b32 s12, s4, s8
	s_and_saveexec_b32 s11, s12
	s_cbranch_execz .LBB281_104
.LBB281_123:
	v_cmp_ne_u32_e32 vcc_lo, 1, v72
	s_cbranch_vccnz .LBB281_125
; %bb.124:
	v_lshlrev_b64 v[104:105], 1, v[40:41]
	v_add_co_u32 v104, vcc_lo, v77, v104
	v_add_co_ci_u32_e64 v105, null, v83, v105, vcc_lo
	global_load_ushort v104, v[104:105], off
	s_waitcnt vmcnt(0)
	v_mul_f16_e32 v104, s22, v104
	v_cvt_f32_f16_e32 v104, v104
	s_branch .LBB281_126
.LBB281_125:
	v_mov_b32_e32 v104, 0
.LBB281_126:
	v_pk_add_f16 v105, v8, v30
	v_pk_add_f16 v106, v9, v31
	v_max_f16_e32 v107, v103, v103
	v_lshrrev_b32_e32 v103, 16, v103
	v_max_f32_e32 v104, v104, v104
	v_lshrrev_b32_e32 v108, 16, v105
	v_lshrrev_b32_e32 v109, 16, v106
	v_min_f16_e32 v105, v107, v105
	v_min3_f16 v103, v103, v108, v109
	v_min3_f16 v103, v105, v106, v103
	v_cvt_f32_f16_e32 v103, v103
	v_min_f32_e32 v105, v104, v103
	v_lshlrev_b64 v[103:104], 1, v[40:41]
	v_cvt_f16_f32_e32 v105, v105
	v_add_co_u32 v103, vcc_lo, v28, v103
	v_add_co_ci_u32_e64 v104, null, v29, v104, vcc_lo
	global_store_short v[103:104], v105, off
	s_or_b32 exec_lo, exec_lo, s11
	s_and_b32 s12, s5, s8
	s_and_saveexec_b32 s11, s12
	s_cbranch_execz .LBB281_105
.LBB281_127:
	v_cmp_ne_u32_e32 vcc_lo, 1, v72
	s_cbranch_vccnz .LBB281_129
; %bb.128:
	v_lshlrev_b64 v[103:104], 1, v[42:43]
	v_add_co_u32 v103, vcc_lo, v77, v103
	v_add_co_ci_u32_e64 v104, null, v83, v104, vcc_lo
	global_load_ushort v103, v[103:104], off
	s_waitcnt vmcnt(0)
	v_mul_f16_e32 v103, s22, v103
	v_cvt_f32_f16_e32 v103, v103
	s_branch .LBB281_130
.LBB281_129:
	v_mov_b32_e32 v103, 0
.LBB281_130:
	v_pk_add_f16 v104, v10, v30
	v_pk_add_f16 v105, v11, v31
	v_max_f16_e32 v106, v100, v100
	v_lshrrev_b32_e32 v100, 16, v100
	v_max_f32_e32 v103, v103, v103
	v_lshrrev_b32_e32 v107, 16, v104
	v_lshrrev_b32_e32 v108, 16, v105
	v_min_f16_e32 v104, v106, v104
	v_min3_f16 v100, v100, v107, v108
	v_min3_f16 v100, v104, v105, v100
	v_cvt_f32_f16_e32 v100, v100
	v_min_f32_e32 v100, v103, v100
	v_lshlrev_b64 v[103:104], 1, v[42:43]
	v_cvt_f16_f32_e32 v100, v100
	v_add_co_u32 v103, vcc_lo, v28, v103
	v_add_co_ci_u32_e64 v104, null, v29, v104, vcc_lo
	global_store_short v[103:104], v100, off
	s_or_b32 exec_lo, exec_lo, s11
	s_and_b32 s12, s6, s8
	s_and_saveexec_b32 s11, s12
	s_cbranch_execz .LBB281_106
.LBB281_131:
	v_cmp_ne_u32_e32 vcc_lo, 1, v72
	s_cbranch_vccnz .LBB281_133
; %bb.132:
	v_lshlrev_b64 v[103:104], 1, v[44:45]
	v_add_co_u32 v103, vcc_lo, v77, v103
	v_add_co_ci_u32_e64 v104, null, v83, v104, vcc_lo
	global_load_ushort v100, v[103:104], off
	s_waitcnt vmcnt(0)
	v_mul_f16_e32 v100, s22, v100
	v_cvt_f32_f16_e32 v100, v100
	s_branch .LBB281_134
.LBB281_133:
	v_mov_b32_e32 v100, 0
.LBB281_134:
	v_pk_add_f16 v103, v0, v30
	v_pk_add_f16 v104, v1, v31
	v_max_f16_e32 v105, v98, v98
	v_lshrrev_b32_e32 v98, 16, v98
	v_max_f32_e32 v100, v100, v100
	v_lshrrev_b32_e32 v106, 16, v103
	v_lshrrev_b32_e32 v107, 16, v104
	v_min_f16_e32 v103, v105, v103
	v_min3_f16 v98, v98, v106, v107
	v_min3_f16 v98, v103, v104, v98
	v_lshlrev_b64 v[103:104], 1, v[44:45]
	v_cvt_f32_f16_e32 v98, v98
	v_add_co_u32 v103, vcc_lo, v28, v103
	v_add_co_ci_u32_e64 v104, null, v29, v104, vcc_lo
	v_min_f32_e32 v98, v100, v98
	v_cvt_f16_f32_e32 v98, v98
	global_store_short v[103:104], v98, off
	s_or_b32 exec_lo, exec_lo, s11
	s_and_b32 s11, s7, s8
	s_and_saveexec_b32 s8, s11
	s_cbranch_execz .LBB281_139
.LBB281_135:
	v_cmp_ne_u32_e32 vcc_lo, 1, v72
	s_cbranch_vccnz .LBB281_137
; %bb.136:
	v_lshlrev_b64 v[103:104], 1, v[46:47]
	v_add_co_u32 v103, vcc_lo, v77, v103
	v_add_co_ci_u32_e64 v104, null, v83, v104, vcc_lo
	global_load_ushort v77, v[103:104], off
	s_waitcnt vmcnt(0)
	v_mul_f16_e32 v77, s22, v77
	v_cvt_f32_f16_e32 v77, v77
	s_branch .LBB281_138
.LBB281_137:
	v_mov_b32_e32 v77, 0
.LBB281_138:
	v_pk_add_f16 v30, v2, v30
	v_pk_add_f16 v31, v3, v31
	v_max_f16_e32 v83, v99, v99
	v_lshrrev_b32_e32 v98, 16, v99
	v_lshrrev_b32_e32 v99, 16, v30
	;; [unrolled: 1-line block ×3, first 2 shown]
	v_min_f16_e32 v30, v83, v30
	v_min3_f16 v83, v98, v99, v100
	v_min3_f16 v30, v30, v31, v83
	v_max_f32_e32 v31, v77, v77
	v_cvt_f32_f16_e32 v30, v30
	v_min_f32_e32 v77, v31, v30
	v_lshlrev_b64 v[30:31], 1, v[46:47]
	v_cvt_f16_f32_e32 v77, v77
	v_add_co_u32 v28, vcc_lo, v28, v30
	v_add_co_ci_u32_e64 v29, null, v29, v31, vcc_lo
	global_store_short v[28:29], v77, off
.LBB281_139:
	s_or_b32 exec_lo, exec_lo, s8
	v_add_nc_u32_e32 v77, 64, v76
	v_mad_i64_i32 v[28:29], null, v77, s15, 0
	v_mad_i64_i32 v[30:31], null, v77, s14, 0
	v_cmp_gt_i32_e64 s8, s13, v77
	v_lshlrev_b64 v[28:29], 1, v[28:29]
	s_and_b32 s12, s0, s8
	v_lshlrev_b64 v[98:99], 1, v[30:31]
	v_add_co_u32 v30, vcc_lo, s16, v28
	v_add_co_ci_u32_e64 v31, null, s17, v29, vcc_lo
	v_add_co_u32 v28, vcc_lo, s9, v98
	v_add_co_ci_u32_e64 v29, null, s10, v99, vcc_lo
	s_and_saveexec_b32 s11, s12
	s_cbranch_execnz .LBB281_147
; %bb.140:
	s_or_b32 exec_lo, exec_lo, s11
	s_and_b32 s12, s1, s8
	s_and_saveexec_b32 s11, s12
	s_cbranch_execnz .LBB281_151
.LBB281_141:
	s_or_b32 exec_lo, exec_lo, s11
	s_and_b32 s12, s2, s8
	s_and_saveexec_b32 s11, s12
	s_cbranch_execnz .LBB281_155
.LBB281_142:
	s_or_b32 exec_lo, exec_lo, s11
	s_and_b32 s12, s3, s8
	s_and_saveexec_b32 s11, s12
	s_cbranch_execnz .LBB281_159
.LBB281_143:
	s_or_b32 exec_lo, exec_lo, s11
	s_and_b32 s12, s4, s8
	s_and_saveexec_b32 s11, s12
	s_cbranch_execnz .LBB281_163
.LBB281_144:
	s_or_b32 exec_lo, exec_lo, s11
	s_and_b32 s12, s5, s8
	s_and_saveexec_b32 s11, s12
	s_cbranch_execnz .LBB281_167
.LBB281_145:
	s_or_b32 exec_lo, exec_lo, s11
	s_and_b32 s12, s6, s8
	s_and_saveexec_b32 s11, s12
	s_cbranch_execnz .LBB281_171
.LBB281_146:
	s_or_b32 exec_lo, exec_lo, s11
	s_and_b32 s11, s7, s8
	s_and_saveexec_b32 s8, s11
	s_cbranch_execnz .LBB281_175
	s_branch .LBB281_179
.LBB281_147:
	v_cmp_ne_u32_e32 vcc_lo, 1, v72
	s_cbranch_vccnz .LBB281_149
; %bb.148:
	v_lshlrev_b64 v[98:99], 1, v[32:33]
	v_add_co_u32 v98, vcc_lo, v30, v98
	v_add_co_ci_u32_e64 v99, null, v31, v99, vcc_lo
	global_load_ushort v77, v[98:99], off
	s_waitcnt vmcnt(0)
	v_mul_f16_e32 v77, s22, v77
	v_cvt_f32_f16_e32 v77, v77
	s_branch .LBB281_150
.LBB281_149:
	v_mov_b32_e32 v77, 0
.LBB281_150:
	v_pk_add_f16 v83, v16, v24
	v_pk_add_f16 v98, v17, v25
	v_max_f16_e32 v99, v96, v96
	v_lshrrev_b32_e32 v96, 16, v96
	v_max_f32_e32 v77, v77, v77
	v_lshrrev_b32_e32 v100, 16, v83
	v_lshrrev_b32_e32 v103, 16, v98
	v_min_f16_e32 v83, v99, v83
	v_min3_f16 v96, v96, v100, v103
	v_min3_f16 v83, v83, v98, v96
	v_lshlrev_b64 v[98:99], 1, v[32:33]
	v_cvt_f32_f16_e32 v83, v83
	v_add_co_u32 v98, vcc_lo, v28, v98
	v_add_co_ci_u32_e64 v99, null, v29, v99, vcc_lo
	v_min_f32_e32 v77, v77, v83
	v_cvt_f16_f32_e32 v77, v77
	global_store_short v[98:99], v77, off
	s_or_b32 exec_lo, exec_lo, s11
	s_and_b32 s12, s1, s8
	s_and_saveexec_b32 s11, s12
	s_cbranch_execz .LBB281_141
.LBB281_151:
	v_cmp_ne_u32_e32 vcc_lo, 1, v72
	s_cbranch_vccnz .LBB281_153
; %bb.152:
	v_lshlrev_b64 v[98:99], 1, v[34:35]
	v_add_co_u32 v98, vcc_lo, v30, v98
	v_add_co_ci_u32_e64 v99, null, v31, v99, vcc_lo
	global_load_ushort v77, v[98:99], off
	s_waitcnt vmcnt(0)
	v_mul_f16_e32 v77, s22, v77
	v_cvt_f32_f16_e32 v77, v77
	s_branch .LBB281_154
.LBB281_153:
	v_mov_b32_e32 v77, 0
.LBB281_154:
	v_pk_add_f16 v83, v18, v24
	v_pk_add_f16 v96, v19, v25
	v_max_f16_e32 v98, v93, v93
	v_lshrrev_b32_e32 v93, 16, v93
	v_max_f32_e32 v77, v77, v77
	v_lshrrev_b32_e32 v99, 16, v83
	v_lshrrev_b32_e32 v100, 16, v96
	v_min_f16_e32 v83, v98, v83
	v_min3_f16 v93, v93, v99, v100
	v_lshlrev_b64 v[98:99], 1, v[34:35]
	v_min3_f16 v83, v83, v96, v93
	v_add_co_u32 v98, vcc_lo, v28, v98
	v_add_co_ci_u32_e64 v99, null, v29, v99, vcc_lo
	v_cvt_f32_f16_e32 v83, v83
	v_min_f32_e32 v77, v77, v83
	v_cvt_f16_f32_e32 v77, v77
	global_store_short v[98:99], v77, off
	s_or_b32 exec_lo, exec_lo, s11
	s_and_b32 s12, s2, s8
	s_and_saveexec_b32 s11, s12
	s_cbranch_execz .LBB281_142
.LBB281_155:
	v_cmp_ne_u32_e32 vcc_lo, 1, v72
	s_cbranch_vccnz .LBB281_157
; %bb.156:
	v_lshlrev_b64 v[98:99], 1, v[36:37]
	v_add_co_u32 v98, vcc_lo, v30, v98
	v_add_co_ci_u32_e64 v99, null, v31, v99, vcc_lo
	global_load_ushort v77, v[98:99], off
	s_waitcnt vmcnt(0)
	v_mul_f16_e32 v77, s22, v77
	v_cvt_f32_f16_e32 v77, v77
	s_branch .LBB281_158
.LBB281_157:
	v_mov_b32_e32 v77, 0
.LBB281_158:
	v_pk_add_f16 v83, v12, v24
	v_pk_add_f16 v93, v13, v25
	v_max_f16_e32 v96, v90, v90
	v_lshrrev_b32_e32 v90, 16, v90
	v_max_f32_e32 v77, v77, v77
	v_lshrrev_b32_e32 v98, 16, v83
	v_lshrrev_b32_e32 v99, 16, v93
	v_min_f16_e32 v83, v96, v83
	v_min3_f16 v90, v90, v98, v99
	v_lshlrev_b64 v[98:99], 1, v[36:37]
	v_min3_f16 v83, v83, v93, v90
	v_add_co_u32 v98, vcc_lo, v28, v98
	v_add_co_ci_u32_e64 v99, null, v29, v99, vcc_lo
	v_cvt_f32_f16_e32 v83, v83
	v_min_f32_e32 v77, v77, v83
	v_cvt_f16_f32_e32 v77, v77
	global_store_short v[98:99], v77, off
	s_or_b32 exec_lo, exec_lo, s11
	s_and_b32 s12, s3, s8
	s_and_saveexec_b32 s11, s12
	s_cbranch_execz .LBB281_143
.LBB281_159:
	v_cmp_ne_u32_e32 vcc_lo, 1, v72
	s_cbranch_vccnz .LBB281_161
; %bb.160:
	v_lshlrev_b64 v[98:99], 1, v[38:39]
	v_add_co_u32 v98, vcc_lo, v30, v98
	v_add_co_ci_u32_e64 v99, null, v31, v99, vcc_lo
	global_load_ushort v77, v[98:99], off
	s_waitcnt vmcnt(0)
	v_mul_f16_e32 v77, s22, v77
	v_cvt_f32_f16_e32 v77, v77
	s_branch .LBB281_162
.LBB281_161:
	v_mov_b32_e32 v77, 0
.LBB281_162:
	v_pk_add_f16 v83, v14, v24
	v_pk_add_f16 v90, v15, v25
	v_max_f16_e32 v93, v92, v92
	v_lshrrev_b32_e32 v92, 16, v92
	v_max_f32_e32 v77, v77, v77
	v_lshrrev_b32_e32 v96, 16, v83
	v_lshrrev_b32_e32 v98, 16, v90
	v_min_f16_e32 v83, v93, v83
	v_min3_f16 v92, v92, v96, v98
	v_min3_f16 v83, v83, v90, v92
	v_lshlrev_b64 v[92:93], 1, v[38:39]
	v_cvt_f32_f16_e32 v83, v83
	v_add_co_u32 v92, vcc_lo, v28, v92
	v_add_co_ci_u32_e64 v93, null, v29, v93, vcc_lo
	v_min_f32_e32 v77, v77, v83
	v_cvt_f16_f32_e32 v77, v77
	global_store_short v[92:93], v77, off
	s_or_b32 exec_lo, exec_lo, s11
	s_and_b32 s12, s4, s8
	s_and_saveexec_b32 s11, s12
	s_cbranch_execz .LBB281_144
.LBB281_163:
	v_cmp_ne_u32_e32 vcc_lo, 1, v72
	s_cbranch_vccnz .LBB281_165
; %bb.164:
	v_lshlrev_b64 v[92:93], 1, v[40:41]
	v_add_co_u32 v92, vcc_lo, v30, v92
	v_add_co_ci_u32_e64 v93, null, v31, v93, vcc_lo
	global_load_ushort v77, v[92:93], off
	s_waitcnt vmcnt(0)
	v_mul_f16_e32 v77, s22, v77
	v_cvt_f32_f16_e32 v77, v77
	s_branch .LBB281_166
.LBB281_165:
	v_mov_b32_e32 v77, 0
.LBB281_166:
	v_pk_add_f16 v83, v8, v24
	v_pk_add_f16 v90, v9, v25
	v_max_f16_e32 v92, v102, v102
	v_lshrrev_b32_e32 v93, 16, v102
	v_max_f32_e32 v77, v77, v77
	v_lshrrev_b32_e32 v96, 16, v83
	v_lshrrev_b32_e32 v98, 16, v90
	v_min_f16_e32 v83, v92, v83
	v_min3_f16 v92, v93, v96, v98
	v_min3_f16 v83, v83, v90, v92
	v_lshlrev_b64 v[92:93], 1, v[40:41]
	v_cvt_f32_f16_e32 v83, v83
	v_add_co_u32 v92, vcc_lo, v28, v92
	v_add_co_ci_u32_e64 v93, null, v29, v93, vcc_lo
	v_min_f32_e32 v77, v77, v83
	v_cvt_f16_f32_e32 v77, v77
	global_store_short v[92:93], v77, off
	s_or_b32 exec_lo, exec_lo, s11
	s_and_b32 s12, s5, s8
	s_and_saveexec_b32 s11, s12
	s_cbranch_execz .LBB281_145
.LBB281_167:
	v_cmp_ne_u32_e32 vcc_lo, 1, v72
	s_cbranch_vccnz .LBB281_169
; %bb.168:
	v_lshlrev_b64 v[92:93], 1, v[42:43]
	v_add_co_u32 v92, vcc_lo, v30, v92
	v_add_co_ci_u32_e64 v93, null, v31, v93, vcc_lo
	global_load_ushort v77, v[92:93], off
	s_waitcnt vmcnt(0)
	v_mul_f16_e32 v77, s22, v77
	v_cvt_f32_f16_e32 v77, v77
	s_branch .LBB281_170
.LBB281_169:
	v_mov_b32_e32 v77, 0
.LBB281_170:
	v_pk_add_f16 v83, v10, v24
	v_pk_add_f16 v90, v11, v25
	v_max_f16_e32 v92, v101, v101
	v_lshrrev_b32_e32 v93, 16, v101
	v_max_f32_e32 v77, v77, v77
	v_lshrrev_b32_e32 v96, 16, v83
	v_lshrrev_b32_e32 v98, 16, v90
	v_min_f16_e32 v83, v92, v83
	v_min3_f16 v92, v93, v96, v98
	v_min3_f16 v83, v83, v90, v92
	v_lshlrev_b64 v[92:93], 1, v[42:43]
	v_cvt_f32_f16_e32 v83, v83
	v_add_co_u32 v92, vcc_lo, v28, v92
	v_add_co_ci_u32_e64 v93, null, v29, v93, vcc_lo
	v_min_f32_e32 v77, v77, v83
	v_cvt_f16_f32_e32 v77, v77
	global_store_short v[92:93], v77, off
	s_or_b32 exec_lo, exec_lo, s11
	s_and_b32 s12, s6, s8
	s_and_saveexec_b32 s11, s12
	s_cbranch_execz .LBB281_146
.LBB281_171:
	v_cmp_ne_u32_e32 vcc_lo, 1, v72
	s_cbranch_vccnz .LBB281_173
; %bb.172:
	v_lshlrev_b64 v[92:93], 1, v[44:45]
	v_add_co_u32 v92, vcc_lo, v30, v92
	v_add_co_ci_u32_e64 v93, null, v31, v93, vcc_lo
	global_load_ushort v77, v[92:93], off
	s_waitcnt vmcnt(0)
	v_mul_f16_e32 v77, s22, v77
	v_cvt_f32_f16_e32 v77, v77
	s_branch .LBB281_174
.LBB281_173:
	v_mov_b32_e32 v77, 0
.LBB281_174:
	v_pk_add_f16 v83, v0, v24
	v_pk_add_f16 v90, v1, v25
	v_max_f16_e32 v92, v97, v97
	v_lshrrev_b32_e32 v93, 16, v97
	v_max_f32_e32 v77, v77, v77
	v_lshrrev_b32_e32 v96, 16, v83
	v_lshrrev_b32_e32 v97, 16, v90
	v_min_f16_e32 v83, v92, v83
	v_min3_f16 v92, v93, v96, v97
	v_min3_f16 v83, v83, v90, v92
	v_lshlrev_b64 v[92:93], 1, v[44:45]
	v_cvt_f32_f16_e32 v83, v83
	v_add_co_u32 v92, vcc_lo, v28, v92
	v_add_co_ci_u32_e64 v93, null, v29, v93, vcc_lo
	v_min_f32_e32 v77, v77, v83
	v_cvt_f16_f32_e32 v77, v77
	global_store_short v[92:93], v77, off
	s_or_b32 exec_lo, exec_lo, s11
	s_and_b32 s11, s7, s8
	s_and_saveexec_b32 s8, s11
	s_cbranch_execz .LBB281_179
.LBB281_175:
	v_cmp_ne_u32_e32 vcc_lo, 1, v72
	s_cbranch_vccnz .LBB281_177
; %bb.176:
	v_lshlrev_b64 v[92:93], 1, v[46:47]
	v_add_co_u32 v30, vcc_lo, v30, v92
	v_add_co_ci_u32_e64 v31, null, v31, v93, vcc_lo
	global_load_ushort v30, v[30:31], off
	s_waitcnt vmcnt(0)
	v_mul_f16_e32 v30, s22, v30
	v_cvt_f32_f16_e32 v30, v30
	s_branch .LBB281_178
.LBB281_177:
	v_mov_b32_e32 v30, 0
.LBB281_178:
	v_pk_add_f16 v24, v2, v24
	v_pk_add_f16 v25, v3, v25
	v_max_f16_e32 v31, v95, v95
	v_lshrrev_b32_e32 v77, 16, v95
	v_lshrrev_b32_e32 v83, 16, v24
	;; [unrolled: 1-line block ×3, first 2 shown]
	v_min_f16_e32 v24, v31, v24
	v_min3_f16 v31, v77, v83, v90
	v_min3_f16 v24, v24, v25, v31
	v_max_f32_e32 v25, v30, v30
	v_cvt_f32_f16_e32 v24, v24
	v_min_f32_e32 v30, v25, v24
	v_lshlrev_b64 v[24:25], 1, v[46:47]
	v_cvt_f16_f32_e32 v30, v30
	v_add_co_u32 v24, vcc_lo, v28, v24
	v_add_co_ci_u32_e64 v25, null, v29, v25, vcc_lo
	global_store_short v[24:25], v30, off
.LBB281_179:
	s_or_b32 exec_lo, exec_lo, s8
	v_add_nc_u32_e32 v30, 0x60, v76
	v_mad_i64_i32 v[24:25], null, v30, s15, 0
	v_mad_i64_i32 v[28:29], null, v30, s14, 0
	v_cmp_gt_i32_e64 s8, s13, v30
	v_lshlrev_b64 v[24:25], 1, v[24:25]
	s_and_b32 s12, s0, s8
	v_lshlrev_b64 v[30:31], 1, v[28:29]
	v_add_co_u32 v28, vcc_lo, s16, v24
	v_add_co_ci_u32_e64 v29, null, s17, v25, vcc_lo
	v_add_co_u32 v24, vcc_lo, s9, v30
	v_add_co_ci_u32_e64 v25, null, s10, v31, vcc_lo
	s_and_saveexec_b32 s11, s12
	s_cbranch_execnz .LBB281_187
; %bb.180:
	s_or_b32 exec_lo, exec_lo, s11
	s_and_b32 s12, s1, s8
	s_and_saveexec_b32 s11, s12
	s_cbranch_execnz .LBB281_191
.LBB281_181:
	s_or_b32 exec_lo, exec_lo, s11
	s_and_b32 s12, s2, s8
	s_and_saveexec_b32 s11, s12
	s_cbranch_execnz .LBB281_195
.LBB281_182:
	s_or_b32 exec_lo, exec_lo, s11
	s_and_b32 s12, s3, s8
	s_and_saveexec_b32 s11, s12
	s_cbranch_execnz .LBB281_199
.LBB281_183:
	s_or_b32 exec_lo, exec_lo, s11
	s_and_b32 s12, s4, s8
	s_and_saveexec_b32 s11, s12
	s_cbranch_execnz .LBB281_203
.LBB281_184:
	s_or_b32 exec_lo, exec_lo, s11
	s_and_b32 s12, s5, s8
	s_and_saveexec_b32 s11, s12
	s_cbranch_execnz .LBB281_207
.LBB281_185:
	s_or_b32 exec_lo, exec_lo, s11
	s_and_b32 s12, s6, s8
	s_and_saveexec_b32 s11, s12
	s_cbranch_execnz .LBB281_211
.LBB281_186:
	s_or_b32 exec_lo, exec_lo, s11
	s_and_b32 s11, s7, s8
	s_and_saveexec_b32 s8, s11
	s_cbranch_execnz .LBB281_215
	s_branch .LBB281_219
.LBB281_187:
	v_cmp_ne_u32_e32 vcc_lo, 1, v72
	s_cbranch_vccnz .LBB281_189
; %bb.188:
	v_lshlrev_b64 v[30:31], 1, v[32:33]
	v_add_co_u32 v30, vcc_lo, v28, v30
	v_add_co_ci_u32_e64 v31, null, v29, v31, vcc_lo
	global_load_ushort v30, v[30:31], off
	s_waitcnt vmcnt(0)
	v_mul_f16_e32 v30, s22, v30
	v_cvt_f32_f16_e32 v30, v30
	s_branch .LBB281_190
.LBB281_189:
	v_mov_b32_e32 v30, 0
.LBB281_190:
	v_pk_add_f16 v31, v16, v26
	v_pk_add_f16 v77, v17, v27
	v_max_f16_e32 v83, v94, v94
	v_lshrrev_b32_e32 v90, 16, v94
	v_max_f32_e32 v30, v30, v30
	v_lshrrev_b32_e32 v92, 16, v31
	v_lshrrev_b32_e32 v93, 16, v77
	v_min_f16_e32 v31, v83, v31
	v_min3_f16 v83, v90, v92, v93
	v_min3_f16 v31, v31, v77, v83
	v_cvt_f32_f16_e32 v31, v31
	v_min_f32_e32 v77, v30, v31
	v_lshlrev_b64 v[30:31], 1, v[32:33]
	v_cvt_f16_f32_e32 v77, v77
	v_add_co_u32 v30, vcc_lo, v24, v30
	v_add_co_ci_u32_e64 v31, null, v25, v31, vcc_lo
	global_store_short v[30:31], v77, off
	s_or_b32 exec_lo, exec_lo, s11
	s_and_b32 s12, s1, s8
	s_and_saveexec_b32 s11, s12
	s_cbranch_execz .LBB281_181
.LBB281_191:
	v_cmp_ne_u32_e32 vcc_lo, 1, v72
	s_cbranch_vccnz .LBB281_193
; %bb.192:
	v_lshlrev_b64 v[30:31], 1, v[34:35]
	v_add_co_u32 v30, vcc_lo, v28, v30
	v_add_co_ci_u32_e64 v31, null, v29, v31, vcc_lo
	global_load_ushort v30, v[30:31], off
	s_waitcnt vmcnt(0)
	v_mul_f16_e32 v30, s22, v30
	v_cvt_f32_f16_e32 v30, v30
	s_branch .LBB281_194
.LBB281_193:
	v_mov_b32_e32 v30, 0
.LBB281_194:
	v_pk_add_f16 v31, v18, v26
	v_pk_add_f16 v77, v19, v27
	v_max_f16_e32 v83, v91, v91
	v_lshrrev_b32_e32 v90, 16, v91
	v_max_f32_e32 v30, v30, v30
	v_lshrrev_b32_e32 v91, 16, v31
	v_lshrrev_b32_e32 v92, 16, v77
	v_min_f16_e32 v31, v83, v31
	v_min3_f16 v83, v90, v91, v92
	v_min3_f16 v31, v31, v77, v83
	v_cvt_f32_f16_e32 v31, v31
	v_min_f32_e32 v77, v30, v31
	v_lshlrev_b64 v[30:31], 1, v[34:35]
	v_cvt_f16_f32_e32 v77, v77
	v_add_co_u32 v30, vcc_lo, v24, v30
	v_add_co_ci_u32_e64 v31, null, v25, v31, vcc_lo
	global_store_short v[30:31], v77, off
	s_or_b32 exec_lo, exec_lo, s11
	s_and_b32 s12, s2, s8
	s_and_saveexec_b32 s11, s12
	s_cbranch_execz .LBB281_182
.LBB281_195:
	v_cmp_ne_u32_e32 vcc_lo, 1, v72
	s_cbranch_vccnz .LBB281_197
; %bb.196:
	v_lshlrev_b64 v[30:31], 1, v[36:37]
	v_add_co_u32 v30, vcc_lo, v28, v30
	v_add_co_ci_u32_e64 v31, null, v29, v31, vcc_lo
	global_load_ushort v30, v[30:31], off
	s_waitcnt vmcnt(0)
	v_mul_f16_e32 v30, s22, v30
	v_cvt_f32_f16_e32 v30, v30
	s_branch .LBB281_198
.LBB281_197:
	v_mov_b32_e32 v30, 0
.LBB281_198:
	v_pk_add_f16 v31, v12, v26
	v_pk_add_f16 v77, v13, v27
	v_max_f16_e32 v83, v89, v89
	v_lshrrev_b32_e32 v89, 16, v89
	v_max_f32_e32 v30, v30, v30
	v_lshrrev_b32_e32 v90, 16, v31
	v_lshrrev_b32_e32 v91, 16, v77
	v_min_f16_e32 v31, v83, v31
	v_min3_f16 v83, v89, v90, v91
	v_min3_f16 v31, v31, v77, v83
	v_cvt_f32_f16_e32 v31, v31
	v_min_f32_e32 v77, v30, v31
	v_lshlrev_b64 v[30:31], 1, v[36:37]
	v_cvt_f16_f32_e32 v77, v77
	v_add_co_u32 v30, vcc_lo, v24, v30
	v_add_co_ci_u32_e64 v31, null, v25, v31, vcc_lo
	global_store_short v[30:31], v77, off
	s_or_b32 exec_lo, exec_lo, s11
	s_and_b32 s12, s3, s8
	s_and_saveexec_b32 s11, s12
	s_cbranch_execz .LBB281_183
.LBB281_199:
	v_cmp_ne_u32_e32 vcc_lo, 1, v72
	s_cbranch_vccnz .LBB281_201
; %bb.200:
	v_lshlrev_b64 v[30:31], 1, v[38:39]
	v_add_co_u32 v30, vcc_lo, v28, v30
	v_add_co_ci_u32_e64 v31, null, v29, v31, vcc_lo
	global_load_ushort v30, v[30:31], off
	s_waitcnt vmcnt(0)
	v_mul_f16_e32 v30, s22, v30
	v_cvt_f32_f16_e32 v30, v30
	s_branch .LBB281_202
.LBB281_201:
	v_mov_b32_e32 v30, 0
.LBB281_202:
	v_pk_add_f16 v31, v14, v26
	v_pk_add_f16 v77, v15, v27
	v_max_f16_e32 v83, v88, v88
	v_lshrrev_b32_e32 v88, 16, v88
	v_max_f32_e32 v30, v30, v30
	v_lshrrev_b32_e32 v89, 16, v31
	v_lshrrev_b32_e32 v90, 16, v77
	v_min_f16_e32 v31, v83, v31
	v_min3_f16 v83, v88, v89, v90
	v_min3_f16 v31, v31, v77, v83
	v_cvt_f32_f16_e32 v31, v31
	v_min_f32_e32 v77, v30, v31
	v_lshlrev_b64 v[30:31], 1, v[38:39]
	v_cvt_f16_f32_e32 v77, v77
	v_add_co_u32 v30, vcc_lo, v24, v30
	v_add_co_ci_u32_e64 v31, null, v25, v31, vcc_lo
	global_store_short v[30:31], v77, off
	s_or_b32 exec_lo, exec_lo, s11
	s_and_b32 s12, s4, s8
	s_and_saveexec_b32 s11, s12
	s_cbranch_execz .LBB281_184
.LBB281_203:
	v_cmp_ne_u32_e32 vcc_lo, 1, v72
	s_cbranch_vccnz .LBB281_205
; %bb.204:
	v_lshlrev_b64 v[30:31], 1, v[40:41]
	v_add_co_u32 v30, vcc_lo, v28, v30
	v_add_co_ci_u32_e64 v31, null, v29, v31, vcc_lo
	global_load_ushort v30, v[30:31], off
	s_waitcnt vmcnt(0)
	v_mul_f16_e32 v30, s22, v30
	v_cvt_f32_f16_e32 v30, v30
	s_branch .LBB281_206
.LBB281_205:
	v_mov_b32_e32 v30, 0
.LBB281_206:
	v_pk_add_f16 v31, v8, v26
	v_pk_add_f16 v77, v9, v27
	v_max_f16_e32 v83, v87, v87
	v_lshrrev_b32_e32 v87, 16, v87
	v_max_f32_e32 v30, v30, v30
	v_lshrrev_b32_e32 v88, 16, v31
	v_lshrrev_b32_e32 v89, 16, v77
	v_min_f16_e32 v31, v83, v31
	v_min3_f16 v83, v87, v88, v89
	v_min3_f16 v31, v31, v77, v83
	v_cvt_f32_f16_e32 v31, v31
	v_min_f32_e32 v77, v30, v31
	v_lshlrev_b64 v[30:31], 1, v[40:41]
	v_cvt_f16_f32_e32 v77, v77
	v_add_co_u32 v30, vcc_lo, v24, v30
	v_add_co_ci_u32_e64 v31, null, v25, v31, vcc_lo
	global_store_short v[30:31], v77, off
	s_or_b32 exec_lo, exec_lo, s11
	s_and_b32 s12, s5, s8
	s_and_saveexec_b32 s11, s12
	s_cbranch_execz .LBB281_185
.LBB281_207:
	v_cmp_ne_u32_e32 vcc_lo, 1, v72
	s_cbranch_vccnz .LBB281_209
; %bb.208:
	v_lshlrev_b64 v[30:31], 1, v[42:43]
	v_add_co_u32 v30, vcc_lo, v28, v30
	v_add_co_ci_u32_e64 v31, null, v29, v31, vcc_lo
	global_load_ushort v30, v[30:31], off
	s_waitcnt vmcnt(0)
	v_mul_f16_e32 v30, s22, v30
	v_cvt_f32_f16_e32 v30, v30
	s_branch .LBB281_210
.LBB281_209:
	v_mov_b32_e32 v30, 0
.LBB281_210:
	v_pk_add_f16 v31, v10, v26
	v_pk_add_f16 v77, v11, v27
	v_max_f16_e32 v83, v86, v86
	v_lshrrev_b32_e32 v86, 16, v86
	v_max_f32_e32 v30, v30, v30
	v_lshrrev_b32_e32 v87, 16, v31
	v_lshrrev_b32_e32 v88, 16, v77
	v_min_f16_e32 v31, v83, v31
	v_min3_f16 v83, v86, v87, v88
	v_min3_f16 v31, v31, v77, v83
	v_cvt_f32_f16_e32 v31, v31
	v_min_f32_e32 v77, v30, v31
	v_lshlrev_b64 v[30:31], 1, v[42:43]
	v_cvt_f16_f32_e32 v77, v77
	v_add_co_u32 v30, vcc_lo, v24, v30
	v_add_co_ci_u32_e64 v31, null, v25, v31, vcc_lo
	global_store_short v[30:31], v77, off
	s_or_b32 exec_lo, exec_lo, s11
	s_and_b32 s12, s6, s8
	s_and_saveexec_b32 s11, s12
	s_cbranch_execz .LBB281_186
.LBB281_211:
	v_cmp_ne_u32_e32 vcc_lo, 1, v72
	s_cbranch_vccnz .LBB281_213
; %bb.212:
	v_lshlrev_b64 v[30:31], 1, v[44:45]
	v_add_co_u32 v30, vcc_lo, v28, v30
	v_add_co_ci_u32_e64 v31, null, v29, v31, vcc_lo
	global_load_ushort v30, v[30:31], off
	s_waitcnt vmcnt(0)
	v_mul_f16_e32 v30, s22, v30
	v_cvt_f32_f16_e32 v30, v30
	s_branch .LBB281_214
.LBB281_213:
	v_mov_b32_e32 v30, 0
.LBB281_214:
	v_pk_add_f16 v31, v0, v26
	v_pk_add_f16 v77, v1, v27
	v_max_f16_e32 v83, v85, v85
	v_lshrrev_b32_e32 v85, 16, v85
	v_max_f32_e32 v30, v30, v30
	v_lshrrev_b32_e32 v86, 16, v31
	v_lshrrev_b32_e32 v87, 16, v77
	v_min_f16_e32 v31, v83, v31
	v_min3_f16 v83, v85, v86, v87
	v_min3_f16 v31, v31, v77, v83
	v_cvt_f32_f16_e32 v31, v31
	v_min_f32_e32 v77, v30, v31
	v_lshlrev_b64 v[30:31], 1, v[44:45]
	v_cvt_f16_f32_e32 v77, v77
	v_add_co_u32 v30, vcc_lo, v24, v30
	v_add_co_ci_u32_e64 v31, null, v25, v31, vcc_lo
	global_store_short v[30:31], v77, off
	s_or_b32 exec_lo, exec_lo, s11
	s_and_b32 s11, s7, s8
	s_and_saveexec_b32 s8, s11
	s_cbranch_execz .LBB281_219
.LBB281_215:
	v_cmp_ne_u32_e32 vcc_lo, 1, v72
	s_cbranch_vccnz .LBB281_217
; %bb.216:
	v_lshlrev_b64 v[30:31], 1, v[46:47]
	v_add_co_u32 v28, vcc_lo, v28, v30
	v_add_co_ci_u32_e64 v29, null, v29, v31, vcc_lo
	global_load_ushort v28, v[28:29], off
	s_waitcnt vmcnt(0)
	v_mul_f16_e32 v28, s22, v28
	v_cvt_f32_f16_e32 v28, v28
	s_branch .LBB281_218
.LBB281_217:
	v_mov_b32_e32 v28, 0
.LBB281_218:
	v_pk_add_f16 v26, v2, v26
	v_pk_add_f16 v27, v3, v27
	v_max_f16_e32 v29, v84, v84
	v_lshrrev_b32_e32 v30, 16, v84
	v_lshrrev_b32_e32 v31, 16, v26
	v_lshrrev_b32_e32 v77, 16, v27
	v_min_f16_e32 v26, v29, v26
	v_min3_f16 v29, v30, v31, v77
	v_min3_f16 v26, v26, v27, v29
	v_max_f32_e32 v27, v28, v28
	v_cvt_f32_f16_e32 v26, v26
	v_min_f32_e32 v28, v27, v26
	v_lshlrev_b64 v[26:27], 1, v[46:47]
	v_cvt_f16_f32_e32 v28, v28
	v_add_co_u32 v24, vcc_lo, v24, v26
	v_add_co_ci_u32_e64 v25, null, v25, v27, vcc_lo
	global_store_short v[24:25], v28, off
.LBB281_219:
	s_or_b32 exec_lo, exec_lo, s8
	v_add_nc_u32_e32 v28, 0x80, v76
	v_mad_i64_i32 v[24:25], null, v28, s15, 0
	v_mad_i64_i32 v[26:27], null, v28, s14, 0
	v_cmp_gt_i32_e64 s8, s13, v28
	v_lshlrev_b64 v[24:25], 1, v[24:25]
	s_and_b32 s12, s0, s8
	v_lshlrev_b64 v[28:29], 1, v[26:27]
	v_add_co_u32 v26, vcc_lo, s16, v24
	v_add_co_ci_u32_e64 v27, null, s17, v25, vcc_lo
	v_add_co_u32 v24, vcc_lo, s9, v28
	v_add_co_ci_u32_e64 v25, null, s10, v29, vcc_lo
	s_and_saveexec_b32 s11, s12
	s_cbranch_execnz .LBB281_227
; %bb.220:
	s_or_b32 exec_lo, exec_lo, s11
	s_and_b32 s12, s1, s8
	s_and_saveexec_b32 s11, s12
	s_cbranch_execnz .LBB281_231
.LBB281_221:
	s_or_b32 exec_lo, exec_lo, s11
	s_and_b32 s12, s2, s8
	s_and_saveexec_b32 s11, s12
	s_cbranch_execnz .LBB281_235
.LBB281_222:
	s_or_b32 exec_lo, exec_lo, s11
	s_and_b32 s12, s3, s8
	s_and_saveexec_b32 s11, s12
	s_cbranch_execnz .LBB281_239
.LBB281_223:
	s_or_b32 exec_lo, exec_lo, s11
	s_and_b32 s12, s4, s8
	s_and_saveexec_b32 s11, s12
	s_cbranch_execnz .LBB281_243
.LBB281_224:
	s_or_b32 exec_lo, exec_lo, s11
	s_and_b32 s12, s5, s8
	s_and_saveexec_b32 s11, s12
	s_cbranch_execnz .LBB281_247
.LBB281_225:
	s_or_b32 exec_lo, exec_lo, s11
	s_and_b32 s12, s6, s8
	s_and_saveexec_b32 s11, s12
	s_cbranch_execnz .LBB281_251
.LBB281_226:
	s_or_b32 exec_lo, exec_lo, s11
	s_and_b32 s11, s7, s8
	s_and_saveexec_b32 s8, s11
	s_cbranch_execnz .LBB281_255
	s_branch .LBB281_259
.LBB281_227:
	v_cmp_ne_u32_e32 vcc_lo, 1, v72
	s_cbranch_vccnz .LBB281_229
; %bb.228:
	v_lshlrev_b64 v[28:29], 1, v[32:33]
	v_add_co_u32 v28, vcc_lo, v26, v28
	v_add_co_ci_u32_e64 v29, null, v27, v29, vcc_lo
	global_load_ushort v28, v[28:29], off
	s_waitcnt vmcnt(0)
	v_mul_f16_e32 v28, s22, v28
	v_cvt_f32_f16_e32 v28, v28
	s_branch .LBB281_230
.LBB281_229:
	v_mov_b32_e32 v28, 0
.LBB281_230:
	v_pk_add_f16 v29, v16, v20
	v_pk_add_f16 v30, v17, v21
	v_max_f16_e32 v31, v82, v82
	v_lshrrev_b32_e32 v77, 16, v82
	v_max_f32_e32 v28, v28, v28
	v_lshrrev_b32_e32 v82, 16, v29
	v_lshrrev_b32_e32 v83, 16, v30
	v_min_f16_e32 v29, v31, v29
	v_min3_f16 v31, v77, v82, v83
	v_min3_f16 v29, v29, v30, v31
	v_cvt_f32_f16_e32 v29, v29
	v_min_f32_e32 v30, v28, v29
	v_lshlrev_b64 v[28:29], 1, v[32:33]
	v_cvt_f16_f32_e32 v30, v30
	v_add_co_u32 v28, vcc_lo, v24, v28
	v_add_co_ci_u32_e64 v29, null, v25, v29, vcc_lo
	global_store_short v[28:29], v30, off
	s_or_b32 exec_lo, exec_lo, s11
	s_and_b32 s12, s1, s8
	s_and_saveexec_b32 s11, s12
	s_cbranch_execz .LBB281_221
.LBB281_231:
	v_cmp_ne_u32_e32 vcc_lo, 1, v72
	s_cbranch_vccnz .LBB281_233
; %bb.232:
	v_lshlrev_b64 v[28:29], 1, v[34:35]
	v_add_co_u32 v28, vcc_lo, v26, v28
	v_add_co_ci_u32_e64 v29, null, v27, v29, vcc_lo
	global_load_ushort v28, v[28:29], off
	s_waitcnt vmcnt(0)
	v_mul_f16_e32 v28, s22, v28
	v_cvt_f32_f16_e32 v28, v28
	s_branch .LBB281_234
.LBB281_233:
	v_mov_b32_e32 v28, 0
.LBB281_234:
	v_pk_add_f16 v29, v18, v20
	v_pk_add_f16 v30, v19, v21
	v_max_f16_e32 v31, v81, v81
	v_lshrrev_b32_e32 v77, 16, v81
	v_max_f32_e32 v28, v28, v28
	v_lshrrev_b32_e32 v81, 16, v29
	v_lshrrev_b32_e32 v82, 16, v30
	v_min_f16_e32 v29, v31, v29
	v_min3_f16 v31, v77, v81, v82
	v_min3_f16 v29, v29, v30, v31
	v_cvt_f32_f16_e32 v29, v29
	v_min_f32_e32 v30, v28, v29
	v_lshlrev_b64 v[28:29], 1, v[34:35]
	v_cvt_f16_f32_e32 v30, v30
	v_add_co_u32 v28, vcc_lo, v24, v28
	v_add_co_ci_u32_e64 v29, null, v25, v29, vcc_lo
	global_store_short v[28:29], v30, off
	s_or_b32 exec_lo, exec_lo, s11
	s_and_b32 s12, s2, s8
	s_and_saveexec_b32 s11, s12
	s_cbranch_execz .LBB281_222
.LBB281_235:
	v_cmp_ne_u32_e32 vcc_lo, 1, v72
	s_cbranch_vccnz .LBB281_237
; %bb.236:
	v_lshlrev_b64 v[28:29], 1, v[36:37]
	v_add_co_u32 v28, vcc_lo, v26, v28
	v_add_co_ci_u32_e64 v29, null, v27, v29, vcc_lo
	global_load_ushort v28, v[28:29], off
	s_waitcnt vmcnt(0)
	v_mul_f16_e32 v28, s22, v28
	v_cvt_f32_f16_e32 v28, v28
	s_branch .LBB281_238
.LBB281_237:
	v_mov_b32_e32 v28, 0
.LBB281_238:
	v_pk_add_f16 v29, v12, v20
	v_pk_add_f16 v30, v13, v21
	v_max_f16_e32 v31, v80, v80
	v_lshrrev_b32_e32 v77, 16, v80
	v_max_f32_e32 v28, v28, v28
	v_lshrrev_b32_e32 v80, 16, v29
	v_lshrrev_b32_e32 v81, 16, v30
	v_min_f16_e32 v29, v31, v29
	v_min3_f16 v31, v77, v80, v81
	v_min3_f16 v29, v29, v30, v31
	v_cvt_f32_f16_e32 v29, v29
	v_min_f32_e32 v30, v28, v29
	v_lshlrev_b64 v[28:29], 1, v[36:37]
	v_cvt_f16_f32_e32 v30, v30
	v_add_co_u32 v28, vcc_lo, v24, v28
	v_add_co_ci_u32_e64 v29, null, v25, v29, vcc_lo
	global_store_short v[28:29], v30, off
	s_or_b32 exec_lo, exec_lo, s11
	s_and_b32 s12, s3, s8
	s_and_saveexec_b32 s11, s12
	s_cbranch_execz .LBB281_223
.LBB281_239:
	v_cmp_ne_u32_e32 vcc_lo, 1, v72
	s_cbranch_vccnz .LBB281_241
; %bb.240:
	v_lshlrev_b64 v[28:29], 1, v[38:39]
	v_add_co_u32 v28, vcc_lo, v26, v28
	v_add_co_ci_u32_e64 v29, null, v27, v29, vcc_lo
	global_load_ushort v28, v[28:29], off
	s_waitcnt vmcnt(0)
	v_mul_f16_e32 v28, s22, v28
	v_cvt_f32_f16_e32 v28, v28
	s_branch .LBB281_242
.LBB281_241:
	v_mov_b32_e32 v28, 0
.LBB281_242:
	v_pk_add_f16 v29, v14, v20
	v_pk_add_f16 v30, v15, v21
	v_max_f16_e32 v31, v79, v79
	v_lshrrev_b32_e32 v77, 16, v79
	v_max_f32_e32 v28, v28, v28
	v_lshrrev_b32_e32 v79, 16, v29
	v_lshrrev_b32_e32 v80, 16, v30
	v_min_f16_e32 v29, v31, v29
	v_min3_f16 v31, v77, v79, v80
	v_min3_f16 v29, v29, v30, v31
	v_cvt_f32_f16_e32 v29, v29
	v_min_f32_e32 v30, v28, v29
	v_lshlrev_b64 v[28:29], 1, v[38:39]
	v_cvt_f16_f32_e32 v30, v30
	v_add_co_u32 v28, vcc_lo, v24, v28
	v_add_co_ci_u32_e64 v29, null, v25, v29, vcc_lo
	global_store_short v[28:29], v30, off
	s_or_b32 exec_lo, exec_lo, s11
	s_and_b32 s12, s4, s8
	s_and_saveexec_b32 s11, s12
	s_cbranch_execz .LBB281_224
.LBB281_243:
	v_cmp_ne_u32_e32 vcc_lo, 1, v72
	s_cbranch_vccnz .LBB281_245
; %bb.244:
	v_lshlrev_b64 v[28:29], 1, v[40:41]
	v_add_co_u32 v28, vcc_lo, v26, v28
	v_add_co_ci_u32_e64 v29, null, v27, v29, vcc_lo
	global_load_ushort v28, v[28:29], off
	s_waitcnt vmcnt(0)
	v_mul_f16_e32 v28, s22, v28
	v_cvt_f32_f16_e32 v28, v28
	s_branch .LBB281_246
.LBB281_245:
	v_mov_b32_e32 v28, 0
.LBB281_246:
	v_pk_add_f16 v29, v8, v20
	v_pk_add_f16 v30, v9, v21
	v_max_f16_e32 v31, v78, v78
	v_lshrrev_b32_e32 v77, 16, v78
	v_max_f32_e32 v28, v28, v28
	v_lshrrev_b32_e32 v78, 16, v29
	v_lshrrev_b32_e32 v79, 16, v30
	v_min_f16_e32 v29, v31, v29
	v_min3_f16 v31, v77, v78, v79
	v_min3_f16 v29, v29, v30, v31
	v_cvt_f32_f16_e32 v29, v29
	v_min_f32_e32 v30, v28, v29
	v_lshlrev_b64 v[28:29], 1, v[40:41]
	v_cvt_f16_f32_e32 v30, v30
	v_add_co_u32 v28, vcc_lo, v24, v28
	v_add_co_ci_u32_e64 v29, null, v25, v29, vcc_lo
	global_store_short v[28:29], v30, off
	s_or_b32 exec_lo, exec_lo, s11
	s_and_b32 s12, s5, s8
	s_and_saveexec_b32 s11, s12
	s_cbranch_execz .LBB281_225
.LBB281_247:
	v_cmp_ne_u32_e32 vcc_lo, 1, v72
	s_cbranch_vccnz .LBB281_249
; %bb.248:
	v_lshlrev_b64 v[28:29], 1, v[42:43]
	v_add_co_u32 v28, vcc_lo, v26, v28
	v_add_co_ci_u32_e64 v29, null, v27, v29, vcc_lo
	global_load_ushort v28, v[28:29], off
	s_waitcnt vmcnt(0)
	v_mul_f16_e32 v28, s22, v28
	v_cvt_f32_f16_e32 v28, v28
	s_branch .LBB281_250
.LBB281_249:
	v_mov_b32_e32 v28, 0
.LBB281_250:
	v_pk_add_f16 v29, v10, v20
	v_pk_add_f16 v30, v11, v21
	v_max_f16_e32 v31, v75, v75
	v_lshrrev_b32_e32 v75, 16, v75
	v_max_f32_e32 v28, v28, v28
	v_lshrrev_b32_e32 v77, 16, v29
	v_lshrrev_b32_e32 v78, 16, v30
	v_min_f16_e32 v29, v31, v29
	v_min3_f16 v31, v75, v77, v78
	v_min3_f16 v29, v29, v30, v31
	v_cvt_f32_f16_e32 v29, v29
	v_min_f32_e32 v30, v28, v29
	v_lshlrev_b64 v[28:29], 1, v[42:43]
	v_cvt_f16_f32_e32 v30, v30
	v_add_co_u32 v28, vcc_lo, v24, v28
	v_add_co_ci_u32_e64 v29, null, v25, v29, vcc_lo
	global_store_short v[28:29], v30, off
	s_or_b32 exec_lo, exec_lo, s11
	s_and_b32 s12, s6, s8
	s_and_saveexec_b32 s11, s12
	s_cbranch_execz .LBB281_226
.LBB281_251:
	v_cmp_ne_u32_e32 vcc_lo, 1, v72
	s_cbranch_vccnz .LBB281_253
; %bb.252:
	v_lshlrev_b64 v[28:29], 1, v[44:45]
	v_add_co_u32 v28, vcc_lo, v26, v28
	v_add_co_ci_u32_e64 v29, null, v27, v29, vcc_lo
	global_load_ushort v28, v[28:29], off
	s_waitcnt vmcnt(0)
	v_mul_f16_e32 v28, s22, v28
	v_cvt_f32_f16_e32 v28, v28
	s_branch .LBB281_254
.LBB281_253:
	v_mov_b32_e32 v28, 0
.LBB281_254:
	v_pk_add_f16 v29, v0, v20
	v_pk_add_f16 v30, v1, v21
	v_max_f16_e32 v31, v73, v73
	v_lshrrev_b32_e32 v73, 16, v73
	v_max_f32_e32 v28, v28, v28
	v_lshrrev_b32_e32 v75, 16, v29
	v_lshrrev_b32_e32 v77, 16, v30
	v_min_f16_e32 v29, v31, v29
	v_min3_f16 v31, v73, v75, v77
	v_min3_f16 v29, v29, v30, v31
	v_cvt_f32_f16_e32 v29, v29
	v_min_f32_e32 v30, v28, v29
	v_lshlrev_b64 v[28:29], 1, v[44:45]
	v_cvt_f16_f32_e32 v30, v30
	v_add_co_u32 v28, vcc_lo, v24, v28
	v_add_co_ci_u32_e64 v29, null, v25, v29, vcc_lo
	global_store_short v[28:29], v30, off
	s_or_b32 exec_lo, exec_lo, s11
	s_and_b32 s11, s7, s8
	s_and_saveexec_b32 s8, s11
	s_cbranch_execz .LBB281_259
.LBB281_255:
	v_cmp_ne_u32_e32 vcc_lo, 1, v72
	s_cbranch_vccnz .LBB281_257
; %bb.256:
	v_lshlrev_b64 v[28:29], 1, v[46:47]
	v_add_co_u32 v26, vcc_lo, v26, v28
	v_add_co_ci_u32_e64 v27, null, v27, v29, vcc_lo
	global_load_ushort v26, v[26:27], off
	s_waitcnt vmcnt(0)
	v_mul_f16_e32 v26, s22, v26
	v_cvt_f32_f16_e32 v26, v26
	s_branch .LBB281_258
.LBB281_257:
	v_mov_b32_e32 v26, 0
.LBB281_258:
	v_pk_add_f16 v20, v2, v20
	v_pk_add_f16 v21, v3, v21
	v_max_f16_e32 v27, v74, v74
	v_lshrrev_b32_e32 v28, 16, v74
	v_lshrrev_b32_e32 v29, 16, v20
	;; [unrolled: 1-line block ×3, first 2 shown]
	v_min_f16_e32 v20, v27, v20
	v_min3_f16 v27, v28, v29, v30
	v_min3_f16 v20, v20, v21, v27
	v_max_f32_e32 v21, v26, v26
	v_cvt_f32_f16_e32 v20, v20
	v_min_f32_e32 v26, v21, v20
	v_lshlrev_b64 v[20:21], 1, v[46:47]
	v_cvt_f16_f32_e32 v26, v26
	v_add_co_u32 v20, vcc_lo, v24, v20
	v_add_co_ci_u32_e64 v21, null, v25, v21, vcc_lo
	global_store_short v[20:21], v26, off
.LBB281_259:
	s_or_b32 exec_lo, exec_lo, s8
	v_add_nc_u32_e32 v26, 0xa0, v76
	v_mad_i64_i32 v[20:21], null, v26, s15, 0
	v_mad_i64_i32 v[24:25], null, v26, s14, 0
	v_cmp_gt_i32_e64 s8, s13, v26
	v_lshlrev_b64 v[20:21], 1, v[20:21]
	s_and_b32 s12, s0, s8
	v_lshlrev_b64 v[26:27], 1, v[24:25]
	v_add_co_u32 v24, vcc_lo, s16, v20
	v_add_co_ci_u32_e64 v25, null, s17, v21, vcc_lo
	v_add_co_u32 v20, vcc_lo, s9, v26
	v_add_co_ci_u32_e64 v21, null, s10, v27, vcc_lo
	s_and_saveexec_b32 s11, s12
	s_cbranch_execnz .LBB281_267
; %bb.260:
	s_or_b32 exec_lo, exec_lo, s11
	s_and_b32 s12, s1, s8
	s_and_saveexec_b32 s11, s12
	s_cbranch_execnz .LBB281_271
.LBB281_261:
	s_or_b32 exec_lo, exec_lo, s11
	s_and_b32 s12, s2, s8
	s_and_saveexec_b32 s11, s12
	s_cbranch_execnz .LBB281_275
.LBB281_262:
	s_or_b32 exec_lo, exec_lo, s11
	s_and_b32 s12, s3, s8
	s_and_saveexec_b32 s11, s12
	s_cbranch_execnz .LBB281_279
.LBB281_263:
	s_or_b32 exec_lo, exec_lo, s11
	s_and_b32 s12, s4, s8
	s_and_saveexec_b32 s11, s12
	s_cbranch_execnz .LBB281_283
.LBB281_264:
	s_or_b32 exec_lo, exec_lo, s11
	s_and_b32 s12, s5, s8
	s_and_saveexec_b32 s11, s12
	s_cbranch_execnz .LBB281_287
.LBB281_265:
	s_or_b32 exec_lo, exec_lo, s11
	s_and_b32 s12, s6, s8
	s_and_saveexec_b32 s11, s12
	s_cbranch_execnz .LBB281_291
.LBB281_266:
	s_or_b32 exec_lo, exec_lo, s11
	s_and_b32 s11, s7, s8
	s_and_saveexec_b32 s8, s11
	s_cbranch_execnz .LBB281_295
	s_branch .LBB281_299
.LBB281_267:
	v_cmp_ne_u32_e32 vcc_lo, 1, v72
	s_cbranch_vccnz .LBB281_269
; %bb.268:
	v_lshlrev_b64 v[26:27], 1, v[32:33]
	v_add_co_u32 v26, vcc_lo, v24, v26
	v_add_co_ci_u32_e64 v27, null, v25, v27, vcc_lo
	global_load_ushort v26, v[26:27], off
	s_waitcnt vmcnt(0)
	v_mul_f16_e32 v26, s22, v26
	v_cvt_f32_f16_e32 v26, v26
	s_branch .LBB281_270
.LBB281_269:
	v_mov_b32_e32 v26, 0
.LBB281_270:
	v_pk_add_f16 v27, v16, v22
	v_pk_add_f16 v28, v17, v23
	v_max_f16_e32 v29, v71, v71
	v_lshrrev_b32_e32 v30, 16, v71
	v_max_f32_e32 v26, v26, v26
	v_lshrrev_b32_e32 v31, 16, v27
	v_lshrrev_b32_e32 v71, 16, v28
	v_min_f16_e32 v27, v29, v27
	v_min3_f16 v29, v30, v31, v71
	v_min3_f16 v27, v27, v28, v29
	v_cvt_f32_f16_e32 v27, v27
	v_min_f32_e32 v28, v26, v27
	v_lshlrev_b64 v[26:27], 1, v[32:33]
	v_cvt_f16_f32_e32 v28, v28
	v_add_co_u32 v26, vcc_lo, v20, v26
	v_add_co_ci_u32_e64 v27, null, v21, v27, vcc_lo
	global_store_short v[26:27], v28, off
	s_or_b32 exec_lo, exec_lo, s11
	s_and_b32 s12, s1, s8
	s_and_saveexec_b32 s11, s12
	s_cbranch_execz .LBB281_261
.LBB281_271:
	v_cmp_ne_u32_e32 vcc_lo, 1, v72
	s_cbranch_vccnz .LBB281_273
; %bb.272:
	v_lshlrev_b64 v[26:27], 1, v[34:35]
	v_add_co_u32 v26, vcc_lo, v24, v26
	v_add_co_ci_u32_e64 v27, null, v25, v27, vcc_lo
	global_load_ushort v26, v[26:27], off
	s_waitcnt vmcnt(0)
	v_mul_f16_e32 v26, s22, v26
	v_cvt_f32_f16_e32 v26, v26
	s_branch .LBB281_274
.LBB281_273:
	v_mov_b32_e32 v26, 0
.LBB281_274:
	v_pk_add_f16 v27, v18, v22
	v_pk_add_f16 v28, v19, v23
	v_max_f16_e32 v29, v70, v70
	v_lshrrev_b32_e32 v30, 16, v70
	v_max_f32_e32 v26, v26, v26
	v_lshrrev_b32_e32 v31, 16, v27
	v_lshrrev_b32_e32 v70, 16, v28
	v_min_f16_e32 v27, v29, v27
	v_min3_f16 v29, v30, v31, v70
	v_min3_f16 v27, v27, v28, v29
	v_cvt_f32_f16_e32 v27, v27
	v_min_f32_e32 v28, v26, v27
	v_lshlrev_b64 v[26:27], 1, v[34:35]
	v_cvt_f16_f32_e32 v28, v28
	v_add_co_u32 v26, vcc_lo, v20, v26
	v_add_co_ci_u32_e64 v27, null, v21, v27, vcc_lo
	global_store_short v[26:27], v28, off
	s_or_b32 exec_lo, exec_lo, s11
	s_and_b32 s12, s2, s8
	s_and_saveexec_b32 s11, s12
	s_cbranch_execz .LBB281_262
.LBB281_275:
	v_cmp_ne_u32_e32 vcc_lo, 1, v72
	s_cbranch_vccnz .LBB281_277
; %bb.276:
	v_lshlrev_b64 v[26:27], 1, v[36:37]
	v_add_co_u32 v26, vcc_lo, v24, v26
	v_add_co_ci_u32_e64 v27, null, v25, v27, vcc_lo
	global_load_ushort v26, v[26:27], off
	s_waitcnt vmcnt(0)
	v_mul_f16_e32 v26, s22, v26
	v_cvt_f32_f16_e32 v26, v26
	s_branch .LBB281_278
.LBB281_277:
	v_mov_b32_e32 v26, 0
.LBB281_278:
	v_pk_add_f16 v27, v12, v22
	v_pk_add_f16 v28, v13, v23
	v_max_f16_e32 v29, v69, v69
	v_lshrrev_b32_e32 v30, 16, v69
	v_max_f32_e32 v26, v26, v26
	v_lshrrev_b32_e32 v31, 16, v27
	v_lshrrev_b32_e32 v69, 16, v28
	v_min_f16_e32 v27, v29, v27
	v_min3_f16 v29, v30, v31, v69
	v_min3_f16 v27, v27, v28, v29
	v_cvt_f32_f16_e32 v27, v27
	v_min_f32_e32 v28, v26, v27
	v_lshlrev_b64 v[26:27], 1, v[36:37]
	v_cvt_f16_f32_e32 v28, v28
	v_add_co_u32 v26, vcc_lo, v20, v26
	v_add_co_ci_u32_e64 v27, null, v21, v27, vcc_lo
	global_store_short v[26:27], v28, off
	s_or_b32 exec_lo, exec_lo, s11
	s_and_b32 s12, s3, s8
	s_and_saveexec_b32 s11, s12
	s_cbranch_execz .LBB281_263
.LBB281_279:
	v_cmp_ne_u32_e32 vcc_lo, 1, v72
	s_cbranch_vccnz .LBB281_281
; %bb.280:
	v_lshlrev_b64 v[26:27], 1, v[38:39]
	v_add_co_u32 v26, vcc_lo, v24, v26
	v_add_co_ci_u32_e64 v27, null, v25, v27, vcc_lo
	global_load_ushort v26, v[26:27], off
	s_waitcnt vmcnt(0)
	v_mul_f16_e32 v26, s22, v26
	v_cvt_f32_f16_e32 v26, v26
	s_branch .LBB281_282
.LBB281_281:
	v_mov_b32_e32 v26, 0
.LBB281_282:
	v_pk_add_f16 v27, v14, v22
	v_pk_add_f16 v28, v15, v23
	v_max_f16_e32 v29, v68, v68
	v_lshrrev_b32_e32 v30, 16, v68
	v_max_f32_e32 v26, v26, v26
	v_lshrrev_b32_e32 v31, 16, v27
	v_lshrrev_b32_e32 v68, 16, v28
	v_min_f16_e32 v27, v29, v27
	v_min3_f16 v29, v30, v31, v68
	v_min3_f16 v27, v27, v28, v29
	v_cvt_f32_f16_e32 v27, v27
	v_min_f32_e32 v28, v26, v27
	v_lshlrev_b64 v[26:27], 1, v[38:39]
	v_cvt_f16_f32_e32 v28, v28
	v_add_co_u32 v26, vcc_lo, v20, v26
	v_add_co_ci_u32_e64 v27, null, v21, v27, vcc_lo
	global_store_short v[26:27], v28, off
	s_or_b32 exec_lo, exec_lo, s11
	s_and_b32 s12, s4, s8
	s_and_saveexec_b32 s11, s12
	s_cbranch_execz .LBB281_264
.LBB281_283:
	v_cmp_ne_u32_e32 vcc_lo, 1, v72
	s_cbranch_vccnz .LBB281_285
; %bb.284:
	v_lshlrev_b64 v[26:27], 1, v[40:41]
	v_add_co_u32 v26, vcc_lo, v24, v26
	v_add_co_ci_u32_e64 v27, null, v25, v27, vcc_lo
	global_load_ushort v26, v[26:27], off
	s_waitcnt vmcnt(0)
	v_mul_f16_e32 v26, s22, v26
	v_cvt_f32_f16_e32 v26, v26
	s_branch .LBB281_286
.LBB281_285:
	v_mov_b32_e32 v26, 0
.LBB281_286:
	v_pk_add_f16 v27, v8, v22
	v_pk_add_f16 v28, v9, v23
	v_max_f16_e32 v29, v67, v67
	v_lshrrev_b32_e32 v30, 16, v67
	v_max_f32_e32 v26, v26, v26
	v_lshrrev_b32_e32 v31, 16, v27
	v_lshrrev_b32_e32 v67, 16, v28
	v_min_f16_e32 v27, v29, v27
	v_min3_f16 v29, v30, v31, v67
	v_min3_f16 v27, v27, v28, v29
	v_cvt_f32_f16_e32 v27, v27
	v_min_f32_e32 v28, v26, v27
	v_lshlrev_b64 v[26:27], 1, v[40:41]
	v_cvt_f16_f32_e32 v28, v28
	v_add_co_u32 v26, vcc_lo, v20, v26
	v_add_co_ci_u32_e64 v27, null, v21, v27, vcc_lo
	global_store_short v[26:27], v28, off
	s_or_b32 exec_lo, exec_lo, s11
	s_and_b32 s12, s5, s8
	s_and_saveexec_b32 s11, s12
	s_cbranch_execz .LBB281_265
.LBB281_287:
	v_cmp_ne_u32_e32 vcc_lo, 1, v72
	s_cbranch_vccnz .LBB281_289
; %bb.288:
	v_lshlrev_b64 v[26:27], 1, v[42:43]
	v_add_co_u32 v26, vcc_lo, v24, v26
	v_add_co_ci_u32_e64 v27, null, v25, v27, vcc_lo
	global_load_ushort v26, v[26:27], off
	s_waitcnt vmcnt(0)
	v_mul_f16_e32 v26, s22, v26
	v_cvt_f32_f16_e32 v26, v26
	s_branch .LBB281_290
.LBB281_289:
	v_mov_b32_e32 v26, 0
.LBB281_290:
	v_pk_add_f16 v27, v10, v22
	v_pk_add_f16 v28, v11, v23
	v_max_f16_e32 v29, v66, v66
	v_lshrrev_b32_e32 v30, 16, v66
	v_max_f32_e32 v26, v26, v26
	v_lshrrev_b32_e32 v31, 16, v27
	v_lshrrev_b32_e32 v66, 16, v28
	v_min_f16_e32 v27, v29, v27
	v_min3_f16 v29, v30, v31, v66
	v_min3_f16 v27, v27, v28, v29
	v_cvt_f32_f16_e32 v27, v27
	v_min_f32_e32 v28, v26, v27
	v_lshlrev_b64 v[26:27], 1, v[42:43]
	v_cvt_f16_f32_e32 v28, v28
	v_add_co_u32 v26, vcc_lo, v20, v26
	v_add_co_ci_u32_e64 v27, null, v21, v27, vcc_lo
	global_store_short v[26:27], v28, off
	s_or_b32 exec_lo, exec_lo, s11
	s_and_b32 s12, s6, s8
	s_and_saveexec_b32 s11, s12
	s_cbranch_execz .LBB281_266
.LBB281_291:
	v_cmp_ne_u32_e32 vcc_lo, 1, v72
	s_cbranch_vccnz .LBB281_293
; %bb.292:
	v_lshlrev_b64 v[26:27], 1, v[44:45]
	v_add_co_u32 v26, vcc_lo, v24, v26
	v_add_co_ci_u32_e64 v27, null, v25, v27, vcc_lo
	global_load_ushort v26, v[26:27], off
	s_waitcnt vmcnt(0)
	v_mul_f16_e32 v26, s22, v26
	v_cvt_f32_f16_e32 v26, v26
	s_branch .LBB281_294
.LBB281_293:
	v_mov_b32_e32 v26, 0
.LBB281_294:
	v_pk_add_f16 v27, v0, v22
	v_pk_add_f16 v28, v1, v23
	v_max_f16_e32 v29, v65, v65
	v_lshrrev_b32_e32 v30, 16, v65
	v_max_f32_e32 v26, v26, v26
	v_lshrrev_b32_e32 v31, 16, v27
	v_lshrrev_b32_e32 v65, 16, v28
	v_min_f16_e32 v27, v29, v27
	v_min3_f16 v29, v30, v31, v65
	v_min3_f16 v27, v27, v28, v29
	v_cvt_f32_f16_e32 v27, v27
	v_min_f32_e32 v28, v26, v27
	v_lshlrev_b64 v[26:27], 1, v[44:45]
	v_cvt_f16_f32_e32 v28, v28
	v_add_co_u32 v26, vcc_lo, v20, v26
	v_add_co_ci_u32_e64 v27, null, v21, v27, vcc_lo
	global_store_short v[26:27], v28, off
	s_or_b32 exec_lo, exec_lo, s11
	s_and_b32 s11, s7, s8
	s_and_saveexec_b32 s8, s11
	s_cbranch_execz .LBB281_299
.LBB281_295:
	v_cmp_ne_u32_e32 vcc_lo, 1, v72
	s_cbranch_vccnz .LBB281_297
; %bb.296:
	v_lshlrev_b64 v[26:27], 1, v[46:47]
	v_add_co_u32 v24, vcc_lo, v24, v26
	v_add_co_ci_u32_e64 v25, null, v25, v27, vcc_lo
	global_load_ushort v24, v[24:25], off
	s_waitcnt vmcnt(0)
	v_mul_f16_e32 v24, s22, v24
	v_cvt_f32_f16_e32 v24, v24
	s_branch .LBB281_298
.LBB281_297:
	v_mov_b32_e32 v24, 0
.LBB281_298:
	v_pk_add_f16 v22, v2, v22
	v_pk_add_f16 v23, v3, v23
	v_max_f16_e32 v25, v63, v63
	v_lshrrev_b32_e32 v26, 16, v63
	v_lshrrev_b32_e32 v27, 16, v22
	;; [unrolled: 1-line block ×3, first 2 shown]
	v_min_f16_e32 v22, v25, v22
	v_min3_f16 v25, v26, v27, v28
	v_min3_f16 v22, v22, v23, v25
	v_max_f32_e32 v23, v24, v24
	v_cvt_f32_f16_e32 v22, v22
	v_min_f32_e32 v24, v23, v22
	v_lshlrev_b64 v[22:23], 1, v[46:47]
	v_cvt_f16_f32_e32 v24, v24
	v_add_co_u32 v20, vcc_lo, v20, v22
	v_add_co_ci_u32_e64 v21, null, v21, v23, vcc_lo
	global_store_short v[20:21], v24, off
.LBB281_299:
	s_or_b32 exec_lo, exec_lo, s8
	v_add_nc_u32_e32 v24, 0xc0, v76
	v_mad_i64_i32 v[20:21], null, v24, s15, 0
	v_mad_i64_i32 v[22:23], null, v24, s14, 0
	v_cmp_gt_i32_e64 s8, s13, v24
	v_lshlrev_b64 v[20:21], 1, v[20:21]
	s_and_b32 s12, s0, s8
	v_lshlrev_b64 v[24:25], 1, v[22:23]
	v_add_co_u32 v22, vcc_lo, s16, v20
	v_add_co_ci_u32_e64 v23, null, s17, v21, vcc_lo
	v_add_co_u32 v20, vcc_lo, s9, v24
	v_add_co_ci_u32_e64 v21, null, s10, v25, vcc_lo
	s_and_saveexec_b32 s11, s12
	s_cbranch_execnz .LBB281_307
; %bb.300:
	s_or_b32 exec_lo, exec_lo, s11
	s_and_b32 s12, s1, s8
	s_and_saveexec_b32 s11, s12
	s_cbranch_execnz .LBB281_311
.LBB281_301:
	s_or_b32 exec_lo, exec_lo, s11
	s_and_b32 s12, s2, s8
	s_and_saveexec_b32 s11, s12
	s_cbranch_execnz .LBB281_315
.LBB281_302:
	s_or_b32 exec_lo, exec_lo, s11
	s_and_b32 s12, s3, s8
	s_and_saveexec_b32 s11, s12
	s_cbranch_execnz .LBB281_319
.LBB281_303:
	s_or_b32 exec_lo, exec_lo, s11
	s_and_b32 s12, s4, s8
	s_and_saveexec_b32 s11, s12
	s_cbranch_execnz .LBB281_323
.LBB281_304:
	s_or_b32 exec_lo, exec_lo, s11
	s_and_b32 s12, s5, s8
	s_and_saveexec_b32 s11, s12
	s_cbranch_execnz .LBB281_327
.LBB281_305:
	s_or_b32 exec_lo, exec_lo, s11
	s_and_b32 s12, s6, s8
	s_and_saveexec_b32 s11, s12
	s_cbranch_execnz .LBB281_331
.LBB281_306:
	s_or_b32 exec_lo, exec_lo, s11
	s_and_b32 s11, s7, s8
	s_and_saveexec_b32 s8, s11
	s_cbranch_execnz .LBB281_335
	s_branch .LBB281_339
.LBB281_307:
	v_cmp_ne_u32_e32 vcc_lo, 1, v72
	s_cbranch_vccnz .LBB281_309
; %bb.308:
	v_lshlrev_b64 v[24:25], 1, v[32:33]
	v_add_co_u32 v24, vcc_lo, v22, v24
	v_add_co_ci_u32_e64 v25, null, v23, v25, vcc_lo
	global_load_ushort v24, v[24:25], off
	s_waitcnt vmcnt(0)
	v_mul_f16_e32 v24, s22, v24
	v_cvt_f32_f16_e32 v24, v24
	s_branch .LBB281_310
.LBB281_309:
	v_mov_b32_e32 v24, 0
.LBB281_310:
	v_pk_add_f16 v25, v16, v4
	v_pk_add_f16 v26, v17, v5
	v_max_f16_e32 v27, v61, v61
	v_lshrrev_b32_e32 v28, 16, v61
	v_max_f32_e32 v24, v24, v24
	v_lshrrev_b32_e32 v29, 16, v25
	v_lshrrev_b32_e32 v30, 16, v26
	v_min_f16_e32 v25, v27, v25
	v_min3_f16 v27, v28, v29, v30
	v_min3_f16 v25, v25, v26, v27
	v_cvt_f32_f16_e32 v25, v25
	v_min_f32_e32 v26, v24, v25
	v_lshlrev_b64 v[24:25], 1, v[32:33]
	v_cvt_f16_f32_e32 v26, v26
	v_add_co_u32 v24, vcc_lo, v20, v24
	v_add_co_ci_u32_e64 v25, null, v21, v25, vcc_lo
	global_store_short v[24:25], v26, off
	s_or_b32 exec_lo, exec_lo, s11
	s_and_b32 s12, s1, s8
	s_and_saveexec_b32 s11, s12
	s_cbranch_execz .LBB281_301
.LBB281_311:
	v_cmp_ne_u32_e32 vcc_lo, 1, v72
	s_cbranch_vccnz .LBB281_313
; %bb.312:
	v_lshlrev_b64 v[24:25], 1, v[34:35]
	v_add_co_u32 v24, vcc_lo, v22, v24
	v_add_co_ci_u32_e64 v25, null, v23, v25, vcc_lo
	global_load_ushort v24, v[24:25], off
	s_waitcnt vmcnt(0)
	v_mul_f16_e32 v24, s22, v24
	v_cvt_f32_f16_e32 v24, v24
	s_branch .LBB281_314
.LBB281_313:
	v_mov_b32_e32 v24, 0
.LBB281_314:
	v_pk_add_f16 v25, v18, v4
	v_pk_add_f16 v26, v19, v5
	v_max_f16_e32 v27, v59, v59
	v_lshrrev_b32_e32 v28, 16, v59
	v_max_f32_e32 v24, v24, v24
	v_lshrrev_b32_e32 v29, 16, v25
	v_lshrrev_b32_e32 v30, 16, v26
	v_min_f16_e32 v25, v27, v25
	v_min3_f16 v27, v28, v29, v30
	v_min3_f16 v25, v25, v26, v27
	v_cvt_f32_f16_e32 v25, v25
	v_min_f32_e32 v26, v24, v25
	v_lshlrev_b64 v[24:25], 1, v[34:35]
	v_cvt_f16_f32_e32 v26, v26
	v_add_co_u32 v24, vcc_lo, v20, v24
	v_add_co_ci_u32_e64 v25, null, v21, v25, vcc_lo
	global_store_short v[24:25], v26, off
	s_or_b32 exec_lo, exec_lo, s11
	s_and_b32 s12, s2, s8
	s_and_saveexec_b32 s11, s12
	s_cbranch_execz .LBB281_302
.LBB281_315:
	v_cmp_ne_u32_e32 vcc_lo, 1, v72
	s_cbranch_vccnz .LBB281_317
; %bb.316:
	v_lshlrev_b64 v[24:25], 1, v[36:37]
	v_add_co_u32 v24, vcc_lo, v22, v24
	v_add_co_ci_u32_e64 v25, null, v23, v25, vcc_lo
	global_load_ushort v24, v[24:25], off
	s_waitcnt vmcnt(0)
	v_mul_f16_e32 v24, s22, v24
	v_cvt_f32_f16_e32 v24, v24
	s_branch .LBB281_318
.LBB281_317:
	v_mov_b32_e32 v24, 0
.LBB281_318:
	v_pk_add_f16 v25, v12, v4
	v_pk_add_f16 v26, v13, v5
	v_max_f16_e32 v27, v57, v57
	v_lshrrev_b32_e32 v28, 16, v57
	v_max_f32_e32 v24, v24, v24
	v_lshrrev_b32_e32 v29, 16, v25
	v_lshrrev_b32_e32 v30, 16, v26
	v_min_f16_e32 v25, v27, v25
	v_min3_f16 v27, v28, v29, v30
	v_min3_f16 v25, v25, v26, v27
	v_cvt_f32_f16_e32 v25, v25
	v_min_f32_e32 v26, v24, v25
	v_lshlrev_b64 v[24:25], 1, v[36:37]
	v_cvt_f16_f32_e32 v26, v26
	v_add_co_u32 v24, vcc_lo, v20, v24
	v_add_co_ci_u32_e64 v25, null, v21, v25, vcc_lo
	global_store_short v[24:25], v26, off
	s_or_b32 exec_lo, exec_lo, s11
	s_and_b32 s12, s3, s8
	s_and_saveexec_b32 s11, s12
	s_cbranch_execz .LBB281_303
.LBB281_319:
	v_cmp_ne_u32_e32 vcc_lo, 1, v72
	s_cbranch_vccnz .LBB281_321
; %bb.320:
	v_lshlrev_b64 v[24:25], 1, v[38:39]
	v_add_co_u32 v24, vcc_lo, v22, v24
	v_add_co_ci_u32_e64 v25, null, v23, v25, vcc_lo
	global_load_ushort v24, v[24:25], off
	s_waitcnt vmcnt(0)
	v_mul_f16_e32 v24, s22, v24
	v_cvt_f32_f16_e32 v24, v24
	s_branch .LBB281_322
.LBB281_321:
	v_mov_b32_e32 v24, 0
.LBB281_322:
	v_pk_add_f16 v25, v14, v4
	v_pk_add_f16 v26, v15, v5
	v_max_f16_e32 v27, v55, v55
	v_lshrrev_b32_e32 v28, 16, v55
	v_max_f32_e32 v24, v24, v24
	v_lshrrev_b32_e32 v29, 16, v25
	v_lshrrev_b32_e32 v30, 16, v26
	v_min_f16_e32 v25, v27, v25
	v_min3_f16 v27, v28, v29, v30
	v_min3_f16 v25, v25, v26, v27
	v_cvt_f32_f16_e32 v25, v25
	v_min_f32_e32 v26, v24, v25
	v_lshlrev_b64 v[24:25], 1, v[38:39]
	v_cvt_f16_f32_e32 v26, v26
	v_add_co_u32 v24, vcc_lo, v20, v24
	v_add_co_ci_u32_e64 v25, null, v21, v25, vcc_lo
	global_store_short v[24:25], v26, off
	s_or_b32 exec_lo, exec_lo, s11
	s_and_b32 s12, s4, s8
	s_and_saveexec_b32 s11, s12
	s_cbranch_execz .LBB281_304
.LBB281_323:
	v_cmp_ne_u32_e32 vcc_lo, 1, v72
	s_cbranch_vccnz .LBB281_325
; %bb.324:
	v_lshlrev_b64 v[24:25], 1, v[40:41]
	v_add_co_u32 v24, vcc_lo, v22, v24
	v_add_co_ci_u32_e64 v25, null, v23, v25, vcc_lo
	global_load_ushort v24, v[24:25], off
	s_waitcnt vmcnt(0)
	v_mul_f16_e32 v24, s22, v24
	v_cvt_f32_f16_e32 v24, v24
	s_branch .LBB281_326
.LBB281_325:
	v_mov_b32_e32 v24, 0
.LBB281_326:
	v_pk_add_f16 v25, v8, v4
	v_pk_add_f16 v26, v9, v5
	v_max_f16_e32 v27, v54, v54
	v_lshrrev_b32_e32 v28, 16, v54
	v_max_f32_e32 v24, v24, v24
	v_lshrrev_b32_e32 v29, 16, v25
	v_lshrrev_b32_e32 v30, 16, v26
	v_min_f16_e32 v25, v27, v25
	v_min3_f16 v27, v28, v29, v30
	v_min3_f16 v25, v25, v26, v27
	v_cvt_f32_f16_e32 v25, v25
	v_min_f32_e32 v26, v24, v25
	v_lshlrev_b64 v[24:25], 1, v[40:41]
	v_cvt_f16_f32_e32 v26, v26
	v_add_co_u32 v24, vcc_lo, v20, v24
	v_add_co_ci_u32_e64 v25, null, v21, v25, vcc_lo
	global_store_short v[24:25], v26, off
	s_or_b32 exec_lo, exec_lo, s11
	s_and_b32 s12, s5, s8
	s_and_saveexec_b32 s11, s12
	s_cbranch_execz .LBB281_305
.LBB281_327:
	v_cmp_ne_u32_e32 vcc_lo, 1, v72
	s_cbranch_vccnz .LBB281_329
; %bb.328:
	v_lshlrev_b64 v[24:25], 1, v[42:43]
	v_add_co_u32 v24, vcc_lo, v22, v24
	v_add_co_ci_u32_e64 v25, null, v23, v25, vcc_lo
	global_load_ushort v24, v[24:25], off
	s_waitcnt vmcnt(0)
	v_mul_f16_e32 v24, s22, v24
	v_cvt_f32_f16_e32 v24, v24
	s_branch .LBB281_330
.LBB281_329:
	v_mov_b32_e32 v24, 0
.LBB281_330:
	v_pk_add_f16 v25, v10, v4
	v_pk_add_f16 v26, v11, v5
	v_max_f16_e32 v27, v52, v52
	v_lshrrev_b32_e32 v28, 16, v52
	v_max_f32_e32 v24, v24, v24
	v_lshrrev_b32_e32 v29, 16, v25
	v_lshrrev_b32_e32 v30, 16, v26
	v_min_f16_e32 v25, v27, v25
	v_min3_f16 v27, v28, v29, v30
	v_min3_f16 v25, v25, v26, v27
	v_cvt_f32_f16_e32 v25, v25
	v_min_f32_e32 v26, v24, v25
	v_lshlrev_b64 v[24:25], 1, v[42:43]
	v_cvt_f16_f32_e32 v26, v26
	v_add_co_u32 v24, vcc_lo, v20, v24
	v_add_co_ci_u32_e64 v25, null, v21, v25, vcc_lo
	global_store_short v[24:25], v26, off
	s_or_b32 exec_lo, exec_lo, s11
	s_and_b32 s12, s6, s8
	s_and_saveexec_b32 s11, s12
	s_cbranch_execz .LBB281_306
.LBB281_331:
	v_cmp_ne_u32_e32 vcc_lo, 1, v72
	s_cbranch_vccnz .LBB281_333
; %bb.332:
	v_lshlrev_b64 v[24:25], 1, v[44:45]
	v_add_co_u32 v24, vcc_lo, v22, v24
	v_add_co_ci_u32_e64 v25, null, v23, v25, vcc_lo
	global_load_ushort v24, v[24:25], off
	s_waitcnt vmcnt(0)
	v_mul_f16_e32 v24, s22, v24
	v_cvt_f32_f16_e32 v24, v24
	s_branch .LBB281_334
.LBB281_333:
	v_mov_b32_e32 v24, 0
.LBB281_334:
	v_pk_add_f16 v25, v0, v4
	v_pk_add_f16 v26, v1, v5
	v_max_f16_e32 v27, v51, v51
	v_lshrrev_b32_e32 v28, 16, v51
	v_max_f32_e32 v24, v24, v24
	v_lshrrev_b32_e32 v29, 16, v25
	v_lshrrev_b32_e32 v30, 16, v26
	v_min_f16_e32 v25, v27, v25
	v_min3_f16 v27, v28, v29, v30
	v_min3_f16 v25, v25, v26, v27
	v_cvt_f32_f16_e32 v25, v25
	v_min_f32_e32 v26, v24, v25
	v_lshlrev_b64 v[24:25], 1, v[44:45]
	v_cvt_f16_f32_e32 v26, v26
	v_add_co_u32 v24, vcc_lo, v20, v24
	v_add_co_ci_u32_e64 v25, null, v21, v25, vcc_lo
	global_store_short v[24:25], v26, off
	s_or_b32 exec_lo, exec_lo, s11
	s_and_b32 s11, s7, s8
	s_and_saveexec_b32 s8, s11
	s_cbranch_execz .LBB281_339
.LBB281_335:
	v_cmp_ne_u32_e32 vcc_lo, 1, v72
	s_cbranch_vccnz .LBB281_337
; %bb.336:
	v_lshlrev_b64 v[24:25], 1, v[46:47]
	v_add_co_u32 v22, vcc_lo, v22, v24
	v_add_co_ci_u32_e64 v23, null, v23, v25, vcc_lo
	global_load_ushort v22, v[22:23], off
	s_waitcnt vmcnt(0)
	v_mul_f16_e32 v22, s22, v22
	v_cvt_f32_f16_e32 v22, v22
	s_branch .LBB281_338
.LBB281_337:
	v_mov_b32_e32 v22, 0
.LBB281_338:
	v_pk_add_f16 v4, v2, v4
	v_pk_add_f16 v5, v3, v5
	v_max_f16_e32 v23, v53, v53
	v_lshrrev_b32_e32 v24, 16, v53
	v_lshrrev_b32_e32 v25, 16, v4
	;; [unrolled: 1-line block ×3, first 2 shown]
	v_min_f16_e32 v4, v23, v4
	v_min3_f16 v23, v24, v25, v26
	v_min3_f16 v4, v4, v5, v23
	v_max_f32_e32 v5, v22, v22
	v_cvt_f32_f16_e32 v4, v4
	v_min_f32_e32 v22, v5, v4
	v_lshlrev_b64 v[4:5], 1, v[46:47]
	v_cvt_f16_f32_e32 v22, v22
	v_add_co_u32 v4, vcc_lo, v20, v4
	v_add_co_ci_u32_e64 v5, null, v21, v5, vcc_lo
	global_store_short v[4:5], v22, off
.LBB281_339:
	s_or_b32 exec_lo, exec_lo, s8
	v_add_nc_u32_e32 v22, 0xe0, v76
	v_mad_i64_i32 v[4:5], null, v22, s15, 0
	v_mad_i64_i32 v[20:21], null, v22, s14, 0
	v_cmp_gt_i32_e64 s8, s13, v22
	v_lshlrev_b64 v[4:5], 1, v[4:5]
	v_lshlrev_b64 v[20:21], 1, v[20:21]
	v_add_co_u32 v22, vcc_lo, s16, v4
	v_add_co_ci_u32_e64 v23, null, s17, v5, vcc_lo
	v_add_co_u32 v20, vcc_lo, s9, v20
	v_add_co_ci_u32_e64 v21, null, s10, v21, vcc_lo
	s_and_b32 s9, s0, s8
	s_and_saveexec_b32 s0, s9
	s_cbranch_execnz .LBB281_348
; %bb.340:
	s_or_b32 exec_lo, exec_lo, s0
	s_and_b32 s1, s1, s8
	s_and_saveexec_b32 s0, s1
	s_cbranch_execnz .LBB281_352
.LBB281_341:
	s_or_b32 exec_lo, exec_lo, s0
	s_and_b32 s1, s2, s8
	s_and_saveexec_b32 s0, s1
	s_cbranch_execnz .LBB281_356
.LBB281_342:
	s_or_b32 exec_lo, exec_lo, s0
	s_and_b32 s1, s3, s8
	s_and_saveexec_b32 s0, s1
	s_cbranch_execnz .LBB281_360
.LBB281_343:
	s_or_b32 exec_lo, exec_lo, s0
	s_and_b32 s1, s4, s8
	s_and_saveexec_b32 s0, s1
	s_cbranch_execnz .LBB281_364
.LBB281_344:
	s_or_b32 exec_lo, exec_lo, s0
	s_and_b32 s1, s5, s8
	s_and_saveexec_b32 s0, s1
	s_cbranch_execnz .LBB281_368
.LBB281_345:
	s_or_b32 exec_lo, exec_lo, s0
	s_and_b32 s1, s6, s8
	s_and_saveexec_b32 s0, s1
	s_cbranch_execnz .LBB281_372
.LBB281_346:
	s_or_b32 exec_lo, exec_lo, s0
	s_and_b32 s0, s7, s8
	s_and_saveexec_b32 s1, s0
	s_cbranch_execnz .LBB281_376
.LBB281_347:
	s_endpgm
.LBB281_348:
	v_cmp_ne_u32_e32 vcc_lo, 1, v72
	v_lshlrev_b64 v[4:5], 1, v[32:33]
	s_cbranch_vccnz .LBB281_350
; %bb.349:
	v_add_co_u32 v24, vcc_lo, v22, v4
	v_add_co_ci_u32_e64 v25, null, v23, v5, vcc_lo
	global_load_ushort v24, v[24:25], off
	s_waitcnt vmcnt(0)
	v_mul_f16_e32 v24, s22, v24
	v_cvt_f32_f16_e32 v24, v24
	s_branch .LBB281_351
.LBB281_350:
	v_mov_b32_e32 v24, 0
.LBB281_351:
	v_pk_add_f16 v16, v16, v6
	v_pk_add_f16 v17, v17, v7
	v_max_f16_e32 v25, v50, v50
	v_lshrrev_b32_e32 v26, 16, v50
	v_add_co_u32 v4, vcc_lo, v20, v4
	v_lshrrev_b32_e32 v27, 16, v16
	v_lshrrev_b32_e32 v28, 16, v17
	v_min_f16_e32 v16, v25, v16
	v_add_co_ci_u32_e64 v5, null, v21, v5, vcc_lo
	v_min3_f16 v25, v26, v27, v28
	v_min3_f16 v16, v16, v17, v25
	v_max_f32_e32 v17, v24, v24
	v_cvt_f32_f16_e32 v16, v16
	v_min_f32_e32 v16, v17, v16
	v_cvt_f16_f32_e32 v16, v16
	global_store_short v[4:5], v16, off
	s_or_b32 exec_lo, exec_lo, s0
	s_and_b32 s1, s1, s8
	s_and_saveexec_b32 s0, s1
	s_cbranch_execz .LBB281_341
.LBB281_352:
	v_cmp_ne_u32_e32 vcc_lo, 1, v72
	v_lshlrev_b64 v[4:5], 1, v[34:35]
	s_cbranch_vccnz .LBB281_354
; %bb.353:
	v_add_co_u32 v16, vcc_lo, v22, v4
	v_add_co_ci_u32_e64 v17, null, v23, v5, vcc_lo
	global_load_ushort v16, v[16:17], off
	s_waitcnt vmcnt(0)
	v_mul_f16_e32 v16, s22, v16
	v_cvt_f32_f16_e32 v16, v16
	s_branch .LBB281_355
.LBB281_354:
	v_mov_b32_e32 v16, 0
.LBB281_355:
	v_pk_add_f16 v17, v18, v6
	v_pk_add_f16 v18, v19, v7
	v_max_f16_e32 v19, v49, v49
	v_lshrrev_b32_e32 v24, 16, v49
	v_max_f32_e32 v16, v16, v16
	v_lshrrev_b32_e32 v25, 16, v17
	v_lshrrev_b32_e32 v26, 16, v18
	v_min_f16_e32 v17, v19, v17
	v_add_co_u32 v4, vcc_lo, v20, v4
	v_add_co_ci_u32_e64 v5, null, v21, v5, vcc_lo
	v_min3_f16 v19, v24, v25, v26
	v_min3_f16 v17, v17, v18, v19
	v_cvt_f32_f16_e32 v17, v17
	v_min_f32_e32 v16, v16, v17
	v_cvt_f16_f32_e32 v16, v16
	global_store_short v[4:5], v16, off
	s_or_b32 exec_lo, exec_lo, s0
	s_and_b32 s1, s2, s8
	s_and_saveexec_b32 s0, s1
	s_cbranch_execz .LBB281_342
.LBB281_356:
	v_cmp_ne_u32_e32 vcc_lo, 1, v72
	v_lshlrev_b64 v[4:5], 1, v[36:37]
	s_cbranch_vccnz .LBB281_358
; %bb.357:
	v_add_co_u32 v16, vcc_lo, v22, v4
	v_add_co_ci_u32_e64 v17, null, v23, v5, vcc_lo
	global_load_ushort v16, v[16:17], off
	s_waitcnt vmcnt(0)
	v_mul_f16_e32 v16, s22, v16
	v_cvt_f32_f16_e32 v16, v16
	s_branch .LBB281_359
.LBB281_358:
	v_mov_b32_e32 v16, 0
.LBB281_359:
	v_pk_add_f16 v12, v12, v6
	v_pk_add_f16 v13, v13, v7
	v_max_f16_e32 v17, v48, v48
	v_lshrrev_b32_e32 v18, 16, v48
	v_add_co_u32 v4, vcc_lo, v20, v4
	v_lshrrev_b32_e32 v19, 16, v12
	v_lshrrev_b32_e32 v24, 16, v13
	v_min_f16_e32 v12, v17, v12
	v_add_co_ci_u32_e64 v5, null, v21, v5, vcc_lo
	v_min3_f16 v17, v18, v19, v24
	v_min3_f16 v12, v12, v13, v17
	v_max_f32_e32 v13, v16, v16
	v_cvt_f32_f16_e32 v12, v12
	v_min_f32_e32 v12, v13, v12
	v_cvt_f16_f32_e32 v12, v12
	global_store_short v[4:5], v12, off
	s_or_b32 exec_lo, exec_lo, s0
	s_and_b32 s1, s3, s8
	s_and_saveexec_b32 s0, s1
	s_cbranch_execz .LBB281_343
.LBB281_360:
	v_cmp_ne_u32_e32 vcc_lo, 1, v72
	v_lshlrev_b64 v[4:5], 1, v[38:39]
	s_cbranch_vccnz .LBB281_362
; %bb.361:
	v_add_co_u32 v12, vcc_lo, v22, v4
	v_add_co_ci_u32_e64 v13, null, v23, v5, vcc_lo
	global_load_ushort v12, v[12:13], off
	s_waitcnt vmcnt(0)
	v_mul_f16_e32 v12, s22, v12
	v_cvt_f32_f16_e32 v12, v12
	s_branch .LBB281_363
.LBB281_362:
	v_mov_b32_e32 v12, 0
.LBB281_363:
	v_pk_add_f16 v13, v14, v6
	v_pk_add_f16 v14, v15, v7
	v_max_f16_e32 v15, v64, v64
	v_lshrrev_b32_e32 v16, 16, v64
	v_max_f32_e32 v12, v12, v12
	v_lshrrev_b32_e32 v17, 16, v13
	v_lshrrev_b32_e32 v18, 16, v14
	v_min_f16_e32 v13, v15, v13
	v_add_co_u32 v4, vcc_lo, v20, v4
	v_add_co_ci_u32_e64 v5, null, v21, v5, vcc_lo
	v_min3_f16 v15, v16, v17, v18
	v_min3_f16 v13, v13, v14, v15
	v_cvt_f32_f16_e32 v13, v13
	v_min_f32_e32 v12, v12, v13
	v_cvt_f16_f32_e32 v12, v12
	global_store_short v[4:5], v12, off
	s_or_b32 exec_lo, exec_lo, s0
	s_and_b32 s1, s4, s8
	s_and_saveexec_b32 s0, s1
	s_cbranch_execz .LBB281_344
.LBB281_364:
	v_cmp_ne_u32_e32 vcc_lo, 1, v72
	v_lshlrev_b64 v[4:5], 1, v[40:41]
	s_cbranch_vccnz .LBB281_366
; %bb.365:
	v_add_co_u32 v12, vcc_lo, v22, v4
	v_add_co_ci_u32_e64 v13, null, v23, v5, vcc_lo
	global_load_ushort v12, v[12:13], off
	s_waitcnt vmcnt(0)
	v_mul_f16_e32 v12, s22, v12
	v_cvt_f32_f16_e32 v12, v12
	s_branch .LBB281_367
.LBB281_366:
	v_mov_b32_e32 v12, 0
.LBB281_367:
	v_pk_add_f16 v8, v8, v6
	v_pk_add_f16 v9, v9, v7
	v_max_f16_e32 v13, v62, v62
	v_lshrrev_b32_e32 v14, 16, v62
	v_add_co_u32 v4, vcc_lo, v20, v4
	v_lshrrev_b32_e32 v15, 16, v8
	v_lshrrev_b32_e32 v16, 16, v9
	v_min_f16_e32 v8, v13, v8
	v_add_co_ci_u32_e64 v5, null, v21, v5, vcc_lo
	v_min3_f16 v13, v14, v15, v16
	v_min3_f16 v8, v8, v9, v13
	v_max_f32_e32 v9, v12, v12
	v_cvt_f32_f16_e32 v8, v8
	v_min_f32_e32 v8, v9, v8
	v_cvt_f16_f32_e32 v8, v8
	global_store_short v[4:5], v8, off
	s_or_b32 exec_lo, exec_lo, s0
	s_and_b32 s1, s5, s8
	s_and_saveexec_b32 s0, s1
	s_cbranch_execz .LBB281_345
.LBB281_368:
	v_cmp_ne_u32_e32 vcc_lo, 1, v72
	v_lshlrev_b64 v[4:5], 1, v[42:43]
	s_cbranch_vccnz .LBB281_370
; %bb.369:
	v_add_co_u32 v8, vcc_lo, v22, v4
	v_add_co_ci_u32_e64 v9, null, v23, v5, vcc_lo
	global_load_ushort v8, v[8:9], off
	s_waitcnt vmcnt(0)
	v_mul_f16_e32 v8, s22, v8
	v_cvt_f32_f16_e32 v8, v8
	s_branch .LBB281_371
.LBB281_370:
	v_mov_b32_e32 v8, 0
.LBB281_371:
	v_pk_add_f16 v9, v10, v6
	v_pk_add_f16 v10, v11, v7
	v_max_f16_e32 v11, v60, v60
	v_lshrrev_b32_e32 v12, 16, v60
	v_max_f32_e32 v8, v8, v8
	v_lshrrev_b32_e32 v13, 16, v9
	v_lshrrev_b32_e32 v14, 16, v10
	v_min_f16_e32 v9, v11, v9
	v_add_co_u32 v4, vcc_lo, v20, v4
	v_add_co_ci_u32_e64 v5, null, v21, v5, vcc_lo
	v_min3_f16 v11, v12, v13, v14
	v_min3_f16 v9, v9, v10, v11
	v_cvt_f32_f16_e32 v9, v9
	v_min_f32_e32 v8, v8, v9
	v_cvt_f16_f32_e32 v8, v8
	global_store_short v[4:5], v8, off
	s_or_b32 exec_lo, exec_lo, s0
	s_and_b32 s1, s6, s8
	s_and_saveexec_b32 s0, s1
	s_cbranch_execz .LBB281_346
.LBB281_372:
	v_cmp_ne_u32_e32 vcc_lo, 1, v72
	v_lshlrev_b64 v[4:5], 1, v[44:45]
	s_cbranch_vccnz .LBB281_374
; %bb.373:
	v_add_co_u32 v8, vcc_lo, v22, v4
	v_add_co_ci_u32_e64 v9, null, v23, v5, vcc_lo
	global_load_ushort v8, v[8:9], off
	s_waitcnt vmcnt(0)
	v_mul_f16_e32 v8, s22, v8
	v_cvt_f32_f16_e32 v8, v8
	s_branch .LBB281_375
.LBB281_374:
	v_mov_b32_e32 v8, 0
.LBB281_375:
	v_pk_add_f16 v0, v0, v6
	v_pk_add_f16 v1, v1, v7
	v_max_f16_e32 v9, v58, v58
	v_lshrrev_b32_e32 v10, 16, v58
	v_lshrrev_b32_e32 v11, 16, v0
	;; [unrolled: 1-line block ×3, first 2 shown]
	v_min_f16_e32 v0, v9, v0
	v_min3_f16 v9, v10, v11, v12
	v_min3_f16 v0, v0, v1, v9
	v_max_f32_e32 v1, v8, v8
	v_cvt_f32_f16_e32 v0, v0
	v_min_f32_e32 v0, v1, v0
	v_cvt_f16_f32_e32 v8, v0
	v_add_co_u32 v0, vcc_lo, v20, v4
	v_add_co_ci_u32_e64 v1, null, v21, v5, vcc_lo
	global_store_short v[0:1], v8, off
	s_or_b32 exec_lo, exec_lo, s0
	s_and_b32 s0, s7, s8
	s_and_saveexec_b32 s1, s0
	s_cbranch_execz .LBB281_347
.LBB281_376:
	v_cmp_ne_u32_e32 vcc_lo, 1, v72
	v_lshlrev_b64 v[0:1], 1, v[46:47]
	s_cbranch_vccnz .LBB281_378
; %bb.377:
	v_add_co_u32 v4, vcc_lo, v22, v0
	v_add_co_ci_u32_e64 v5, null, v23, v1, vcc_lo
	global_load_ushort v4, v[4:5], off
	s_waitcnt vmcnt(0)
	v_mul_f16_e32 v4, s22, v4
	v_cvt_f32_f16_e32 v4, v4
	s_branch .LBB281_379
.LBB281_378:
	v_mov_b32_e32 v4, 0
.LBB281_379:
	v_pk_add_f16 v2, v2, v6
	v_pk_add_f16 v3, v3, v7
	v_max_f16_e32 v5, v56, v56
	v_lshrrev_b32_e32 v6, 16, v56
	v_add_co_u32 v0, vcc_lo, v20, v0
	v_lshrrev_b32_e32 v7, 16, v2
	v_lshrrev_b32_e32 v8, 16, v3
	v_min_f16_e32 v2, v5, v2
	v_add_co_ci_u32_e64 v1, null, v21, v1, vcc_lo
	v_min3_f16 v5, v6, v7, v8
	v_min3_f16 v2, v2, v3, v5
	v_max_f32_e32 v3, v4, v4
	v_cvt_f32_f16_e32 v2, v2
	v_min_f32_e32 v2, v3, v2
	v_cvt_f16_f32_e32 v2, v2
	global_store_short v[0:1], v2, off
	s_endpgm
	.section	.rodata,"a",@progbits
	.p2align	6, 0x0
	.amdhsa_kernel _ZN12_GLOBAL__N_120geam_min_plus_kernelIDF16_Dv2_DF16_S1_Li8ELi32ELi64ELi256ELi4ELi4ELi64ELi64ELi4ELc84ELc84ELb0ELb1ELb1EDF16_KDF16_DF16_EEviiiT16_PT17_ilS5_ilS3_S5_ilPT18_ili26rocblas_geam_ex_operation_
		.amdhsa_group_segment_fixed_size 5120
		.amdhsa_private_segment_fixed_size 0
		.amdhsa_kernarg_size 128
		.amdhsa_user_sgpr_count 6
		.amdhsa_user_sgpr_private_segment_buffer 1
		.amdhsa_user_sgpr_dispatch_ptr 0
		.amdhsa_user_sgpr_queue_ptr 0
		.amdhsa_user_sgpr_kernarg_segment_ptr 1
		.amdhsa_user_sgpr_dispatch_id 0
		.amdhsa_user_sgpr_flat_scratch_init 0
		.amdhsa_user_sgpr_private_segment_size 0
		.amdhsa_wavefront_size32 1
		.amdhsa_uses_dynamic_stack 0
		.amdhsa_system_sgpr_private_segment_wavefront_offset 0
		.amdhsa_system_sgpr_workgroup_id_x 1
		.amdhsa_system_sgpr_workgroup_id_y 0
		.amdhsa_system_sgpr_workgroup_id_z 1
		.amdhsa_system_sgpr_workgroup_info 0
		.amdhsa_system_vgpr_workitem_id 1
		.amdhsa_next_free_vgpr 154
		.amdhsa_next_free_sgpr 30
		.amdhsa_reserve_vcc 1
		.amdhsa_reserve_flat_scratch 0
		.amdhsa_float_round_mode_32 0
		.amdhsa_float_round_mode_16_64 0
		.amdhsa_float_denorm_mode_32 3
		.amdhsa_float_denorm_mode_16_64 3
		.amdhsa_dx10_clamp 1
		.amdhsa_ieee_mode 1
		.amdhsa_fp16_overflow 0
		.amdhsa_workgroup_processor_mode 1
		.amdhsa_memory_ordered 1
		.amdhsa_forward_progress 1
		.amdhsa_shared_vgpr_count 0
		.amdhsa_exception_fp_ieee_invalid_op 0
		.amdhsa_exception_fp_denorm_src 0
		.amdhsa_exception_fp_ieee_div_zero 0
		.amdhsa_exception_fp_ieee_overflow 0
		.amdhsa_exception_fp_ieee_underflow 0
		.amdhsa_exception_fp_ieee_inexact 0
		.amdhsa_exception_int_div_zero 0
	.end_amdhsa_kernel
	.section	.text._ZN12_GLOBAL__N_120geam_min_plus_kernelIDF16_Dv2_DF16_S1_Li8ELi32ELi64ELi256ELi4ELi4ELi64ELi64ELi4ELc84ELc84ELb0ELb1ELb1EDF16_KDF16_DF16_EEviiiT16_PT17_ilS5_ilS3_S5_ilPT18_ili26rocblas_geam_ex_operation_,"axG",@progbits,_ZN12_GLOBAL__N_120geam_min_plus_kernelIDF16_Dv2_DF16_S1_Li8ELi32ELi64ELi256ELi4ELi4ELi64ELi64ELi4ELc84ELc84ELb0ELb1ELb1EDF16_KDF16_DF16_EEviiiT16_PT17_ilS5_ilS3_S5_ilPT18_ili26rocblas_geam_ex_operation_,comdat
.Lfunc_end281:
	.size	_ZN12_GLOBAL__N_120geam_min_plus_kernelIDF16_Dv2_DF16_S1_Li8ELi32ELi64ELi256ELi4ELi4ELi64ELi64ELi4ELc84ELc84ELb0ELb1ELb1EDF16_KDF16_DF16_EEviiiT16_PT17_ilS5_ilS3_S5_ilPT18_ili26rocblas_geam_ex_operation_, .Lfunc_end281-_ZN12_GLOBAL__N_120geam_min_plus_kernelIDF16_Dv2_DF16_S1_Li8ELi32ELi64ELi256ELi4ELi4ELi64ELi64ELi4ELc84ELc84ELb0ELb1ELb1EDF16_KDF16_DF16_EEviiiT16_PT17_ilS5_ilS3_S5_ilPT18_ili26rocblas_geam_ex_operation_
                                        ; -- End function
	.set _ZN12_GLOBAL__N_120geam_min_plus_kernelIDF16_Dv2_DF16_S1_Li8ELi32ELi64ELi256ELi4ELi4ELi64ELi64ELi4ELc84ELc84ELb0ELb1ELb1EDF16_KDF16_DF16_EEviiiT16_PT17_ilS5_ilS3_S5_ilPT18_ili26rocblas_geam_ex_operation_.num_vgpr, 154
	.set _ZN12_GLOBAL__N_120geam_min_plus_kernelIDF16_Dv2_DF16_S1_Li8ELi32ELi64ELi256ELi4ELi4ELi64ELi64ELi4ELc84ELc84ELb0ELb1ELb1EDF16_KDF16_DF16_EEviiiT16_PT17_ilS5_ilS3_S5_ilPT18_ili26rocblas_geam_ex_operation_.num_agpr, 0
	.set _ZN12_GLOBAL__N_120geam_min_plus_kernelIDF16_Dv2_DF16_S1_Li8ELi32ELi64ELi256ELi4ELi4ELi64ELi64ELi4ELc84ELc84ELb0ELb1ELb1EDF16_KDF16_DF16_EEviiiT16_PT17_ilS5_ilS3_S5_ilPT18_ili26rocblas_geam_ex_operation_.numbered_sgpr, 30
	.set _ZN12_GLOBAL__N_120geam_min_plus_kernelIDF16_Dv2_DF16_S1_Li8ELi32ELi64ELi256ELi4ELi4ELi64ELi64ELi4ELc84ELc84ELb0ELb1ELb1EDF16_KDF16_DF16_EEviiiT16_PT17_ilS5_ilS3_S5_ilPT18_ili26rocblas_geam_ex_operation_.num_named_barrier, 0
	.set _ZN12_GLOBAL__N_120geam_min_plus_kernelIDF16_Dv2_DF16_S1_Li8ELi32ELi64ELi256ELi4ELi4ELi64ELi64ELi4ELc84ELc84ELb0ELb1ELb1EDF16_KDF16_DF16_EEviiiT16_PT17_ilS5_ilS3_S5_ilPT18_ili26rocblas_geam_ex_operation_.private_seg_size, 0
	.set _ZN12_GLOBAL__N_120geam_min_plus_kernelIDF16_Dv2_DF16_S1_Li8ELi32ELi64ELi256ELi4ELi4ELi64ELi64ELi4ELc84ELc84ELb0ELb1ELb1EDF16_KDF16_DF16_EEviiiT16_PT17_ilS5_ilS3_S5_ilPT18_ili26rocblas_geam_ex_operation_.uses_vcc, 1
	.set _ZN12_GLOBAL__N_120geam_min_plus_kernelIDF16_Dv2_DF16_S1_Li8ELi32ELi64ELi256ELi4ELi4ELi64ELi64ELi4ELc84ELc84ELb0ELb1ELb1EDF16_KDF16_DF16_EEviiiT16_PT17_ilS5_ilS3_S5_ilPT18_ili26rocblas_geam_ex_operation_.uses_flat_scratch, 0
	.set _ZN12_GLOBAL__N_120geam_min_plus_kernelIDF16_Dv2_DF16_S1_Li8ELi32ELi64ELi256ELi4ELi4ELi64ELi64ELi4ELc84ELc84ELb0ELb1ELb1EDF16_KDF16_DF16_EEviiiT16_PT17_ilS5_ilS3_S5_ilPT18_ili26rocblas_geam_ex_operation_.has_dyn_sized_stack, 0
	.set _ZN12_GLOBAL__N_120geam_min_plus_kernelIDF16_Dv2_DF16_S1_Li8ELi32ELi64ELi256ELi4ELi4ELi64ELi64ELi4ELc84ELc84ELb0ELb1ELb1EDF16_KDF16_DF16_EEviiiT16_PT17_ilS5_ilS3_S5_ilPT18_ili26rocblas_geam_ex_operation_.has_recursion, 0
	.set _ZN12_GLOBAL__N_120geam_min_plus_kernelIDF16_Dv2_DF16_S1_Li8ELi32ELi64ELi256ELi4ELi4ELi64ELi64ELi4ELc84ELc84ELb0ELb1ELb1EDF16_KDF16_DF16_EEviiiT16_PT17_ilS5_ilS3_S5_ilPT18_ili26rocblas_geam_ex_operation_.has_indirect_call, 0
	.section	.AMDGPU.csdata,"",@progbits
; Kernel info:
; codeLenInByte = 23272
; TotalNumSgprs: 32
; NumVgprs: 154
; ScratchSize: 0
; MemoryBound: 0
; FloatMode: 240
; IeeeMode: 1
; LDSByteSize: 5120 bytes/workgroup (compile time only)
; SGPRBlocks: 0
; VGPRBlocks: 19
; NumSGPRsForWavesPerEU: 32
; NumVGPRsForWavesPerEU: 154
; Occupancy: 6
; WaveLimiterHint : 0
; COMPUTE_PGM_RSRC2:SCRATCH_EN: 0
; COMPUTE_PGM_RSRC2:USER_SGPR: 6
; COMPUTE_PGM_RSRC2:TRAP_HANDLER: 0
; COMPUTE_PGM_RSRC2:TGID_X_EN: 1
; COMPUTE_PGM_RSRC2:TGID_Y_EN: 0
; COMPUTE_PGM_RSRC2:TGID_Z_EN: 1
; COMPUTE_PGM_RSRC2:TIDIG_COMP_CNT: 1
	.section	.text._ZN12_GLOBAL__N_120geam_min_plus_kernelIDF16_Dv2_DF16_S1_Li8ELi32ELi64ELi128ELi4ELi64ELi4ELi4ELi64ELc78ELc78ELb0ELb0ELb0EPKDF16_S2_DF16_EEviiiT16_PT17_ilS6_ilS4_S6_ilPT18_ili26rocblas_geam_ex_operation_,"axG",@progbits,_ZN12_GLOBAL__N_120geam_min_plus_kernelIDF16_Dv2_DF16_S1_Li8ELi32ELi64ELi128ELi4ELi64ELi4ELi4ELi64ELc78ELc78ELb0ELb0ELb0EPKDF16_S2_DF16_EEviiiT16_PT17_ilS6_ilS4_S6_ilPT18_ili26rocblas_geam_ex_operation_,comdat
	.globl	_ZN12_GLOBAL__N_120geam_min_plus_kernelIDF16_Dv2_DF16_S1_Li8ELi32ELi64ELi128ELi4ELi64ELi4ELi4ELi64ELc78ELc78ELb0ELb0ELb0EPKDF16_S2_DF16_EEviiiT16_PT17_ilS6_ilS4_S6_ilPT18_ili26rocblas_geam_ex_operation_ ; -- Begin function _ZN12_GLOBAL__N_120geam_min_plus_kernelIDF16_Dv2_DF16_S1_Li8ELi32ELi64ELi128ELi4ELi64ELi4ELi4ELi64ELc78ELc78ELb0ELb0ELb0EPKDF16_S2_DF16_EEviiiT16_PT17_ilS6_ilS4_S6_ilPT18_ili26rocblas_geam_ex_operation_
	.p2align	8
	.type	_ZN12_GLOBAL__N_120geam_min_plus_kernelIDF16_Dv2_DF16_S1_Li8ELi32ELi64ELi128ELi4ELi64ELi4ELi4ELi64ELc78ELc78ELb0ELb0ELb0EPKDF16_S2_DF16_EEviiiT16_PT17_ilS6_ilS4_S6_ilPT18_ili26rocblas_geam_ex_operation_,@function
_ZN12_GLOBAL__N_120geam_min_plus_kernelIDF16_Dv2_DF16_S1_Li8ELi32ELi64ELi128ELi4ELi64ELi4ELi4ELi64ELc78ELc78ELb0ELb0ELb0EPKDF16_S2_DF16_EEviiiT16_PT17_ilS6_ilS4_S6_ilPT18_ili26rocblas_geam_ex_operation_: ; @_ZN12_GLOBAL__N_120geam_min_plus_kernelIDF16_Dv2_DF16_S1_Li8ELi32ELi64ELi128ELi4ELi64ELi4ELi4ELi64ELc78ELc78ELb0ELb0ELb0EPKDF16_S2_DF16_EEviiiT16_PT17_ilS6_ilS4_S6_ilPT18_ili26rocblas_geam_ex_operation_
; %bb.0:
	s_clause 0x1
	s_load_dwordx4 s[12:15], s[4:5], 0x10
	s_load_dwordx4 s[8:11], s[4:5], 0x28
	s_mov_b32 s20, s7
	s_mov_b32 s21, 0
	v_mov_b32_e32 v2, 0
	s_lshl_b64 s[0:1], s[20:21], 1
	s_waitcnt lgkmcnt(0)
	s_add_u32 s2, s12, s0
	s_addc_u32 s3, s13, s1
	s_mov_b64 s[12:13], 0
	global_load_ushort v31, v2, s[2:3]
	s_clause 0x1
	s_load_dwordx4 s[16:19], s[4:5], 0x40
	s_load_dwordx2 s[22:23], s[4:5], 0x50
	s_waitcnt lgkmcnt(0)
	s_add_u32 s24, s18, s0
	s_addc_u32 s25, s19, s1
	s_mov_b64 s[18:19], 0
	s_waitcnt vmcnt(0)
	v_cmp_eq_f16_e32 vcc_lo, 0, v31
	v_cmp_neq_f16_e64 s2, 0, v31
	s_and_b32 s0, exec_lo, vcc_lo
	s_mov_b32 vcc_lo, s0
	s_cbranch_vccnz .LBB282_2
; %bb.1:
	s_mul_i32 s1, s9, s20
	s_mul_hi_u32 s3, s8, s20
	s_mul_i32 s8, s8, s20
	s_add_i32 s9, s3, s1
	s_lshl_b64 s[8:9], s[8:9], 1
	s_add_u32 s12, s14, s8
	s_addc_u32 s13, s15, s9
.LBB282_2:
	global_load_ushort v30, v2, s[24:25]
	v_cndmask_b32_e64 v2, 0, 1, s2
	s_andn2_b32 vcc_lo, exec_lo, s2
	v_cmp_ne_u32_e64 s1, 1, v2
	s_cbranch_vccnz .LBB282_4
; %bb.3:
	s_mul_i32 s2, s17, s20
	s_mul_hi_u32 s3, s16, s20
	s_add_i32 s3, s3, s2
	s_mul_i32 s2, s16, s20
	s_lshl_b64 s[2:3], s[2:3], 1
	s_add_u32 s18, s10, s2
	s_addc_u32 s19, s11, s3
.LBB282_4:
	s_load_dwordx4 s[8:11], s[4:5], 0x60
	s_waitcnt vmcnt(0)
	v_cmp_eq_f16_e32 vcc_lo, 0, v30
	s_cbranch_vccnz .LBB282_6
; %bb.5:
	s_waitcnt lgkmcnt(0)
	s_mul_i32 s2, s9, s20
	s_mul_hi_u32 s3, s8, s20
	s_add_i32 s3, s3, s2
	s_mul_i32 s2, s8, s20
	s_lshl_b64 s[2:3], s[2:3], 1
	s_add_u32 s8, s22, s2
	s_addc_u32 s9, s23, s3
	s_branch .LBB282_7
.LBB282_6:
	s_waitcnt lgkmcnt(0)
	s_mov_b64 s[8:9], 0
.LBB282_7:
	s_clause 0x2
	s_load_dword s3, s[4:5], 0x0
	s_load_dword s2, s[4:5], 0x20
	;; [unrolled: 1-line block ×3, first 2 shown]
	v_lshl_add_u32 v3, v1, 3, v0
	v_and_b32_e32 v12, 3, v0
	v_mov_b32_e32 v10, 0
	v_and_b32_e32 v5, 63, v3
	v_lshrrev_b32_e32 v13, 2, v3
	v_lshrrev_b32_e32 v4, 6, v3
	v_lshlrev_b32_e32 v32, 1, v12
	s_waitcnt lgkmcnt(0)
	s_add_i32 s3, s3, -1
	s_ashr_i32 s14, s3, 31
	s_lshr_b32 s14, s14, 26
	s_add_i32 s3, s3, s14
	s_ashr_i32 s3, s3, 6
	s_add_i32 s14, s3, 1
	s_not_b32 s3, s3
	v_cvt_f32_u32_e32 v2, s14
	v_rcp_iflag_f32_e32 v2, v2
	v_mul_f32_e32 v2, 0x4f7ffffe, v2
	v_cvt_u32_f32_e32 v2, v2
	v_readfirstlane_b32 s15, v2
	s_mul_i32 s3, s3, s15
	s_mul_hi_u32 s3, s15, s3
	s_add_i32 s15, s15, s3
	s_ashr_i32 s3, s2, 31
	s_mul_hi_u32 s15, s6, s15
	s_mul_i32 s16, s15, s14
	s_add_i32 s17, s15, 1
	s_sub_i32 s16, s6, s16
	s_sub_i32 s21, s16, s14
	s_cmp_ge_u32 s16, s14
	s_cselect_b32 s15, s17, s15
	s_cselect_b32 s16, s21, s16
	s_add_i32 s17, s15, 1
	s_cmp_ge_u32 s16, s14
	s_cselect_b32 s17, s17, s15
	s_and_b32 vcc_lo, exec_lo, s1
	s_mul_i32 s16, s17, s14
	s_sub_i32 s14, s6, s16
	s_lshl_b32 s15, s14, 6
	s_lshl_b32 s14, s17, 7
	v_or_b32_e32 v2, s15, v5
	v_add_nc_u32_e32 v7, s14, v13
	v_ashrrev_i32_e32 v3, 31, v2
	v_add_nc_u32_e32 v6, 64, v7
	s_cbranch_vccnz .LBB282_10
; %bb.8:
	v_mad_i64_i32 v[8:9], null, s2, v4, 0
	v_mad_i64_i32 v[14:15], null, v7, s7, 0
	;; [unrolled: 1-line block ×3, first 2 shown]
	v_add_co_u32 v19, s17, s18, v32
	v_lshlrev_b64 v[8:9], 1, v[8:9]
	v_add_co_ci_u32_e64 v20, null, s19, 0, s17
	v_lshlrev_b64 v[14:15], 1, v[14:15]
	v_lshlrev_b64 v[16:17], 1, v[16:17]
	v_add_co_u32 v11, vcc_lo, s12, v8
	v_add_co_ci_u32_e64 v18, null, s13, v9, vcc_lo
	v_lshlrev_b64 v[8:9], 1, v[2:3]
	v_add_co_u32 v14, vcc_lo, v19, v14
	v_add_co_ci_u32_e64 v15, null, v20, v15, vcc_lo
	v_add_co_u32 v8, vcc_lo, v11, v8
	v_add_co_ci_u32_e64 v9, null, v18, v9, vcc_lo
	global_load_ushort v11, v[14:15], off
	v_add_co_u32 v14, vcc_lo, v19, v16
	v_add_co_ci_u32_e64 v15, null, v20, v17, vcc_lo
	global_load_ushort v8, v[8:9], off
	global_load_ushort v9, v[14:15], off
	s_waitcnt vmcnt(2)
	v_mul_f16_e32 v11, v31, v11
	s_waitcnt vmcnt(1)
	v_mul_f16_e32 v14, v31, v8
	v_pack_b32_f16 v8, v11, 0
	s_waitcnt vmcnt(0)
	v_mul_f16_e32 v9, v31, v9
	s_and_b32 vcc_lo, exec_lo, s1
	s_cbranch_vccnz .LBB282_11
.LBB282_9:
	v_add_nc_u32_e32 v10, 4, v4
	v_mad_i64_i32 v[15:16], null, v7, s7, 0
	v_mad_i64_i32 v[17:18], null, v6, s7, 0
	;; [unrolled: 1-line block ×3, first 2 shown]
	v_add_co_u32 v19, s1, s18, v32
	v_lshlrev_b64 v[15:16], 1, v[15:16]
	v_add_co_ci_u32_e64 v20, null, s19, 0, s1
	v_lshlrev_b64 v[2:3], 1, v[2:3]
	v_lshlrev_b64 v[10:11], 1, v[10:11]
	;; [unrolled: 1-line block ×3, first 2 shown]
	v_add_co_u32 v21, vcc_lo, s12, v10
	v_add_co_ci_u32_e64 v22, null, s13, v11, vcc_lo
	v_add_co_u32 v10, vcc_lo, v19, v15
	v_add_co_ci_u32_e64 v11, null, v20, v16, vcc_lo
	;; [unrolled: 2-line block ×3, first 2 shown]
	global_load_ushort v15, v[10:11], off offset:8
	v_add_co_u32 v10, vcc_lo, v19, v17
	v_add_co_ci_u32_e64 v11, null, v20, v18, vcc_lo
	global_load_ushort v2, v[2:3], off
	global_load_ushort v11, v[10:11], off offset:8
	s_waitcnt vmcnt(2)
	v_mul_f16_e32 v3, v31, v15
	v_pack_b32_f16 v3, v3, 0
	s_waitcnt vmcnt(1)
	v_mul_f16_e32 v10, v31, v2
	s_waitcnt vmcnt(0)
	v_mul_f16_e32 v11, v31, v11
	s_branch .LBB282_12
.LBB282_10:
	v_mov_b32_e32 v8, 0
	v_mov_b32_e32 v14, 0
	;; [unrolled: 1-line block ×3, first 2 shown]
	s_and_b32 vcc_lo, exec_lo, s1
	s_cbranch_vccz .LBB282_9
.LBB282_11:
	v_mov_b32_e32 v3, 0
	v_mov_b32_e32 v11, 0
.LBB282_12:
	v_lshlrev_b32_e32 v2, 3, v5
	v_lshlrev_b32_e32 v13, 3, v13
	;; [unrolled: 1-line block ×4, first 2 shown]
	s_load_dword s1, s[4:5], 0x8
	v_lshl_add_u32 v2, v4, 1, v2
	v_lshl_or_b32 v35, v12, 1, v13
	v_add_nc_u32_e32 v28, 0x800, v34
	ds_write_b16 v2, v14 offset:2048
	ds_write_b16 v35, v8
	ds_write_b16 v35, v9 offset:512
	s_waitcnt lgkmcnt(0)
	s_barrier
	buffer_gl0_inv
	ds_read2_b64 v[12:15], v33 offset1:32
	ds_read2_b64 v[16:19], v28 offset0:48 offset1:56
	ds_read2_b64 v[20:23], v33 offset0:64 offset1:96
	ds_read2_b64 v[24:27], v28 offset1:8
	ds_read2_b64 v[36:39], v28 offset0:16 offset1:24
	ds_read2_b64 v[53:56], v28 offset0:32 offset1:40
	ds_write_b16 v2, v10 offset:2560
	ds_write_b16 v35, v3 offset:1024
	ds_write_b16 v35, v11 offset:1536
	s_waitcnt lgkmcnt(0)
	s_barrier
	buffer_gl0_inv
	s_cmp_lt_i32 s1, 9
	v_pk_max_f16 v12, v12, v12
	v_pk_max_f16 v18, v18, v18
	v_pk_max_f16 v14, v14, v14
	v_pk_max_f16 v20, v20, v20
	v_pk_max_f16 v24, v24, v24
	v_pk_max_f16 v22, v22, v22
	v_pk_min_f16 v29, v18, v12
	v_pk_max_f16 v38, v38, v38
	v_pk_max_f16 v13, v13, v13
	;; [unrolled: 1-line block ×5, first 2 shown]
	v_pk_min_f16 v36, v24, v12
	v_pk_min_f16 v40, v24, v14
	;; [unrolled: 1-line block ×6, first 2 shown]
	v_pk_max_f16 v41, v53, v53
	v_pk_max_f16 v15, v15, v15
	v_pk_min_f16 v53, v38, v20
	v_pk_min_f16 v57, v38, v22
	v_pk_max_f16 v21, v21, v21
	v_pk_max_f16 v23, v23, v23
	;; [unrolled: 1-line block ×7, first 2 shown]
	v_pk_min_f16 v37, v18, v14
	v_pk_add_f16 v29, v29, 0
	v_pk_min_f16 v39, v19, v13
	v_pk_min_f16 v43, v26, v12
	;; [unrolled: 1-line block ×12, first 2 shown]
	v_pk_max_f16 v27, v27, v27
	v_pk_min_f16 v55, v41, v22
	v_pk_min_f16 v63, v38, v12
	;; [unrolled: 1-line block ×10, first 2 shown]
	v_pk_add_f16 v37, v37, 0
	v_pk_min_f16 v41, v19, v15
	v_pk_add_f16 v46, v36, 0
	v_pk_min_f16 v67, v25, v13
	v_pk_min_f16 v18, v18, v22
	v_pk_add_f16 v36, v29, v39
	v_pk_add_f16 v22, v40, 0
	v_pk_min_f16 v29, v25, v15
	v_pk_min_f16 v40, v25, v21
	v_pk_add_f16 v24, v24, 0
	v_pk_min_f16 v25, v25, v23
	v_pk_add_f16 v38, v38, 0
	;; [unrolled: 2-line block ×3, first 2 shown]
	v_pk_add_f16 v41, v46, v67
	v_pk_add_f16 v39, v42, 0
	;; [unrolled: 1-line block ×3, first 2 shown]
	v_pk_min_f16 v43, v27, v13
	v_pk_add_f16 v67, v44, 0
	v_pk_min_f16 v68, v27, v15
	v_pk_add_f16 v44, v22, v29
	v_pk_add_f16 v46, v24, v25
	;; [unrolled: 1-line block ×3, first 2 shown]
	v_pk_min_f16 v24, v27, v21
	v_pk_add_f16 v38, v38, v45
	v_pk_add_f16 v45, v39, v40
	;; [unrolled: 1-line block ×5, first 2 shown]
	v_pk_min_f16 v26, v27, v23
	v_pk_add_f16 v27, v48, 0
	v_pk_add_f16 v48, v49, 0
	v_pk_min_f16 v49, v61, v15
	v_pk_add_f16 v50, v50, 0
	v_pk_min_f16 v67, v61, v21
	v_pk_add_f16 v42, v22, v24
	v_pk_add_f16 v22, v28, 0
	v_pk_min_f16 v24, v61, v23
	v_pk_add_f16 v43, v25, v26
	v_pk_add_f16 v48, v48, v49
	v_pk_add_f16 v49, v50, v67
	v_pk_add_f16 v25, v51, 0
	v_pk_add_f16 v50, v22, v24
	v_pk_min_f16 v22, v62, v13
	v_pk_min_f16 v29, v61, v13
	v_pk_add_f16 v26, v52, 0
	v_pk_add_f16 v24, v57, 0
	;; [unrolled: 1-line block ×4, first 2 shown]
	v_pk_min_f16 v22, v62, v15
	v_pk_add_f16 v47, v27, v29
	v_pk_add_f16 v27, v53, 0
	;; [unrolled: 1-line block ×5, first 2 shown]
	v_pk_min_f16 v22, v62, v21
	v_pk_add_f16 v25, v55, 0
	v_pk_max_f16 v17, v17, v17
	v_pk_add_f16 v55, v63, 0
	v_pk_add_f16 v63, v64, 0
	;; [unrolled: 1-line block ×3, first 2 shown]
	v_pk_max_f16 v22, v54, v54
	v_pk_min_f16 v27, v62, v23
	v_pk_max_f16 v54, v56, v56
	v_pk_add_f16 v64, v65, 0
	v_pk_add_f16 v26, v66, 0
	v_pk_min_f16 v56, v22, v13
	v_pk_min_f16 v58, v22, v15
	;; [unrolled: 1-line block ×4, first 2 shown]
	v_pk_add_f16 v12, v12, 0
	v_pk_add_f16 v14, v14, 0
	;; [unrolled: 1-line block ×9, first 2 shown]
	v_pk_min_f16 v22, v54, v13
	v_pk_min_f16 v24, v54, v15
	;; [unrolled: 1-line block ×9, first 2 shown]
	v_pk_add_f16 v62, v28, v56
	v_pk_add_f16 v67, v55, v22
	;; [unrolled: 1-line block ×10, first 2 shown]
	s_cbranch_scc1 .LBB282_23
; %bb.13:
	v_perm_b32 v85, v11, v3, 0x5040100
	v_lshl_or_b32 v3, s6, 6, v5
	v_mad_i64_i32 v[12:13], null, s7, v7, 0
	v_mad_i64_i32 v[6:7], null, s7, v6, 0
	s_lshl_b32 s6, s16, 6
	v_add_nc_u32_e32 v10, 8, v4
	v_subrev_nc_u32_e32 v3, s6, v3
	v_or_b32_e32 v54, 0x800, v2
	v_add_nc_u32_e32 v56, 0xa00, v2
	v_perm_b32 v2, v9, v8, 0x5040100
	v_lshlrev_b64 v[5:6], 1, v[6:7]
	v_add_nc_u32_e32 v7, 12, v4
	v_ashrrev_i32_e32 v4, 31, v3
	v_lshlrev_b64 v[8:9], 1, v[12:13]
	v_mad_i64_i32 v[10:11], null, v10, s2, 0
	v_mad_i64_i32 v[12:13], null, v7, s2, 0
	v_lshlrev_b64 v[3:4], 1, v[3:4]
	v_add_co_u32 v74, vcc_lo, s18, v8
	v_add_co_ci_u32_e64 v75, null, s19, v9, vcc_lo
	v_add_co_u32 v76, vcc_lo, s18, v5
	v_add_co_ci_u32_e64 v77, null, s19, v6, vcc_lo
	v_add_co_u32 v78, vcc_lo, s12, v3
	v_lshlrev_b64 v[26:27], 1, v[10:11]
	v_lshlrev_b64 v[28:29], 1, v[12:13]
	v_or_b32_e32 v55, 0x800, v34
	v_add_nc_u32_e32 v57, 0x400, v35
	v_lshl_add_u32 v69, v0, 3, 0xa00
	v_lshl_add_u32 v73, v1, 3, 0x400
	v_add_co_ci_u32_e64 v79, null, s13, v4, vcc_lo
	s_add_i32 s1, s1, -8
	s_lshl_b64 s[2:3], s[2:3], 4
	s_mov_b32 s6, 0
	s_branch .LBB282_15
.LBB282_14:                             ;   in Loop: Header=BB282_15 Depth=1
	v_pk_max_f16 v4, v4, v4
	v_pk_max_f16 v22, v22, v22
	v_pk_max_f16 v24, v24, v24
	v_pk_max_f16 v14, v14, v14
	v_pk_max_f16 v16, v16, v16
	v_pk_max_f16 v10, v10, v10
	v_pk_max_f16 v18, v18, v18
	v_pk_min_f16 v85, v4, v22
	v_pk_min_f16 v86, v4, v24
	;; [unrolled: 1-line block ×3, first 2 shown]
	v_pk_max_f16 v20, v20, v20
	v_pk_min_f16 v94, v10, v22
	v_pk_min_f16 v95, v10, v24
	v_pk_max_f16 v12, v12, v12
	v_pk_max_f16 v23, v23, v23
	;; [unrolled: 1-line block ×3, first 2 shown]
	v_pk_min_f16 v96, v10, v14
	v_pk_min_f16 v10, v10, v16
	v_pk_max_f16 v15, v15, v15
	v_pk_max_f16 v17, v17, v17
	;; [unrolled: 1-line block ×13, first 2 shown]
	v_pk_min_f16 v88, v18, v22
	v_pk_min_f16 v89, v18, v24
	;; [unrolled: 1-line block ×55, first 2 shown]
	v_pk_add_f16 v3, v36, v85
	v_pk_add_f16 v5, v37, v86
	;; [unrolled: 1-line block ×4, first 2 shown]
	v_pk_min_f16 v19, v19, v17
	v_pk_min_f16 v21, v21, v17
	v_pk_add_f16 v17, v41, v88
	v_pk_add_f16 v36, v44, v89
	;; [unrolled: 1-line block ×26, first 2 shown]
	ds_read2_b64 v[3:6], v55 offset0:48 offset1:56
	ds_read2_b64 v[7:10], v33 offset1:32
	ds_read2_b64 v[11:14], v33 offset0:64 offset1:96
	v_pk_add_f16 v2, v66, v2
	v_pk_add_f16 v65, v17, v16
	;; [unrolled: 1-line block ×3, first 2 shown]
	ds_read2_b64 v[15:18], v55 offset1:8
	v_pk_add_f16 v22, v70, v22
	v_pk_add_f16 v24, v71, v24
	;; [unrolled: 1-line block ×11, first 2 shown]
	ds_read2_b64 v[19:22], v55 offset0:16 offset1:24
	v_pk_add_f16 v36, v36, v106
	s_waitcnt lgkmcnt(4)
	v_pk_max_f16 v5, v5, v5
	s_waitcnt lgkmcnt(3)
	v_pk_max_f16 v7, v7, v7
	v_pk_max_f16 v9, v9, v9
	s_waitcnt lgkmcnt(2)
	v_pk_max_f16 v11, v11, v11
	v_pk_add_f16 v37, v37, v107
	v_pk_add_f16 v71, v2, v127
	v_pk_min_f16 v59, v5, v7
	v_pk_min_f16 v60, v5, v9
	v_pk_min_f16 v61, v5, v11
	s_waitcnt lgkmcnt(1)
	v_pk_max_f16 v15, v15, v15
	v_perm_b32 v2, v84, v83, 0x5040100
	v_pk_add_f16 v83, v62, v59
	v_pk_add_f16 v63, v63, v60
	;; [unrolled: 1-line block ×3, first 2 shown]
	v_pk_min_f16 v59, v15, v7
	v_pk_min_f16 v60, v15, v9
	;; [unrolled: 1-line block ×3, first 2 shown]
	v_pk_max_f16 v13, v13, v13
	v_pk_max_f16 v17, v17, v17
	v_pk_add_f16 v65, v65, v59
	v_pk_add_f16 v84, v36, v60
	;; [unrolled: 1-line block ×3, first 2 shown]
	ds_read2_b64 v[59:62], v55 offset0:32 offset1:40
	v_pk_add_f16 v38, v38, v108
	v_pk_add_f16 v39, v39, v109
	v_pk_min_f16 v15, v15, v13
	v_pk_min_f16 v36, v17, v7
	;; [unrolled: 1-line block ×3, first 2 shown]
	s_waitcnt lgkmcnt(1)
	v_pk_max_f16 v19, v19, v19
	v_pk_add_f16 v41, v41, v111
	v_pk_add_f16 v42, v42, v112
	;; [unrolled: 1-line block ×4, first 2 shown]
	v_pk_min_f16 v66, v17, v11
	v_pk_min_f16 v17, v17, v13
	v_pk_add_f16 v86, v38, v36
	v_pk_add_f16 v87, v39, v37
	v_pk_min_f16 v36, v19, v7
	v_pk_min_f16 v37, v19, v9
	;; [unrolled: 1-line block ×3, first 2 shown]
	v_pk_max_f16 v21, v21, v21
	v_pk_add_f16 v44, v44, v114
	v_pk_add_f16 v45, v45, v115
	;; [unrolled: 1-line block ×4, first 2 shown]
	v_pk_min_f16 v19, v19, v13
	v_pk_add_f16 v67, v41, v36
	v_pk_add_f16 v88, v42, v37
	;; [unrolled: 1-line block ×3, first 2 shown]
	v_pk_min_f16 v36, v21, v7
	v_pk_min_f16 v37, v21, v9
	s_waitcnt lgkmcnt(0)
	v_pk_max_f16 v38, v59, v59
	v_pk_min_f16 v39, v21, v11
	v_pk_add_f16 v48, v48, v118
	v_pk_add_f16 v49, v49, v119
	;; [unrolled: 1-line block ×5, first 2 shown]
	v_pk_min_f16 v36, v38, v7
	v_pk_add_f16 v90, v46, v39
	v_pk_min_f16 v37, v38, v9
	v_pk_max_f16 v39, v61, v61
	v_pk_add_f16 v40, v40, v110
	v_pk_add_f16 v50, v50, v120
	;; [unrolled: 1-line block ×4, first 2 shown]
	v_pk_min_f16 v36, v38, v11
	v_pk_add_f16 v92, v49, v37
	v_pk_min_f16 v37, v39, v7
	v_pk_max_f16 v3, v3, v3
	v_pk_max_f16 v6, v6, v6
	;; [unrolled: 1-line block ×3, first 2 shown]
	v_pk_add_f16 v58, v58, v124
	v_pk_add_f16 v66, v40, v66
	v_pk_min_f16 v21, v21, v13
	v_pk_min_f16 v38, v38, v13
	;; [unrolled: 1-line block ×3, first 2 shown]
	v_pk_add_f16 v93, v50, v36
	v_pk_add_f16 v95, v52, v37
	v_pk_min_f16 v36, v39, v11
	v_pk_min_f16 v37, v39, v13
	;; [unrolled: 1-line block ×6, first 2 shown]
	v_pk_max_f16 v10, v10, v10
	v_pk_min_f16 v5, v5, v13
	v_pk_max_f16 v12, v12, v12
	v_pk_min_f16 v13, v6, v8
	v_pk_add_f16 v51, v51, v121
	v_pk_add_f16 v97, v58, v36
	;; [unrolled: 1-line block ×4, first 2 shown]
	v_pk_min_f16 v23, v6, v10
	v_pk_min_f16 v24, v6, v12
	v_pk_max_f16 v16, v16, v16
	v_pk_add_f16 v36, v83, v13
	v_pk_max_f16 v13, v14, v14
	v_pk_add_f16 v94, v51, v38
	v_pk_add_f16 v70, v70, v37
	v_pk_add_f16 v37, v63, v23
	v_pk_add_f16 v38, v64, v24
	v_pk_min_f16 v14, v16, v8
	v_pk_min_f16 v23, v16, v10
	;; [unrolled: 1-line block ×4, first 2 shown]
	v_pk_max_f16 v18, v18, v18
	v_pk_add_f16 v53, v53, v123
	v_pk_add_f16 v41, v65, v14
	v_pk_max_f16 v20, v20, v20
	v_pk_add_f16 v46, v15, v16
	v_pk_min_f16 v14, v18, v8
	v_pk_min_f16 v15, v18, v10
	;; [unrolled: 1-line block ×4, first 2 shown]
	v_pk_add_f16 v47, v47, v117
	v_pk_add_f16 v96, v53, v40
	;; [unrolled: 1-line block ×6, first 2 shown]
	v_pk_min_f16 v14, v20, v8
	v_pk_min_f16 v15, v20, v10
	;; [unrolled: 1-line block ×4, first 2 shown]
	v_pk_max_f16 v18, v22, v22
	v_pk_add_f16 v21, v47, v21
	v_pk_add_f16 v47, v67, v14
	v_pk_add_f16 v48, v88, v15
	v_pk_add_f16 v49, v89, v16
	v_pk_add_f16 v50, v19, v17
	v_pk_min_f16 v14, v18, v8
	v_pk_min_f16 v15, v18, v10
	;; [unrolled: 1-line block ×4, first 2 shown]
	v_pk_max_f16 v18, v60, v60
	v_pk_add_f16 v51, v59, v14
	v_pk_add_f16 v52, v68, v15
	;; [unrolled: 1-line block ×4, first 2 shown]
	v_pk_min_f16 v14, v18, v8
	v_pk_min_f16 v15, v18, v10
	;; [unrolled: 1-line block ×4, first 2 shown]
	v_pk_max_f16 v18, v62, v62
	v_pk_max_f16 v4, v4, v4
	v_add_co_u32 v74, vcc_lo, v74, 16
	v_pk_add_f16 v11, v25, v11
	v_pk_add_f16 v3, v71, v3
	;; [unrolled: 1-line block ×7, first 2 shown]
	v_pk_min_f16 v14, v18, v8
	v_pk_min_f16 v15, v18, v10
	;; [unrolled: 1-line block ×9, first 2 shown]
	v_add_co_ci_u32_e64 v75, null, 0, v75, vcc_lo
	v_add_co_u32 v76, vcc_lo, v76, 16
	v_add_co_ci_u32_e64 v77, null, 0, v77, vcc_lo
	v_add_co_u32 v78, vcc_lo, v78, s2
	v_pk_add_f16 v44, v84, v23
	v_pk_add_f16 v45, v85, v24
	;; [unrolled: 1-line block ×11, first 2 shown]
	v_perm_b32 v85, v82, v80, 0x5040100
	v_add_co_ci_u32_e64 v79, null, s3, v79, vcc_lo
	s_add_i32 s6, s6, 8
	ds_write_b16 v56, v81
	ds_write_b16 v57, v80
	ds_write_b16 v57, v82 offset:512
	s_cmp_ge_i32 s6, s1
	s_waitcnt lgkmcnt(0)
	s_barrier
	buffer_gl0_inv
	s_cbranch_scc1 .LBB282_23
.LBB282_15:                             ; =>This Inner Loop Header: Depth=1
	s_mov_b32 s7, -1
	s_mov_b32 vcc_lo, s0
                                        ; implicit-def: $vgpr83
	s_cbranch_vccz .LBB282_17
; %bb.16:                               ;   in Loop: Header=BB282_15 Depth=1
	v_and_b32_e32 v83, 0xffff0000, v2
	s_mov_b32 s7, 0
.LBB282_17:                             ;   in Loop: Header=BB282_15 Depth=1
	v_mov_b32_e32 v80, 0
	v_mov_b32_e32 v84, 0
	s_andn2_b32 vcc_lo, exec_lo, s7
	s_cbranch_vccnz .LBB282_19
; %bb.18:                               ;   in Loop: Header=BB282_15 Depth=1
	v_add_co_u32 v3, vcc_lo, v74, v32
	v_add_co_ci_u32_e64 v4, null, 0, v75, vcc_lo
	v_add_co_u32 v5, vcc_lo, v78, v26
	v_add_co_ci_u32_e64 v6, null, v79, v27, vcc_lo
	global_load_ushort v7, v[3:4], off offset:16
	v_add_co_u32 v3, vcc_lo, v76, v32
	v_add_co_ci_u32_e64 v4, null, 0, v77, vcc_lo
	global_load_ushort v5, v[5:6], off
	global_load_ushort v3, v[3:4], off offset:16
	s_waitcnt vmcnt(2)
	v_mul_f16_e32 v4, v31, v7
	v_bfi_b32 v83, 0xffff, v4, v2
	s_waitcnt vmcnt(1)
	v_mul_f16_e32 v80, v31, v5
	s_waitcnt vmcnt(0)
	v_mul_f16_e32 v84, v31, v3
.LBB282_19:                             ;   in Loop: Header=BB282_15 Depth=1
	ds_read2_b64 v[2:5], v69 offset0:48 offset1:56
	ds_read2_b64 v[14:17], v73 offset0:64 offset1:96
	ds_read2_b64 v[22:25], v73 offset1:32
	ds_read2_b64 v[18:21], v69 offset1:8
	ds_read2_b64 v[10:13], v69 offset0:16 offset1:24
	ds_read2_b64 v[6:9], v69 offset0:32 offset1:40
	s_mov_b32 s7, -1
	s_mov_b32 vcc_lo, s0
	ds_write_b16 v54, v80
	ds_write_b16 v35, v83
	ds_write_b16 v35, v84 offset:512
	s_waitcnt lgkmcnt(0)
	s_barrier
	buffer_gl0_inv
                                        ; implicit-def: $vgpr80
	s_cbranch_vccz .LBB282_21
; %bb.20:                               ;   in Loop: Header=BB282_15 Depth=1
	v_and_b32_e32 v80, 0xffff0000, v85
	s_mov_b32 s7, 0
.LBB282_21:                             ;   in Loop: Header=BB282_15 Depth=1
	v_mov_b32_e32 v81, 0
	v_mov_b32_e32 v82, 0
	s_andn2_b32 vcc_lo, exec_lo, s7
	s_cbranch_vccnz .LBB282_14
; %bb.22:                               ;   in Loop: Header=BB282_15 Depth=1
	v_add_co_u32 v80, vcc_lo, v74, v32
	v_add_co_ci_u32_e64 v81, null, 0, v75, vcc_lo
	v_add_co_u32 v86, vcc_lo, v78, v28
	v_add_co_ci_u32_e64 v87, null, v79, v29, vcc_lo
	global_load_ushort v82, v[80:81], off offset:24
	v_add_co_u32 v80, vcc_lo, v76, v32
	v_add_co_ci_u32_e64 v81, null, 0, v77, vcc_lo
	global_load_ushort v86, v[86:87], off
	global_load_ushort v87, v[80:81], off offset:24
	s_waitcnt vmcnt(2)
	v_mul_f16_e32 v80, v31, v82
	v_bfi_b32 v80, 0xffff, v80, v85
	s_waitcnt vmcnt(1)
	v_mul_f16_e32 v81, v31, v86
	s_waitcnt vmcnt(0)
	v_mul_f16_e32 v82, v31, v87
	s_branch .LBB282_14
.LBB282_23:
	v_add_nc_u32_e32 v18, 0x800, v34
	s_load_dwordx2 s[2:3], s[4:5], 0x78
	v_cmp_neq_f16_e64 s0, 0, v30
	ds_read2_b64 v[2:5], v33 offset0:128 offset1:160
	ds_read2_b64 v[6:9], v33 offset0:192 offset1:224
	;; [unrolled: 1-line block ×4, first 2 shown]
	s_clause 0x1
	s_load_dword s6, s[4:5], 0x58
	s_load_dword s7, s[4:5], 0x70
	ds_read2_b64 v[26:29], v18 offset0:80 offset1:88
	v_add_nc_u32_e32 v1, s14, v1
	s_mov_b64 s[4:5], 15
	s_waitcnt lgkmcnt(0)
	v_pk_max_f16 v2, v2, v2
	v_pk_max_f16 v4, v4, v4
	;; [unrolled: 1-line block ×8, first 2 shown]
	v_pk_min_f16 v19, v12, v2
	v_pk_min_f16 v20, v12, v4
	;; [unrolled: 1-line block ×5, first 2 shown]
	v_pk_add_f16 v19, v36, v19
	v_pk_add_f16 v20, v37, v20
	;; [unrolled: 1-line block ×3, first 2 shown]
	ds_read2_b64 v[35:38], v18 offset0:96 offset1:104
	v_pk_min_f16 v18, v16, v4
	v_pk_min_f16 v33, v26, v4
	;; [unrolled: 1-line block ×3, first 2 shown]
	v_pk_max_f16 v28, v28, v28
	v_pk_min_f16 v23, v14, v4
	v_pk_add_f16 v32, v40, v18
	v_pk_min_f16 v18, v26, v2
	v_pk_min_f16 v26, v26, v8
	v_pk_add_f16 v22, v41, v22
	v_pk_min_f16 v31, v16, v6
	v_pk_min_f16 v16, v16, v8
	v_pk_add_f16 v25, v39, v25
	v_pk_add_f16 v39, v47, v18
	;; [unrolled: 1-line block ×3, first 2 shown]
	v_pk_min_f16 v18, v28, v2
	v_pk_min_f16 v26, v28, v4
	;; [unrolled: 1-line block ×5, first 2 shown]
	s_waitcnt lgkmcnt(0)
	v_pk_max_f16 v35, v35, v35
	v_pk_min_f16 v14, v14, v8
	v_pk_add_f16 v23, v44, v23
	v_pk_add_f16 v16, v43, v16
	;; [unrolled: 1-line block ×4, first 2 shown]
	v_pk_min_f16 v26, v35, v4
	v_pk_max_f16 v28, v37, v37
	v_pk_add_f16 v14, v46, v14
	v_pk_add_f16 v31, v42, v31
	;; [unrolled: 1-line block ×3, first 2 shown]
	v_pk_min_f16 v18, v35, v2
	v_pk_add_f16 v46, v60, v26
	v_pk_min_f16 v26, v28, v2
	v_pk_add_f16 v24, v45, v24
	v_pk_add_f16 v34, v49, v34
	;; [unrolled: 1-line block ×3, first 2 shown]
	v_pk_min_f16 v18, v35, v6
	v_pk_max_f16 v10, v10, v10
	v_pk_add_f16 v49, v67, v26
	v_pk_min_f16 v26, v28, v8
	v_pk_max_f16 v3, v3, v3
	v_pk_max_f16 v13, v13, v13
	;; [unrolled: 1-line block ×4, first 2 shown]
	v_pk_min_f16 v35, v35, v8
	v_pk_min_f16 v37, v28, v4
	v_pk_add_f16 v47, v58, v18
	v_pk_min_f16 v18, v28, v6
	v_pk_min_f16 v2, v10, v2
	;; [unrolled: 1-line block ×4, first 2 shown]
	v_pk_add_f16 v52, v64, v26
	v_pk_min_f16 v10, v10, v8
	v_pk_min_f16 v8, v12, v8
	;; [unrolled: 1-line block ×5, first 2 shown]
	v_pk_max_f16 v15, v15, v15
	v_pk_max_f16 v9, v9, v9
	v_pk_add_f16 v51, v63, v18
	v_pk_add_f16 v18, v19, v12
	;; [unrolled: 1-line block ×4, first 2 shown]
	v_pk_min_f16 v12, v15, v3
	v_pk_min_f16 v26, v15, v5
	;; [unrolled: 1-line block ×4, first 2 shown]
	v_pk_max_f16 v17, v17, v17
	v_pk_add_f16 v33, v48, v33
	v_pk_add_f16 v48, v59, v35
	;; [unrolled: 1-line block ×6, first 2 shown]
	v_pk_min_f16 v12, v17, v3
	v_pk_min_f16 v14, v17, v5
	v_pk_min_f16 v15, v17, v7
	v_pk_min_f16 v17, v17, v9
	v_pk_max_f16 v35, v27, v27
	v_pk_add_f16 v25, v25, v12
	v_pk_add_f16 v26, v32, v14
	v_pk_add_f16 v27, v31, v15
	v_pk_add_f16 v28, v16, v17
	v_pk_min_f16 v12, v35, v3
	v_pk_min_f16 v14, v35, v5
	v_pk_min_f16 v15, v35, v7
	v_pk_min_f16 v16, v35, v9
	v_pk_max_f16 v17, v29, v29
	v_pk_add_f16 v29, v39, v12
	v_pk_add_f16 v31, v33, v14
	v_pk_add_f16 v32, v34, v15
	v_pk_add_f16 v33, v40, v16
	;; [unrolled: 9-line block ×3, first 2 shown]
	v_pk_add_f16 v37, v44, v16
	v_pk_min_f16 v12, v17, v3
	v_pk_min_f16 v14, v17, v5
	v_pk_max_f16 v16, v38, v38
	v_pk_max_f16 v11, v11, v11
	v_pk_add_f16 v2, v70, v2
	v_pk_add_f16 v4, v71, v4
	v_pk_add_f16 v36, v41, v15
	v_pk_min_f16 v15, v17, v7
	v_pk_add_f16 v38, v45, v12
	v_pk_add_f16 v39, v46, v14
	v_pk_min_f16 v12, v16, v3
	v_pk_min_f16 v14, v16, v5
	;; [unrolled: 1-line block ×4, first 2 shown]
	v_pk_add_f16 v6, v72, v6
	v_pk_add_f16 v10, v66, v10
	;; [unrolled: 1-line block ×3, first 2 shown]
	v_pk_min_f16 v17, v17, v9
	v_pk_add_f16 v40, v47, v15
	v_pk_min_f16 v15, v16, v7
	v_pk_add_f16 v42, v49, v12
	;; [unrolled: 2-line block ×3, first 2 shown]
	v_pk_min_f16 v3, v11, v7
	v_add_nc_u32_e32 v2, s15, v0
	v_pk_add_f16 v0, v4, v5
	v_pk_min_f16 v5, v11, v9
	v_pk_min_f16 v7, v13, v9
	v_pk_add_f16 v41, v48, v17
	v_pk_add_f16 v43, v50, v14
	;; [unrolled: 1-line block ×4, first 2 shown]
	v_add_nc_u32_e32 v4, 8, v2
	v_add_nc_u32_e32 v6, 16, v2
	v_pk_add_f16 v48, v10, v5
	v_pk_add_f16 v49, v8, v7
	v_add_nc_u32_e32 v8, 24, v2
	v_add_nc_u32_e32 v10, 32, v2
	;; [unrolled: 1-line block ×5, first 2 shown]
	v_pk_add_f16 v44, v51, v15
	v_ashrrev_i32_e32 v3, 31, v2
	v_ashrrev_i32_e32 v5, 31, v4
	;; [unrolled: 1-line block ×8, first 2 shown]
	s_mul_i32 s1, s3, s20
	s_mul_hi_u32 s3, s2, s20
	s_mul_i32 s2, s2, s20
	s_add_i32 s3, s3, s1
	v_lshlrev_b64 v[2:3], 1, v[2:3]
	v_lshlrev_b64 v[4:5], 1, v[4:5]
	;; [unrolled: 1-line block ×8, first 2 shown]
	s_lshl_b64 s[2:3], s[2:3], 1
	s_add_u32 s10, s10, s2
	s_addc_u32 s3, s11, s3
	s_branch .LBB282_25
.LBB282_24:                             ;   in Loop: Header=BB282_25 Depth=1
	s_add_i32 s1, s4, -1
	v_add_nc_u32_e32 v1, 32, v1
	s_cmp_eq_u32 s1, 1
	s_cselect_b32 vcc_lo, -1, 0
	s_cmp_eq_u32 s1, 2
	v_cndmask_b32_e32 v82, v21, v50, vcc_lo
	s_cselect_b32 vcc_lo, -1, 0
	s_cmp_eq_u32 s1, 3
	v_cndmask_b32_e32 v82, v82, v25, vcc_lo
	;; [unrolled: 3-line block ×62, first 2 shown]
	s_cselect_b32 vcc_lo, -1, 0
	s_cmp_eq_u32 s4, 1
	s_cselect_b32 s1, -1, 0
	s_cmp_eq_u32 s4, 2
	v_cndmask_b32_e64 v50, v21, v50, s1
	s_cselect_b32 s1, -1, 0
	s_cmp_eq_u32 s4, 3
	v_cndmask_b32_e64 v50, v50, v25, s1
	;; [unrolled: 3-line block ×3, first 2 shown]
	s_cselect_b32 s1, -1, 0
	s_cmp_eq_u32 s4, 5
	v_cndmask_b32_e32 v51, v82, v81, vcc_lo
	v_cndmask_b32_e64 v50, v50, v29, s1
	s_cselect_b32 s1, -1, 0
	s_cmp_eq_u32 s4, 6
	v_cndmask_b32_e64 v50, v50, v52, s1
	s_cselect_b32 s1, -1, 0
	s_cmp_eq_u32 s4, 7
	;; [unrolled: 3-line block ×58, first 2 shown]
	s_cselect_b32 vcc_lo, -1, 0
	v_cndmask_b32_e64 v50, v50, v49, s1
	s_add_u32 s4, s4, 16
	s_addc_u32 s5, s5, 0
	s_cmpk_lg_i32 s4, 0x4f
	v_cndmask_b32_e32 v50, v50, v81, vcc_lo
	v_add_f16_e32 v52, v51, v50
	v_add_co_u32 v50, vcc_lo, v84, v16
	v_add_co_ci_u32_e64 v51, null, v85, v17, vcc_lo
	v_add_f16_e32 v52, v52, v86
	global_store_short v[50:51], v52, off
	s_cbranch_scc0 .LBB282_41
.LBB282_25:                             ; =>This Inner Loop Header: Depth=1
	v_mad_i64_i32 v[50:51], null, v1, s6, 0
	v_cndmask_b32_e64 v52, 0, 1, s0
	v_mov_b32_e32 v86, 0
	v_mov_b32_e32 v87, 0
	v_cmp_ne_u32_e64 s1, 1, v52
	v_lshlrev_b64 v[50:51], 1, v[50:51]
	v_add_co_u32 v82, vcc_lo, s8, v50
	v_add_co_ci_u32_e64 v83, null, s9, v51, vcc_lo
	s_andn2_b32 vcc_lo, exec_lo, s0
	s_cbranch_vccnz .LBB282_27
; %bb.26:                               ;   in Loop: Header=BB282_25 Depth=1
	v_add_co_u32 v50, vcc_lo, v82, v2
	v_add_co_ci_u32_e64 v51, null, v83, v3, vcc_lo
	global_load_ushort v50, v[50:51], off
	s_waitcnt vmcnt(0)
	v_mul_f16_e32 v87, v30, v50
.LBB282_27:                             ;   in Loop: Header=BB282_25 Depth=1
	s_add_i32 s2, s4, -15
	v_lshrrev_b32_e32 v50, 16, v21
	s_cmp_eq_u32 s2, 1
	v_lshrrev_b32_e32 v51, 16, v25
	s_cselect_b32 vcc_lo, -1, 0
	s_cmp_eq_u32 s2, 2
	v_cndmask_b32_e32 v52, v21, v50, vcc_lo
	s_cselect_b32 vcc_lo, -1, 0
	s_cmp_eq_u32 s2, 3
	v_cndmask_b32_e32 v52, v52, v25, vcc_lo
	;; [unrolled: 3-line block ×3, first 2 shown]
	s_cselect_b32 vcc_lo, -1, 0
	v_lshrrev_b32_e32 v52, 16, v29
	s_cmp_eq_u32 s2, 5
	v_cndmask_b32_e32 v53, v53, v29, vcc_lo
	s_cselect_b32 vcc_lo, -1, 0
	s_cmp_eq_u32 s2, 6
	v_cndmask_b32_e32 v54, v53, v52, vcc_lo
	s_cselect_b32 vcc_lo, -1, 0
	v_lshrrev_b32_e32 v53, 16, v34
	s_cmp_eq_u32 s2, 7
	v_cndmask_b32_e32 v54, v54, v34, vcc_lo
	s_cselect_b32 vcc_lo, -1, 0
	s_cmp_eq_u32 s2, 8
	v_cndmask_b32_e32 v55, v54, v53, vcc_lo
	;; [unrolled: 7-line block ×29, first 2 shown]
	s_cselect_b32 vcc_lo, -1, 0
	s_cmp_eq_u32 s2, 63
	v_lshrrev_b32_e32 v81, 16, v49
	v_cndmask_b32_e32 v88, v84, v49, vcc_lo
	s_cselect_b32 vcc_lo, -1, 0
	s_add_i32 s11, s4, -14
	s_cmp_eq_u32 s11, 1
	v_cndmask_b32_e32 v88, v88, v81, vcc_lo
	s_cselect_b32 s2, -1, 0
	s_cmp_eq_u32 s11, 2
	v_cndmask_b32_e64 v84, v21, v50, s2
	s_cselect_b32 s2, -1, 0
	s_cmp_eq_u32 s11, 3
	v_cndmask_b32_e64 v84, v84, v25, s2
	;; [unrolled: 3-line block ×61, first 2 shown]
	v_mad_i64_i32 v[84:85], null, v1, s7, 0
	s_cselect_b32 s2, -1, 0
	s_cmp_eq_u32 s11, 63
	v_cndmask_b32_e64 v89, v89, v49, s2
	s_cselect_b32 vcc_lo, -1, 0
	v_lshlrev_b64 v[84:85], 1, v[84:85]
	v_cndmask_b32_e32 v89, v89, v81, vcc_lo
	v_add_co_u32 v84, vcc_lo, s10, v84
	v_add_f16_e32 v88, v88, v89
	v_add_co_ci_u32_e64 v85, null, s3, v85, vcc_lo
	v_add_f16_e32 v89, v88, v87
	v_add_co_u32 v87, vcc_lo, v84, v2
	v_add_co_ci_u32_e64 v88, null, v85, v3, vcc_lo
	s_and_b32 vcc_lo, exec_lo, s1
	global_store_short v[87:88], v89, off
	s_cbranch_vccnz .LBB282_29
; %bb.28:                               ;   in Loop: Header=BB282_25 Depth=1
	v_add_co_u32 v86, vcc_lo, v82, v4
	v_add_co_ci_u32_e64 v87, null, v83, v5, vcc_lo
	global_load_ushort v86, v[86:87], off
	s_waitcnt vmcnt(0)
	v_mul_f16_e32 v86, v30, v86
.LBB282_29:                             ;   in Loop: Header=BB282_25 Depth=1
	s_add_i32 s2, s4, -13
	s_cmp_eq_u32 s2, 1
	s_cselect_b32 vcc_lo, -1, 0
	s_cmp_eq_u32 s2, 2
	v_cndmask_b32_e32 v87, v21, v50, vcc_lo
	s_cselect_b32 vcc_lo, -1, 0
	s_cmp_eq_u32 s2, 3
	v_cndmask_b32_e32 v87, v87, v25, vcc_lo
	;; [unrolled: 3-line block ×62, first 2 shown]
	s_cselect_b32 vcc_lo, -1, 0
	s_add_i32 s11, s4, -12
	s_cmp_eq_u32 s11, 1
	v_cndmask_b32_e32 v87, v87, v81, vcc_lo
	s_cselect_b32 s2, -1, 0
	s_cmp_eq_u32 s11, 2
	v_cndmask_b32_e64 v88, v21, v50, s2
	s_cselect_b32 s2, -1, 0
	s_cmp_eq_u32 s11, 3
	v_cndmask_b32_e64 v88, v88, v25, s2
	;; [unrolled: 3-line block ×61, first 2 shown]
	s_cselect_b32 s2, -1, 0
	s_cmp_eq_u32 s11, 63
	s_cselect_b32 vcc_lo, -1, 0
	v_cndmask_b32_e64 v88, v88, v49, s2
	v_cndmask_b32_e32 v88, v88, v81, vcc_lo
	v_add_f16_e32 v87, v87, v88
	v_add_co_u32 v88, vcc_lo, v84, v4
	v_add_co_ci_u32_e64 v89, null, v85, v5, vcc_lo
	v_add_f16_e32 v90, v87, v86
	v_mov_b32_e32 v86, 0
	v_mov_b32_e32 v87, 0
	s_and_b32 vcc_lo, exec_lo, s1
	global_store_short v[88:89], v90, off
	s_cbranch_vccnz .LBB282_31
; %bb.30:                               ;   in Loop: Header=BB282_25 Depth=1
	v_add_co_u32 v87, vcc_lo, v82, v6
	v_add_co_ci_u32_e64 v88, null, v83, v7, vcc_lo
	global_load_ushort v87, v[87:88], off
	s_waitcnt vmcnt(0)
	v_mul_f16_e32 v87, v30, v87
.LBB282_31:                             ;   in Loop: Header=BB282_25 Depth=1
	s_add_i32 s2, s4, -11
	s_cmp_eq_u32 s2, 1
	s_cselect_b32 vcc_lo, -1, 0
	s_cmp_eq_u32 s2, 2
	v_cndmask_b32_e32 v88, v21, v50, vcc_lo
	s_cselect_b32 vcc_lo, -1, 0
	s_cmp_eq_u32 s2, 3
	v_cndmask_b32_e32 v88, v88, v25, vcc_lo
	;; [unrolled: 3-line block ×62, first 2 shown]
	s_cselect_b32 vcc_lo, -1, 0
	s_add_i32 s11, s4, -10
	s_cmp_eq_u32 s11, 1
	v_cndmask_b32_e32 v88, v88, v81, vcc_lo
	s_cselect_b32 s2, -1, 0
	s_cmp_eq_u32 s11, 2
	v_cndmask_b32_e64 v89, v21, v50, s2
	s_cselect_b32 s2, -1, 0
	s_cmp_eq_u32 s11, 3
	v_cndmask_b32_e64 v89, v89, v25, s2
	;; [unrolled: 3-line block ×61, first 2 shown]
	s_cselect_b32 s2, -1, 0
	s_cmp_eq_u32 s11, 63
	s_cselect_b32 vcc_lo, -1, 0
	v_cndmask_b32_e64 v89, v89, v49, s2
	v_cndmask_b32_e32 v89, v89, v81, vcc_lo
	v_add_f16_e32 v88, v88, v89
	v_add_f16_e32 v89, v88, v87
	v_add_co_u32 v87, vcc_lo, v84, v6
	v_add_co_ci_u32_e64 v88, null, v85, v7, vcc_lo
	s_and_b32 vcc_lo, exec_lo, s1
	global_store_short v[87:88], v89, off
	s_cbranch_vccnz .LBB282_33
; %bb.32:                               ;   in Loop: Header=BB282_25 Depth=1
	v_add_co_u32 v86, vcc_lo, v82, v8
	v_add_co_ci_u32_e64 v87, null, v83, v9, vcc_lo
	global_load_ushort v86, v[86:87], off
	s_waitcnt vmcnt(0)
	v_mul_f16_e32 v86, v30, v86
.LBB282_33:                             ;   in Loop: Header=BB282_25 Depth=1
	s_add_i32 s2, s4, -9
	s_cmp_eq_u32 s2, 1
	s_cselect_b32 vcc_lo, -1, 0
	s_cmp_eq_u32 s2, 2
	v_cndmask_b32_e32 v87, v21, v50, vcc_lo
	s_cselect_b32 vcc_lo, -1, 0
	s_cmp_eq_u32 s2, 3
	v_cndmask_b32_e32 v87, v87, v25, vcc_lo
	;; [unrolled: 3-line block ×62, first 2 shown]
	s_cselect_b32 vcc_lo, -1, 0
	s_add_i32 s11, s4, -8
	s_cmp_eq_u32 s11, 1
	v_cndmask_b32_e32 v87, v87, v81, vcc_lo
	s_cselect_b32 s2, -1, 0
	s_cmp_eq_u32 s11, 2
	v_cndmask_b32_e64 v88, v21, v50, s2
	s_cselect_b32 s2, -1, 0
	s_cmp_eq_u32 s11, 3
	v_cndmask_b32_e64 v88, v88, v25, s2
	;; [unrolled: 3-line block ×61, first 2 shown]
	s_cselect_b32 s2, -1, 0
	s_cmp_eq_u32 s11, 63
	s_cselect_b32 vcc_lo, -1, 0
	v_cndmask_b32_e64 v88, v88, v49, s2
	v_cndmask_b32_e32 v88, v88, v81, vcc_lo
	v_add_f16_e32 v87, v87, v88
	v_add_co_u32 v88, vcc_lo, v84, v8
	v_add_co_ci_u32_e64 v89, null, v85, v9, vcc_lo
	v_add_f16_e32 v90, v87, v86
	v_mov_b32_e32 v86, 0
	v_mov_b32_e32 v87, 0
	s_and_b32 vcc_lo, exec_lo, s1
	global_store_short v[88:89], v90, off
	s_cbranch_vccnz .LBB282_35
; %bb.34:                               ;   in Loop: Header=BB282_25 Depth=1
	v_add_co_u32 v87, vcc_lo, v82, v10
	v_add_co_ci_u32_e64 v88, null, v83, v11, vcc_lo
	global_load_ushort v87, v[87:88], off
	s_waitcnt vmcnt(0)
	v_mul_f16_e32 v87, v30, v87
.LBB282_35:                             ;   in Loop: Header=BB282_25 Depth=1
	s_add_i32 s2, s4, -7
	s_cmp_eq_u32 s2, 1
	s_cselect_b32 vcc_lo, -1, 0
	s_cmp_eq_u32 s2, 2
	v_cndmask_b32_e32 v88, v21, v50, vcc_lo
	s_cselect_b32 vcc_lo, -1, 0
	s_cmp_eq_u32 s2, 3
	v_cndmask_b32_e32 v88, v88, v25, vcc_lo
	;; [unrolled: 3-line block ×62, first 2 shown]
	s_cselect_b32 vcc_lo, -1, 0
	s_add_i32 s11, s4, -6
	s_cmp_eq_u32 s11, 1
	v_cndmask_b32_e32 v88, v88, v81, vcc_lo
	s_cselect_b32 s2, -1, 0
	s_cmp_eq_u32 s11, 2
	v_cndmask_b32_e64 v89, v21, v50, s2
	s_cselect_b32 s2, -1, 0
	s_cmp_eq_u32 s11, 3
	v_cndmask_b32_e64 v89, v89, v25, s2
	;; [unrolled: 3-line block ×61, first 2 shown]
	s_cselect_b32 s2, -1, 0
	s_cmp_eq_u32 s11, 63
	s_cselect_b32 vcc_lo, -1, 0
	v_cndmask_b32_e64 v89, v89, v49, s2
	v_cndmask_b32_e32 v89, v89, v81, vcc_lo
	v_add_f16_e32 v88, v88, v89
	v_add_f16_e32 v89, v88, v87
	v_add_co_u32 v87, vcc_lo, v84, v10
	v_add_co_ci_u32_e64 v88, null, v85, v11, vcc_lo
	s_and_b32 vcc_lo, exec_lo, s1
	global_store_short v[87:88], v89, off
	s_cbranch_vccnz .LBB282_37
; %bb.36:                               ;   in Loop: Header=BB282_25 Depth=1
	v_add_co_u32 v86, vcc_lo, v82, v12
	v_add_co_ci_u32_e64 v87, null, v83, v13, vcc_lo
	global_load_ushort v86, v[86:87], off
	s_waitcnt vmcnt(0)
	v_mul_f16_e32 v86, v30, v86
.LBB282_37:                             ;   in Loop: Header=BB282_25 Depth=1
	s_add_i32 s2, s4, -5
	s_cmp_eq_u32 s2, 1
	s_cselect_b32 vcc_lo, -1, 0
	s_cmp_eq_u32 s2, 2
	v_cndmask_b32_e32 v87, v21, v50, vcc_lo
	s_cselect_b32 vcc_lo, -1, 0
	s_cmp_eq_u32 s2, 3
	v_cndmask_b32_e32 v87, v87, v25, vcc_lo
	;; [unrolled: 3-line block ×62, first 2 shown]
	s_cselect_b32 vcc_lo, -1, 0
	s_add_i32 s11, s4, -4
	s_cmp_eq_u32 s11, 1
	v_cndmask_b32_e32 v87, v87, v81, vcc_lo
	s_cselect_b32 s2, -1, 0
	s_cmp_eq_u32 s11, 2
	v_cndmask_b32_e64 v88, v21, v50, s2
	s_cselect_b32 s2, -1, 0
	s_cmp_eq_u32 s11, 3
	v_cndmask_b32_e64 v88, v88, v25, s2
	;; [unrolled: 3-line block ×61, first 2 shown]
	s_cselect_b32 s2, -1, 0
	s_cmp_eq_u32 s11, 63
	s_cselect_b32 vcc_lo, -1, 0
	v_cndmask_b32_e64 v88, v88, v49, s2
	v_cndmask_b32_e32 v88, v88, v81, vcc_lo
	v_add_f16_e32 v87, v87, v88
	v_add_co_u32 v88, vcc_lo, v84, v12
	v_add_co_ci_u32_e64 v89, null, v85, v13, vcc_lo
	v_add_f16_e32 v90, v87, v86
	v_mov_b32_e32 v86, 0
	v_mov_b32_e32 v87, 0
	s_and_b32 vcc_lo, exec_lo, s1
	global_store_short v[88:89], v90, off
	s_cbranch_vccnz .LBB282_39
; %bb.38:                               ;   in Loop: Header=BB282_25 Depth=1
	v_add_co_u32 v87, vcc_lo, v82, v14
	v_add_co_ci_u32_e64 v88, null, v83, v15, vcc_lo
	global_load_ushort v87, v[87:88], off
	s_waitcnt vmcnt(0)
	v_mul_f16_e32 v87, v30, v87
.LBB282_39:                             ;   in Loop: Header=BB282_25 Depth=1
	s_add_i32 s2, s4, -3
	s_cmp_eq_u32 s2, 1
	s_cselect_b32 vcc_lo, -1, 0
	s_cmp_eq_u32 s2, 2
	v_cndmask_b32_e32 v88, v21, v50, vcc_lo
	s_cselect_b32 vcc_lo, -1, 0
	s_cmp_eq_u32 s2, 3
	v_cndmask_b32_e32 v88, v88, v25, vcc_lo
	;; [unrolled: 3-line block ×62, first 2 shown]
	s_cselect_b32 vcc_lo, -1, 0
	s_add_i32 s11, s4, -2
	s_cmp_eq_u32 s11, 1
	v_cndmask_b32_e32 v88, v88, v81, vcc_lo
	s_cselect_b32 s2, -1, 0
	s_cmp_eq_u32 s11, 2
	v_cndmask_b32_e64 v89, v21, v50, s2
	s_cselect_b32 s2, -1, 0
	s_cmp_eq_u32 s11, 3
	v_cndmask_b32_e64 v89, v89, v25, s2
	;; [unrolled: 3-line block ×61, first 2 shown]
	s_cselect_b32 s2, -1, 0
	s_cmp_eq_u32 s11, 63
	s_cselect_b32 vcc_lo, -1, 0
	v_cndmask_b32_e64 v89, v89, v49, s2
	v_cndmask_b32_e32 v89, v89, v81, vcc_lo
	v_add_f16_e32 v88, v88, v89
	v_add_f16_e32 v89, v88, v87
	v_add_co_u32 v87, vcc_lo, v84, v14
	v_add_co_ci_u32_e64 v88, null, v85, v15, vcc_lo
	s_and_b32 vcc_lo, exec_lo, s1
	global_store_short v[87:88], v89, off
	s_cbranch_vccnz .LBB282_24
; %bb.40:                               ;   in Loop: Header=BB282_25 Depth=1
	v_add_co_u32 v82, vcc_lo, v82, v16
	v_add_co_ci_u32_e64 v83, null, v83, v17, vcc_lo
	global_load_ushort v82, v[82:83], off
	s_waitcnt vmcnt(0)
	v_mul_f16_e32 v86, v30, v82
	s_branch .LBB282_24
.LBB282_41:
	s_endpgm
	.section	.rodata,"a",@progbits
	.p2align	6, 0x0
	.amdhsa_kernel _ZN12_GLOBAL__N_120geam_min_plus_kernelIDF16_Dv2_DF16_S1_Li8ELi32ELi64ELi128ELi4ELi64ELi4ELi4ELi64ELc78ELc78ELb0ELb0ELb0EPKDF16_S2_DF16_EEviiiT16_PT17_ilS6_ilS4_S6_ilPT18_ili26rocblas_geam_ex_operation_
		.amdhsa_group_segment_fixed_size 3072
		.amdhsa_private_segment_fixed_size 0
		.amdhsa_kernarg_size 136
		.amdhsa_user_sgpr_count 6
		.amdhsa_user_sgpr_private_segment_buffer 1
		.amdhsa_user_sgpr_dispatch_ptr 0
		.amdhsa_user_sgpr_queue_ptr 0
		.amdhsa_user_sgpr_kernarg_segment_ptr 1
		.amdhsa_user_sgpr_dispatch_id 0
		.amdhsa_user_sgpr_flat_scratch_init 0
		.amdhsa_user_sgpr_private_segment_size 0
		.amdhsa_wavefront_size32 1
		.amdhsa_uses_dynamic_stack 0
		.amdhsa_system_sgpr_private_segment_wavefront_offset 0
		.amdhsa_system_sgpr_workgroup_id_x 1
		.amdhsa_system_sgpr_workgroup_id_y 0
		.amdhsa_system_sgpr_workgroup_id_z 1
		.amdhsa_system_sgpr_workgroup_info 0
		.amdhsa_system_vgpr_workitem_id 1
		.amdhsa_next_free_vgpr 129
		.amdhsa_next_free_sgpr 26
		.amdhsa_reserve_vcc 1
		.amdhsa_reserve_flat_scratch 0
		.amdhsa_float_round_mode_32 0
		.amdhsa_float_round_mode_16_64 0
		.amdhsa_float_denorm_mode_32 3
		.amdhsa_float_denorm_mode_16_64 3
		.amdhsa_dx10_clamp 1
		.amdhsa_ieee_mode 1
		.amdhsa_fp16_overflow 0
		.amdhsa_workgroup_processor_mode 1
		.amdhsa_memory_ordered 1
		.amdhsa_forward_progress 1
		.amdhsa_shared_vgpr_count 0
		.amdhsa_exception_fp_ieee_invalid_op 0
		.amdhsa_exception_fp_denorm_src 0
		.amdhsa_exception_fp_ieee_div_zero 0
		.amdhsa_exception_fp_ieee_overflow 0
		.amdhsa_exception_fp_ieee_underflow 0
		.amdhsa_exception_fp_ieee_inexact 0
		.amdhsa_exception_int_div_zero 0
	.end_amdhsa_kernel
	.section	.text._ZN12_GLOBAL__N_120geam_min_plus_kernelIDF16_Dv2_DF16_S1_Li8ELi32ELi64ELi128ELi4ELi64ELi4ELi4ELi64ELc78ELc78ELb0ELb0ELb0EPKDF16_S2_DF16_EEviiiT16_PT17_ilS6_ilS4_S6_ilPT18_ili26rocblas_geam_ex_operation_,"axG",@progbits,_ZN12_GLOBAL__N_120geam_min_plus_kernelIDF16_Dv2_DF16_S1_Li8ELi32ELi64ELi128ELi4ELi64ELi4ELi4ELi64ELc78ELc78ELb0ELb0ELb0EPKDF16_S2_DF16_EEviiiT16_PT17_ilS6_ilS4_S6_ilPT18_ili26rocblas_geam_ex_operation_,comdat
.Lfunc_end282:
	.size	_ZN12_GLOBAL__N_120geam_min_plus_kernelIDF16_Dv2_DF16_S1_Li8ELi32ELi64ELi128ELi4ELi64ELi4ELi4ELi64ELc78ELc78ELb0ELb0ELb0EPKDF16_S2_DF16_EEviiiT16_PT17_ilS6_ilS4_S6_ilPT18_ili26rocblas_geam_ex_operation_, .Lfunc_end282-_ZN12_GLOBAL__N_120geam_min_plus_kernelIDF16_Dv2_DF16_S1_Li8ELi32ELi64ELi128ELi4ELi64ELi4ELi4ELi64ELc78ELc78ELb0ELb0ELb0EPKDF16_S2_DF16_EEviiiT16_PT17_ilS6_ilS4_S6_ilPT18_ili26rocblas_geam_ex_operation_
                                        ; -- End function
	.set _ZN12_GLOBAL__N_120geam_min_plus_kernelIDF16_Dv2_DF16_S1_Li8ELi32ELi64ELi128ELi4ELi64ELi4ELi4ELi64ELc78ELc78ELb0ELb0ELb0EPKDF16_S2_DF16_EEviiiT16_PT17_ilS6_ilS4_S6_ilPT18_ili26rocblas_geam_ex_operation_.num_vgpr, 129
	.set _ZN12_GLOBAL__N_120geam_min_plus_kernelIDF16_Dv2_DF16_S1_Li8ELi32ELi64ELi128ELi4ELi64ELi4ELi4ELi64ELc78ELc78ELb0ELb0ELb0EPKDF16_S2_DF16_EEviiiT16_PT17_ilS6_ilS4_S6_ilPT18_ili26rocblas_geam_ex_operation_.num_agpr, 0
	.set _ZN12_GLOBAL__N_120geam_min_plus_kernelIDF16_Dv2_DF16_S1_Li8ELi32ELi64ELi128ELi4ELi64ELi4ELi4ELi64ELc78ELc78ELb0ELb0ELb0EPKDF16_S2_DF16_EEviiiT16_PT17_ilS6_ilS4_S6_ilPT18_ili26rocblas_geam_ex_operation_.numbered_sgpr, 26
	.set _ZN12_GLOBAL__N_120geam_min_plus_kernelIDF16_Dv2_DF16_S1_Li8ELi32ELi64ELi128ELi4ELi64ELi4ELi4ELi64ELc78ELc78ELb0ELb0ELb0EPKDF16_S2_DF16_EEviiiT16_PT17_ilS6_ilS4_S6_ilPT18_ili26rocblas_geam_ex_operation_.num_named_barrier, 0
	.set _ZN12_GLOBAL__N_120geam_min_plus_kernelIDF16_Dv2_DF16_S1_Li8ELi32ELi64ELi128ELi4ELi64ELi4ELi4ELi64ELc78ELc78ELb0ELb0ELb0EPKDF16_S2_DF16_EEviiiT16_PT17_ilS6_ilS4_S6_ilPT18_ili26rocblas_geam_ex_operation_.private_seg_size, 0
	.set _ZN12_GLOBAL__N_120geam_min_plus_kernelIDF16_Dv2_DF16_S1_Li8ELi32ELi64ELi128ELi4ELi64ELi4ELi4ELi64ELc78ELc78ELb0ELb0ELb0EPKDF16_S2_DF16_EEviiiT16_PT17_ilS6_ilS4_S6_ilPT18_ili26rocblas_geam_ex_operation_.uses_vcc, 1
	.set _ZN12_GLOBAL__N_120geam_min_plus_kernelIDF16_Dv2_DF16_S1_Li8ELi32ELi64ELi128ELi4ELi64ELi4ELi4ELi64ELc78ELc78ELb0ELb0ELb0EPKDF16_S2_DF16_EEviiiT16_PT17_ilS6_ilS4_S6_ilPT18_ili26rocblas_geam_ex_operation_.uses_flat_scratch, 0
	.set _ZN12_GLOBAL__N_120geam_min_plus_kernelIDF16_Dv2_DF16_S1_Li8ELi32ELi64ELi128ELi4ELi64ELi4ELi4ELi64ELc78ELc78ELb0ELb0ELb0EPKDF16_S2_DF16_EEviiiT16_PT17_ilS6_ilS4_S6_ilPT18_ili26rocblas_geam_ex_operation_.has_dyn_sized_stack, 0
	.set _ZN12_GLOBAL__N_120geam_min_plus_kernelIDF16_Dv2_DF16_S1_Li8ELi32ELi64ELi128ELi4ELi64ELi4ELi4ELi64ELc78ELc78ELb0ELb0ELb0EPKDF16_S2_DF16_EEviiiT16_PT17_ilS6_ilS4_S6_ilPT18_ili26rocblas_geam_ex_operation_.has_recursion, 0
	.set _ZN12_GLOBAL__N_120geam_min_plus_kernelIDF16_Dv2_DF16_S1_Li8ELi32ELi64ELi128ELi4ELi64ELi4ELi4ELi64ELc78ELc78ELb0ELb0ELb0EPKDF16_S2_DF16_EEviiiT16_PT17_ilS6_ilS4_S6_ilPT18_ili26rocblas_geam_ex_operation_.has_indirect_call, 0
	.section	.AMDGPU.csdata,"",@progbits
; Kernel info:
; codeLenInByte = 22048
; TotalNumSgprs: 28
; NumVgprs: 129
; ScratchSize: 0
; MemoryBound: 0
; FloatMode: 240
; IeeeMode: 1
; LDSByteSize: 3072 bytes/workgroup (compile time only)
; SGPRBlocks: 0
; VGPRBlocks: 16
; NumSGPRsForWavesPerEU: 28
; NumVGPRsForWavesPerEU: 129
; Occupancy: 7
; WaveLimiterHint : 0
; COMPUTE_PGM_RSRC2:SCRATCH_EN: 0
; COMPUTE_PGM_RSRC2:USER_SGPR: 6
; COMPUTE_PGM_RSRC2:TRAP_HANDLER: 0
; COMPUTE_PGM_RSRC2:TGID_X_EN: 1
; COMPUTE_PGM_RSRC2:TGID_Y_EN: 0
; COMPUTE_PGM_RSRC2:TGID_Z_EN: 1
; COMPUTE_PGM_RSRC2:TIDIG_COMP_CNT: 1
	.section	.text._ZN12_GLOBAL__N_120geam_min_plus_kernelIDF16_Dv2_DF16_S1_Li8ELi32ELi64ELi128ELi4ELi64ELi4ELi4ELi64ELc78ELc78ELb1ELb0ELb0EDF16_KDF16_DF16_EEviiiT16_PT17_ilS5_ilS3_S5_ilPT18_ili26rocblas_geam_ex_operation_,"axG",@progbits,_ZN12_GLOBAL__N_120geam_min_plus_kernelIDF16_Dv2_DF16_S1_Li8ELi32ELi64ELi128ELi4ELi64ELi4ELi4ELi64ELc78ELc78ELb1ELb0ELb0EDF16_KDF16_DF16_EEviiiT16_PT17_ilS5_ilS3_S5_ilPT18_ili26rocblas_geam_ex_operation_,comdat
	.globl	_ZN12_GLOBAL__N_120geam_min_plus_kernelIDF16_Dv2_DF16_S1_Li8ELi32ELi64ELi128ELi4ELi64ELi4ELi4ELi64ELc78ELc78ELb1ELb0ELb0EDF16_KDF16_DF16_EEviiiT16_PT17_ilS5_ilS3_S5_ilPT18_ili26rocblas_geam_ex_operation_ ; -- Begin function _ZN12_GLOBAL__N_120geam_min_plus_kernelIDF16_Dv2_DF16_S1_Li8ELi32ELi64ELi128ELi4ELi64ELi4ELi4ELi64ELc78ELc78ELb1ELb0ELb0EDF16_KDF16_DF16_EEviiiT16_PT17_ilS5_ilS3_S5_ilPT18_ili26rocblas_geam_ex_operation_
	.p2align	8
	.type	_ZN12_GLOBAL__N_120geam_min_plus_kernelIDF16_Dv2_DF16_S1_Li8ELi32ELi64ELi128ELi4ELi64ELi4ELi4ELi64ELc78ELc78ELb1ELb0ELb0EDF16_KDF16_DF16_EEviiiT16_PT17_ilS5_ilS3_S5_ilPT18_ili26rocblas_geam_ex_operation_,@function
_ZN12_GLOBAL__N_120geam_min_plus_kernelIDF16_Dv2_DF16_S1_Li8ELi32ELi64ELi128ELi4ELi64ELi4ELi4ELi64ELc78ELc78ELb1ELb0ELb0EDF16_KDF16_DF16_EEviiiT16_PT17_ilS5_ilS3_S5_ilPT18_ili26rocblas_geam_ex_operation_: ; @_ZN12_GLOBAL__N_120geam_min_plus_kernelIDF16_Dv2_DF16_S1_Li8ELi32ELi64ELi128ELi4ELi64ELi4ELi4ELi64ELc78ELc78ELb1ELb0ELb0EDF16_KDF16_DF16_EEviiiT16_PT17_ilS5_ilS3_S5_ilPT18_ili26rocblas_geam_ex_operation_
; %bb.0:
	s_clause 0x1
	s_load_dwordx2 s[10:11], s[4:5], 0x8
	s_load_dwordx4 s[0:3], s[4:5], 0x20
	s_waitcnt lgkmcnt(0)
	v_cmp_eq_f16_e64 s8, s11, 0
	s_and_b32 vcc_lo, exec_lo, s8
	s_cbranch_vccnz .LBB283_29
; %bb.1:
	s_load_dwordx2 s[12:13], s[4:5], 0x10
	s_mul_i32 s1, s1, s7
	s_mul_hi_u32 s9, s0, s7
	s_mul_i32 s0, s0, s7
	s_add_i32 s1, s9, s1
	s_lshl_b64 s[0:1], s[0:1], 1
	s_waitcnt lgkmcnt(0)
	s_add_u32 s12, s12, s0
	s_addc_u32 s13, s13, s1
	s_andn2_b32 vcc_lo, exec_lo, s8
	s_mov_b32 s0, -1
	s_cbranch_vccnz .LBB283_3
.LBB283_2:
	s_mov_b32 s0, 0
.LBB283_3:
	s_mov_b64 s[8:9], 0
	s_andn2_b32 vcc_lo, exec_lo, s0
	s_mov_b64 s[14:15], 0
	s_cbranch_vccnz .LBB283_5
; %bb.4:
	s_load_dwordx2 s[0:1], s[4:5], 0x38
	s_waitcnt lgkmcnt(0)
	s_mul_i32 s1, s1, s7
	s_mul_hi_u32 s11, s0, s7
	s_mul_i32 s0, s0, s7
	s_add_i32 s1, s11, s1
	s_lshl_b64 s[0:1], s[0:1], 1
	s_add_u32 s14, s2, s0
	s_addc_u32 s15, s3, s1
.LBB283_5:
	s_clause 0x1
	s_load_dword s11, s[4:5], 0x40
	s_load_dwordx4 s[0:3], s[4:5], 0x58
	s_waitcnt lgkmcnt(0)
	v_cmp_eq_f16_e64 s16, s11, 0
	s_and_b32 vcc_lo, exec_lo, s16
	s_cbranch_vccnz .LBB283_7
; %bb.6:
	s_load_dwordx2 s[8:9], s[4:5], 0x48
	s_mul_i32 s1, s1, s7
	s_mul_hi_u32 s16, s0, s7
	s_mul_i32 s0, s0, s7
	s_add_i32 s1, s16, s1
	s_lshl_b64 s[0:1], s[0:1], 1
	s_waitcnt lgkmcnt(0)
	s_add_u32 s8, s8, s0
	s_addc_u32 s9, s9, s1
.LBB283_7:
	s_clause 0x2
	s_load_dword s1, s[4:5], 0x0
	s_load_dword s0, s[4:5], 0x18
	;; [unrolled: 1-line block ×3, first 2 shown]
	v_lshlrev_b32_e32 v10, 3, v1
	v_add_nc_u32_e32 v3, v10, v0
	v_lshrrev_b32_e32 v21, 2, v3
	v_lshrrev_b32_e32 v8, 6, v3
	v_and_b32_e32 v20, 63, v3
	v_add_nc_u32_e32 v12, 4, v8
	s_waitcnt lgkmcnt(0)
	s_add_i32 s1, s1, -1
	s_ashr_i32 s16, s1, 31
	v_mad_i64_i32 v[12:13], null, s0, v12, 0
	s_lshr_b32 s16, s16, 26
	s_add_i32 s1, s1, s16
	s_ashr_i32 s1, s1, 6
	s_add_i32 s16, s1, 1
	s_not_b32 s1, s1
	v_cvt_f32_u32_e32 v2, s16
	v_lshlrev_b64 v[12:13], 1, v[12:13]
	v_rcp_iflag_f32_e32 v2, v2
	v_mul_f32_e32 v2, 0x4f7ffffe, v2
	v_cvt_u32_f32_e32 v2, v2
	v_readfirstlane_b32 s17, v2
	v_and_b32_e32 v2, 3, v0
	s_mul_i32 s1, s1, s17
	v_lshlrev_b32_e32 v11, 1, v2
	s_mul_hi_u32 s1, s17, s1
	v_mad_i64_i32 v[2:3], null, s0, v8, 0
	s_add_i32 s17, s17, s1
	s_mul_hi_u32 s1, s6, s17
	s_mul_i32 s17, s1, s16
	s_add_i32 s19, s1, 1
	s_sub_i32 s17, s6, s17
	v_lshlrev_b64 v[2:3], 1, v[2:3]
	s_sub_i32 s20, s17, s16
	s_cmp_ge_u32 s17, s16
	s_cselect_b32 s1, s19, s1
	s_cselect_b32 s17, s20, s17
	s_add_i32 s19, s1, 1
	s_cmp_ge_u32 s17, s16
	v_add_co_u32 v9, s17, s14, v11
	s_cselect_b32 s1, s19, s1
	v_add_co_ci_u32_e64 v19, null, s15, 0, s17
	s_mul_i32 s17, s1, s16
	s_lshl_b32 s16, s1, 7
	s_sub_i32 s1, s6, s17
	v_add_nc_u32_e32 v7, s16, v21
	s_lshl_b32 s17, s1, 6
	v_add_co_u32 v16, vcc_lo, s12, v2
	v_or_b32_e32 v6, s17, v20
	v_mad_i64_i32 v[4:5], null, v7, s18, 0
	v_add_nc_u32_e32 v7, 64, v7
	v_add_co_ci_u32_e64 v17, null, s13, v3, vcc_lo
	s_cmp_lt_i32 s10, 9
	v_mad_i64_i32 v[14:15], null, v7, s18, 0
	v_ashrrev_i32_e32 v7, 31, v6
	v_lshlrev_b64 v[4:5], 1, v[4:5]
	v_lshlrev_b64 v[6:7], 1, v[6:7]
	;; [unrolled: 1-line block ×3, first 2 shown]
	v_add_co_u32 v14, vcc_lo, v9, v4
	v_add_co_ci_u32_e64 v15, null, v19, v5, vcc_lo
	v_add_co_u32 v16, vcc_lo, v16, v6
	v_add_co_ci_u32_e64 v17, null, v17, v7, vcc_lo
	;; [unrolled: 2-line block ×3, first 2 shown]
	global_load_ushort v22, v[14:15], off
	global_load_ushort v17, v[16:17], off
	;; [unrolled: 1-line block ×3, first 2 shown]
	v_add_co_u32 v9, vcc_lo, s12, v12
	v_add_co_ci_u32_e64 v13, null, s13, v13, vcc_lo
	v_add_co_u32 v12, vcc_lo, v9, v6
	v_add_co_ci_u32_e64 v13, null, v13, v7, vcc_lo
	global_load_ushort v41, v[12:13], off
	s_clause 0x1
	global_load_ushort v9, v[18:19], off offset:8
	global_load_ushort v14, v[14:15], off offset:8
	v_lshlrev_b32_e32 v15, 3, v20
	v_lshlrev_b32_e32 v12, 3, v0
	v_lshl_or_b32 v13, v21, 3, v11
	v_lshl_add_u32 v16, v8, 1, v15
	v_add_nc_u32_e32 v15, 0x800, v12
	s_waitcnt vmcnt(5)
	ds_write_b16 v13, v22
	s_waitcnt vmcnt(4)
	ds_write_b16 v16, v17 offset:2048
	s_waitcnt vmcnt(3)
	ds_write_b16 v13, v23 offset:512
	s_waitcnt vmcnt(0) lgkmcnt(0)
	s_barrier
	buffer_gl0_inv
	ds_read2_b64 v[17:20], v10 offset1:32
	ds_read2_b64 v[21:24], v15 offset0:48 offset1:56
	ds_read2_b64 v[25:28], v10 offset0:64 offset1:96
	ds_read2_b64 v[29:32], v15 offset1:8
	ds_read2_b64 v[33:36], v15 offset0:16 offset1:24
	ds_read2_b64 v[37:40], v15 offset0:32 offset1:40
	ds_write_b16 v16, v41 offset:2560
	ds_write_b16 v13, v14 offset:1024
	;; [unrolled: 1-line block ×3, first 2 shown]
	s_waitcnt lgkmcnt(0)
	s_barrier
	buffer_gl0_inv
	v_pk_max_f16 v14, v17, v17
	v_pk_max_f16 v15, v23, v23
	;; [unrolled: 1-line block ×24, first 2 shown]
	v_pk_min_f16 v39, v15, v14
	v_pk_min_f16 v40, v15, v17
	;; [unrolled: 1-line block ×64, first 2 shown]
	v_pk_add_f16 v26, v39, 0
	v_pk_add_f16 v28, v40, 0
	;; [unrolled: 1-line block ×64, first 2 shown]
	s_cbranch_scc1 .LBB283_10
; %bb.8:
	v_add_nc_u32_e32 v9, 8, v8
	v_add_nc_u32_e32 v8, 12, v8
	v_add_co_u32 v18, vcc_lo, s12, v6
	v_add_co_ci_u32_e64 v19, null, s13, v7, vcc_lo
	v_mad_i64_i32 v[6:7], null, v9, s0, 0
	v_mad_i64_i32 v[8:9], null, v8, s0, 0
	v_add_co_u32 v22, vcc_lo, s14, v4
	v_add_co_ci_u32_e64 v23, null, s15, v5, vcc_lo
	v_add_co_u32 v24, vcc_lo, s14, v2
	v_lshlrev_b64 v[6:7], 1, v[6:7]
	v_lshlrev_b64 v[8:9], 1, v[8:9]
	v_or_b32_e32 v14, 0x800, v16
	v_or_b32_e32 v15, 0x800, v12
	v_add_nc_u32_e32 v16, 0xa00, v16
	v_add_nc_u32_e32 v17, 0x400, v13
	v_lshl_add_u32 v20, v0, 3, 0xa00
	v_add_nc_u32_e32 v21, 0x400, v10
	v_add_co_ci_u32_e64 v25, null, s15, v3, vcc_lo
	s_ashr_i32 s1, s0, 31
	s_add_i32 s6, s10, -8
	s_lshl_b64 s[0:1], s[0:1], 4
	s_mov_b32 s10, 0
.LBB283_9:                              ; =>This Inner Loop Header: Depth=1
	v_add_co_u32 v38, vcc_lo, v24, v11
	v_add_co_ci_u32_e64 v39, null, 0, v25, vcc_lo
	v_add_co_u32 v61, vcc_lo, v22, v11
	v_add_co_ci_u32_e64 v62, null, 0, v23, vcc_lo
	;; [unrolled: 2-line block ×3, first 2 shown]
	global_load_ushort v63, v[61:62], off offset:16
	global_load_ushort v41, v[38:39], off offset:16
	s_add_i32 s10, s10, 8
	global_load_ushort v84, v[2:3], off
	ds_read2_b64 v[64:67], v20 offset0:48 offset1:56
	ds_read2_b64 v[2:5], v21 offset0:64 offset1:96
	ds_read2_b64 v[68:71], v21 offset1:32
	ds_read2_b64 v[72:75], v20 offset1:8
	ds_read2_b64 v[76:79], v20 offset0:16 offset1:24
	ds_read2_b64 v[80:83], v20 offset0:32 offset1:40
	s_cmp_ge_i32 s10, s6
	s_waitcnt vmcnt(0)
	ds_write_b16 v14, v84
	ds_write_b16 v13, v63
	ds_write_b16 v13, v41 offset:512
	s_waitcnt lgkmcnt(0)
	s_barrier
	buffer_gl0_inv
	global_load_ushort v38, v[38:39], off offset:24
	global_load_ushort v39, v[61:62], off offset:24
	v_add_co_u32 v61, vcc_lo, v18, v8
	v_add_co_ci_u32_e64 v62, null, v19, v9, vcc_lo
	v_pk_max_f16 v68, v68, v68
	v_pk_max_f16 v72, v72, v72
	;; [unrolled: 1-line block ×3, first 2 shown]
	global_load_ushort v41, v[61:62], off
	v_pk_max_f16 v73, v73, v73
	v_pk_max_f16 v74, v74, v74
	v_pk_min_f16 v61, v72, v68
	v_pk_max_f16 v75, v75, v75
	v_pk_max_f16 v76, v76, v76
	v_pk_max_f16 v77, v77, v77
	v_pk_max_f16 v78, v78, v78
	v_pk_add_f16 v50, v50, v61
	v_pk_min_f16 v61, v73, v69
	v_pk_max_f16 v79, v79, v79
	v_pk_max_f16 v80, v80, v80
	v_pk_max_f16 v81, v81, v81
	v_pk_max_f16 v82, v82, v82
	v_pk_add_f16 v62, v50, v61
	v_pk_min_f16 v50, v74, v68
	v_pk_max_f16 v83, v83, v83
	v_pk_max_f16 v84, v64, v64
	v_pk_max_f16 v65, v65, v65
	v_pk_max_f16 v66, v66, v66
	v_pk_add_f16 v50, v51, v50
	v_pk_min_f16 v51, v75, v69
	v_pk_max_f16 v67, v67, v67
	v_pk_max_f16 v2, v2, v2
	;; [unrolled: 1-line block ×3, first 2 shown]
	v_add_co_u32 v22, vcc_lo, v22, 16
	v_pk_add_f16 v63, v50, v51
	v_pk_min_f16 v50, v76, v68
	v_pk_min_f16 v51, v77, v69
	v_add_co_ci_u32_e64 v23, null, 0, v23, vcc_lo
	v_add_co_u32 v24, vcc_lo, v24, 16
	v_pk_add_f16 v50, v52, v50
	v_pk_min_f16 v52, v83, v69
	v_add_co_ci_u32_e64 v25, null, 0, v25, vcc_lo
	v_add_co_u32 v18, vcc_lo, v18, s0
	v_pk_add_f16 v61, v50, v51
	v_pk_min_f16 v50, v78, v68
	v_pk_min_f16 v51, v79, v69
	v_add_co_ci_u32_e64 v19, null, s1, v19, vcc_lo
	v_pk_add_f16 v50, v53, v50
	v_pk_add_f16 v53, v50, v51
	v_pk_min_f16 v50, v80, v68
	v_pk_min_f16 v51, v81, v69
	v_pk_add_f16 v50, v54, v50
	v_pk_min_f16 v54, v65, v69
	v_pk_add_f16 v50, v50, v51
	;; [unrolled: 2-line block ×3, first 2 shown]
	v_pk_add_f16 v51, v51, v52
	v_pk_min_f16 v52, v84, v68
	v_pk_add_f16 v52, v60, v52
	v_pk_add_f16 v52, v52, v54
	v_pk_min_f16 v54, v66, v68
	v_pk_max_f16 v68, v70, v70
	v_pk_add_f16 v43, v43, v54
	v_pk_min_f16 v54, v67, v69
	v_pk_max_f16 v69, v71, v71
	v_pk_add_f16 v64, v43, v54
	v_pk_min_f16 v43, v72, v68
	v_pk_add_f16 v43, v44, v43
	v_pk_min_f16 v44, v73, v69
	;; [unrolled: 2-line block ×3, first 2 shown]
	v_pk_min_f16 v44, v75, v69
	v_pk_add_f16 v43, v45, v43
	v_pk_add_f16 v55, v43, v44
	v_pk_min_f16 v43, v76, v68
	v_pk_min_f16 v44, v77, v69
	v_pk_add_f16 v43, v46, v43
	v_pk_add_f16 v54, v43, v44
	v_pk_min_f16 v43, v78, v68
	v_pk_min_f16 v44, v79, v69
	v_pk_add_f16 v43, v47, v43
	v_pk_min_f16 v47, v65, v69
	v_pk_add_f16 v46, v43, v44
	v_pk_min_f16 v43, v80, v68
	v_pk_min_f16 v44, v81, v69
	v_pk_add_f16 v43, v48, v43
	v_pk_add_f16 v45, v43, v44
	v_pk_min_f16 v43, v82, v68
	v_pk_min_f16 v44, v83, v69
	v_pk_add_f16 v43, v49, v43
	v_pk_add_f16 v44, v43, v44
	v_pk_min_f16 v43, v84, v68
	v_pk_add_f16 v43, v59, v43
	v_pk_add_f16 v43, v43, v47
	v_pk_min_f16 v47, v66, v68
	v_pk_add_f16 v37, v37, v47
	v_pk_min_f16 v47, v67, v69
	;; [unrolled: 2-line block ×7, first 2 shown]
	v_pk_min_f16 v34, v77, v3
	v_pk_add_f16 v33, v35, v33
	v_pk_add_f16 v49, v33, v34
	v_pk_min_f16 v33, v78, v2
	v_pk_min_f16 v34, v79, v3
	v_pk_add_f16 v33, v36, v33
	v_pk_add_f16 v36, v33, v34
	v_pk_min_f16 v33, v80, v2
	v_pk_min_f16 v34, v81, v3
	v_pk_add_f16 v33, v40, v33
	v_pk_min_f16 v40, v65, v3
	v_pk_add_f16 v35, v33, v34
	v_pk_min_f16 v33, v82, v2
	v_pk_min_f16 v34, v83, v3
	;; [unrolled: 1-line block ×3, first 2 shown]
	v_pk_add_f16 v33, v42, v33
	v_pk_add_f16 v34, v33, v34
	v_pk_min_f16 v33, v84, v2
	v_pk_min_f16 v2, v66, v2
	v_pk_add_f16 v33, v58, v33
	v_pk_add_f16 v2, v32, v2
	;; [unrolled: 1-line block ×4, first 2 shown]
	v_pk_max_f16 v2, v4, v4
	v_pk_max_f16 v4, v5, v5
	v_pk_min_f16 v3, v72, v2
	v_pk_min_f16 v5, v73, v4
	v_pk_add_f16 v3, v29, v3
	v_pk_add_f16 v40, v3, v5
	v_pk_min_f16 v3, v74, v2
	v_pk_min_f16 v5, v75, v4
	v_pk_add_f16 v3, v26, v3
	v_pk_add_f16 v42, v3, v5
	;; [unrolled: 4-line block ×6, first 2 shown]
	v_pk_min_f16 v3, v84, v2
	v_pk_min_f16 v5, v65, v4
	;; [unrolled: 1-line block ×3, first 2 shown]
	v_pk_add_f16 v3, v57, v3
	v_pk_add_f16 v2, v56, v2
	v_pk_add_f16 v81, v3, v5
	v_pk_min_f16 v3, v67, v4
	v_pk_add_f16 v82, v2, v3
	ds_read2_b64 v[2:5], v15 offset0:48 offset1:56
	ds_read2_b64 v[26:29], v10 offset0:64 offset1:96
	ds_read2_b64 v[65:68], v10 offset1:32
	ds_read2_b64 v[69:72], v15 offset1:8
	ds_read2_b64 v[73:76], v15 offset0:16 offset1:24
	ds_read2_b64 v[77:80], v15 offset0:32 offset1:40
	s_waitcnt vmcnt(0)
	ds_write_b16 v16, v41
	ds_write_b16 v17, v39
	ds_write_b16 v17, v38 offset:512
	s_waitcnt lgkmcnt(0)
	s_barrier
	buffer_gl0_inv
	v_pk_max_f16 v2, v2, v2
	v_pk_max_f16 v26, v26, v26
	;; [unrolled: 1-line block ×7, first 2 shown]
	v_pk_min_f16 v4, v65, v56
	v_pk_add_f16 v64, v64, v4
	v_pk_max_f16 v4, v67, v67
	v_pk_min_f16 v57, v65, v4
	v_pk_add_f16 v37, v37, v57
	v_pk_min_f16 v57, v65, v26
	v_pk_add_f16 v32, v32, v57
	v_pk_max_f16 v57, v69, v69
	v_pk_min_f16 v67, v57, v56
	v_pk_add_f16 v67, v62, v67
	v_pk_min_f16 v62, v57, v4
	v_pk_add_f16 v60, v60, v62
	v_pk_min_f16 v62, v57, v26
	v_pk_min_f16 v57, v57, v28
	v_pk_add_f16 v47, v47, v62
	v_pk_add_f16 v40, v40, v57
	v_pk_max_f16 v57, v71, v71
	v_pk_min_f16 v62, v57, v56
	v_pk_add_f16 v69, v63, v62
	v_pk_min_f16 v62, v57, v4
	v_pk_max_f16 v63, v29, v29
	v_pk_add_f16 v55, v55, v62
	v_pk_min_f16 v62, v57, v26
	v_pk_min_f16 v57, v57, v28
	v_pk_add_f16 v48, v48, v62
	v_pk_add_f16 v42, v42, v57
	v_pk_max_f16 v57, v73, v73
	v_pk_min_f16 v62, v57, v56
	v_pk_add_f16 v71, v61, v62
	v_pk_min_f16 v61, v57, v4
	v_pk_max_f16 v62, v27, v27
	v_pk_add_f16 v54, v54, v61
	v_pk_min_f16 v61, v57, v26
	v_pk_min_f16 v57, v57, v28
	v_pk_add_f16 v49, v49, v61
	v_pk_add_f16 v73, v58, v57
	v_pk_max_f16 v57, v75, v75
	v_pk_max_f16 v61, v68, v68
	v_pk_min_f16 v58, v57, v56
	v_pk_add_f16 v53, v53, v58
	v_pk_min_f16 v58, v57, v4
	v_pk_add_f16 v75, v46, v58
	;; [unrolled: 2-line block ×4, first 2 shown]
	v_pk_max_f16 v46, v77, v77
	v_pk_max_f16 v59, v66, v66
	v_pk_min_f16 v57, v46, v56
	v_pk_add_f16 v77, v50, v57
	v_pk_min_f16 v50, v46, v4
	v_pk_add_f16 v84, v45, v50
	v_pk_min_f16 v45, v46, v26
	v_pk_add_f16 v85, v35, v45
	v_pk_min_f16 v35, v46, v28
	v_pk_add_f16 v30, v30, v35
	v_pk_max_f16 v35, v79, v79
	v_pk_min_f16 v45, v35, v56
	v_pk_add_f16 v79, v51, v45
	v_pk_min_f16 v45, v35, v4
	v_pk_min_f16 v4, v2, v4
	v_pk_add_f16 v86, v44, v45
	v_pk_min_f16 v44, v35, v26
	v_pk_add_f16 v57, v43, v4
	v_pk_min_f16 v4, v2, v26
	v_pk_min_f16 v26, v5, v59
	v_pk_add_f16 v87, v34, v44
	v_pk_min_f16 v34, v35, v28
	v_pk_add_f16 v43, v64, v26
	v_pk_min_f16 v26, v5, v61
	v_pk_add_f16 v31, v31, v34
	v_pk_min_f16 v34, v2, v56
	v_pk_add_f16 v56, v33, v4
	v_pk_add_f16 v37, v37, v26
	v_pk_min_f16 v26, v5, v62
	v_pk_min_f16 v2, v2, v28
	v_pk_add_f16 v58, v52, v34
	v_pk_add_f16 v32, v32, v26
	v_pk_max_f16 v26, v70, v70
	v_pk_add_f16 v4, v81, v2
	v_pk_min_f16 v2, v65, v28
	v_pk_min_f16 v27, v26, v59
	v_pk_add_f16 v2, v82, v2
	v_pk_add_f16 v50, v67, v27
	v_pk_min_f16 v27, v26, v61
	v_pk_add_f16 v44, v60, v27
	v_pk_min_f16 v27, v26, v62
	v_pk_min_f16 v26, v26, v63
	v_pk_max_f16 v60, v80, v80
	v_pk_add_f16 v33, v47, v27
	v_pk_add_f16 v29, v40, v26
	v_pk_max_f16 v26, v72, v72
	v_pk_min_f16 v27, v26, v59
	v_pk_add_f16 v51, v69, v27
	v_pk_min_f16 v27, v26, v61
	v_pk_add_f16 v45, v55, v27
	v_pk_min_f16 v27, v26, v62
	v_pk_min_f16 v26, v26, v63
	v_pk_add_f16 v34, v48, v27
	v_pk_max_f16 v27, v74, v74
	v_pk_add_f16 v26, v42, v26
	v_pk_max_f16 v42, v78, v78
	v_pk_min_f16 v28, v27, v59
	v_pk_add_f16 v52, v71, v28
	v_pk_min_f16 v28, v27, v61
	v_pk_add_f16 v46, v54, v28
	v_pk_min_f16 v28, v27, v62
	v_pk_min_f16 v27, v27, v63
	v_pk_add_f16 v35, v49, v28
	v_pk_max_f16 v28, v76, v76
	v_pk_add_f16 v27, v73, v27
	v_pk_min_f16 v40, v28, v59
	v_pk_add_f16 v53, v53, v40
	v_pk_min_f16 v40, v28, v61
	;; [unrolled: 2-line block ×3, first 2 shown]
	v_pk_min_f16 v28, v28, v63
	v_pk_add_f16 v36, v36, v40
	v_pk_min_f16 v40, v42, v59
	v_pk_add_f16 v28, v83, v28
	v_pk_add_f16 v54, v77, v40
	v_pk_min_f16 v40, v42, v61
	v_pk_add_f16 v48, v84, v40
	v_pk_min_f16 v40, v42, v62
	v_pk_min_f16 v42, v42, v63
	v_pk_add_f16 v40, v85, v40
	v_pk_add_f16 v30, v30, v42
	v_pk_min_f16 v42, v60, v59
	v_pk_min_f16 v59, v3, v59
	v_pk_add_f16 v55, v79, v42
	v_pk_min_f16 v42, v60, v61
	v_pk_add_f16 v49, v86, v42
	v_pk_min_f16 v42, v60, v62
	v_pk_min_f16 v60, v60, v63
	v_pk_add_f16 v42, v87, v42
	v_pk_add_f16 v31, v31, v60
	;; [unrolled: 1-line block ×3, first 2 shown]
	v_pk_min_f16 v58, v3, v61
	v_pk_add_f16 v59, v57, v58
	v_pk_min_f16 v57, v3, v62
	v_pk_min_f16 v3, v3, v63
	v_pk_add_f16 v58, v56, v57
	v_pk_add_f16 v57, v4, v3
	v_pk_min_f16 v3, v5, v63
	v_pk_add_f16 v56, v2, v3
	s_cbranch_scc0 .LBB283_9
.LBB283_10:
	v_add_nc_u32_e32 v18, 0x800, v12
	s_load_dwordx2 s[0:1], s[4:5], 0x70
	v_cmp_neq_f16_e64 s6, s11, 0
	ds_read2_b64 v[2:5], v10 offset0:128 offset1:160
	ds_read2_b64 v[6:9], v10 offset0:192 offset1:224
	;; [unrolled: 1-line block ×4, first 2 shown]
	s_clause 0x1
	s_load_dword s10, s[4:5], 0x50
	s_load_dword s4, s[4:5], 0x68
	ds_read2_b64 v[61:64], v18 offset0:80 offset1:88
	ds_read2_b64 v[65:68], v18 offset0:96 offset1:104
	v_add_nc_u32_e32 v1, s16, v1
	s_waitcnt lgkmcnt(0)
	v_pk_max_f16 v2, v2, v2
	v_pk_max_f16 v4, v4, v4
	;; [unrolled: 1-line block ×8, first 2 shown]
	v_pk_min_f16 v21, v12, v6
	v_pk_min_f16 v20, v12, v4
	;; [unrolled: 1-line block ×7, first 2 shown]
	v_pk_add_f16 v21, v32, v21
	v_pk_min_f16 v18, v16, v4
	v_pk_max_f16 v32, v61, v61
	v_pk_add_f16 v14, v29, v14
	v_pk_min_f16 v29, v16, v6
	v_pk_min_f16 v16, v16, v8
	v_pk_add_f16 v20, v37, v20
	v_pk_add_f16 v24, v33, v24
	;; [unrolled: 1-line block ×5, first 2 shown]
	v_pk_min_f16 v18, v32, v2
	v_pk_min_f16 v26, v32, v4
	;; [unrolled: 1-line block ×4, first 2 shown]
	v_pk_max_f16 v37, v63, v63
	v_pk_min_f16 v19, v12, v2
	v_pk_add_f16 v38, v52, v18
	v_pk_add_f16 v39, v46, v26
	;; [unrolled: 1-line block ×4, first 2 shown]
	v_pk_min_f16 v18, v37, v2
	v_pk_min_f16 v26, v37, v4
	v_pk_max_f16 v27, v65, v65
	v_pk_min_f16 v35, v37, v6
	v_pk_min_f16 v37, v37, v8
	v_pk_add_f16 v19, v43, v19
	v_pk_add_f16 v43, v47, v26
	v_pk_min_f16 v26, v27, v4
	v_pk_add_f16 v35, v36, v35
	v_pk_add_f16 v36, v28, v37
	v_pk_max_f16 v28, v67, v67
	v_pk_add_f16 v23, v44, v23
	v_pk_add_f16 v41, v53, v18
	v_pk_min_f16 v18, v27, v2
	v_pk_add_f16 v44, v48, v26
	v_pk_min_f16 v26, v28, v2
	v_pk_min_f16 v45, v28, v4
	v_pk_max_f16 v3, v3, v3
	v_pk_add_f16 v37, v54, v18
	v_pk_min_f16 v18, v27, v6
	v_pk_min_f16 v27, v27, v8
	v_pk_add_f16 v47, v55, v26
	v_pk_min_f16 v26, v28, v8
	v_pk_max_f16 v13, v13, v13
	v_pk_max_f16 v5, v5, v5
	;; [unrolled: 1-line block ×3, first 2 shown]
	v_pk_add_f16 v40, v40, v18
	v_pk_add_f16 v46, v30, v27
	;; [unrolled: 1-line block ×3, first 2 shown]
	v_pk_min_f16 v18, v28, v6
	v_pk_min_f16 v2, v10, v2
	;; [unrolled: 1-line block ×4, first 2 shown]
	v_pk_add_f16 v49, v31, v26
	v_pk_min_f16 v10, v10, v8
	v_pk_min_f16 v8, v12, v8
	;; [unrolled: 1-line block ×5, first 2 shown]
	v_pk_max_f16 v15, v15, v15
	v_pk_max_f16 v9, v9, v9
	v_pk_add_f16 v22, v50, v22
	v_pk_add_f16 v48, v42, v18
	;; [unrolled: 1-line block ×5, first 2 shown]
	v_pk_min_f16 v12, v15, v3
	v_pk_min_f16 v26, v15, v5
	;; [unrolled: 1-line block ×4, first 2 shown]
	v_pk_max_f16 v17, v17, v17
	v_pk_add_f16 v25, v51, v25
	v_pk_add_f16 v21, v22, v12
	;; [unrolled: 1-line block ×5, first 2 shown]
	v_pk_min_f16 v12, v17, v3
	v_pk_min_f16 v14, v17, v5
	;; [unrolled: 1-line block ×4, first 2 shown]
	v_pk_max_f16 v30, v62, v62
	v_pk_add_f16 v25, v25, v12
	v_pk_add_f16 v26, v33, v14
	;; [unrolled: 1-line block ×4, first 2 shown]
	v_pk_min_f16 v12, v30, v3
	v_pk_min_f16 v14, v30, v5
	;; [unrolled: 1-line block ×4, first 2 shown]
	v_pk_max_f16 v17, v64, v64
	v_pk_add_f16 v29, v38, v12
	v_pk_add_f16 v30, v39, v14
	;; [unrolled: 1-line block ×4, first 2 shown]
	v_pk_min_f16 v12, v17, v3
	v_pk_min_f16 v14, v17, v5
	;; [unrolled: 1-line block ×4, first 2 shown]
	v_pk_max_f16 v17, v66, v66
	v_pk_add_f16 v33, v41, v12
	v_pk_add_f16 v34, v43, v14
	v_pk_max_f16 v11, v11, v11
	v_pk_add_f16 v36, v36, v16
	v_pk_min_f16 v12, v17, v3
	v_pk_min_f16 v14, v17, v5
	v_pk_max_f16 v16, v68, v68
	v_pk_add_f16 v2, v60, v2
	v_pk_add_f16 v4, v59, v4
	;; [unrolled: 1-line block ×3, first 2 shown]
	v_pk_min_f16 v15, v17, v7
	v_pk_add_f16 v37, v37, v12
	v_pk_add_f16 v38, v44, v14
	v_pk_min_f16 v12, v16, v3
	v_pk_min_f16 v14, v16, v5
	v_pk_min_f16 v3, v11, v3
	v_pk_min_f16 v5, v11, v5
	v_pk_add_f16 v6, v58, v6
	v_pk_add_f16 v10, v57, v10
	;; [unrolled: 1-line block ×3, first 2 shown]
	v_pk_min_f16 v17, v17, v9
	v_pk_add_f16 v39, v40, v15
	v_pk_min_f16 v15, v16, v7
	v_pk_add_f16 v41, v47, v12
	;; [unrolled: 2-line block ×3, first 2 shown]
	v_pk_add_f16 v45, v2, v3
	v_pk_min_f16 v3, v11, v7
	v_add_nc_u32_e32 v2, s17, v0
	v_pk_add_f16 v0, v4, v5
	v_pk_min_f16 v5, v11, v9
	v_pk_min_f16 v7, v13, v9
	v_pk_add_f16 v40, v46, v17
	v_pk_add_f16 v43, v48, v15
	;; [unrolled: 1-line block ×4, first 2 shown]
	v_add_nc_u32_e32 v4, 8, v2
	v_add_nc_u32_e32 v6, 16, v2
	v_pk_add_f16 v47, v10, v5
	v_pk_add_f16 v48, v8, v7
	v_add_nc_u32_e32 v8, 24, v2
	v_add_nc_u32_e32 v10, 32, v2
	;; [unrolled: 1-line block ×5, first 2 shown]
	v_ashrrev_i32_e32 v3, 31, v2
	v_ashrrev_i32_e32 v5, 31, v4
	;; [unrolled: 1-line block ×8, first 2 shown]
	s_mul_i32 s1, s1, s7
	s_mul_hi_u32 s5, s0, s7
	s_mul_i32 s0, s0, s7
	s_add_i32 s1, s5, s1
	v_lshlrev_b64 v[2:3], 1, v[2:3]
	v_lshlrev_b64 v[4:5], 1, v[4:5]
	;; [unrolled: 1-line block ×8, first 2 shown]
	s_lshl_b64 s[0:1], s[0:1], 1
	s_add_u32 s5, s2, s0
	s_addc_u32 s7, s3, s1
	s_mov_b64 s[2:3], 15
	s_branch .LBB283_12
.LBB283_11:                             ;   in Loop: Header=BB283_12 Depth=1
	s_add_i32 s0, s2, -1
	v_add_nc_u32_e32 v1, 32, v1
	s_cmp_eq_u32 s0, 1
	s_cselect_b32 vcc_lo, -1, 0
	s_cmp_eq_u32 s0, 2
	v_cndmask_b32_e32 v81, v21, v49, vcc_lo
	s_cselect_b32 vcc_lo, -1, 0
	s_cmp_eq_u32 s0, 3
	v_cndmask_b32_e32 v81, v81, v25, vcc_lo
	;; [unrolled: 3-line block ×62, first 2 shown]
	s_cselect_b32 vcc_lo, -1, 0
	s_cmp_eq_u32 s2, 1
	s_cselect_b32 s0, -1, 0
	s_cmp_eq_u32 s2, 2
	v_cndmask_b32_e64 v49, v21, v49, s0
	s_cselect_b32 s0, -1, 0
	s_cmp_eq_u32 s2, 3
	v_cndmask_b32_e64 v49, v49, v25, s0
	;; [unrolled: 3-line block ×3, first 2 shown]
	s_cselect_b32 s0, -1, 0
	s_cmp_eq_u32 s2, 5
	v_cndmask_b32_e32 v50, v81, v80, vcc_lo
	v_cndmask_b32_e64 v49, v49, v29, s0
	s_cselect_b32 s0, -1, 0
	s_cmp_eq_u32 s2, 6
	v_cndmask_b32_e64 v49, v49, v51, s0
	s_cselect_b32 s0, -1, 0
	s_cmp_eq_u32 s2, 7
	;; [unrolled: 3-line block ×58, first 2 shown]
	s_cselect_b32 vcc_lo, -1, 0
	v_cndmask_b32_e64 v49, v49, v48, s0
	s_add_u32 s2, s2, 16
	s_addc_u32 s3, s3, 0
	s_cmpk_lg_i32 s2, 0x4f
	v_cndmask_b32_e32 v49, v49, v80, vcc_lo
	v_add_f16_e32 v51, v50, v49
	v_add_co_u32 v49, vcc_lo, v83, v16
	v_add_co_ci_u32_e64 v50, null, v84, v17, vcc_lo
	v_add_f16_e32 v51, v51, v85
	global_store_short v[49:50], v51, off
	s_cbranch_scc0 .LBB283_28
.LBB283_12:                             ; =>This Inner Loop Header: Depth=1
	v_mad_i64_i32 v[49:50], null, v1, s10, 0
	v_cndmask_b32_e64 v51, 0, 1, s6
	v_mov_b32_e32 v85, 0
	v_mov_b32_e32 v86, 0
	v_cmp_ne_u32_e64 s0, 1, v51
	v_lshlrev_b64 v[49:50], 1, v[49:50]
	v_add_co_u32 v81, vcc_lo, s8, v49
	v_add_co_ci_u32_e64 v82, null, s9, v50, vcc_lo
	s_andn2_b32 vcc_lo, exec_lo, s6
	s_cbranch_vccnz .LBB283_14
; %bb.13:                               ;   in Loop: Header=BB283_12 Depth=1
	v_add_co_u32 v49, vcc_lo, v81, v2
	v_add_co_ci_u32_e64 v50, null, v82, v3, vcc_lo
	global_load_ushort v49, v[49:50], off
	s_waitcnt vmcnt(0)
	v_mul_f16_e32 v86, s11, v49
.LBB283_14:                             ;   in Loop: Header=BB283_12 Depth=1
	s_add_i32 s1, s2, -15
	v_lshrrev_b32_e32 v49, 16, v21
	s_cmp_eq_u32 s1, 1
	v_lshrrev_b32_e32 v50, 16, v25
	s_cselect_b32 vcc_lo, -1, 0
	s_cmp_eq_u32 s1, 2
	v_cndmask_b32_e32 v51, v21, v49, vcc_lo
	s_cselect_b32 vcc_lo, -1, 0
	s_cmp_eq_u32 s1, 3
	v_cndmask_b32_e32 v51, v51, v25, vcc_lo
	;; [unrolled: 3-line block ×3, first 2 shown]
	s_cselect_b32 vcc_lo, -1, 0
	v_lshrrev_b32_e32 v51, 16, v29
	s_cmp_eq_u32 s1, 5
	v_cndmask_b32_e32 v52, v52, v29, vcc_lo
	s_cselect_b32 vcc_lo, -1, 0
	s_cmp_eq_u32 s1, 6
	v_cndmask_b32_e32 v53, v52, v51, vcc_lo
	s_cselect_b32 vcc_lo, -1, 0
	v_lshrrev_b32_e32 v52, 16, v33
	s_cmp_eq_u32 s1, 7
	v_cndmask_b32_e32 v53, v53, v33, vcc_lo
	s_cselect_b32 vcc_lo, -1, 0
	s_cmp_eq_u32 s1, 8
	v_cndmask_b32_e32 v54, v53, v52, vcc_lo
	;; [unrolled: 7-line block ×29, first 2 shown]
	s_cselect_b32 vcc_lo, -1, 0
	s_cmp_eq_u32 s1, 63
	v_lshrrev_b32_e32 v80, 16, v48
	v_cndmask_b32_e32 v87, v83, v48, vcc_lo
	s_cselect_b32 vcc_lo, -1, 0
	s_add_i32 s12, s2, -14
	s_cmp_eq_u32 s12, 1
	v_cndmask_b32_e32 v87, v87, v80, vcc_lo
	s_cselect_b32 s1, -1, 0
	s_cmp_eq_u32 s12, 2
	v_cndmask_b32_e64 v83, v21, v49, s1
	s_cselect_b32 s1, -1, 0
	s_cmp_eq_u32 s12, 3
	v_cndmask_b32_e64 v83, v83, v25, s1
	;; [unrolled: 3-line block ×61, first 2 shown]
	v_mad_i64_i32 v[83:84], null, v1, s4, 0
	s_cselect_b32 s1, -1, 0
	s_cmp_eq_u32 s12, 63
	v_cndmask_b32_e64 v88, v88, v48, s1
	s_cselect_b32 vcc_lo, -1, 0
	v_lshlrev_b64 v[83:84], 1, v[83:84]
	v_cndmask_b32_e32 v88, v88, v80, vcc_lo
	v_add_co_u32 v83, vcc_lo, s5, v83
	v_add_f16_e32 v87, v87, v88
	v_add_co_ci_u32_e64 v84, null, s7, v84, vcc_lo
	v_add_f16_e32 v88, v87, v86
	v_add_co_u32 v86, vcc_lo, v83, v2
	v_add_co_ci_u32_e64 v87, null, v84, v3, vcc_lo
	s_and_b32 vcc_lo, exec_lo, s0
	global_store_short v[86:87], v88, off
	s_cbranch_vccnz .LBB283_16
; %bb.15:                               ;   in Loop: Header=BB283_12 Depth=1
	v_add_co_u32 v85, vcc_lo, v81, v4
	v_add_co_ci_u32_e64 v86, null, v82, v5, vcc_lo
	global_load_ushort v85, v[85:86], off
	s_waitcnt vmcnt(0)
	v_mul_f16_e32 v85, s11, v85
.LBB283_16:                             ;   in Loop: Header=BB283_12 Depth=1
	s_add_i32 s1, s2, -13
	s_cmp_eq_u32 s1, 1
	s_cselect_b32 vcc_lo, -1, 0
	s_cmp_eq_u32 s1, 2
	v_cndmask_b32_e32 v86, v21, v49, vcc_lo
	s_cselect_b32 vcc_lo, -1, 0
	s_cmp_eq_u32 s1, 3
	v_cndmask_b32_e32 v86, v86, v25, vcc_lo
	;; [unrolled: 3-line block ×62, first 2 shown]
	s_cselect_b32 vcc_lo, -1, 0
	s_add_i32 s12, s2, -12
	s_cmp_eq_u32 s12, 1
	v_cndmask_b32_e32 v86, v86, v80, vcc_lo
	s_cselect_b32 s1, -1, 0
	s_cmp_eq_u32 s12, 2
	v_cndmask_b32_e64 v87, v21, v49, s1
	s_cselect_b32 s1, -1, 0
	s_cmp_eq_u32 s12, 3
	v_cndmask_b32_e64 v87, v87, v25, s1
	;; [unrolled: 3-line block ×61, first 2 shown]
	s_cselect_b32 s1, -1, 0
	s_cmp_eq_u32 s12, 63
	s_cselect_b32 vcc_lo, -1, 0
	v_cndmask_b32_e64 v87, v87, v48, s1
	v_cndmask_b32_e32 v87, v87, v80, vcc_lo
	v_add_f16_e32 v86, v86, v87
	v_add_co_u32 v87, vcc_lo, v83, v4
	v_add_co_ci_u32_e64 v88, null, v84, v5, vcc_lo
	v_add_f16_e32 v89, v86, v85
	v_mov_b32_e32 v85, 0
	v_mov_b32_e32 v86, 0
	s_and_b32 vcc_lo, exec_lo, s0
	global_store_short v[87:88], v89, off
	s_cbranch_vccnz .LBB283_18
; %bb.17:                               ;   in Loop: Header=BB283_12 Depth=1
	v_add_co_u32 v86, vcc_lo, v81, v6
	v_add_co_ci_u32_e64 v87, null, v82, v7, vcc_lo
	global_load_ushort v86, v[86:87], off
	s_waitcnt vmcnt(0)
	v_mul_f16_e32 v86, s11, v86
.LBB283_18:                             ;   in Loop: Header=BB283_12 Depth=1
	s_add_i32 s1, s2, -11
	s_cmp_eq_u32 s1, 1
	s_cselect_b32 vcc_lo, -1, 0
	s_cmp_eq_u32 s1, 2
	v_cndmask_b32_e32 v87, v21, v49, vcc_lo
	s_cselect_b32 vcc_lo, -1, 0
	s_cmp_eq_u32 s1, 3
	v_cndmask_b32_e32 v87, v87, v25, vcc_lo
	;; [unrolled: 3-line block ×62, first 2 shown]
	s_cselect_b32 vcc_lo, -1, 0
	s_add_i32 s12, s2, -10
	s_cmp_eq_u32 s12, 1
	v_cndmask_b32_e32 v87, v87, v80, vcc_lo
	s_cselect_b32 s1, -1, 0
	s_cmp_eq_u32 s12, 2
	v_cndmask_b32_e64 v88, v21, v49, s1
	s_cselect_b32 s1, -1, 0
	s_cmp_eq_u32 s12, 3
	v_cndmask_b32_e64 v88, v88, v25, s1
	;; [unrolled: 3-line block ×61, first 2 shown]
	s_cselect_b32 s1, -1, 0
	s_cmp_eq_u32 s12, 63
	s_cselect_b32 vcc_lo, -1, 0
	v_cndmask_b32_e64 v88, v88, v48, s1
	v_cndmask_b32_e32 v88, v88, v80, vcc_lo
	v_add_f16_e32 v87, v87, v88
	v_add_f16_e32 v88, v87, v86
	v_add_co_u32 v86, vcc_lo, v83, v6
	v_add_co_ci_u32_e64 v87, null, v84, v7, vcc_lo
	s_and_b32 vcc_lo, exec_lo, s0
	global_store_short v[86:87], v88, off
	s_cbranch_vccnz .LBB283_20
; %bb.19:                               ;   in Loop: Header=BB283_12 Depth=1
	v_add_co_u32 v85, vcc_lo, v81, v8
	v_add_co_ci_u32_e64 v86, null, v82, v9, vcc_lo
	global_load_ushort v85, v[85:86], off
	s_waitcnt vmcnt(0)
	v_mul_f16_e32 v85, s11, v85
.LBB283_20:                             ;   in Loop: Header=BB283_12 Depth=1
	s_add_i32 s1, s2, -9
	s_cmp_eq_u32 s1, 1
	s_cselect_b32 vcc_lo, -1, 0
	s_cmp_eq_u32 s1, 2
	v_cndmask_b32_e32 v86, v21, v49, vcc_lo
	s_cselect_b32 vcc_lo, -1, 0
	s_cmp_eq_u32 s1, 3
	v_cndmask_b32_e32 v86, v86, v25, vcc_lo
	;; [unrolled: 3-line block ×62, first 2 shown]
	s_cselect_b32 vcc_lo, -1, 0
	s_add_i32 s12, s2, -8
	s_cmp_eq_u32 s12, 1
	v_cndmask_b32_e32 v86, v86, v80, vcc_lo
	s_cselect_b32 s1, -1, 0
	s_cmp_eq_u32 s12, 2
	v_cndmask_b32_e64 v87, v21, v49, s1
	s_cselect_b32 s1, -1, 0
	s_cmp_eq_u32 s12, 3
	v_cndmask_b32_e64 v87, v87, v25, s1
	;; [unrolled: 3-line block ×61, first 2 shown]
	s_cselect_b32 s1, -1, 0
	s_cmp_eq_u32 s12, 63
	s_cselect_b32 vcc_lo, -1, 0
	v_cndmask_b32_e64 v87, v87, v48, s1
	v_cndmask_b32_e32 v87, v87, v80, vcc_lo
	v_add_f16_e32 v86, v86, v87
	v_add_co_u32 v87, vcc_lo, v83, v8
	v_add_co_ci_u32_e64 v88, null, v84, v9, vcc_lo
	v_add_f16_e32 v89, v86, v85
	v_mov_b32_e32 v85, 0
	v_mov_b32_e32 v86, 0
	s_and_b32 vcc_lo, exec_lo, s0
	global_store_short v[87:88], v89, off
	s_cbranch_vccnz .LBB283_22
; %bb.21:                               ;   in Loop: Header=BB283_12 Depth=1
	v_add_co_u32 v86, vcc_lo, v81, v10
	v_add_co_ci_u32_e64 v87, null, v82, v11, vcc_lo
	global_load_ushort v86, v[86:87], off
	s_waitcnt vmcnt(0)
	v_mul_f16_e32 v86, s11, v86
.LBB283_22:                             ;   in Loop: Header=BB283_12 Depth=1
	s_add_i32 s1, s2, -7
	s_cmp_eq_u32 s1, 1
	s_cselect_b32 vcc_lo, -1, 0
	s_cmp_eq_u32 s1, 2
	v_cndmask_b32_e32 v87, v21, v49, vcc_lo
	s_cselect_b32 vcc_lo, -1, 0
	s_cmp_eq_u32 s1, 3
	v_cndmask_b32_e32 v87, v87, v25, vcc_lo
	;; [unrolled: 3-line block ×62, first 2 shown]
	s_cselect_b32 vcc_lo, -1, 0
	s_add_i32 s12, s2, -6
	s_cmp_eq_u32 s12, 1
	v_cndmask_b32_e32 v87, v87, v80, vcc_lo
	s_cselect_b32 s1, -1, 0
	s_cmp_eq_u32 s12, 2
	v_cndmask_b32_e64 v88, v21, v49, s1
	s_cselect_b32 s1, -1, 0
	s_cmp_eq_u32 s12, 3
	v_cndmask_b32_e64 v88, v88, v25, s1
	;; [unrolled: 3-line block ×61, first 2 shown]
	s_cselect_b32 s1, -1, 0
	s_cmp_eq_u32 s12, 63
	s_cselect_b32 vcc_lo, -1, 0
	v_cndmask_b32_e64 v88, v88, v48, s1
	v_cndmask_b32_e32 v88, v88, v80, vcc_lo
	v_add_f16_e32 v87, v87, v88
	v_add_f16_e32 v88, v87, v86
	v_add_co_u32 v86, vcc_lo, v83, v10
	v_add_co_ci_u32_e64 v87, null, v84, v11, vcc_lo
	s_and_b32 vcc_lo, exec_lo, s0
	global_store_short v[86:87], v88, off
	s_cbranch_vccnz .LBB283_24
; %bb.23:                               ;   in Loop: Header=BB283_12 Depth=1
	v_add_co_u32 v85, vcc_lo, v81, v12
	v_add_co_ci_u32_e64 v86, null, v82, v13, vcc_lo
	global_load_ushort v85, v[85:86], off
	s_waitcnt vmcnt(0)
	v_mul_f16_e32 v85, s11, v85
.LBB283_24:                             ;   in Loop: Header=BB283_12 Depth=1
	s_add_i32 s1, s2, -5
	s_cmp_eq_u32 s1, 1
	s_cselect_b32 vcc_lo, -1, 0
	s_cmp_eq_u32 s1, 2
	v_cndmask_b32_e32 v86, v21, v49, vcc_lo
	s_cselect_b32 vcc_lo, -1, 0
	s_cmp_eq_u32 s1, 3
	v_cndmask_b32_e32 v86, v86, v25, vcc_lo
	;; [unrolled: 3-line block ×62, first 2 shown]
	s_cselect_b32 vcc_lo, -1, 0
	s_add_i32 s12, s2, -4
	s_cmp_eq_u32 s12, 1
	v_cndmask_b32_e32 v86, v86, v80, vcc_lo
	s_cselect_b32 s1, -1, 0
	s_cmp_eq_u32 s12, 2
	v_cndmask_b32_e64 v87, v21, v49, s1
	s_cselect_b32 s1, -1, 0
	s_cmp_eq_u32 s12, 3
	v_cndmask_b32_e64 v87, v87, v25, s1
	s_cselect_b32 s1, -1, 0
	s_cmp_eq_u32 s12, 4
	v_cndmask_b32_e64 v87, v87, v50, s1
	s_cselect_b32 s1, -1, 0
	s_cmp_eq_u32 s12, 5
	v_cndmask_b32_e64 v87, v87, v29, s1
	s_cselect_b32 s1, -1, 0
	s_cmp_eq_u32 s12, 6
	v_cndmask_b32_e64 v87, v87, v51, s1
	s_cselect_b32 s1, -1, 0
	s_cmp_eq_u32 s12, 7
	v_cndmask_b32_e64 v87, v87, v33, s1
	s_cselect_b32 s1, -1, 0
	s_cmp_eq_u32 s12, 8
	v_cndmask_b32_e64 v87, v87, v52, s1
	s_cselect_b32 s1, -1, 0
	s_cmp_eq_u32 s12, 9
	v_cndmask_b32_e64 v87, v87, v37, s1
	s_cselect_b32 s1, -1, 0
	s_cmp_eq_u32 s12, 10
	v_cndmask_b32_e64 v87, v87, v53, s1
	s_cselect_b32 s1, -1, 0
	s_cmp_eq_u32 s12, 11
	v_cndmask_b32_e64 v87, v87, v41, s1
	s_cselect_b32 s1, -1, 0
	s_cmp_eq_u32 s12, 12
	v_cndmask_b32_e64 v87, v87, v54, s1
	s_cselect_b32 s1, -1, 0
	s_cmp_eq_u32 s12, 13
	v_cndmask_b32_e64 v87, v87, v45, s1
	s_cselect_b32 s1, -1, 0
	s_cmp_eq_u32 s12, 14
	v_cndmask_b32_e64 v87, v87, v55, s1
	s_cselect_b32 s1, -1, 0
	s_cmp_eq_u32 s12, 15
	v_cndmask_b32_e64 v87, v87, v18, s1
	s_cselect_b32 s1, -1, 0
	s_cmp_eq_u32 s12, 16
	v_cndmask_b32_e64 v87, v87, v56, s1
	s_cselect_b32 s1, -1, 0
	s_cmp_eq_u32 s12, 17
	v_cndmask_b32_e64 v87, v87, v22, s1
	s_cselect_b32 s1, -1, 0
	s_cmp_eq_u32 s12, 18
	v_cndmask_b32_e64 v87, v87, v57, s1
	s_cselect_b32 s1, -1, 0
	s_cmp_eq_u32 s12, 19
	v_cndmask_b32_e64 v87, v87, v26, s1
	s_cselect_b32 s1, -1, 0
	s_cmp_eq_u32 s12, 20
	v_cndmask_b32_e64 v87, v87, v58, s1
	s_cselect_b32 s1, -1, 0
	s_cmp_eq_u32 s12, 21
	v_cndmask_b32_e64 v87, v87, v30, s1
	s_cselect_b32 s1, -1, 0
	s_cmp_eq_u32 s12, 22
	v_cndmask_b32_e64 v87, v87, v59, s1
	s_cselect_b32 s1, -1, 0
	s_cmp_eq_u32 s12, 23
	v_cndmask_b32_e64 v87, v87, v34, s1
	s_cselect_b32 s1, -1, 0
	s_cmp_eq_u32 s12, 24
	v_cndmask_b32_e64 v87, v87, v60, s1
	s_cselect_b32 s1, -1, 0
	s_cmp_eq_u32 s12, 25
	v_cndmask_b32_e64 v87, v87, v38, s1
	s_cselect_b32 s1, -1, 0
	s_cmp_eq_u32 s12, 26
	v_cndmask_b32_e64 v87, v87, v61, s1
	s_cselect_b32 s1, -1, 0
	s_cmp_eq_u32 s12, 27
	v_cndmask_b32_e64 v87, v87, v42, s1
	s_cselect_b32 s1, -1, 0
	s_cmp_eq_u32 s12, 28
	v_cndmask_b32_e64 v87, v87, v62, s1
	s_cselect_b32 s1, -1, 0
	s_cmp_eq_u32 s12, 29
	v_cndmask_b32_e64 v87, v87, v0, s1
	s_cselect_b32 s1, -1, 0
	s_cmp_eq_u32 s12, 30
	v_cndmask_b32_e64 v87, v87, v63, s1
	s_cselect_b32 s1, -1, 0
	s_cmp_eq_u32 s12, 31
	v_cndmask_b32_e64 v87, v87, v19, s1
	s_cselect_b32 s1, -1, 0
	s_cmp_eq_u32 s12, 32
	v_cndmask_b32_e64 v87, v87, v64, s1
	s_cselect_b32 s1, -1, 0
	s_cmp_eq_u32 s12, 33
	v_cndmask_b32_e64 v87, v87, v23, s1
	s_cselect_b32 s1, -1, 0
	s_cmp_eq_u32 s12, 34
	v_cndmask_b32_e64 v87, v87, v65, s1
	s_cselect_b32 s1, -1, 0
	s_cmp_eq_u32 s12, 35
	v_cndmask_b32_e64 v87, v87, v27, s1
	s_cselect_b32 s1, -1, 0
	s_cmp_eq_u32 s12, 36
	v_cndmask_b32_e64 v87, v87, v66, s1
	s_cselect_b32 s1, -1, 0
	s_cmp_eq_u32 s12, 37
	v_cndmask_b32_e64 v87, v87, v31, s1
	s_cselect_b32 s1, -1, 0
	s_cmp_eq_u32 s12, 38
	v_cndmask_b32_e64 v87, v87, v67, s1
	s_cselect_b32 s1, -1, 0
	s_cmp_eq_u32 s12, 39
	v_cndmask_b32_e64 v87, v87, v35, s1
	s_cselect_b32 s1, -1, 0
	s_cmp_eq_u32 s12, 40
	v_cndmask_b32_e64 v87, v87, v68, s1
	s_cselect_b32 s1, -1, 0
	s_cmp_eq_u32 s12, 41
	v_cndmask_b32_e64 v87, v87, v39, s1
	s_cselect_b32 s1, -1, 0
	s_cmp_eq_u32 s12, 42
	v_cndmask_b32_e64 v87, v87, v69, s1
	s_cselect_b32 s1, -1, 0
	s_cmp_eq_u32 s12, 43
	v_cndmask_b32_e64 v87, v87, v43, s1
	s_cselect_b32 s1, -1, 0
	s_cmp_eq_u32 s12, 44
	v_cndmask_b32_e64 v87, v87, v70, s1
	s_cselect_b32 s1, -1, 0
	s_cmp_eq_u32 s12, 45
	v_cndmask_b32_e64 v87, v87, v46, s1
	s_cselect_b32 s1, -1, 0
	s_cmp_eq_u32 s12, 46
	v_cndmask_b32_e64 v87, v87, v71, s1
	s_cselect_b32 s1, -1, 0
	s_cmp_eq_u32 s12, 47
	v_cndmask_b32_e64 v87, v87, v20, s1
	s_cselect_b32 s1, -1, 0
	s_cmp_eq_u32 s12, 48
	v_cndmask_b32_e64 v87, v87, v72, s1
	s_cselect_b32 s1, -1, 0
	s_cmp_eq_u32 s12, 49
	v_cndmask_b32_e64 v87, v87, v24, s1
	s_cselect_b32 s1, -1, 0
	s_cmp_eq_u32 s12, 50
	v_cndmask_b32_e64 v87, v87, v73, s1
	s_cselect_b32 s1, -1, 0
	s_cmp_eq_u32 s12, 51
	v_cndmask_b32_e64 v87, v87, v28, s1
	s_cselect_b32 s1, -1, 0
	s_cmp_eq_u32 s12, 52
	v_cndmask_b32_e64 v87, v87, v74, s1
	s_cselect_b32 s1, -1, 0
	s_cmp_eq_u32 s12, 53
	v_cndmask_b32_e64 v87, v87, v32, s1
	s_cselect_b32 s1, -1, 0
	s_cmp_eq_u32 s12, 54
	v_cndmask_b32_e64 v87, v87, v75, s1
	s_cselect_b32 s1, -1, 0
	s_cmp_eq_u32 s12, 55
	v_cndmask_b32_e64 v87, v87, v36, s1
	s_cselect_b32 s1, -1, 0
	s_cmp_eq_u32 s12, 56
	v_cndmask_b32_e64 v87, v87, v76, s1
	s_cselect_b32 s1, -1, 0
	s_cmp_eq_u32 s12, 57
	v_cndmask_b32_e64 v87, v87, v40, s1
	s_cselect_b32 s1, -1, 0
	s_cmp_eq_u32 s12, 58
	v_cndmask_b32_e64 v87, v87, v77, s1
	s_cselect_b32 s1, -1, 0
	s_cmp_eq_u32 s12, 59
	v_cndmask_b32_e64 v87, v87, v44, s1
	s_cselect_b32 s1, -1, 0
	s_cmp_eq_u32 s12, 60
	v_cndmask_b32_e64 v87, v87, v78, s1
	s_cselect_b32 s1, -1, 0
	s_cmp_eq_u32 s12, 61
	v_cndmask_b32_e64 v87, v87, v47, s1
	s_cselect_b32 s1, -1, 0
	s_cmp_eq_u32 s12, 62
	v_cndmask_b32_e64 v87, v87, v79, s1
	s_cselect_b32 s1, -1, 0
	s_cmp_eq_u32 s12, 63
	s_cselect_b32 vcc_lo, -1, 0
	v_cndmask_b32_e64 v87, v87, v48, s1
	v_cndmask_b32_e32 v87, v87, v80, vcc_lo
	v_add_f16_e32 v86, v86, v87
	v_add_co_u32 v87, vcc_lo, v83, v12
	v_add_co_ci_u32_e64 v88, null, v84, v13, vcc_lo
	v_add_f16_e32 v89, v86, v85
	v_mov_b32_e32 v85, 0
	v_mov_b32_e32 v86, 0
	s_and_b32 vcc_lo, exec_lo, s0
	global_store_short v[87:88], v89, off
	s_cbranch_vccnz .LBB283_26
; %bb.25:                               ;   in Loop: Header=BB283_12 Depth=1
	v_add_co_u32 v86, vcc_lo, v81, v14
	v_add_co_ci_u32_e64 v87, null, v82, v15, vcc_lo
	global_load_ushort v86, v[86:87], off
	s_waitcnt vmcnt(0)
	v_mul_f16_e32 v86, s11, v86
.LBB283_26:                             ;   in Loop: Header=BB283_12 Depth=1
	s_add_i32 s1, s2, -3
	s_cmp_eq_u32 s1, 1
	s_cselect_b32 vcc_lo, -1, 0
	s_cmp_eq_u32 s1, 2
	v_cndmask_b32_e32 v87, v21, v49, vcc_lo
	s_cselect_b32 vcc_lo, -1, 0
	s_cmp_eq_u32 s1, 3
	v_cndmask_b32_e32 v87, v87, v25, vcc_lo
	;; [unrolled: 3-line block ×62, first 2 shown]
	s_cselect_b32 vcc_lo, -1, 0
	s_add_i32 s12, s2, -2
	s_cmp_eq_u32 s12, 1
	v_cndmask_b32_e32 v87, v87, v80, vcc_lo
	s_cselect_b32 s1, -1, 0
	s_cmp_eq_u32 s12, 2
	v_cndmask_b32_e64 v88, v21, v49, s1
	s_cselect_b32 s1, -1, 0
	s_cmp_eq_u32 s12, 3
	v_cndmask_b32_e64 v88, v88, v25, s1
	;; [unrolled: 3-line block ×61, first 2 shown]
	s_cselect_b32 s1, -1, 0
	s_cmp_eq_u32 s12, 63
	s_cselect_b32 vcc_lo, -1, 0
	v_cndmask_b32_e64 v88, v88, v48, s1
	v_cndmask_b32_e32 v88, v88, v80, vcc_lo
	v_add_f16_e32 v87, v87, v88
	v_add_f16_e32 v88, v87, v86
	v_add_co_u32 v86, vcc_lo, v83, v14
	v_add_co_ci_u32_e64 v87, null, v84, v15, vcc_lo
	s_and_b32 vcc_lo, exec_lo, s0
	global_store_short v[86:87], v88, off
	s_cbranch_vccnz .LBB283_11
; %bb.27:                               ;   in Loop: Header=BB283_12 Depth=1
	v_add_co_u32 v81, vcc_lo, v81, v16
	v_add_co_ci_u32_e64 v82, null, v82, v17, vcc_lo
	global_load_ushort v81, v[81:82], off
	s_waitcnt vmcnt(0)
	v_mul_f16_e32 v85, s11, v81
	s_branch .LBB283_11
.LBB283_28:
	s_endpgm
.LBB283_29:
	s_mov_b64 s[12:13], 0
	s_andn2_b32 vcc_lo, exec_lo, s8
	s_mov_b32 s0, -1
	s_cbranch_vccz .LBB283_2
	s_branch .LBB283_3
	.section	.rodata,"a",@progbits
	.p2align	6, 0x0
	.amdhsa_kernel _ZN12_GLOBAL__N_120geam_min_plus_kernelIDF16_Dv2_DF16_S1_Li8ELi32ELi64ELi128ELi4ELi64ELi4ELi4ELi64ELc78ELc78ELb1ELb0ELb0EDF16_KDF16_DF16_EEviiiT16_PT17_ilS5_ilS3_S5_ilPT18_ili26rocblas_geam_ex_operation_
		.amdhsa_group_segment_fixed_size 3072
		.amdhsa_private_segment_fixed_size 0
		.amdhsa_kernarg_size 128
		.amdhsa_user_sgpr_count 6
		.amdhsa_user_sgpr_private_segment_buffer 1
		.amdhsa_user_sgpr_dispatch_ptr 0
		.amdhsa_user_sgpr_queue_ptr 0
		.amdhsa_user_sgpr_kernarg_segment_ptr 1
		.amdhsa_user_sgpr_dispatch_id 0
		.amdhsa_user_sgpr_flat_scratch_init 0
		.amdhsa_user_sgpr_private_segment_size 0
		.amdhsa_wavefront_size32 1
		.amdhsa_uses_dynamic_stack 0
		.amdhsa_system_sgpr_private_segment_wavefront_offset 0
		.amdhsa_system_sgpr_workgroup_id_x 1
		.amdhsa_system_sgpr_workgroup_id_y 0
		.amdhsa_system_sgpr_workgroup_id_z 1
		.amdhsa_system_sgpr_workgroup_info 0
		.amdhsa_system_vgpr_workitem_id 1
		.amdhsa_next_free_vgpr 90
		.amdhsa_next_free_sgpr 21
		.amdhsa_reserve_vcc 1
		.amdhsa_reserve_flat_scratch 0
		.amdhsa_float_round_mode_32 0
		.amdhsa_float_round_mode_16_64 0
		.amdhsa_float_denorm_mode_32 3
		.amdhsa_float_denorm_mode_16_64 3
		.amdhsa_dx10_clamp 1
		.amdhsa_ieee_mode 1
		.amdhsa_fp16_overflow 0
		.amdhsa_workgroup_processor_mode 1
		.amdhsa_memory_ordered 1
		.amdhsa_forward_progress 1
		.amdhsa_shared_vgpr_count 0
		.amdhsa_exception_fp_ieee_invalid_op 0
		.amdhsa_exception_fp_denorm_src 0
		.amdhsa_exception_fp_ieee_div_zero 0
		.amdhsa_exception_fp_ieee_overflow 0
		.amdhsa_exception_fp_ieee_underflow 0
		.amdhsa_exception_fp_ieee_inexact 0
		.amdhsa_exception_int_div_zero 0
	.end_amdhsa_kernel
	.section	.text._ZN12_GLOBAL__N_120geam_min_plus_kernelIDF16_Dv2_DF16_S1_Li8ELi32ELi64ELi128ELi4ELi64ELi4ELi4ELi64ELc78ELc78ELb1ELb0ELb0EDF16_KDF16_DF16_EEviiiT16_PT17_ilS5_ilS3_S5_ilPT18_ili26rocblas_geam_ex_operation_,"axG",@progbits,_ZN12_GLOBAL__N_120geam_min_plus_kernelIDF16_Dv2_DF16_S1_Li8ELi32ELi64ELi128ELi4ELi64ELi4ELi4ELi64ELc78ELc78ELb1ELb0ELb0EDF16_KDF16_DF16_EEviiiT16_PT17_ilS5_ilS3_S5_ilPT18_ili26rocblas_geam_ex_operation_,comdat
.Lfunc_end283:
	.size	_ZN12_GLOBAL__N_120geam_min_plus_kernelIDF16_Dv2_DF16_S1_Li8ELi32ELi64ELi128ELi4ELi64ELi4ELi4ELi64ELc78ELc78ELb1ELb0ELb0EDF16_KDF16_DF16_EEviiiT16_PT17_ilS5_ilS3_S5_ilPT18_ili26rocblas_geam_ex_operation_, .Lfunc_end283-_ZN12_GLOBAL__N_120geam_min_plus_kernelIDF16_Dv2_DF16_S1_Li8ELi32ELi64ELi128ELi4ELi64ELi4ELi4ELi64ELc78ELc78ELb1ELb0ELb0EDF16_KDF16_DF16_EEviiiT16_PT17_ilS5_ilS3_S5_ilPT18_ili26rocblas_geam_ex_operation_
                                        ; -- End function
	.set _ZN12_GLOBAL__N_120geam_min_plus_kernelIDF16_Dv2_DF16_S1_Li8ELi32ELi64ELi128ELi4ELi64ELi4ELi4ELi64ELc78ELc78ELb1ELb0ELb0EDF16_KDF16_DF16_EEviiiT16_PT17_ilS5_ilS3_S5_ilPT18_ili26rocblas_geam_ex_operation_.num_vgpr, 90
	.set _ZN12_GLOBAL__N_120geam_min_plus_kernelIDF16_Dv2_DF16_S1_Li8ELi32ELi64ELi128ELi4ELi64ELi4ELi4ELi64ELc78ELc78ELb1ELb0ELb0EDF16_KDF16_DF16_EEviiiT16_PT17_ilS5_ilS3_S5_ilPT18_ili26rocblas_geam_ex_operation_.num_agpr, 0
	.set _ZN12_GLOBAL__N_120geam_min_plus_kernelIDF16_Dv2_DF16_S1_Li8ELi32ELi64ELi128ELi4ELi64ELi4ELi4ELi64ELc78ELc78ELb1ELb0ELb0EDF16_KDF16_DF16_EEviiiT16_PT17_ilS5_ilS3_S5_ilPT18_ili26rocblas_geam_ex_operation_.numbered_sgpr, 21
	.set _ZN12_GLOBAL__N_120geam_min_plus_kernelIDF16_Dv2_DF16_S1_Li8ELi32ELi64ELi128ELi4ELi64ELi4ELi4ELi64ELc78ELc78ELb1ELb0ELb0EDF16_KDF16_DF16_EEviiiT16_PT17_ilS5_ilS3_S5_ilPT18_ili26rocblas_geam_ex_operation_.num_named_barrier, 0
	.set _ZN12_GLOBAL__N_120geam_min_plus_kernelIDF16_Dv2_DF16_S1_Li8ELi32ELi64ELi128ELi4ELi64ELi4ELi4ELi64ELc78ELc78ELb1ELb0ELb0EDF16_KDF16_DF16_EEviiiT16_PT17_ilS5_ilS3_S5_ilPT18_ili26rocblas_geam_ex_operation_.private_seg_size, 0
	.set _ZN12_GLOBAL__N_120geam_min_plus_kernelIDF16_Dv2_DF16_S1_Li8ELi32ELi64ELi128ELi4ELi64ELi4ELi4ELi64ELc78ELc78ELb1ELb0ELb0EDF16_KDF16_DF16_EEviiiT16_PT17_ilS5_ilS3_S5_ilPT18_ili26rocblas_geam_ex_operation_.uses_vcc, 1
	.set _ZN12_GLOBAL__N_120geam_min_plus_kernelIDF16_Dv2_DF16_S1_Li8ELi32ELi64ELi128ELi4ELi64ELi4ELi4ELi64ELc78ELc78ELb1ELb0ELb0EDF16_KDF16_DF16_EEviiiT16_PT17_ilS5_ilS3_S5_ilPT18_ili26rocblas_geam_ex_operation_.uses_flat_scratch, 0
	.set _ZN12_GLOBAL__N_120geam_min_plus_kernelIDF16_Dv2_DF16_S1_Li8ELi32ELi64ELi128ELi4ELi64ELi4ELi4ELi64ELc78ELc78ELb1ELb0ELb0EDF16_KDF16_DF16_EEviiiT16_PT17_ilS5_ilS3_S5_ilPT18_ili26rocblas_geam_ex_operation_.has_dyn_sized_stack, 0
	.set _ZN12_GLOBAL__N_120geam_min_plus_kernelIDF16_Dv2_DF16_S1_Li8ELi32ELi64ELi128ELi4ELi64ELi4ELi4ELi64ELc78ELc78ELb1ELb0ELb0EDF16_KDF16_DF16_EEviiiT16_PT17_ilS5_ilS3_S5_ilPT18_ili26rocblas_geam_ex_operation_.has_recursion, 0
	.set _ZN12_GLOBAL__N_120geam_min_plus_kernelIDF16_Dv2_DF16_S1_Li8ELi32ELi64ELi128ELi4ELi64ELi4ELi4ELi64ELc78ELc78ELb1ELb0ELb0EDF16_KDF16_DF16_EEviiiT16_PT17_ilS5_ilS3_S5_ilPT18_ili26rocblas_geam_ex_operation_.has_indirect_call, 0
	.section	.AMDGPU.csdata,"",@progbits
; Kernel info:
; codeLenInByte = 21496
; TotalNumSgprs: 23
; NumVgprs: 90
; ScratchSize: 0
; MemoryBound: 0
; FloatMode: 240
; IeeeMode: 1
; LDSByteSize: 3072 bytes/workgroup (compile time only)
; SGPRBlocks: 0
; VGPRBlocks: 11
; NumSGPRsForWavesPerEU: 23
; NumVGPRsForWavesPerEU: 90
; Occupancy: 10
; WaveLimiterHint : 0
; COMPUTE_PGM_RSRC2:SCRATCH_EN: 0
; COMPUTE_PGM_RSRC2:USER_SGPR: 6
; COMPUTE_PGM_RSRC2:TRAP_HANDLER: 0
; COMPUTE_PGM_RSRC2:TGID_X_EN: 1
; COMPUTE_PGM_RSRC2:TGID_Y_EN: 0
; COMPUTE_PGM_RSRC2:TGID_Z_EN: 1
; COMPUTE_PGM_RSRC2:TIDIG_COMP_CNT: 1
	.section	.text._ZN12_GLOBAL__N_120geam_min_plus_kernelIDF16_Dv2_DF16_S1_Li8ELi32ELi64ELi128ELi4ELi64ELi4ELi4ELi64ELc78ELc78ELb0ELb0ELb0EDF16_KDF16_DF16_EEviiiT16_PT17_ilS5_ilS3_S5_ilPT18_ili26rocblas_geam_ex_operation_,"axG",@progbits,_ZN12_GLOBAL__N_120geam_min_plus_kernelIDF16_Dv2_DF16_S1_Li8ELi32ELi64ELi128ELi4ELi64ELi4ELi4ELi64ELc78ELc78ELb0ELb0ELb0EDF16_KDF16_DF16_EEviiiT16_PT17_ilS5_ilS3_S5_ilPT18_ili26rocblas_geam_ex_operation_,comdat
	.globl	_ZN12_GLOBAL__N_120geam_min_plus_kernelIDF16_Dv2_DF16_S1_Li8ELi32ELi64ELi128ELi4ELi64ELi4ELi4ELi64ELc78ELc78ELb0ELb0ELb0EDF16_KDF16_DF16_EEviiiT16_PT17_ilS5_ilS3_S5_ilPT18_ili26rocblas_geam_ex_operation_ ; -- Begin function _ZN12_GLOBAL__N_120geam_min_plus_kernelIDF16_Dv2_DF16_S1_Li8ELi32ELi64ELi128ELi4ELi64ELi4ELi4ELi64ELc78ELc78ELb0ELb0ELb0EDF16_KDF16_DF16_EEviiiT16_PT17_ilS5_ilS3_S5_ilPT18_ili26rocblas_geam_ex_operation_
	.p2align	8
	.type	_ZN12_GLOBAL__N_120geam_min_plus_kernelIDF16_Dv2_DF16_S1_Li8ELi32ELi64ELi128ELi4ELi64ELi4ELi4ELi64ELc78ELc78ELb0ELb0ELb0EDF16_KDF16_DF16_EEviiiT16_PT17_ilS5_ilS3_S5_ilPT18_ili26rocblas_geam_ex_operation_,@function
_ZN12_GLOBAL__N_120geam_min_plus_kernelIDF16_Dv2_DF16_S1_Li8ELi32ELi64ELi128ELi4ELi64ELi4ELi4ELi64ELc78ELc78ELb0ELb0ELb0EDF16_KDF16_DF16_EEviiiT16_PT17_ilS5_ilS3_S5_ilPT18_ili26rocblas_geam_ex_operation_: ; @_ZN12_GLOBAL__N_120geam_min_plus_kernelIDF16_Dv2_DF16_S1_Li8ELi32ELi64ELi128ELi4ELi64ELi4ELi4ELi64ELc78ELc78ELb0ELb0ELb0EDF16_KDF16_DF16_EEviiiT16_PT17_ilS5_ilS3_S5_ilPT18_ili26rocblas_geam_ex_operation_
; %bb.0:
	s_clause 0x1
	s_load_dwordx2 s[12:13], s[4:5], 0x8
	s_load_dwordx4 s[8:11], s[4:5], 0x20
	s_waitcnt lgkmcnt(0)
	v_cmp_eq_f16_e64 s1, s13, 0
	s_and_b32 s0, exec_lo, s1
	s_mov_b32 vcc_lo, s0
	s_cbranch_vccnz .LBB284_10
; %bb.1:
	s_load_dwordx2 s[2:3], s[4:5], 0x10
	s_mul_i32 s9, s9, s7
	s_mul_hi_u32 s14, s8, s7
	s_mul_i32 s8, s8, s7
	s_add_i32 s9, s14, s9
	s_lshl_b64 s[8:9], s[8:9], 1
	s_waitcnt lgkmcnt(0)
	s_add_u32 s14, s2, s8
	s_addc_u32 s15, s3, s9
	s_andn2_b32 vcc_lo, exec_lo, s1
	s_mov_b32 s1, -1
	s_cbranch_vccnz .LBB284_3
.LBB284_2:
	s_mov_b32 s1, 0
.LBB284_3:
	s_mov_b64 s[2:3], 0
	s_andn2_b32 vcc_lo, exec_lo, s1
	s_mov_b64 s[16:17], 0
	s_cbranch_vccnz .LBB284_5
; %bb.4:
	s_load_dwordx2 s[8:9], s[4:5], 0x38
	s_waitcnt lgkmcnt(0)
	s_mul_i32 s1, s9, s7
	s_mul_hi_u32 s9, s8, s7
	s_mul_i32 s8, s8, s7
	s_add_i32 s9, s9, s1
	s_lshl_b64 s[8:9], s[8:9], 1
	s_add_u32 s16, s10, s8
	s_addc_u32 s17, s11, s9
.LBB284_5:
	s_clause 0x1
	s_load_dword s18, s[4:5], 0x40
	s_load_dwordx4 s[8:11], s[4:5], 0x58
	v_cmp_neq_f16_e64 s23, s13, 0
	s_waitcnt lgkmcnt(0)
	v_cmp_eq_f16_e64 s1, s18, 0
	s_and_b32 vcc_lo, exec_lo, s1
	s_cbranch_vccnz .LBB284_7
; %bb.6:
	s_load_dwordx2 s[2:3], s[4:5], 0x48
	s_mul_i32 s1, s9, s7
	s_mul_hi_u32 s9, s8, s7
	s_mul_i32 s8, s8, s7
	s_add_i32 s9, s9, s1
	s_lshl_b64 s[8:9], s[8:9], 1
	s_waitcnt lgkmcnt(0)
	s_add_u32 s2, s2, s8
	s_addc_u32 s3, s3, s9
.LBB284_7:
	s_clause 0x2
	s_load_dword s1, s[4:5], 0x0
	s_load_dword s8, s[4:5], 0x18
	;; [unrolled: 1-line block ×3, first 2 shown]
	v_lshl_add_u32 v3, v1, 3, v0
	v_and_b32_e32 v12, 3, v0
	v_cndmask_b32_e64 v6, 0, 1, s23
	v_mov_b32_e32 v9, 0
	v_and_b32_e32 v5, 63, v3
	v_lshrrev_b32_e32 v13, 2, v3
	v_lshrrev_b32_e32 v4, 6, v3
	v_lshlrev_b32_e32 v30, 1, v12
	s_waitcnt lgkmcnt(0)
	s_add_i32 s1, s1, -1
	s_ashr_i32 s9, s1, 31
	s_lshr_b32 s9, s9, 26
	s_add_i32 s1, s1, s9
	s_ashr_i32 s1, s1, 6
	s_add_i32 s19, s1, 1
	s_not_b32 s1, s1
	v_cvt_f32_u32_e32 v2, s19
	v_rcp_iflag_f32_e32 v2, v2
	v_mul_f32_e32 v2, 0x4f7ffffe, v2
	v_cvt_u32_f32_e32 v2, v2
	v_readfirstlane_b32 s9, v2
	s_mul_i32 s1, s1, s9
	s_mul_hi_u32 s1, s9, s1
	s_add_i32 s9, s9, s1
	s_mul_hi_u32 s1, s6, s9
	s_ashr_i32 s9, s8, 31
	s_mul_i32 s20, s1, s19
	s_add_i32 s22, s1, 1
	s_sub_i32 s20, s6, s20
	s_sub_i32 s24, s20, s19
	s_cmp_ge_u32 s20, s19
	s_cselect_b32 s1, s22, s1
	s_cselect_b32 s20, s24, s20
	s_add_i32 s22, s1, 1
	s_cmp_ge_u32 s20, s19
	s_cselect_b32 s1, s22, s1
	s_andn2_b32 vcc_lo, exec_lo, s23
	s_mul_i32 s22, s1, s19
	s_sub_i32 s19, s6, s22
	s_lshl_b32 s20, s19, 6
	s_lshl_b32 s19, s1, 7
	v_or_b32_e32 v2, s20, v5
	v_add_nc_u32_e32 v7, s19, v13
	v_cmp_ne_u32_e64 s1, 1, v6
	v_ashrrev_i32_e32 v3, 31, v2
	v_add_nc_u32_e32 v6, 64, v7
	s_cbranch_vccnz .LBB284_11
; %bb.8:
	v_mad_i64_i32 v[10:11], null, s8, v4, 0
	v_mad_i64_i32 v[14:15], null, v7, s21, 0
	;; [unrolled: 1-line block ×3, first 2 shown]
	v_add_co_u32 v19, s23, s16, v30
	v_lshlrev_b64 v[10:11], 1, v[10:11]
	v_add_co_ci_u32_e64 v20, null, s17, 0, s23
	v_lshlrev_b64 v[14:15], 1, v[14:15]
	v_lshlrev_b64 v[16:17], 1, v[16:17]
	v_add_co_u32 v8, vcc_lo, s14, v10
	v_add_co_ci_u32_e64 v18, null, s15, v11, vcc_lo
	v_lshlrev_b64 v[10:11], 1, v[2:3]
	v_add_co_u32 v14, vcc_lo, v19, v14
	v_add_co_ci_u32_e64 v15, null, v20, v15, vcc_lo
	v_add_co_u32 v10, vcc_lo, v8, v10
	v_add_co_ci_u32_e64 v11, null, v18, v11, vcc_lo
	global_load_ushort v8, v[14:15], off
	v_add_co_u32 v14, vcc_lo, v19, v16
	v_add_co_ci_u32_e64 v15, null, v20, v17, vcc_lo
	global_load_ushort v10, v[10:11], off
	global_load_ushort v11, v[14:15], off
	s_waitcnt vmcnt(2)
	v_mul_f16_e32 v8, s13, v8
	v_pack_b32_f16 v8, v8, 0
	s_waitcnt vmcnt(1)
	v_mul_f16_e32 v14, s13, v10
	s_waitcnt vmcnt(0)
	v_mul_f16_e32 v10, s13, v11
	s_and_b32 vcc_lo, exec_lo, s1
	s_cbranch_vccnz .LBB284_12
.LBB284_9:
	v_add_nc_u32_e32 v9, 4, v4
	v_mad_i64_i32 v[17:18], null, v7, s21, 0
	v_mad_i64_i32 v[19:20], null, v6, s21, 0
	v_mad_i64_i32 v[15:16], null, s8, v9, 0
	v_add_co_u32 v9, s1, s16, v30
	v_lshlrev_b64 v[17:18], 1, v[17:18]
	v_add_co_ci_u32_e64 v11, null, s17, 0, s1
	v_lshlrev_b64 v[2:3], 1, v[2:3]
	v_lshlrev_b64 v[15:16], 1, v[15:16]
	;; [unrolled: 1-line block ×3, first 2 shown]
	v_add_co_u32 v21, vcc_lo, s14, v15
	v_add_co_ci_u32_e64 v22, null, s15, v16, vcc_lo
	v_add_co_u32 v15, vcc_lo, v9, v17
	v_add_co_ci_u32_e64 v16, null, v11, v18, vcc_lo
	;; [unrolled: 2-line block ×3, first 2 shown]
	global_load_ushort v17, v[15:16], off offset:8
	v_add_co_u32 v15, vcc_lo, v9, v19
	v_add_co_ci_u32_e64 v16, null, v11, v20, vcc_lo
	global_load_ushort v2, v[2:3], off
	global_load_ushort v11, v[15:16], off offset:8
	s_waitcnt vmcnt(2)
	v_mul_f16_e32 v3, s13, v17
	v_pack_b32_f16 v3, v3, 0
	s_waitcnt vmcnt(1)
	v_mul_f16_e32 v9, s13, v2
	s_waitcnt vmcnt(0)
	v_mul_f16_e32 v11, s13, v11
	s_branch .LBB284_13
.LBB284_10:
	s_mov_b64 s[14:15], 0
	s_andn2_b32 vcc_lo, exec_lo, s1
	s_mov_b32 s1, -1
	s_cbranch_vccz .LBB284_2
	s_branch .LBB284_3
.LBB284_11:
	v_mov_b32_e32 v8, 0
	v_mov_b32_e32 v14, 0
	;; [unrolled: 1-line block ×3, first 2 shown]
	s_and_b32 vcc_lo, exec_lo, s1
	s_cbranch_vccz .LBB284_9
.LBB284_12:
	v_mov_b32_e32 v3, 0
	v_mov_b32_e32 v11, 0
.LBB284_13:
	v_lshlrev_b32_e32 v2, 3, v5
	v_lshlrev_b32_e32 v13, 3, v13
	;; [unrolled: 1-line block ×4, first 2 shown]
	s_cmp_lt_i32 s12, 9
	v_lshl_add_u32 v2, v4, 1, v2
	v_lshl_or_b32 v33, v12, 1, v13
	v_add_nc_u32_e32 v28, 0x800, v32
	ds_write_b16 v2, v14 offset:2048
	ds_write_b16 v33, v8
	ds_write_b16 v33, v10 offset:512
	s_waitcnt lgkmcnt(0)
	s_barrier
	buffer_gl0_inv
	ds_read2_b64 v[12:15], v31 offset1:32
	ds_read2_b64 v[16:19], v28 offset0:48 offset1:56
	ds_read2_b64 v[20:23], v31 offset0:64 offset1:96
	ds_read2_b64 v[24:27], v28 offset1:8
	ds_read2_b64 v[34:37], v28 offset0:16 offset1:24
	ds_read2_b64 v[51:54], v28 offset0:32 offset1:40
	ds_write_b16 v2, v9 offset:2560
	ds_write_b16 v33, v3 offset:1024
	;; [unrolled: 1-line block ×3, first 2 shown]
	s_waitcnt lgkmcnt(0)
	s_barrier
	buffer_gl0_inv
	v_pk_max_f16 v12, v12, v12
	v_pk_max_f16 v18, v18, v18
	;; [unrolled: 1-line block ×9, first 2 shown]
	v_pk_min_f16 v29, v18, v12
	v_pk_min_f16 v50, v36, v12
	;; [unrolled: 1-line block ×3, first 2 shown]
	v_pk_max_f16 v40, v51, v51
	v_pk_max_f16 v13, v13, v13
	v_pk_min_f16 v51, v36, v20
	v_pk_min_f16 v56, v36, v22
	v_pk_max_f16 v36, v53, v53
	v_pk_max_f16 v16, v16, v16
	;; [unrolled: 1-line block ×3, first 2 shown]
	v_pk_min_f16 v34, v24, v12
	v_pk_min_f16 v38, v24, v14
	;; [unrolled: 1-line block ×12, first 2 shown]
	v_pk_max_f16 v15, v15, v15
	v_pk_min_f16 v57, v40, v12
	v_pk_max_f16 v21, v21, v21
	v_pk_max_f16 v23, v23, v23
	v_pk_min_f16 v58, v40, v14
	v_pk_min_f16 v59, v40, v20
	v_pk_max_f16 v25, v25, v25
	v_pk_min_f16 v53, v40, v22
	v_pk_max_f16 v60, v35, v35
	v_pk_min_f16 v62, v36, v12
	v_pk_min_f16 v63, v36, v14
	;; [unrolled: 1-line block ×11, first 2 shown]
	v_pk_add_f16 v22, v29, 0
	v_pk_min_f16 v29, v19, v13
	v_pk_max_f16 v27, v27, v27
	v_pk_max_f16 v61, v37, v37
	v_pk_add_f16 v35, v35, 0
	v_pk_min_f16 v37, v19, v15
	v_pk_add_f16 v36, v36, 0
	v_pk_min_f16 v40, v19, v21
	;; [unrolled: 2-line block ×4, first 2 shown]
	v_pk_add_f16 v34, v22, v29
	v_pk_add_f16 v22, v39, 0
	v_pk_min_f16 v29, v25, v21
	v_pk_add_f16 v24, v24, 0
	v_pk_min_f16 v25, v25, v23
	v_pk_add_f16 v35, v35, v37
	v_pk_add_f16 v36, v36, v40
	;; [unrolled: 1-line block ×5, first 2 shown]
	v_pk_min_f16 v38, v27, v13
	v_pk_add_f16 v39, v43, 0
	v_pk_min_f16 v42, v27, v15
	v_pk_add_f16 v43, v44, 0
	;; [unrolled: 2-line block ×3, first 2 shown]
	v_pk_add_f16 v46, v24, v25
	v_pk_add_f16 v22, v26, 0
	v_pk_min_f16 v24, v27, v23
	v_pk_add_f16 v25, v47, 0
	v_pk_min_f16 v26, v60, v13
	v_pk_add_f16 v37, v37, v38
	v_pk_add_f16 v38, v39, v42
	;; [unrolled: 1-line block ×5, first 2 shown]
	v_pk_min_f16 v24, v60, v21
	v_pk_add_f16 v43, v25, v26
	v_pk_add_f16 v25, v28, 0
	v_pk_min_f16 v26, v60, v23
	v_pk_add_f16 v27, v48, 0
	v_pk_add_f16 v47, v22, v24
	;; [unrolled: 1-line block ×3, first 2 shown]
	v_pk_min_f16 v29, v60, v15
	v_pk_add_f16 v48, v25, v26
	v_pk_min_f16 v25, v61, v13
	v_pk_add_f16 v24, v55, 0
	v_pk_add_f16 v26, v56, 0
	;; [unrolled: 1-line block ×5, first 2 shown]
	v_pk_min_f16 v22, v61, v15
	v_pk_add_f16 v28, v57, 0
	v_pk_add_f16 v29, v58, 0
	;; [unrolled: 1-line block ×5, first 2 shown]
	v_pk_min_f16 v22, v61, v21
	v_pk_max_f16 v17, v17, v17
	v_pk_add_f16 v53, v62, 0
	v_pk_add_f16 v62, v63, 0
	;; [unrolled: 1-line block ×4, first 2 shown]
	v_pk_max_f16 v22, v52, v52
	v_pk_min_f16 v27, v61, v23
	v_pk_max_f16 v52, v54, v54
	v_pk_add_f16 v24, v65, 0
	v_pk_add_f16 v12, v12, 0
	v_pk_min_f16 v54, v22, v13
	v_pk_min_f16 v56, v22, v15
	;; [unrolled: 1-line block ×4, first 2 shown]
	v_pk_add_f16 v14, v14, 0
	v_pk_add_f16 v20, v20, 0
	;; [unrolled: 1-line block ×8, first 2 shown]
	v_pk_min_f16 v22, v52, v13
	v_pk_min_f16 v25, v52, v15
	;; [unrolled: 1-line block ×9, first 2 shown]
	v_pk_add_f16 v60, v28, v54
	v_pk_add_f16 v65, v53, v22
	;; [unrolled: 1-line block ×10, first 2 shown]
	s_cbranch_scc1 .LBB284_24
; %bb.14:
	v_perm_b32 v83, v11, v3, 0x5040100
	v_lshl_or_b32 v3, s6, 6, v5
	v_mad_i64_i32 v[12:13], null, s21, v7, 0
	v_mad_i64_i32 v[6:7], null, s21, v6, 0
	s_lshl_b32 s1, s22, 6
	v_or_b32_e32 v52, 0x800, v2
	v_subrev_nc_u32_e32 v3, s1, v3
	v_add_nc_u32_e32 v54, 0xa00, v2
	v_perm_b32 v2, v10, v8, 0x5040100
	v_add_nc_u32_e32 v10, 8, v4
	v_lshlrev_b64 v[5:6], 1, v[6:7]
	v_add_nc_u32_e32 v7, 12, v4
	v_ashrrev_i32_e32 v4, 31, v3
	v_lshlrev_b64 v[8:9], 1, v[12:13]
	v_mad_i64_i32 v[10:11], null, v10, s8, 0
	v_mad_i64_i32 v[12:13], null, v7, s8, 0
	v_lshlrev_b64 v[3:4], 1, v[3:4]
	v_add_co_u32 v72, vcc_lo, s16, v8
	v_add_co_ci_u32_e64 v73, null, s17, v9, vcc_lo
	v_add_co_u32 v74, vcc_lo, s16, v5
	v_add_co_ci_u32_e64 v75, null, s17, v6, vcc_lo
	v_add_co_u32 v76, vcc_lo, s14, v3
	v_lshlrev_b64 v[26:27], 1, v[10:11]
	v_lshlrev_b64 v[28:29], 1, v[12:13]
	v_or_b32_e32 v53, 0x800, v32
	v_add_nc_u32_e32 v55, 0x400, v33
	v_lshl_add_u32 v67, v0, 3, 0xa00
	v_lshl_add_u32 v71, v1, 3, 0x400
	v_add_co_ci_u32_e64 v77, null, s15, v4, vcc_lo
	s_add_i32 s1, s12, -8
	s_lshl_b64 s[8:9], s[8:9], 4
	s_mov_b32 s6, 0
	s_branch .LBB284_16
.LBB284_15:                             ;   in Loop: Header=BB284_16 Depth=1
	v_pk_max_f16 v4, v4, v4
	v_pk_max_f16 v22, v22, v22
	;; [unrolled: 1-line block ×7, first 2 shown]
	v_pk_min_f16 v83, v4, v22
	v_pk_min_f16 v84, v4, v24
	;; [unrolled: 1-line block ×3, first 2 shown]
	v_pk_max_f16 v20, v20, v20
	v_pk_min_f16 v92, v10, v22
	v_pk_min_f16 v93, v10, v24
	v_pk_max_f16 v12, v12, v12
	v_pk_max_f16 v23, v23, v23
	;; [unrolled: 1-line block ×3, first 2 shown]
	v_pk_min_f16 v94, v10, v14
	v_pk_min_f16 v10, v10, v16
	v_pk_max_f16 v15, v15, v15
	v_pk_max_f16 v17, v17, v17
	;; [unrolled: 1-line block ×13, first 2 shown]
	v_pk_min_f16 v86, v18, v22
	v_pk_min_f16 v87, v18, v24
	;; [unrolled: 1-line block ×55, first 2 shown]
	v_pk_add_f16 v3, v34, v83
	v_pk_add_f16 v5, v35, v84
	;; [unrolled: 1-line block ×4, first 2 shown]
	v_pk_min_f16 v19, v19, v17
	v_pk_min_f16 v21, v21, v17
	v_pk_add_f16 v17, v40, v86
	v_pk_add_f16 v34, v41, v87
	;; [unrolled: 1-line block ×23, first 2 shown]
	ds_read2_b64 v[3:6], v53 offset0:48 offset1:56
	ds_read2_b64 v[7:10], v31 offset1:32
	ds_read2_b64 v[11:14], v31 offset0:64 offset1:96
	v_pk_add_f16 v2, v64, v2
	v_pk_add_f16 v63, v17, v16
	v_pk_add_f16 v64, v18, v19
	ds_read2_b64 v[15:18], v53 offset1:8
	v_pk_add_f16 v22, v68, v22
	v_pk_add_f16 v24, v69, v24
	;; [unrolled: 1-line block ×13, first 2 shown]
	s_waitcnt lgkmcnt(3)
	v_pk_max_f16 v5, v5, v5
	s_waitcnt lgkmcnt(2)
	v_pk_max_f16 v7, v7, v7
	v_pk_max_f16 v9, v9, v9
	s_waitcnt lgkmcnt(1)
	v_pk_max_f16 v11, v11, v11
	v_pk_add_f16 v70, v59, v126
	ds_read2_b64 v[19:22], v53 offset0:16 offset1:24
	v_pk_min_f16 v57, v5, v7
	v_pk_min_f16 v58, v5, v9
	;; [unrolled: 1-line block ×3, first 2 shown]
	s_waitcnt lgkmcnt(1)
	v_pk_max_f16 v15, v15, v15
	v_pk_add_f16 v34, v34, v104
	v_pk_add_f16 v35, v35, v105
	;; [unrolled: 1-line block ×3, first 2 shown]
	v_perm_b32 v2, v82, v81, 0x5040100
	v_pk_add_f16 v81, v60, v57
	v_pk_add_f16 v61, v61, v58
	;; [unrolled: 1-line block ×3, first 2 shown]
	v_pk_min_f16 v57, v15, v7
	v_pk_min_f16 v58, v15, v9
	;; [unrolled: 1-line block ×3, first 2 shown]
	v_pk_max_f16 v13, v13, v13
	v_pk_max_f16 v17, v17, v17
	v_pk_add_f16 v63, v63, v57
	v_pk_add_f16 v82, v34, v58
	;; [unrolled: 1-line block ×3, first 2 shown]
	ds_read2_b64 v[57:60], v53 offset0:32 offset1:40
	v_pk_add_f16 v36, v36, v106
	v_pk_add_f16 v37, v37, v107
	v_pk_min_f16 v15, v15, v13
	v_pk_min_f16 v34, v17, v7
	;; [unrolled: 1-line block ×3, first 2 shown]
	s_waitcnt lgkmcnt(1)
	v_pk_max_f16 v19, v19, v19
	v_pk_add_f16 v39, v39, v109
	v_pk_add_f16 v40, v40, v110
	;; [unrolled: 1-line block ×4, first 2 shown]
	v_pk_min_f16 v64, v17, v11
	v_pk_min_f16 v17, v17, v13
	v_pk_add_f16 v84, v36, v34
	v_pk_add_f16 v85, v37, v35
	v_pk_min_f16 v34, v19, v7
	v_pk_min_f16 v35, v19, v9
	;; [unrolled: 1-line block ×3, first 2 shown]
	v_pk_max_f16 v21, v21, v21
	v_pk_add_f16 v42, v42, v112
	v_pk_add_f16 v43, v43, v113
	;; [unrolled: 1-line block ×4, first 2 shown]
	v_pk_min_f16 v19, v19, v13
	v_pk_add_f16 v65, v39, v34
	v_pk_add_f16 v86, v40, v35
	;; [unrolled: 1-line block ×3, first 2 shown]
	v_pk_min_f16 v34, v21, v7
	v_pk_min_f16 v35, v21, v9
	s_waitcnt lgkmcnt(0)
	v_pk_max_f16 v36, v57, v57
	v_pk_min_f16 v37, v21, v11
	v_pk_add_f16 v46, v46, v116
	v_pk_add_f16 v47, v47, v117
	v_pk_add_f16 v19, v66, v19
	v_pk_add_f16 v57, v42, v34
	v_pk_add_f16 v66, v43, v35
	v_pk_min_f16 v34, v36, v7
	v_pk_add_f16 v88, v44, v37
	v_pk_min_f16 v35, v36, v9
	v_pk_max_f16 v37, v59, v59
	v_pk_add_f16 v38, v38, v108
	v_pk_add_f16 v48, v48, v118
	;; [unrolled: 1-line block ×4, first 2 shown]
	v_pk_min_f16 v34, v36, v11
	v_pk_add_f16 v90, v47, v35
	v_pk_min_f16 v35, v37, v7
	v_pk_max_f16 v3, v3, v3
	v_pk_max_f16 v6, v6, v6
	;; [unrolled: 1-line block ×3, first 2 shown]
	v_pk_add_f16 v56, v56, v122
	v_pk_add_f16 v64, v38, v64
	v_pk_min_f16 v21, v21, v13
	v_pk_min_f16 v36, v36, v13
	;; [unrolled: 1-line block ×3, first 2 shown]
	v_pk_add_f16 v91, v48, v34
	v_pk_add_f16 v93, v50, v35
	v_pk_min_f16 v34, v37, v11
	v_pk_min_f16 v35, v37, v13
	;; [unrolled: 1-line block ×6, first 2 shown]
	v_pk_max_f16 v10, v10, v10
	v_pk_min_f16 v5, v5, v13
	v_pk_max_f16 v12, v12, v12
	v_pk_min_f16 v13, v6, v8
	v_pk_add_f16 v49, v49, v119
	v_pk_add_f16 v95, v56, v34
	;; [unrolled: 1-line block ×4, first 2 shown]
	v_pk_min_f16 v23, v6, v10
	v_pk_min_f16 v24, v6, v12
	v_pk_max_f16 v16, v16, v16
	v_pk_add_f16 v34, v81, v13
	v_pk_max_f16 v13, v14, v14
	v_pk_add_f16 v92, v49, v36
	v_pk_add_f16 v68, v68, v35
	;; [unrolled: 1-line block ×4, first 2 shown]
	v_pk_min_f16 v14, v16, v8
	v_pk_min_f16 v23, v16, v10
	;; [unrolled: 1-line block ×4, first 2 shown]
	v_pk_max_f16 v18, v18, v18
	v_pk_add_f16 v51, v51, v121
	v_pk_add_f16 v40, v63, v14
	v_pk_max_f16 v20, v20, v20
	v_pk_add_f16 v46, v15, v16
	v_pk_min_f16 v14, v18, v8
	v_pk_min_f16 v15, v18, v10
	;; [unrolled: 1-line block ×4, first 2 shown]
	v_pk_add_f16 v45, v45, v115
	v_pk_add_f16 v94, v51, v38
	v_pk_add_f16 v37, v84, v14
	v_pk_add_f16 v38, v85, v15
	v_pk_add_f16 v39, v64, v16
	v_pk_add_f16 v42, v17, v18
	v_pk_min_f16 v14, v20, v8
	v_pk_min_f16 v15, v20, v10
	;; [unrolled: 1-line block ×4, first 2 shown]
	v_pk_max_f16 v18, v22, v22
	v_pk_add_f16 v21, v45, v21
	v_pk_add_f16 v43, v65, v14
	;; [unrolled: 1-line block ×5, first 2 shown]
	v_pk_min_f16 v14, v18, v8
	v_pk_min_f16 v15, v18, v10
	v_pk_min_f16 v16, v18, v12
	v_pk_min_f16 v17, v18, v13
	v_pk_max_f16 v18, v58, v58
	v_pk_add_f16 v49, v57, v14
	v_pk_add_f16 v50, v66, v15
	;; [unrolled: 1-line block ×4, first 2 shown]
	v_pk_min_f16 v14, v18, v8
	v_pk_min_f16 v15, v18, v10
	;; [unrolled: 1-line block ×4, first 2 shown]
	v_pk_max_f16 v18, v60, v60
	v_pk_max_f16 v4, v4, v4
	v_add_co_u32 v72, vcc_lo, v72, 16
	v_pk_add_f16 v11, v25, v11
	v_pk_add_f16 v3, v69, v3
	v_pk_add_f16 v5, v70, v5
	v_pk_add_f16 v60, v89, v14
	v_pk_add_f16 v58, v90, v15
	v_pk_add_f16 v56, v91, v16
	v_pk_add_f16 v57, v92, v17
	v_pk_min_f16 v14, v18, v8
	v_pk_min_f16 v15, v18, v10
	v_pk_min_f16 v16, v18, v12
	v_pk_min_f16 v17, v18, v13
	v_pk_min_f16 v8, v4, v8
	v_pk_min_f16 v10, v4, v10
	v_pk_min_f16 v12, v4, v12
	v_pk_min_f16 v4, v4, v13
	v_pk_min_f16 v6, v6, v13
	v_add_co_ci_u32_e64 v73, null, 0, v73, vcc_lo
	v_add_co_u32 v74, vcc_lo, v74, 16
	v_add_co_ci_u32_e64 v75, null, 0, v75, vcc_lo
	v_add_co_u32 v76, vcc_lo, v76, s8
	v_pk_add_f16 v41, v82, v23
	v_pk_add_f16 v45, v83, v24
	;; [unrolled: 1-line block ×11, first 2 shown]
	v_perm_b32 v83, v80, v78, 0x5040100
	v_add_co_ci_u32_e64 v77, null, s9, v77, vcc_lo
	s_add_i32 s6, s6, 8
	ds_write_b16 v54, v79
	ds_write_b16 v55, v78
	ds_write_b16 v55, v80 offset:512
	s_cmp_ge_i32 s6, s1
	s_waitcnt lgkmcnt(0)
	s_barrier
	buffer_gl0_inv
	s_cbranch_scc1 .LBB284_24
.LBB284_16:                             ; =>This Inner Loop Header: Depth=1
	s_mov_b32 s12, -1
	s_mov_b32 vcc_lo, s0
                                        ; implicit-def: $vgpr81
	s_cbranch_vccz .LBB284_18
; %bb.17:                               ;   in Loop: Header=BB284_16 Depth=1
	v_and_b32_e32 v81, 0xffff0000, v2
	s_mov_b32 s12, 0
.LBB284_18:                             ;   in Loop: Header=BB284_16 Depth=1
	v_mov_b32_e32 v78, 0
	v_mov_b32_e32 v82, 0
	s_andn2_b32 vcc_lo, exec_lo, s12
	s_cbranch_vccnz .LBB284_20
; %bb.19:                               ;   in Loop: Header=BB284_16 Depth=1
	v_add_co_u32 v3, vcc_lo, v72, v30
	v_add_co_ci_u32_e64 v4, null, 0, v73, vcc_lo
	v_add_co_u32 v5, vcc_lo, v76, v26
	v_add_co_ci_u32_e64 v6, null, v77, v27, vcc_lo
	global_load_ushort v7, v[3:4], off offset:16
	v_add_co_u32 v3, vcc_lo, v74, v30
	v_add_co_ci_u32_e64 v4, null, 0, v75, vcc_lo
	global_load_ushort v5, v[5:6], off
	global_load_ushort v3, v[3:4], off offset:16
	s_waitcnt vmcnt(2)
	v_mul_f16_e32 v4, s13, v7
	v_bfi_b32 v81, 0xffff, v4, v2
	s_waitcnt vmcnt(1)
	v_mul_f16_e32 v78, s13, v5
	s_waitcnt vmcnt(0)
	v_mul_f16_e32 v82, s13, v3
.LBB284_20:                             ;   in Loop: Header=BB284_16 Depth=1
	ds_read2_b64 v[2:5], v67 offset0:48 offset1:56
	ds_read2_b64 v[14:17], v71 offset0:64 offset1:96
	ds_read2_b64 v[22:25], v71 offset1:32
	ds_read2_b64 v[18:21], v67 offset1:8
	ds_read2_b64 v[10:13], v67 offset0:16 offset1:24
	ds_read2_b64 v[6:9], v67 offset0:32 offset1:40
	s_mov_b32 s12, -1
	s_mov_b32 vcc_lo, s0
	ds_write_b16 v52, v78
	ds_write_b16 v33, v81
	ds_write_b16 v33, v82 offset:512
	s_waitcnt lgkmcnt(0)
	s_barrier
	buffer_gl0_inv
                                        ; implicit-def: $vgpr78
	s_cbranch_vccz .LBB284_22
; %bb.21:                               ;   in Loop: Header=BB284_16 Depth=1
	v_and_b32_e32 v78, 0xffff0000, v83
	s_mov_b32 s12, 0
.LBB284_22:                             ;   in Loop: Header=BB284_16 Depth=1
	v_mov_b32_e32 v79, 0
	v_mov_b32_e32 v80, 0
	s_andn2_b32 vcc_lo, exec_lo, s12
	s_cbranch_vccnz .LBB284_15
; %bb.23:                               ;   in Loop: Header=BB284_16 Depth=1
	v_add_co_u32 v78, vcc_lo, v72, v30
	v_add_co_ci_u32_e64 v79, null, 0, v73, vcc_lo
	v_add_co_u32 v84, vcc_lo, v76, v28
	v_add_co_ci_u32_e64 v85, null, v77, v29, vcc_lo
	global_load_ushort v80, v[78:79], off offset:24
	v_add_co_u32 v78, vcc_lo, v74, v30
	v_add_co_ci_u32_e64 v79, null, 0, v75, vcc_lo
	global_load_ushort v84, v[84:85], off
	global_load_ushort v85, v[78:79], off offset:24
	s_waitcnt vmcnt(2)
	v_mul_f16_e32 v78, s13, v80
	v_bfi_b32 v78, 0xffff, v78, v83
	s_waitcnt vmcnt(1)
	v_mul_f16_e32 v79, s13, v84
	s_waitcnt vmcnt(0)
	v_mul_f16_e32 v80, s13, v85
	s_branch .LBB284_15
.LBB284_24:
	v_add_nc_u32_e32 v18, 0x800, v32
	s_load_dwordx2 s[0:1], s[4:5], 0x70
	v_cmp_neq_f16_e64 s6, s18, 0
	ds_read2_b64 v[2:5], v31 offset0:128 offset1:160
	ds_read2_b64 v[6:9], v31 offset0:192 offset1:224
	;; [unrolled: 1-line block ×4, first 2 shown]
	s_clause 0x1
	s_load_dword s8, s[4:5], 0x50
	s_load_dword s9, s[4:5], 0x68
	ds_read2_b64 v[26:29], v18 offset0:80 offset1:88
	ds_read2_b64 v[52:55], v18 offset0:96 offset1:104
	v_add_nc_u32_e32 v1, s19, v1
	s_waitcnt lgkmcnt(0)
	v_pk_max_f16 v4, v4, v4
	v_pk_max_f16 v2, v2, v2
	;; [unrolled: 1-line block ×8, first 2 shown]
	v_pk_min_f16 v18, v16, v4
	v_pk_min_f16 v19, v12, v2
	;; [unrolled: 1-line block ×5, first 2 shown]
	v_pk_add_f16 v31, v38, v18
	v_pk_min_f16 v18, v26, v2
	v_pk_min_f16 v32, v26, v4
	;; [unrolled: 1-line block ×4, first 2 shown]
	v_pk_max_f16 v28, v28, v28
	v_pk_min_f16 v22, v14, v2
	v_pk_add_f16 v19, v34, v19
	v_pk_add_f16 v20, v35, v20
	;; [unrolled: 1-line block ×3, first 2 shown]
	v_pk_min_f16 v30, v16, v6
	v_pk_add_f16 v25, v37, v25
	v_pk_add_f16 v34, v43, v18
	v_pk_add_f16 v35, v48, v26
	v_pk_min_f16 v18, v28, v2
	v_pk_min_f16 v26, v28, v4
	v_pk_max_f16 v36, v52, v52
	v_pk_min_f16 v37, v28, v6
	v_pk_min_f16 v28, v28, v8
	v_pk_add_f16 v22, v40, v22
	v_pk_min_f16 v16, v16, v8
	v_pk_add_f16 v30, v39, v30
	v_pk_add_f16 v39, v50, v26
	v_pk_add_f16 v40, v59, v28
	v_pk_min_f16 v26, v36, v4
	v_pk_max_f16 v28, v54, v54
	v_pk_min_f16 v23, v14, v4
	v_pk_min_f16 v24, v14, v6
	;; [unrolled: 1-line block ×3, first 2 shown]
	v_pk_add_f16 v16, v42, v16
	v_pk_add_f16 v38, v49, v18
	v_pk_min_f16 v18, v36, v2
	v_pk_add_f16 v42, v58, v26
	v_pk_min_f16 v26, v28, v2
	v_pk_add_f16 v23, v41, v23
	v_pk_add_f16 v14, v46, v14
	v_pk_add_f16 v41, v60, v18
	v_pk_min_f16 v18, v36, v6
	v_pk_max_f16 v10, v10, v10
	v_pk_add_f16 v46, v65, v26
	v_pk_min_f16 v26, v28, v8
	v_pk_max_f16 v3, v3, v3
	v_pk_max_f16 v13, v13, v13
	;; [unrolled: 1-line block ×4, first 2 shown]
	v_pk_add_f16 v32, v44, v32
	v_pk_min_f16 v36, v36, v8
	v_pk_min_f16 v43, v28, v4
	v_pk_add_f16 v44, v56, v18
	v_pk_min_f16 v18, v28, v6
	v_pk_min_f16 v2, v10, v2
	v_pk_min_f16 v4, v10, v4
	v_pk_min_f16 v6, v10, v6
	v_pk_add_f16 v48, v62, v26
	v_pk_min_f16 v10, v10, v8
	v_pk_min_f16 v8, v12, v8
	v_pk_min_f16 v12, v13, v3
	v_pk_min_f16 v26, v13, v5
	v_pk_min_f16 v28, v13, v7
	v_pk_max_f16 v15, v15, v15
	v_pk_max_f16 v9, v9, v9
	v_pk_add_f16 v24, v45, v24
	v_pk_add_f16 v33, v47, v33
	;; [unrolled: 1-line block ×6, first 2 shown]
	v_pk_min_f16 v12, v15, v3
	v_pk_min_f16 v26, v15, v5
	;; [unrolled: 1-line block ×4, first 2 shown]
	v_pk_max_f16 v17, v17, v17
	v_pk_add_f16 v45, v57, v36
	v_pk_add_f16 v21, v22, v12
	;; [unrolled: 1-line block ×5, first 2 shown]
	v_pk_min_f16 v12, v17, v3
	v_pk_min_f16 v14, v17, v5
	v_pk_min_f16 v15, v17, v7
	v_pk_min_f16 v17, v17, v9
	v_pk_max_f16 v36, v27, v27
	v_pk_add_f16 v25, v25, v12
	v_pk_add_f16 v26, v31, v14
	v_pk_add_f16 v27, v30, v15
	v_pk_add_f16 v28, v16, v17
	v_pk_min_f16 v12, v36, v3
	v_pk_min_f16 v14, v36, v5
	v_pk_min_f16 v15, v36, v7
	v_pk_min_f16 v16, v36, v9
	v_pk_max_f16 v17, v29, v29
	v_pk_add_f16 v29, v34, v12
	v_pk_add_f16 v30, v32, v14
	v_pk_add_f16 v31, v33, v15
	v_pk_add_f16 v32, v35, v16
	;; [unrolled: 9-line block ×3, first 2 shown]
	v_pk_min_f16 v12, v17, v3
	v_pk_min_f16 v14, v17, v5
	v_pk_max_f16 v16, v55, v55
	v_pk_max_f16 v11, v11, v11
	v_pk_add_f16 v2, v68, v2
	v_pk_add_f16 v4, v69, v4
	;; [unrolled: 1-line block ×3, first 2 shown]
	v_pk_min_f16 v15, v17, v7
	v_pk_min_f16 v17, v17, v9
	v_pk_add_f16 v37, v41, v12
	v_pk_add_f16 v38, v42, v14
	v_pk_min_f16 v12, v16, v3
	v_pk_min_f16 v14, v16, v5
	;; [unrolled: 1-line block ×4, first 2 shown]
	v_pk_add_f16 v43, v66, v43
	v_pk_add_f16 v6, v70, v6
	;; [unrolled: 1-line block ×6, first 2 shown]
	v_pk_min_f16 v15, v16, v7
	v_pk_add_f16 v41, v46, v12
	v_pk_min_f16 v12, v16, v9
	v_pk_add_f16 v45, v2, v3
	v_pk_min_f16 v3, v11, v7
	v_add_nc_u32_e32 v2, s20, v0
	v_pk_add_f16 v0, v4, v5
	v_pk_min_f16 v5, v11, v9
	v_pk_min_f16 v7, v13, v9
	v_pk_add_f16 v42, v43, v14
	v_pk_add_f16 v43, v47, v15
	;; [unrolled: 1-line block ×4, first 2 shown]
	v_add_nc_u32_e32 v4, 8, v2
	v_add_nc_u32_e32 v6, 16, v2
	v_pk_add_f16 v47, v10, v5
	v_pk_add_f16 v48, v8, v7
	v_add_nc_u32_e32 v8, 24, v2
	v_add_nc_u32_e32 v10, 32, v2
	;; [unrolled: 1-line block ×5, first 2 shown]
	v_ashrrev_i32_e32 v3, 31, v2
	v_ashrrev_i32_e32 v5, 31, v4
	;; [unrolled: 1-line block ×8, first 2 shown]
	s_mul_i32 s1, s1, s7
	s_mul_hi_u32 s4, s0, s7
	s_mul_i32 s0, s0, s7
	s_add_i32 s1, s4, s1
	v_lshlrev_b64 v[2:3], 1, v[2:3]
	v_lshlrev_b64 v[4:5], 1, v[4:5]
	;; [unrolled: 1-line block ×8, first 2 shown]
	s_lshl_b64 s[0:1], s[0:1], 1
	s_mov_b64 s[4:5], 15
	s_add_u32 s7, s10, s0
	s_addc_u32 s10, s11, s1
	s_branch .LBB284_26
.LBB284_25:                             ;   in Loop: Header=BB284_26 Depth=1
	s_add_i32 s0, s4, -1
	v_add_nc_u32_e32 v1, 32, v1
	s_cmp_eq_u32 s0, 1
	s_cselect_b32 vcc_lo, -1, 0
	s_cmp_eq_u32 s0, 2
	v_cndmask_b32_e32 v81, v21, v49, vcc_lo
	s_cselect_b32 vcc_lo, -1, 0
	s_cmp_eq_u32 s0, 3
	v_cndmask_b32_e32 v81, v81, v25, vcc_lo
	s_cselect_b32 vcc_lo, -1, 0
	s_cmp_eq_u32 s0, 4
	v_cndmask_b32_e32 v81, v81, v50, vcc_lo
	s_cselect_b32 vcc_lo, -1, 0
	s_cmp_eq_u32 s0, 5
	v_cndmask_b32_e32 v81, v81, v29, vcc_lo
	s_cselect_b32 vcc_lo, -1, 0
	s_cmp_eq_u32 s0, 6
	v_cndmask_b32_e32 v81, v81, v51, vcc_lo
	s_cselect_b32 vcc_lo, -1, 0
	s_cmp_eq_u32 s0, 7
	v_cndmask_b32_e32 v81, v81, v33, vcc_lo
	s_cselect_b32 vcc_lo, -1, 0
	s_cmp_eq_u32 s0, 8
	v_cndmask_b32_e32 v81, v81, v52, vcc_lo
	s_cselect_b32 vcc_lo, -1, 0
	s_cmp_eq_u32 s0, 9
	v_cndmask_b32_e32 v81, v81, v37, vcc_lo
	s_cselect_b32 vcc_lo, -1, 0
	s_cmp_eq_u32 s0, 10
	v_cndmask_b32_e32 v81, v81, v53, vcc_lo
	s_cselect_b32 vcc_lo, -1, 0
	s_cmp_eq_u32 s0, 11
	v_cndmask_b32_e32 v81, v81, v41, vcc_lo
	s_cselect_b32 vcc_lo, -1, 0
	s_cmp_eq_u32 s0, 12
	v_cndmask_b32_e32 v81, v81, v54, vcc_lo
	s_cselect_b32 vcc_lo, -1, 0
	s_cmp_eq_u32 s0, 13
	v_cndmask_b32_e32 v81, v81, v45, vcc_lo
	s_cselect_b32 vcc_lo, -1, 0
	s_cmp_eq_u32 s0, 14
	v_cndmask_b32_e32 v81, v81, v55, vcc_lo
	s_cselect_b32 vcc_lo, -1, 0
	s_cmp_eq_u32 s0, 15
	v_cndmask_b32_e32 v81, v81, v18, vcc_lo
	s_cselect_b32 vcc_lo, -1, 0
	s_cmp_eq_u32 s0, 16
	v_cndmask_b32_e32 v81, v81, v56, vcc_lo
	s_cselect_b32 vcc_lo, -1, 0
	s_cmp_eq_u32 s0, 17
	v_cndmask_b32_e32 v81, v81, v22, vcc_lo
	s_cselect_b32 vcc_lo, -1, 0
	s_cmp_eq_u32 s0, 18
	v_cndmask_b32_e32 v81, v81, v57, vcc_lo
	s_cselect_b32 vcc_lo, -1, 0
	s_cmp_eq_u32 s0, 19
	v_cndmask_b32_e32 v81, v81, v26, vcc_lo
	s_cselect_b32 vcc_lo, -1, 0
	s_cmp_eq_u32 s0, 20
	v_cndmask_b32_e32 v81, v81, v58, vcc_lo
	s_cselect_b32 vcc_lo, -1, 0
	s_cmp_eq_u32 s0, 21
	v_cndmask_b32_e32 v81, v81, v30, vcc_lo
	s_cselect_b32 vcc_lo, -1, 0
	s_cmp_eq_u32 s0, 22
	v_cndmask_b32_e32 v81, v81, v59, vcc_lo
	s_cselect_b32 vcc_lo, -1, 0
	s_cmp_eq_u32 s0, 23
	v_cndmask_b32_e32 v81, v81, v34, vcc_lo
	s_cselect_b32 vcc_lo, -1, 0
	s_cmp_eq_u32 s0, 24
	v_cndmask_b32_e32 v81, v81, v60, vcc_lo
	s_cselect_b32 vcc_lo, -1, 0
	s_cmp_eq_u32 s0, 25
	v_cndmask_b32_e32 v81, v81, v38, vcc_lo
	s_cselect_b32 vcc_lo, -1, 0
	s_cmp_eq_u32 s0, 26
	v_cndmask_b32_e32 v81, v81, v61, vcc_lo
	s_cselect_b32 vcc_lo, -1, 0
	s_cmp_eq_u32 s0, 27
	v_cndmask_b32_e32 v81, v81, v42, vcc_lo
	s_cselect_b32 vcc_lo, -1, 0
	s_cmp_eq_u32 s0, 28
	v_cndmask_b32_e32 v81, v81, v62, vcc_lo
	s_cselect_b32 vcc_lo, -1, 0
	s_cmp_eq_u32 s0, 29
	v_cndmask_b32_e32 v81, v81, v0, vcc_lo
	s_cselect_b32 vcc_lo, -1, 0
	s_cmp_eq_u32 s0, 30
	v_cndmask_b32_e32 v81, v81, v63, vcc_lo
	s_cselect_b32 vcc_lo, -1, 0
	s_cmp_eq_u32 s0, 31
	v_cndmask_b32_e32 v81, v81, v19, vcc_lo
	s_cselect_b32 vcc_lo, -1, 0
	s_cmp_eq_u32 s0, 32
	v_cndmask_b32_e32 v81, v81, v64, vcc_lo
	s_cselect_b32 vcc_lo, -1, 0
	s_cmp_eq_u32 s0, 33
	v_cndmask_b32_e32 v81, v81, v23, vcc_lo
	s_cselect_b32 vcc_lo, -1, 0
	s_cmp_eq_u32 s0, 34
	v_cndmask_b32_e32 v81, v81, v65, vcc_lo
	s_cselect_b32 vcc_lo, -1, 0
	s_cmp_eq_u32 s0, 35
	v_cndmask_b32_e32 v81, v81, v27, vcc_lo
	s_cselect_b32 vcc_lo, -1, 0
	s_cmp_eq_u32 s0, 36
	v_cndmask_b32_e32 v81, v81, v66, vcc_lo
	s_cselect_b32 vcc_lo, -1, 0
	s_cmp_eq_u32 s0, 37
	v_cndmask_b32_e32 v81, v81, v31, vcc_lo
	s_cselect_b32 vcc_lo, -1, 0
	s_cmp_eq_u32 s0, 38
	v_cndmask_b32_e32 v81, v81, v67, vcc_lo
	s_cselect_b32 vcc_lo, -1, 0
	s_cmp_eq_u32 s0, 39
	v_cndmask_b32_e32 v81, v81, v35, vcc_lo
	s_cselect_b32 vcc_lo, -1, 0
	s_cmp_eq_u32 s0, 40
	v_cndmask_b32_e32 v81, v81, v68, vcc_lo
	s_cselect_b32 vcc_lo, -1, 0
	s_cmp_eq_u32 s0, 41
	v_cndmask_b32_e32 v81, v81, v39, vcc_lo
	s_cselect_b32 vcc_lo, -1, 0
	s_cmp_eq_u32 s0, 42
	v_cndmask_b32_e32 v81, v81, v69, vcc_lo
	s_cselect_b32 vcc_lo, -1, 0
	s_cmp_eq_u32 s0, 43
	v_cndmask_b32_e32 v81, v81, v43, vcc_lo
	s_cselect_b32 vcc_lo, -1, 0
	s_cmp_eq_u32 s0, 44
	v_cndmask_b32_e32 v81, v81, v70, vcc_lo
	s_cselect_b32 vcc_lo, -1, 0
	s_cmp_eq_u32 s0, 45
	v_cndmask_b32_e32 v81, v81, v46, vcc_lo
	s_cselect_b32 vcc_lo, -1, 0
	s_cmp_eq_u32 s0, 46
	v_cndmask_b32_e32 v81, v81, v71, vcc_lo
	s_cselect_b32 vcc_lo, -1, 0
	s_cmp_eq_u32 s0, 47
	v_cndmask_b32_e32 v81, v81, v20, vcc_lo
	s_cselect_b32 vcc_lo, -1, 0
	s_cmp_eq_u32 s0, 48
	v_cndmask_b32_e32 v81, v81, v72, vcc_lo
	s_cselect_b32 vcc_lo, -1, 0
	s_cmp_eq_u32 s0, 49
	v_cndmask_b32_e32 v81, v81, v24, vcc_lo
	s_cselect_b32 vcc_lo, -1, 0
	s_cmp_eq_u32 s0, 50
	v_cndmask_b32_e32 v81, v81, v73, vcc_lo
	s_cselect_b32 vcc_lo, -1, 0
	s_cmp_eq_u32 s0, 51
	v_cndmask_b32_e32 v81, v81, v28, vcc_lo
	s_cselect_b32 vcc_lo, -1, 0
	s_cmp_eq_u32 s0, 52
	v_cndmask_b32_e32 v81, v81, v74, vcc_lo
	s_cselect_b32 vcc_lo, -1, 0
	s_cmp_eq_u32 s0, 53
	v_cndmask_b32_e32 v81, v81, v32, vcc_lo
	s_cselect_b32 vcc_lo, -1, 0
	s_cmp_eq_u32 s0, 54
	v_cndmask_b32_e32 v81, v81, v75, vcc_lo
	s_cselect_b32 vcc_lo, -1, 0
	s_cmp_eq_u32 s0, 55
	v_cndmask_b32_e32 v81, v81, v36, vcc_lo
	s_cselect_b32 vcc_lo, -1, 0
	s_cmp_eq_u32 s0, 56
	v_cndmask_b32_e32 v81, v81, v76, vcc_lo
	s_cselect_b32 vcc_lo, -1, 0
	s_cmp_eq_u32 s0, 57
	v_cndmask_b32_e32 v81, v81, v40, vcc_lo
	s_cselect_b32 vcc_lo, -1, 0
	s_cmp_eq_u32 s0, 58
	v_cndmask_b32_e32 v81, v81, v77, vcc_lo
	s_cselect_b32 vcc_lo, -1, 0
	s_cmp_eq_u32 s0, 59
	v_cndmask_b32_e32 v81, v81, v44, vcc_lo
	s_cselect_b32 vcc_lo, -1, 0
	s_cmp_eq_u32 s0, 60
	v_cndmask_b32_e32 v81, v81, v78, vcc_lo
	s_cselect_b32 vcc_lo, -1, 0
	s_cmp_eq_u32 s0, 61
	v_cndmask_b32_e32 v81, v81, v47, vcc_lo
	s_cselect_b32 vcc_lo, -1, 0
	s_cmp_eq_u32 s0, 62
	v_cndmask_b32_e32 v81, v81, v79, vcc_lo
	s_cselect_b32 vcc_lo, -1, 0
	s_cmp_eq_u32 s0, 63
	v_cndmask_b32_e32 v81, v81, v48, vcc_lo
	s_cselect_b32 vcc_lo, -1, 0
	s_cmp_eq_u32 s4, 1
	s_cselect_b32 s0, -1, 0
	s_cmp_eq_u32 s4, 2
	v_cndmask_b32_e64 v49, v21, v49, s0
	s_cselect_b32 s0, -1, 0
	s_cmp_eq_u32 s4, 3
	v_cndmask_b32_e64 v49, v49, v25, s0
	;; [unrolled: 3-line block ×3, first 2 shown]
	s_cselect_b32 s0, -1, 0
	s_cmp_eq_u32 s4, 5
	v_cndmask_b32_e32 v50, v81, v80, vcc_lo
	v_cndmask_b32_e64 v49, v49, v29, s0
	s_cselect_b32 s0, -1, 0
	s_cmp_eq_u32 s4, 6
	v_cndmask_b32_e64 v49, v49, v51, s0
	s_cselect_b32 s0, -1, 0
	s_cmp_eq_u32 s4, 7
	;; [unrolled: 3-line block ×58, first 2 shown]
	s_cselect_b32 vcc_lo, -1, 0
	v_cndmask_b32_e64 v49, v49, v48, s0
	s_add_u32 s4, s4, 16
	s_addc_u32 s5, s5, 0
	s_cmpk_lg_i32 s4, 0x4f
	v_cndmask_b32_e32 v49, v49, v80, vcc_lo
	v_add_f16_e32 v51, v50, v49
	v_add_co_u32 v49, vcc_lo, v83, v16
	v_add_co_ci_u32_e64 v50, null, v84, v17, vcc_lo
	v_add_f16_e32 v51, v51, v85
	global_store_short v[49:50], v51, off
	s_cbranch_scc0 .LBB284_42
.LBB284_26:                             ; =>This Inner Loop Header: Depth=1
	v_mad_i64_i32 v[49:50], null, v1, s8, 0
	v_cndmask_b32_e64 v51, 0, 1, s6
	v_mov_b32_e32 v85, 0
	v_mov_b32_e32 v86, 0
	v_cmp_ne_u32_e64 s0, 1, v51
	v_lshlrev_b64 v[49:50], 1, v[49:50]
	v_add_co_u32 v81, vcc_lo, s2, v49
	v_add_co_ci_u32_e64 v82, null, s3, v50, vcc_lo
	s_andn2_b32 vcc_lo, exec_lo, s6
	s_cbranch_vccnz .LBB284_28
; %bb.27:                               ;   in Loop: Header=BB284_26 Depth=1
	v_add_co_u32 v49, vcc_lo, v81, v2
	v_add_co_ci_u32_e64 v50, null, v82, v3, vcc_lo
	global_load_ushort v49, v[49:50], off
	s_waitcnt vmcnt(0)
	v_mul_f16_e32 v86, s18, v49
.LBB284_28:                             ;   in Loop: Header=BB284_26 Depth=1
	s_add_i32 s1, s4, -15
	v_lshrrev_b32_e32 v49, 16, v21
	s_cmp_eq_u32 s1, 1
	v_lshrrev_b32_e32 v50, 16, v25
	s_cselect_b32 vcc_lo, -1, 0
	s_cmp_eq_u32 s1, 2
	v_cndmask_b32_e32 v51, v21, v49, vcc_lo
	s_cselect_b32 vcc_lo, -1, 0
	s_cmp_eq_u32 s1, 3
	v_cndmask_b32_e32 v51, v51, v25, vcc_lo
	;; [unrolled: 3-line block ×3, first 2 shown]
	s_cselect_b32 vcc_lo, -1, 0
	v_lshrrev_b32_e32 v51, 16, v29
	s_cmp_eq_u32 s1, 5
	v_cndmask_b32_e32 v52, v52, v29, vcc_lo
	s_cselect_b32 vcc_lo, -1, 0
	s_cmp_eq_u32 s1, 6
	v_cndmask_b32_e32 v53, v52, v51, vcc_lo
	s_cselect_b32 vcc_lo, -1, 0
	v_lshrrev_b32_e32 v52, 16, v33
	s_cmp_eq_u32 s1, 7
	v_cndmask_b32_e32 v53, v53, v33, vcc_lo
	s_cselect_b32 vcc_lo, -1, 0
	s_cmp_eq_u32 s1, 8
	v_cndmask_b32_e32 v54, v53, v52, vcc_lo
	;; [unrolled: 7-line block ×29, first 2 shown]
	s_cselect_b32 vcc_lo, -1, 0
	s_cmp_eq_u32 s1, 63
	v_lshrrev_b32_e32 v80, 16, v48
	v_cndmask_b32_e32 v87, v83, v48, vcc_lo
	s_cselect_b32 vcc_lo, -1, 0
	s_add_i32 s11, s4, -14
	s_cmp_eq_u32 s11, 1
	v_cndmask_b32_e32 v87, v87, v80, vcc_lo
	s_cselect_b32 s1, -1, 0
	s_cmp_eq_u32 s11, 2
	v_cndmask_b32_e64 v83, v21, v49, s1
	s_cselect_b32 s1, -1, 0
	s_cmp_eq_u32 s11, 3
	v_cndmask_b32_e64 v83, v83, v25, s1
	;; [unrolled: 3-line block ×61, first 2 shown]
	v_mad_i64_i32 v[83:84], null, v1, s9, 0
	s_cselect_b32 s1, -1, 0
	s_cmp_eq_u32 s11, 63
	v_cndmask_b32_e64 v88, v88, v48, s1
	s_cselect_b32 vcc_lo, -1, 0
	v_lshlrev_b64 v[83:84], 1, v[83:84]
	v_cndmask_b32_e32 v88, v88, v80, vcc_lo
	v_add_co_u32 v83, vcc_lo, s7, v83
	v_add_f16_e32 v87, v87, v88
	v_add_co_ci_u32_e64 v84, null, s10, v84, vcc_lo
	v_add_f16_e32 v88, v87, v86
	v_add_co_u32 v86, vcc_lo, v83, v2
	v_add_co_ci_u32_e64 v87, null, v84, v3, vcc_lo
	s_and_b32 vcc_lo, exec_lo, s0
	global_store_short v[86:87], v88, off
	s_cbranch_vccnz .LBB284_30
; %bb.29:                               ;   in Loop: Header=BB284_26 Depth=1
	v_add_co_u32 v85, vcc_lo, v81, v4
	v_add_co_ci_u32_e64 v86, null, v82, v5, vcc_lo
	global_load_ushort v85, v[85:86], off
	s_waitcnt vmcnt(0)
	v_mul_f16_e32 v85, s18, v85
.LBB284_30:                             ;   in Loop: Header=BB284_26 Depth=1
	s_add_i32 s1, s4, -13
	s_cmp_eq_u32 s1, 1
	s_cselect_b32 vcc_lo, -1, 0
	s_cmp_eq_u32 s1, 2
	v_cndmask_b32_e32 v86, v21, v49, vcc_lo
	s_cselect_b32 vcc_lo, -1, 0
	s_cmp_eq_u32 s1, 3
	v_cndmask_b32_e32 v86, v86, v25, vcc_lo
	;; [unrolled: 3-line block ×62, first 2 shown]
	s_cselect_b32 vcc_lo, -1, 0
	s_add_i32 s11, s4, -12
	s_cmp_eq_u32 s11, 1
	v_cndmask_b32_e32 v86, v86, v80, vcc_lo
	s_cselect_b32 s1, -1, 0
	s_cmp_eq_u32 s11, 2
	v_cndmask_b32_e64 v87, v21, v49, s1
	s_cselect_b32 s1, -1, 0
	s_cmp_eq_u32 s11, 3
	v_cndmask_b32_e64 v87, v87, v25, s1
	;; [unrolled: 3-line block ×61, first 2 shown]
	s_cselect_b32 s1, -1, 0
	s_cmp_eq_u32 s11, 63
	s_cselect_b32 vcc_lo, -1, 0
	v_cndmask_b32_e64 v87, v87, v48, s1
	v_cndmask_b32_e32 v87, v87, v80, vcc_lo
	v_add_f16_e32 v86, v86, v87
	v_add_co_u32 v87, vcc_lo, v83, v4
	v_add_co_ci_u32_e64 v88, null, v84, v5, vcc_lo
	v_add_f16_e32 v89, v86, v85
	v_mov_b32_e32 v85, 0
	v_mov_b32_e32 v86, 0
	s_and_b32 vcc_lo, exec_lo, s0
	global_store_short v[87:88], v89, off
	s_cbranch_vccnz .LBB284_32
; %bb.31:                               ;   in Loop: Header=BB284_26 Depth=1
	v_add_co_u32 v86, vcc_lo, v81, v6
	v_add_co_ci_u32_e64 v87, null, v82, v7, vcc_lo
	global_load_ushort v86, v[86:87], off
	s_waitcnt vmcnt(0)
	v_mul_f16_e32 v86, s18, v86
.LBB284_32:                             ;   in Loop: Header=BB284_26 Depth=1
	s_add_i32 s1, s4, -11
	s_cmp_eq_u32 s1, 1
	s_cselect_b32 vcc_lo, -1, 0
	s_cmp_eq_u32 s1, 2
	v_cndmask_b32_e32 v87, v21, v49, vcc_lo
	s_cselect_b32 vcc_lo, -1, 0
	s_cmp_eq_u32 s1, 3
	v_cndmask_b32_e32 v87, v87, v25, vcc_lo
	;; [unrolled: 3-line block ×62, first 2 shown]
	s_cselect_b32 vcc_lo, -1, 0
	s_add_i32 s11, s4, -10
	s_cmp_eq_u32 s11, 1
	v_cndmask_b32_e32 v87, v87, v80, vcc_lo
	s_cselect_b32 s1, -1, 0
	s_cmp_eq_u32 s11, 2
	v_cndmask_b32_e64 v88, v21, v49, s1
	s_cselect_b32 s1, -1, 0
	s_cmp_eq_u32 s11, 3
	v_cndmask_b32_e64 v88, v88, v25, s1
	;; [unrolled: 3-line block ×61, first 2 shown]
	s_cselect_b32 s1, -1, 0
	s_cmp_eq_u32 s11, 63
	s_cselect_b32 vcc_lo, -1, 0
	v_cndmask_b32_e64 v88, v88, v48, s1
	v_cndmask_b32_e32 v88, v88, v80, vcc_lo
	v_add_f16_e32 v87, v87, v88
	v_add_f16_e32 v88, v87, v86
	v_add_co_u32 v86, vcc_lo, v83, v6
	v_add_co_ci_u32_e64 v87, null, v84, v7, vcc_lo
	s_and_b32 vcc_lo, exec_lo, s0
	global_store_short v[86:87], v88, off
	s_cbranch_vccnz .LBB284_34
; %bb.33:                               ;   in Loop: Header=BB284_26 Depth=1
	v_add_co_u32 v85, vcc_lo, v81, v8
	v_add_co_ci_u32_e64 v86, null, v82, v9, vcc_lo
	global_load_ushort v85, v[85:86], off
	s_waitcnt vmcnt(0)
	v_mul_f16_e32 v85, s18, v85
.LBB284_34:                             ;   in Loop: Header=BB284_26 Depth=1
	s_add_i32 s1, s4, -9
	s_cmp_eq_u32 s1, 1
	s_cselect_b32 vcc_lo, -1, 0
	s_cmp_eq_u32 s1, 2
	v_cndmask_b32_e32 v86, v21, v49, vcc_lo
	s_cselect_b32 vcc_lo, -1, 0
	s_cmp_eq_u32 s1, 3
	v_cndmask_b32_e32 v86, v86, v25, vcc_lo
	;; [unrolled: 3-line block ×62, first 2 shown]
	s_cselect_b32 vcc_lo, -1, 0
	s_add_i32 s11, s4, -8
	s_cmp_eq_u32 s11, 1
	v_cndmask_b32_e32 v86, v86, v80, vcc_lo
	s_cselect_b32 s1, -1, 0
	s_cmp_eq_u32 s11, 2
	v_cndmask_b32_e64 v87, v21, v49, s1
	s_cselect_b32 s1, -1, 0
	s_cmp_eq_u32 s11, 3
	v_cndmask_b32_e64 v87, v87, v25, s1
	;; [unrolled: 3-line block ×61, first 2 shown]
	s_cselect_b32 s1, -1, 0
	s_cmp_eq_u32 s11, 63
	s_cselect_b32 vcc_lo, -1, 0
	v_cndmask_b32_e64 v87, v87, v48, s1
	v_cndmask_b32_e32 v87, v87, v80, vcc_lo
	v_add_f16_e32 v86, v86, v87
	v_add_co_u32 v87, vcc_lo, v83, v8
	v_add_co_ci_u32_e64 v88, null, v84, v9, vcc_lo
	v_add_f16_e32 v89, v86, v85
	v_mov_b32_e32 v85, 0
	v_mov_b32_e32 v86, 0
	s_and_b32 vcc_lo, exec_lo, s0
	global_store_short v[87:88], v89, off
	s_cbranch_vccnz .LBB284_36
; %bb.35:                               ;   in Loop: Header=BB284_26 Depth=1
	v_add_co_u32 v86, vcc_lo, v81, v10
	v_add_co_ci_u32_e64 v87, null, v82, v11, vcc_lo
	global_load_ushort v86, v[86:87], off
	s_waitcnt vmcnt(0)
	v_mul_f16_e32 v86, s18, v86
.LBB284_36:                             ;   in Loop: Header=BB284_26 Depth=1
	s_add_i32 s1, s4, -7
	s_cmp_eq_u32 s1, 1
	s_cselect_b32 vcc_lo, -1, 0
	s_cmp_eq_u32 s1, 2
	v_cndmask_b32_e32 v87, v21, v49, vcc_lo
	s_cselect_b32 vcc_lo, -1, 0
	s_cmp_eq_u32 s1, 3
	v_cndmask_b32_e32 v87, v87, v25, vcc_lo
	;; [unrolled: 3-line block ×62, first 2 shown]
	s_cselect_b32 vcc_lo, -1, 0
	s_add_i32 s11, s4, -6
	s_cmp_eq_u32 s11, 1
	v_cndmask_b32_e32 v87, v87, v80, vcc_lo
	s_cselect_b32 s1, -1, 0
	s_cmp_eq_u32 s11, 2
	v_cndmask_b32_e64 v88, v21, v49, s1
	s_cselect_b32 s1, -1, 0
	s_cmp_eq_u32 s11, 3
	v_cndmask_b32_e64 v88, v88, v25, s1
	;; [unrolled: 3-line block ×61, first 2 shown]
	s_cselect_b32 s1, -1, 0
	s_cmp_eq_u32 s11, 63
	s_cselect_b32 vcc_lo, -1, 0
	v_cndmask_b32_e64 v88, v88, v48, s1
	v_cndmask_b32_e32 v88, v88, v80, vcc_lo
	v_add_f16_e32 v87, v87, v88
	v_add_f16_e32 v88, v87, v86
	v_add_co_u32 v86, vcc_lo, v83, v10
	v_add_co_ci_u32_e64 v87, null, v84, v11, vcc_lo
	s_and_b32 vcc_lo, exec_lo, s0
	global_store_short v[86:87], v88, off
	s_cbranch_vccnz .LBB284_38
; %bb.37:                               ;   in Loop: Header=BB284_26 Depth=1
	v_add_co_u32 v85, vcc_lo, v81, v12
	v_add_co_ci_u32_e64 v86, null, v82, v13, vcc_lo
	global_load_ushort v85, v[85:86], off
	s_waitcnt vmcnt(0)
	v_mul_f16_e32 v85, s18, v85
.LBB284_38:                             ;   in Loop: Header=BB284_26 Depth=1
	s_add_i32 s1, s4, -5
	s_cmp_eq_u32 s1, 1
	s_cselect_b32 vcc_lo, -1, 0
	s_cmp_eq_u32 s1, 2
	v_cndmask_b32_e32 v86, v21, v49, vcc_lo
	s_cselect_b32 vcc_lo, -1, 0
	s_cmp_eq_u32 s1, 3
	v_cndmask_b32_e32 v86, v86, v25, vcc_lo
	;; [unrolled: 3-line block ×62, first 2 shown]
	s_cselect_b32 vcc_lo, -1, 0
	s_add_i32 s11, s4, -4
	s_cmp_eq_u32 s11, 1
	v_cndmask_b32_e32 v86, v86, v80, vcc_lo
	s_cselect_b32 s1, -1, 0
	s_cmp_eq_u32 s11, 2
	v_cndmask_b32_e64 v87, v21, v49, s1
	s_cselect_b32 s1, -1, 0
	s_cmp_eq_u32 s11, 3
	v_cndmask_b32_e64 v87, v87, v25, s1
	;; [unrolled: 3-line block ×61, first 2 shown]
	s_cselect_b32 s1, -1, 0
	s_cmp_eq_u32 s11, 63
	s_cselect_b32 vcc_lo, -1, 0
	v_cndmask_b32_e64 v87, v87, v48, s1
	v_cndmask_b32_e32 v87, v87, v80, vcc_lo
	v_add_f16_e32 v86, v86, v87
	v_add_co_u32 v87, vcc_lo, v83, v12
	v_add_co_ci_u32_e64 v88, null, v84, v13, vcc_lo
	v_add_f16_e32 v89, v86, v85
	v_mov_b32_e32 v85, 0
	v_mov_b32_e32 v86, 0
	s_and_b32 vcc_lo, exec_lo, s0
	global_store_short v[87:88], v89, off
	s_cbranch_vccnz .LBB284_40
; %bb.39:                               ;   in Loop: Header=BB284_26 Depth=1
	v_add_co_u32 v86, vcc_lo, v81, v14
	v_add_co_ci_u32_e64 v87, null, v82, v15, vcc_lo
	global_load_ushort v86, v[86:87], off
	s_waitcnt vmcnt(0)
	v_mul_f16_e32 v86, s18, v86
.LBB284_40:                             ;   in Loop: Header=BB284_26 Depth=1
	s_add_i32 s1, s4, -3
	s_cmp_eq_u32 s1, 1
	s_cselect_b32 vcc_lo, -1, 0
	s_cmp_eq_u32 s1, 2
	v_cndmask_b32_e32 v87, v21, v49, vcc_lo
	s_cselect_b32 vcc_lo, -1, 0
	s_cmp_eq_u32 s1, 3
	v_cndmask_b32_e32 v87, v87, v25, vcc_lo
	;; [unrolled: 3-line block ×62, first 2 shown]
	s_cselect_b32 vcc_lo, -1, 0
	s_add_i32 s11, s4, -2
	s_cmp_eq_u32 s11, 1
	v_cndmask_b32_e32 v87, v87, v80, vcc_lo
	s_cselect_b32 s1, -1, 0
	s_cmp_eq_u32 s11, 2
	v_cndmask_b32_e64 v88, v21, v49, s1
	s_cselect_b32 s1, -1, 0
	s_cmp_eq_u32 s11, 3
	v_cndmask_b32_e64 v88, v88, v25, s1
	;; [unrolled: 3-line block ×61, first 2 shown]
	s_cselect_b32 s1, -1, 0
	s_cmp_eq_u32 s11, 63
	s_cselect_b32 vcc_lo, -1, 0
	v_cndmask_b32_e64 v88, v88, v48, s1
	v_cndmask_b32_e32 v88, v88, v80, vcc_lo
	v_add_f16_e32 v87, v87, v88
	v_add_f16_e32 v88, v87, v86
	v_add_co_u32 v86, vcc_lo, v83, v14
	v_add_co_ci_u32_e64 v87, null, v84, v15, vcc_lo
	s_and_b32 vcc_lo, exec_lo, s0
	global_store_short v[86:87], v88, off
	s_cbranch_vccnz .LBB284_25
; %bb.41:                               ;   in Loop: Header=BB284_26 Depth=1
	v_add_co_u32 v81, vcc_lo, v81, v16
	v_add_co_ci_u32_e64 v82, null, v82, v17, vcc_lo
	global_load_ushort v81, v[81:82], off
	s_waitcnt vmcnt(0)
	v_mul_f16_e32 v85, s18, v81
	s_branch .LBB284_25
.LBB284_42:
	s_endpgm
	.section	.rodata,"a",@progbits
	.p2align	6, 0x0
	.amdhsa_kernel _ZN12_GLOBAL__N_120geam_min_plus_kernelIDF16_Dv2_DF16_S1_Li8ELi32ELi64ELi128ELi4ELi64ELi4ELi4ELi64ELc78ELc78ELb0ELb0ELb0EDF16_KDF16_DF16_EEviiiT16_PT17_ilS5_ilS3_S5_ilPT18_ili26rocblas_geam_ex_operation_
		.amdhsa_group_segment_fixed_size 3072
		.amdhsa_private_segment_fixed_size 0
		.amdhsa_kernarg_size 128
		.amdhsa_user_sgpr_count 6
		.amdhsa_user_sgpr_private_segment_buffer 1
		.amdhsa_user_sgpr_dispatch_ptr 0
		.amdhsa_user_sgpr_queue_ptr 0
		.amdhsa_user_sgpr_kernarg_segment_ptr 1
		.amdhsa_user_sgpr_dispatch_id 0
		.amdhsa_user_sgpr_flat_scratch_init 0
		.amdhsa_user_sgpr_private_segment_size 0
		.amdhsa_wavefront_size32 1
		.amdhsa_uses_dynamic_stack 0
		.amdhsa_system_sgpr_private_segment_wavefront_offset 0
		.amdhsa_system_sgpr_workgroup_id_x 1
		.amdhsa_system_sgpr_workgroup_id_y 0
		.amdhsa_system_sgpr_workgroup_id_z 1
		.amdhsa_system_sgpr_workgroup_info 0
		.amdhsa_system_vgpr_workitem_id 1
		.amdhsa_next_free_vgpr 127
		.amdhsa_next_free_sgpr 25
		.amdhsa_reserve_vcc 1
		.amdhsa_reserve_flat_scratch 0
		.amdhsa_float_round_mode_32 0
		.amdhsa_float_round_mode_16_64 0
		.amdhsa_float_denorm_mode_32 3
		.amdhsa_float_denorm_mode_16_64 3
		.amdhsa_dx10_clamp 1
		.amdhsa_ieee_mode 1
		.amdhsa_fp16_overflow 0
		.amdhsa_workgroup_processor_mode 1
		.amdhsa_memory_ordered 1
		.amdhsa_forward_progress 1
		.amdhsa_shared_vgpr_count 0
		.amdhsa_exception_fp_ieee_invalid_op 0
		.amdhsa_exception_fp_denorm_src 0
		.amdhsa_exception_fp_ieee_div_zero 0
		.amdhsa_exception_fp_ieee_overflow 0
		.amdhsa_exception_fp_ieee_underflow 0
		.amdhsa_exception_fp_ieee_inexact 0
		.amdhsa_exception_int_div_zero 0
	.end_amdhsa_kernel
	.section	.text._ZN12_GLOBAL__N_120geam_min_plus_kernelIDF16_Dv2_DF16_S1_Li8ELi32ELi64ELi128ELi4ELi64ELi4ELi4ELi64ELc78ELc78ELb0ELb0ELb0EDF16_KDF16_DF16_EEviiiT16_PT17_ilS5_ilS3_S5_ilPT18_ili26rocblas_geam_ex_operation_,"axG",@progbits,_ZN12_GLOBAL__N_120geam_min_plus_kernelIDF16_Dv2_DF16_S1_Li8ELi32ELi64ELi128ELi4ELi64ELi4ELi4ELi64ELc78ELc78ELb0ELb0ELb0EDF16_KDF16_DF16_EEviiiT16_PT17_ilS5_ilS3_S5_ilPT18_ili26rocblas_geam_ex_operation_,comdat
.Lfunc_end284:
	.size	_ZN12_GLOBAL__N_120geam_min_plus_kernelIDF16_Dv2_DF16_S1_Li8ELi32ELi64ELi128ELi4ELi64ELi4ELi4ELi64ELc78ELc78ELb0ELb0ELb0EDF16_KDF16_DF16_EEviiiT16_PT17_ilS5_ilS3_S5_ilPT18_ili26rocblas_geam_ex_operation_, .Lfunc_end284-_ZN12_GLOBAL__N_120geam_min_plus_kernelIDF16_Dv2_DF16_S1_Li8ELi32ELi64ELi128ELi4ELi64ELi4ELi4ELi64ELc78ELc78ELb0ELb0ELb0EDF16_KDF16_DF16_EEviiiT16_PT17_ilS5_ilS3_S5_ilPT18_ili26rocblas_geam_ex_operation_
                                        ; -- End function
	.set _ZN12_GLOBAL__N_120geam_min_plus_kernelIDF16_Dv2_DF16_S1_Li8ELi32ELi64ELi128ELi4ELi64ELi4ELi4ELi64ELc78ELc78ELb0ELb0ELb0EDF16_KDF16_DF16_EEviiiT16_PT17_ilS5_ilS3_S5_ilPT18_ili26rocblas_geam_ex_operation_.num_vgpr, 127
	.set _ZN12_GLOBAL__N_120geam_min_plus_kernelIDF16_Dv2_DF16_S1_Li8ELi32ELi64ELi128ELi4ELi64ELi4ELi4ELi64ELc78ELc78ELb0ELb0ELb0EDF16_KDF16_DF16_EEviiiT16_PT17_ilS5_ilS3_S5_ilPT18_ili26rocblas_geam_ex_operation_.num_agpr, 0
	.set _ZN12_GLOBAL__N_120geam_min_plus_kernelIDF16_Dv2_DF16_S1_Li8ELi32ELi64ELi128ELi4ELi64ELi4ELi4ELi64ELc78ELc78ELb0ELb0ELb0EDF16_KDF16_DF16_EEviiiT16_PT17_ilS5_ilS3_S5_ilPT18_ili26rocblas_geam_ex_operation_.numbered_sgpr, 25
	.set _ZN12_GLOBAL__N_120geam_min_plus_kernelIDF16_Dv2_DF16_S1_Li8ELi32ELi64ELi128ELi4ELi64ELi4ELi4ELi64ELc78ELc78ELb0ELb0ELb0EDF16_KDF16_DF16_EEviiiT16_PT17_ilS5_ilS3_S5_ilPT18_ili26rocblas_geam_ex_operation_.num_named_barrier, 0
	.set _ZN12_GLOBAL__N_120geam_min_plus_kernelIDF16_Dv2_DF16_S1_Li8ELi32ELi64ELi128ELi4ELi64ELi4ELi4ELi64ELc78ELc78ELb0ELb0ELb0EDF16_KDF16_DF16_EEviiiT16_PT17_ilS5_ilS3_S5_ilPT18_ili26rocblas_geam_ex_operation_.private_seg_size, 0
	.set _ZN12_GLOBAL__N_120geam_min_plus_kernelIDF16_Dv2_DF16_S1_Li8ELi32ELi64ELi128ELi4ELi64ELi4ELi4ELi64ELc78ELc78ELb0ELb0ELb0EDF16_KDF16_DF16_EEviiiT16_PT17_ilS5_ilS3_S5_ilPT18_ili26rocblas_geam_ex_operation_.uses_vcc, 1
	.set _ZN12_GLOBAL__N_120geam_min_plus_kernelIDF16_Dv2_DF16_S1_Li8ELi32ELi64ELi128ELi4ELi64ELi4ELi4ELi64ELc78ELc78ELb0ELb0ELb0EDF16_KDF16_DF16_EEviiiT16_PT17_ilS5_ilS3_S5_ilPT18_ili26rocblas_geam_ex_operation_.uses_flat_scratch, 0
	.set _ZN12_GLOBAL__N_120geam_min_plus_kernelIDF16_Dv2_DF16_S1_Li8ELi32ELi64ELi128ELi4ELi64ELi4ELi4ELi64ELc78ELc78ELb0ELb0ELb0EDF16_KDF16_DF16_EEviiiT16_PT17_ilS5_ilS3_S5_ilPT18_ili26rocblas_geam_ex_operation_.has_dyn_sized_stack, 0
	.set _ZN12_GLOBAL__N_120geam_min_plus_kernelIDF16_Dv2_DF16_S1_Li8ELi32ELi64ELi128ELi4ELi64ELi4ELi4ELi64ELc78ELc78ELb0ELb0ELb0EDF16_KDF16_DF16_EEviiiT16_PT17_ilS5_ilS3_S5_ilPT18_ili26rocblas_geam_ex_operation_.has_recursion, 0
	.set _ZN12_GLOBAL__N_120geam_min_plus_kernelIDF16_Dv2_DF16_S1_Li8ELi32ELi64ELi128ELi4ELi64ELi4ELi4ELi64ELc78ELc78ELb0ELb0ELb0EDF16_KDF16_DF16_EEviiiT16_PT17_ilS5_ilS3_S5_ilPT18_ili26rocblas_geam_ex_operation_.has_indirect_call, 0
	.section	.AMDGPU.csdata,"",@progbits
; Kernel info:
; codeLenInByte = 22040
; TotalNumSgprs: 27
; NumVgprs: 127
; ScratchSize: 0
; MemoryBound: 0
; FloatMode: 240
; IeeeMode: 1
; LDSByteSize: 3072 bytes/workgroup (compile time only)
; SGPRBlocks: 0
; VGPRBlocks: 15
; NumSGPRsForWavesPerEU: 27
; NumVGPRsForWavesPerEU: 127
; Occupancy: 8
; WaveLimiterHint : 0
; COMPUTE_PGM_RSRC2:SCRATCH_EN: 0
; COMPUTE_PGM_RSRC2:USER_SGPR: 6
; COMPUTE_PGM_RSRC2:TRAP_HANDLER: 0
; COMPUTE_PGM_RSRC2:TGID_X_EN: 1
; COMPUTE_PGM_RSRC2:TGID_Y_EN: 0
; COMPUTE_PGM_RSRC2:TGID_Z_EN: 1
; COMPUTE_PGM_RSRC2:TIDIG_COMP_CNT: 1
	.section	.text._ZN12_GLOBAL__N_120geam_min_plus_kernelIDF16_Dv2_DF16_S1_Li8ELi32ELi64ELi128ELi4ELi64ELi4ELi4ELi64ELc78ELc78ELb0ELb1ELb0EPKDF16_S2_DF16_EEviiiT16_PT17_ilS6_ilS4_S6_ilPT18_ili26rocblas_geam_ex_operation_,"axG",@progbits,_ZN12_GLOBAL__N_120geam_min_plus_kernelIDF16_Dv2_DF16_S1_Li8ELi32ELi64ELi128ELi4ELi64ELi4ELi4ELi64ELc78ELc78ELb0ELb1ELb0EPKDF16_S2_DF16_EEviiiT16_PT17_ilS6_ilS4_S6_ilPT18_ili26rocblas_geam_ex_operation_,comdat
	.globl	_ZN12_GLOBAL__N_120geam_min_plus_kernelIDF16_Dv2_DF16_S1_Li8ELi32ELi64ELi128ELi4ELi64ELi4ELi4ELi64ELc78ELc78ELb0ELb1ELb0EPKDF16_S2_DF16_EEviiiT16_PT17_ilS6_ilS4_S6_ilPT18_ili26rocblas_geam_ex_operation_ ; -- Begin function _ZN12_GLOBAL__N_120geam_min_plus_kernelIDF16_Dv2_DF16_S1_Li8ELi32ELi64ELi128ELi4ELi64ELi4ELi4ELi64ELc78ELc78ELb0ELb1ELb0EPKDF16_S2_DF16_EEviiiT16_PT17_ilS6_ilS4_S6_ilPT18_ili26rocblas_geam_ex_operation_
	.p2align	8
	.type	_ZN12_GLOBAL__N_120geam_min_plus_kernelIDF16_Dv2_DF16_S1_Li8ELi32ELi64ELi128ELi4ELi64ELi4ELi4ELi64ELc78ELc78ELb0ELb1ELb0EPKDF16_S2_DF16_EEviiiT16_PT17_ilS6_ilS4_S6_ilPT18_ili26rocblas_geam_ex_operation_,@function
_ZN12_GLOBAL__N_120geam_min_plus_kernelIDF16_Dv2_DF16_S1_Li8ELi32ELi64ELi128ELi4ELi64ELi4ELi4ELi64ELc78ELc78ELb0ELb1ELb0EPKDF16_S2_DF16_EEviiiT16_PT17_ilS6_ilS4_S6_ilPT18_ili26rocblas_geam_ex_operation_: ; @_ZN12_GLOBAL__N_120geam_min_plus_kernelIDF16_Dv2_DF16_S1_Li8ELi32ELi64ELi128ELi4ELi64ELi4ELi4ELi64ELc78ELc78ELb0ELb1ELb0EPKDF16_S2_DF16_EEviiiT16_PT17_ilS6_ilS4_S6_ilPT18_ili26rocblas_geam_ex_operation_
; %bb.0:
	s_clause 0x1
	s_load_dwordx4 s[0:3], s[4:5], 0x10
	s_load_dwordx4 s[8:11], s[4:5], 0x40
	s_mov_b32 s18, s7
	s_mov_b32 s19, 0
	v_mov_b32_e32 v2, 0
	s_lshl_b64 s[20:21], s[18:19], 1
	s_clause 0x1
	s_load_dwordx4 s[12:15], s[4:5], 0x28
	s_load_dwordx2 s[16:17], s[4:5], 0x50
	s_mov_b64 s[22:23], 0
	s_waitcnt lgkmcnt(0)
	s_add_u32 s0, s0, s20
	s_addc_u32 s1, s1, s21
	global_load_ushort v34, v2, s[0:1]
	s_add_u32 s0, s10, s20
	s_addc_u32 s1, s11, s21
	s_mov_b64 s[20:21], 0
	global_load_ushort v42, v2, s[0:1]
	s_waitcnt vmcnt(1)
	v_cmp_eq_f16_e32 vcc_lo, 0, v34
	v_cmp_neq_f16_e64 s1, 0, v34
	s_cbranch_vccnz .LBB285_2
; %bb.1:
	s_mul_i32 s0, s13, s18
	s_mul_hi_u32 s7, s12, s18
	s_mul_i32 s10, s12, s18
	s_add_i32 s11, s7, s0
	s_lshl_b64 s[10:11], s[10:11], 1
	s_add_u32 s22, s2, s10
	s_addc_u32 s23, s3, s11
.LBB285_2:
	s_andn2_b32 vcc_lo, exec_lo, s1
	s_cbranch_vccnz .LBB285_4
; %bb.3:
	s_mul_i32 s0, s9, s18
	s_mul_hi_u32 s2, s8, s18
	s_add_i32 s3, s2, s0
	s_mul_i32 s2, s8, s18
	s_lshl_b64 s[2:3], s[2:3], 1
	s_add_u32 s20, s14, s2
	s_addc_u32 s21, s15, s3
.LBB285_4:
	s_load_dwordx4 s[8:11], s[4:5], 0x60
	s_waitcnt vmcnt(0)
	v_cmp_eq_f16_e32 vcc_lo, 0, v42
	v_cmp_neq_f16_e64 s0, 0, v42
	s_cbranch_vccnz .LBB285_6
; %bb.5:
	s_waitcnt lgkmcnt(0)
	s_mul_i32 s2, s9, s18
	s_mul_hi_u32 s3, s8, s18
	s_add_i32 s3, s3, s2
	s_mul_i32 s2, s8, s18
	s_lshl_b64 s[2:3], s[2:3], 1
	s_add_u32 s16, s16, s2
	s_addc_u32 s17, s17, s3
	s_branch .LBB285_7
.LBB285_6:
	s_mov_b64 s[16:17], 0
.LBB285_7:
	s_load_dwordx4 s[12:15], s[4:5], 0x0
	s_waitcnt lgkmcnt(0)
	s_load_dword s8, s[4:5], 0x20
	v_lshl_add_u32 v4, v1, 3, v0
	v_mov_b32_e32 v10, 0
	v_mov_b32_e32 v11, 0
	v_and_b32_e32 v9, 63, v4
	v_lshrrev_b32_e32 v35, 6, v4
	s_add_i32 s2, s12, -1
	s_waitcnt lgkmcnt(0)
	s_ashr_i32 s9, s8, 31
	s_ashr_i32 s3, s2, 31
	s_lshr_b32 s3, s3, 26
	s_add_i32 s2, s2, s3
	s_ashr_i32 s2, s2, 6
	s_add_i32 s7, s2, 1
	s_not_b32 s2, s2
	v_cvt_f32_u32_e32 v2, s7
	v_rcp_iflag_f32_e32 v2, v2
	v_mul_f32_e32 v2, 0x4f7ffffe, v2
	v_cvt_u32_f32_e32 v2, v2
	v_readfirstlane_b32 s3, v2
	s_mul_i32 s2, s2, s3
	s_mul_hi_u32 s2, s3, s2
	s_add_i32 s3, s3, s2
	s_mul_hi_u32 s2, s6, s3
	s_mul_i32 s3, s2, s7
	s_add_i32 s15, s2, 1
	s_sub_i32 s3, s6, s3
	s_sub_i32 s19, s3, s7
	s_cmp_ge_u32 s3, s7
	s_cselect_b32 s2, s15, s2
	s_cselect_b32 s3, s19, s3
	s_add_i32 s15, s2, 1
	s_cmp_ge_u32 s3, s7
	s_cselect_b32 s3, s15, s2
	s_mul_i32 s2, s3, s7
	s_sub_i32 s2, s6, s2
	s_lshl_b32 s15, s2, 6
	v_cmp_gt_i32_e64 s2, s14, v35
	v_or_b32_e32 v2, s15, v9
	v_cmp_gt_i32_e32 vcc_lo, s12, v2
	v_ashrrev_i32_e32 v3, 31, v2
	s_and_b32 s2, s2, vcc_lo
	s_and_b32 s2, s1, s2
	s_and_saveexec_b32 s6, s2
	s_cbranch_execz .LBB285_9
; %bb.8:
	v_mad_i64_i32 v[5:6], null, s8, v35, 0
	v_lshlrev_b64 v[7:8], 1, v[2:3]
	v_lshlrev_b64 v[5:6], 1, v[5:6]
	v_add_co_u32 v5, s2, s22, v5
	v_add_co_ci_u32_e64 v6, null, s23, v6, s2
	v_add_co_u32 v5, s2, v5, v7
	v_add_co_ci_u32_e64 v6, null, v6, v8, s2
	global_load_ushort v5, v[5:6], off
	s_waitcnt vmcnt(0)
	v_mul_f16_e32 v11, v34, v5
.LBB285_9:
	s_or_b32 exec_lo, exec_lo, s6
	v_and_b32_e32 v36, 3, v0
	s_add_i32 s24, s14, -1
	s_load_dword s7, s[4:5], 0x38
	v_lshrrev_b32_e32 v12, 2, v4
	s_lshl_b32 s19, s3, 7
	v_min_i32_e32 v5, s24, v36
	v_cmp_le_i32_e64 s2, s14, v36
	s_xor_b32 s26, s1, -1
	v_add_nc_u32_e32 v4, s19, v12
	v_ashrrev_i32_e32 v6, 31, v5
	v_cmp_le_i32_e64 s3, s13, v4
	v_lshlrev_b64 v[5:6], 1, v[5:6]
	s_or_b32 s25, s3, s26
	s_nor_b32 s3, s2, s25
	v_add_co_u32 v7, s6, s20, v5
	v_add_co_ci_u32_e64 v8, null, s21, v6, s6
	s_and_saveexec_b32 s6, s3
	s_cbranch_execz .LBB285_11
; %bb.10:
	s_waitcnt lgkmcnt(0)
	v_mad_i64_i32 v[5:6], null, v4, s7, 0
	v_lshlrev_b64 v[5:6], 1, v[5:6]
	v_add_co_u32 v5, s3, v7, v5
	v_add_co_ci_u32_e64 v6, null, v8, v6, s3
	global_load_ushort v5, v[5:6], off
	s_waitcnt vmcnt(0)
	v_mul_f16_e32 v10, v34, v5
.LBB285_11:
	s_or_b32 exec_lo, exec_lo, s6
	v_add_nc_u32_e32 v5, 64, v4
	v_mov_b32_e32 v6, 0
	v_mov_b32_e32 v13, 0
	v_cmp_le_i32_e64 s3, s13, v5
	s_or_b32 s26, s3, s26
	s_nor_b32 s2, s2, s26
	s_and_saveexec_b32 s3, s2
	s_cbranch_execz .LBB285_13
; %bb.12:
	s_waitcnt lgkmcnt(0)
	v_mad_i64_i32 v[13:14], null, v5, s7, 0
	v_lshlrev_b64 v[13:14], 1, v[13:14]
	v_add_co_u32 v7, s2, v7, v13
	v_add_co_ci_u32_e64 v8, null, v8, v14, s2
	global_load_ushort v7, v[7:8], off
	s_waitcnt vmcnt(0)
	v_mul_f16_e32 v13, v34, v7
.LBB285_13:
	s_or_b32 exec_lo, exec_lo, s3
	v_add_nc_u32_e32 v7, 4, v35
	v_cmp_gt_i32_e64 s2, s14, v7
	s_and_b32 s2, vcc_lo, s2
	s_and_b32 s2, s1, s2
	s_and_saveexec_b32 s3, s2
	s_cbranch_execz .LBB285_15
; %bb.14:
	v_mad_u64_u32 v[14:15], null, s8, v7, 0
	v_mov_b32_e32 v6, v15
	v_mad_u64_u32 v[6:7], null, s9, v7, v[6:7]
	v_mov_b32_e32 v15, v6
	v_lshlrev_b64 v[6:7], 1, v[14:15]
	v_lshlrev_b64 v[14:15], 1, v[2:3]
	v_add_co_u32 v6, s2, s22, v6
	v_add_co_ci_u32_e64 v7, null, s23, v7, s2
	v_add_co_u32 v6, s2, v6, v14
	v_add_co_ci_u32_e64 v7, null, v7, v15, s2
	global_load_ushort v6, v[6:7], off
	s_waitcnt vmcnt(0)
	v_mul_f16_e32 v6, v34, v6
.LBB285_15:
	s_or_b32 exec_lo, exec_lo, s3
	v_or_b32_e32 v16, 4, v36
	v_min_i32_e32 v7, s24, v16
	v_cmp_le_i32_e64 s2, s14, v16
	v_ashrrev_i32_e32 v8, 31, v7
	v_lshlrev_b64 v[14:15], 1, v[7:8]
	v_mov_b32_e32 v7, 0
	v_mov_b32_e32 v8, 0
	v_add_co_u32 v14, s3, s20, v14
	v_add_co_ci_u32_e64 v15, null, s21, v15, s3
	s_nor_b32 s3, s2, s25
	s_and_saveexec_b32 s6, s3
	s_cbranch_execz .LBB285_17
; %bb.16:
	s_waitcnt lgkmcnt(0)
	v_mad_i64_i32 v[16:17], null, v4, s7, 0
	v_lshlrev_b64 v[16:17], 1, v[16:17]
	v_add_co_u32 v16, s3, v14, v16
	v_add_co_ci_u32_e64 v17, null, v15, v17, s3
	global_load_ushort v8, v[16:17], off
	s_waitcnt vmcnt(0)
	v_mul_f16_e32 v8, v34, v8
.LBB285_17:
	s_or_b32 exec_lo, exec_lo, s6
	s_nor_b32 s2, s2, s26
	s_and_saveexec_b32 s3, s2
	s_cbranch_execz .LBB285_19
; %bb.18:
	s_waitcnt lgkmcnt(0)
	v_mad_i64_i32 v[16:17], null, v5, s7, 0
	v_lshlrev_b64 v[16:17], 1, v[16:17]
	v_add_co_u32 v14, s2, v14, v16
	v_add_co_ci_u32_e64 v15, null, v15, v17, s2
	global_load_ushort v7, v[14:15], off
	s_waitcnt vmcnt(0)
	v_mul_f16_e32 v7, v34, v7
.LBB285_19:
	s_or_b32 exec_lo, exec_lo, s3
	v_lshlrev_b32_e32 v9, 3, v9
	v_lshlrev_b32_e32 v12, 3, v12
	;; [unrolled: 1-line block ×4, first 2 shown]
	s_mov_b32 s27, 0
	v_lshl_add_u32 v9, v35, 1, v9
	v_lshl_or_b32 v39, v36, 1, v12
	v_add_nc_u32_e32 v30, 0x800, v38
	s_cmp_lt_i32 s14, 9
	ds_write_b16 v9, v11 offset:2048
	ds_write_b16 v39, v10
	ds_write_b16 v39, v13 offset:512
	s_waitcnt lgkmcnt(0)
	s_barrier
	buffer_gl0_inv
	ds_read2_b64 v[10:13], v37 offset1:32
	ds_read2_b64 v[14:17], v30 offset0:48 offset1:56
	ds_read2_b64 v[18:21], v37 offset0:64 offset1:96
	ds_read2_b64 v[22:25], v30 offset1:8
	ds_read2_b64 v[26:29], v30 offset0:16 offset1:24
	ds_read2_b64 v[30:33], v30 offset0:32 offset1:40
	ds_write_b16 v9, v6 offset:2560
	ds_write_b16 v39, v8 offset:1024
	;; [unrolled: 1-line block ×3, first 2 shown]
	s_waitcnt lgkmcnt(0)
	s_barrier
	buffer_gl0_inv
	v_pk_max_f16 v10, v10, v10
	v_pk_max_f16 v16, v16, v16
	;; [unrolled: 1-line block ×6, first 2 shown]
	v_pk_min_f16 v40, v16, v10
	v_pk_max_f16 v22, v22, v22
	v_pk_max_f16 v20, v20, v20
	;; [unrolled: 1-line block ×4, first 2 shown]
	v_pk_min_f16 v41, v16, v12
	v_pk_max_f16 v28, v28, v28
	v_pk_max_f16 v30, v30, v30
	;; [unrolled: 1-line block ×5, first 2 shown]
	v_pk_add_f16 v40, v40, 0
	v_pk_min_f16 v51, v17, v11
	v_pk_min_f16 v43, v16, v18
	;; [unrolled: 1-line block ×19, first 2 shown]
	v_pk_max_f16 v19, v19, v19
	v_pk_max_f16 v21, v21, v21
	v_pk_min_f16 v60, v30, v12
	v_pk_min_f16 v61, v30, v18
	v_pk_max_f16 v23, v23, v23
	v_pk_min_f16 v30, v30, v20
	v_pk_min_f16 v62, v32, v10
	;; [unrolled: 1-line block ×10, first 2 shown]
	v_pk_add_f16 v69, v40, v51
	v_pk_add_f16 v20, v41, 0
	v_pk_min_f16 v40, v17, v13
	v_pk_max_f16 v25, v25, v25
	v_pk_add_f16 v41, v43, 0
	v_pk_min_f16 v43, v17, v19
	v_pk_min_f16 v58, v23, v11
	;; [unrolled: 1-line block ×4, first 2 shown]
	v_pk_add_f16 v59, v20, v40
	v_pk_add_f16 v20, v22, 0
	v_pk_min_f16 v23, v23, v21
	v_pk_add_f16 v51, v41, v43
	v_pk_add_f16 v22, v47, 0
	v_pk_add_f16 v43, v50, 0
	v_pk_add_f16 v44, v44, 0
	v_pk_add_f16 v50, v20, v23
	v_pk_min_f16 v20, v25, v11
	v_pk_add_f16 v46, v46, 0
	v_pk_add_f16 v40, v48, 0
	v_pk_max_f16 v27, v27, v27
	v_pk_add_f16 v74, v44, v58
	v_pk_add_f16 v73, v22, v20
	v_pk_min_f16 v20, v25, v13
	v_pk_add_f16 v58, v46, v66
	v_pk_add_f16 v41, v49, 0
	;; [unrolled: 1-line block ×3, first 2 shown]
	v_pk_max_f16 v29, v29, v29
	v_pk_add_f16 v66, v40, v20
	v_pk_min_f16 v20, v25, v19
	v_pk_min_f16 v25, v25, v21
	v_pk_add_f16 v45, v45, 0
	v_pk_add_f16 v44, v52, 0
	;; [unrolled: 1-line block ×5, first 2 shown]
	v_pk_min_f16 v20, v27, v11
	v_pk_min_f16 v24, v27, v13
	v_pk_add_f16 v67, v45, v65
	v_pk_add_f16 v45, v53, 0
	;; [unrolled: 1-line block ×6, first 2 shown]
	v_pk_min_f16 v20, v27, v19
	v_pk_min_f16 v24, v27, v21
	;; [unrolled: 1-line block ×3, first 2 shown]
	v_pk_add_f16 v46, v55, 0
	v_pk_add_f16 v47, v56, 0
	;; [unrolled: 1-line block ×6, first 2 shown]
	v_pk_min_f16 v20, v29, v13
	v_pk_min_f16 v23, v29, v19
	;; [unrolled: 1-line block ×3, first 2 shown]
	v_pk_max_f16 v26, v31, v31
	v_pk_add_f16 v52, v60, 0
	v_pk_add_f16 v53, v61, 0
	v_pk_add_f16 v61, v64, 0
	v_pk_add_f16 v64, v46, v20
	v_pk_add_f16 v55, v47, v23
	v_pk_add_f16 v47, v28, v24
	v_pk_min_f16 v20, v26, v11
	v_pk_min_f16 v23, v26, v13
	;; [unrolled: 1-line block ×3, first 2 shown]
	v_pk_max_f16 v27, v33, v33
	v_pk_max_f16 v15, v15, v15
	v_pk_add_f16 v30, v30, 0
	v_pk_add_f16 v40, v62, 0
	;; [unrolled: 1-line block ×9, first 2 shown]
	v_pk_min_f16 v26, v26, v21
	v_pk_add_f16 v70, v22, v20
	v_pk_add_f16 v63, v52, v23
	;; [unrolled: 1-line block ×3, first 2 shown]
	v_pk_min_f16 v20, v27, v11
	v_pk_min_f16 v22, v27, v13
	;; [unrolled: 1-line block ×9, first 2 shown]
	v_pk_add_f16 v46, v30, v26
	v_pk_add_f16 v41, v40, v20
	;; [unrolled: 1-line block ×10, first 2 shown]
	s_cbranch_scc1 .LBB285_34
; %bb.20:
	v_add_nc_u32_e32 v6, v37, v0
	v_or_b32_e32 v60, 0x800, v9
	v_add_nc_u32_e32 v75, 0xa00, v9
	v_lshlrev_b64 v[2:3], 1, v[2:3]
	v_or_b32_e32 v68, 0x800, v38
	v_lshrrev_b32_e32 v6, 6, v6
	v_add_nc_u32_e32 v76, 0x400, v39
	v_lshl_add_u32 v77, v0, 3, 0xa00
	v_add_nc_u32_e32 v80, 0x400, v37
	v_add_co_u32 v78, s2, s22, v2
	v_add_nc_u32_e32 v8, 12, v6
	v_add_nc_u32_e32 v10, 8, v6
	v_mad_i64_i32 v[6:7], null, v4, s7, 0
	v_mad_i64_i32 v[4:5], null, v5, s7, 0
	;; [unrolled: 1-line block ×4, first 2 shown]
	v_lshlrev_b64 v[30:31], 1, v[6:7]
	v_add_co_ci_u32_e64 v79, null, s23, v3, s2
	v_lshlrev_b64 v[32:33], 1, v[4:5]
	v_lshlrev_b64 v[26:27], 1, v[8:9]
	s_add_i32 s22, s14, -8
	v_lshlrev_b64 v[28:29], 1, v[10:11]
	s_lshl_b64 s[6:7], s[8:9], 4
	s_branch .LBB285_22
.LBB285_21:                             ;   in Loop: Header=BB285_22 Depth=1
	s_or_b32 exec_lo, exec_lo, s3
	v_pk_max_f16 v4, v4, v4
	v_pk_max_f16 v22, v22, v22
	v_pk_max_f16 v24, v24, v24
	v_pk_max_f16 v18, v18, v18
	v_pk_max_f16 v20, v20, v20
	v_pk_max_f16 v10, v10, v10
	v_pk_max_f16 v14, v14, v14
	v_pk_min_f16 v84, v4, v22
	v_pk_min_f16 v85, v4, v24
	;; [unrolled: 1-line block ×3, first 2 shown]
	v_pk_max_f16 v16, v16, v16
	v_pk_min_f16 v93, v10, v22
	v_pk_max_f16 v12, v12, v12
	v_pk_min_f16 v94, v10, v24
	v_pk_min_f16 v95, v10, v18
	;; [unrolled: 1-line block ×3, first 2 shown]
	v_pk_max_f16 v6, v6, v6
	v_pk_max_f16 v23, v23, v23
	;; [unrolled: 1-line block ×15, first 2 shown]
	v_pk_min_f16 v87, v14, v22
	v_pk_min_f16 v88, v14, v24
	;; [unrolled: 1-line block ×57, first 2 shown]
	v_pk_add_f16 v3, v69, v84
	v_pk_add_f16 v5, v59, v85
	;; [unrolled: 1-line block ×18, first 2 shown]
	ds_read2_b64 v[2:5], v68 offset0:48 offset1:56
	ds_read2_b64 v[6:9], v37 offset1:32
	v_pk_add_f16 v71, v10, v11
	ds_read2_b64 v[10:13], v37 offset0:64 offset1:96
	v_pk_add_f16 v69, v70, v99
	v_pk_add_f16 v24, v61, v24
	;; [unrolled: 1-line block ×5, first 2 shown]
	ds_read2_b64 v[14:17], v68 offset1:8
	v_pk_add_f16 v59, v74, v87
	v_pk_add_f16 v58, v58, v89
	;; [unrolled: 1-line block ×9, first 2 shown]
	ds_read2_b64 v[18:21], v68 offset0:16 offset1:24
	s_waitcnt lgkmcnt(4)
	v_pk_max_f16 v4, v4, v4
	s_waitcnt lgkmcnt(3)
	v_pk_max_f16 v6, v6, v6
	v_pk_max_f16 v8, v8, v8
	s_waitcnt lgkmcnt(2)
	v_pk_max_f16 v10, v10, v10
	v_pk_add_f16 v58, v58, v106
	v_pk_max_f16 v12, v12, v12
	v_pk_min_f16 v22, v4, v6
	v_pk_min_f16 v23, v4, v8
	;; [unrolled: 1-line block ×3, first 2 shown]
	s_waitcnt lgkmcnt(1)
	v_pk_max_f16 v14, v14, v14
	v_pk_max_f16 v16, v16, v16
	v_pk_add_f16 v44, v44, v22
	v_pk_add_f16 v52, v52, v23
	;; [unrolled: 1-line block ×3, first 2 shown]
	v_pk_min_f16 v22, v14, v6
	v_pk_min_f16 v23, v14, v8
	;; [unrolled: 1-line block ×3, first 2 shown]
	v_pk_add_f16 v66, v66, v91
	v_pk_add_f16 v50, v50, v107
	;; [unrolled: 1-line block ×5, first 2 shown]
	ds_read2_b64 v[22:25], v68 offset0:32 offset1:40
	v_pk_min_f16 v14, v14, v12
	v_pk_min_f16 v59, v16, v6
	s_waitcnt lgkmcnt(1)
	v_pk_max_f16 v18, v18, v18
	v_pk_add_f16 v65, v65, v94
	v_pk_add_f16 v66, v66, v108
	;; [unrolled: 1-line block ×4, first 2 shown]
	v_pk_min_f16 v67, v16, v8
	v_pk_min_f16 v85, v16, v10
	;; [unrolled: 1-line block ×3, first 2 shown]
	v_pk_add_f16 v86, v50, v59
	v_pk_min_f16 v50, v18, v6
	v_pk_max_f16 v20, v20, v20
	v_pk_add_f16 v57, v57, v92
	v_pk_add_f16 v65, v65, v111
	;; [unrolled: 1-line block ×5, first 2 shown]
	v_pk_min_f16 v59, v18, v8
	v_pk_min_f16 v67, v18, v10
	;; [unrolled: 1-line block ×3, first 2 shown]
	v_pk_add_f16 v70, v49, v50
	v_pk_min_f16 v49, v20, v6
	s_waitcnt lgkmcnt(0)
	v_pk_max_f16 v22, v22, v22
	v_pk_add_f16 v63, v63, v100
	v_pk_add_f16 v57, v57, v109
	;; [unrolled: 1-line block ×6, first 2 shown]
	v_pk_min_f16 v50, v20, v8
	v_pk_min_f16 v59, v20, v10
	v_pk_min_f16 v20, v20, v12
	v_pk_add_f16 v71, v48, v49
	v_pk_min_f16 v48, v22, v6
	v_pk_add_f16 v63, v63, v118
	v_pk_add_f16 v46, v46, v120
	;; [unrolled: 1-line block ×4, first 2 shown]
	v_pk_min_f16 v47, v22, v8
	v_pk_max_f16 v24, v24, v24
	v_pk_add_f16 v85, v69, v48
	v_pk_min_f16 v48, v22, v10
	v_pk_min_f16 v22, v22, v12
	v_pk_max_f16 v2, v2, v2
	v_pk_max_f16 v5, v5, v5
	;; [unrolled: 1-line block ×3, first 2 shown]
	v_pk_add_f16 v55, v55, v98
	v_pk_add_f16 v40, v40, v125
	;; [unrolled: 1-line block ×3, first 2 shown]
	v_pk_min_f16 v47, v24, v6
	v_pk_min_f16 v49, v24, v8
	v_pk_add_f16 v22, v46, v22
	v_pk_min_f16 v46, v24, v10
	v_pk_min_f16 v24, v24, v12
	;; [unrolled: 1-line block ×6, first 2 shown]
	v_pk_max_f16 v9, v9, v9
	v_pk_min_f16 v4, v4, v12
	v_pk_max_f16 v11, v11, v11
	v_pk_min_f16 v12, v5, v7
	v_pk_add_f16 v64, v64, v97
	v_pk_add_f16 v55, v55, v115
	;; [unrolled: 1-line block ×3, first 2 shown]
	v_pk_min_f16 v40, v5, v9
	v_pk_add_f16 v4, v43, v4
	v_pk_min_f16 v43, v5, v11
	v_pk_max_f16 v15, v15, v15
	v_pk_add_f16 v69, v44, v12
	v_pk_max_f16 v12, v13, v13
	v_pk_add_f16 v56, v56, v95
	v_pk_add_f16 v62, v62, v103
	;; [unrolled: 1-line block ×6, first 2 shown]
	v_pk_min_f16 v13, v15, v7
	v_pk_min_f16 v40, v15, v9
	;; [unrolled: 1-line block ×4, first 2 shown]
	v_pk_max_f16 v17, v17, v17
	v_pk_add_f16 v54, v54, v101
	v_pk_add_f16 v56, v56, v112
	;; [unrolled: 1-line block ×7, first 2 shown]
	v_pk_min_f16 v13, v17, v7
	v_pk_min_f16 v14, v17, v9
	;; [unrolled: 1-line block ×4, first 2 shown]
	v_pk_max_f16 v19, v19, v19
	v_pk_add_f16 v41, v41, v102
	v_pk_add_f16 v54, v54, v119
	;; [unrolled: 1-line block ×9, first 2 shown]
	v_pk_min_f16 v13, v19, v7
	v_pk_min_f16 v14, v19, v9
	;; [unrolled: 1-line block ×4, first 2 shown]
	v_pk_max_f16 v17, v21, v21
	v_pk_add_f16 v53, v53, v104
	v_pk_add_f16 v41, v41, v121
	;; [unrolled: 1-line block ×8, first 2 shown]
	v_pk_min_f16 v13, v17, v7
	v_pk_min_f16 v14, v17, v9
	;; [unrolled: 1-line block ×4, first 2 shown]
	v_pk_max_f16 v17, v23, v23
	v_pk_add_f16 v53, v53, v123
	v_pk_add_f16 v45, v45, v124
	;; [unrolled: 1-line block ×7, first 2 shown]
	v_pk_min_f16 v13, v17, v7
	v_pk_min_f16 v14, v17, v9
	;; [unrolled: 1-line block ×4, first 2 shown]
	v_pk_max_f16 v17, v25, v25
	v_pk_max_f16 v3, v3, v3
	v_pk_add_f16 v53, v53, v46
	v_pk_add_f16 v24, v45, v24
	;; [unrolled: 1-line block ×6, first 2 shown]
	v_pk_min_f16 v13, v17, v7
	v_pk_min_f16 v14, v17, v9
	;; [unrolled: 1-line block ×9, first 2 shown]
	v_add_co_u32 v78, s2, v78, s6
	v_pk_add_f16 v67, v61, v40
	v_pk_add_f16 v58, v58, v43
	;; [unrolled: 1-line block ×11, first 2 shown]
	v_add_co_ci_u32_e64 v79, null, s7, v79, s2
	s_add_i32 s27, s27, 8
	ds_write_b16 v75, v81
	ds_write_b16 v76, v83
	ds_write_b16 v76, v82 offset:512
	s_cmp_ge_i32 s27, s22
	s_waitcnt lgkmcnt(0)
	s_barrier
	buffer_gl0_inv
	s_cbranch_scc1 .LBB285_34
.LBB285_22:                             ; =>This Inner Loop Header: Depth=1
	v_add_nc_u32_e32 v83, s27, v35
	v_mov_b32_e32 v84, 0
	v_mov_b32_e32 v85, 0
	v_add_nc_u32_e32 v2, 8, v83
	v_cmp_gt_i32_e64 s2, s14, v2
	s_and_b32 s2, vcc_lo, s2
	s_and_b32 s2, s1, s2
	s_and_saveexec_b32 s3, s2
	s_cbranch_execz .LBB285_24
; %bb.23:                               ;   in Loop: Header=BB285_22 Depth=1
	v_add_co_u32 v2, s2, v78, v28
	v_add_co_ci_u32_e64 v3, null, v79, v29, s2
	global_load_ushort v2, v[2:3], off
	s_waitcnt vmcnt(0)
	v_mul_f16_e32 v85, v34, v2
.LBB285_24:                             ;   in Loop: Header=BB285_22 Depth=1
	s_or_b32 exec_lo, exec_lo, s3
	v_add_nc_u32_e32 v82, s27, v36
	v_add_nc_u32_e32 v4, 8, v82
	v_min_i32_e32 v2, s24, v4
	v_cmp_le_i32_e64 s2, s14, v4
	v_ashrrev_i32_e32 v3, 31, v2
	v_lshlrev_b64 v[2:3], 1, v[2:3]
	v_add_co_u32 v2, s3, s20, v2
	v_add_co_ci_u32_e64 v3, null, s21, v3, s3
	s_nor_b32 s3, s25, s2
	s_and_saveexec_b32 s8, s3
	s_cbranch_execz .LBB285_26
; %bb.25:                               ;   in Loop: Header=BB285_22 Depth=1
	v_add_co_u32 v4, s3, v2, v30
	v_add_co_ci_u32_e64 v5, null, v3, v31, s3
	global_load_ushort v4, v[4:5], off
	s_waitcnt vmcnt(0)
	v_mul_f16_e32 v84, v34, v4
.LBB285_26:                             ;   in Loop: Header=BB285_22 Depth=1
	s_or_b32 exec_lo, exec_lo, s8
	v_mov_b32_e32 v81, 0
	v_mov_b32_e32 v86, 0
	s_nor_b32 s2, s26, s2
	s_and_saveexec_b32 s3, s2
	s_cbranch_execz .LBB285_28
; %bb.27:                               ;   in Loop: Header=BB285_22 Depth=1
	v_add_co_u32 v2, s2, v2, v32
	v_add_co_ci_u32_e64 v3, null, v3, v33, s2
	global_load_ushort v2, v[2:3], off
	s_waitcnt vmcnt(0)
	v_mul_f16_e32 v86, v34, v2
.LBB285_28:                             ;   in Loop: Header=BB285_22 Depth=1
	s_or_b32 exec_lo, exec_lo, s3
	ds_read2_b64 v[2:5], v77 offset0:48 offset1:56
	ds_read2_b64 v[18:21], v80 offset0:64 offset1:96
	ds_read2_b64 v[22:25], v80 offset1:32
	ds_read2_b64 v[14:17], v77 offset1:8
	ds_read2_b64 v[10:13], v77 offset0:16 offset1:24
	ds_read2_b64 v[6:9], v77 offset0:32 offset1:40
	v_add_nc_u32_e32 v83, 12, v83
	ds_write_b16 v60, v85
	ds_write_b16 v39, v84
	ds_write_b16 v39, v86 offset:512
	s_waitcnt lgkmcnt(0)
	s_barrier
	buffer_gl0_inv
	v_cmp_gt_i32_e64 s2, s14, v83
	s_and_b32 s2, vcc_lo, s2
	s_and_b32 s2, s1, s2
	s_and_saveexec_b32 s3, s2
	s_xor_b32 s3, exec_lo, s3
	s_cbranch_execz .LBB285_30
; %bb.29:                               ;   in Loop: Header=BB285_22 Depth=1
	v_add_co_u32 v83, s2, v78, v26
	v_add_co_ci_u32_e64 v84, null, v79, v27, s2
	global_load_ushort v81, v[83:84], off
	s_waitcnt vmcnt(0)
	v_mul_f16_e32 v81, v34, v81
.LBB285_30:                             ;   in Loop: Header=BB285_22 Depth=1
	s_or_b32 exec_lo, exec_lo, s3
	v_add_nc_u32_e32 v86, 12, v82
	v_min_i32_e32 v82, s24, v86
	v_cmp_le_i32_e64 s2, s14, v86
	v_ashrrev_i32_e32 v83, 31, v82
	v_lshlrev_b64 v[84:85], 1, v[82:83]
	v_mov_b32_e32 v82, 0
	v_mov_b32_e32 v83, 0
	v_add_co_u32 v84, s3, s20, v84
	v_add_co_ci_u32_e64 v85, null, s21, v85, s3
	s_nor_b32 s3, s25, s2
	s_and_saveexec_b32 s8, s3
	s_cbranch_execz .LBB285_32
; %bb.31:                               ;   in Loop: Header=BB285_22 Depth=1
	v_add_co_u32 v86, s3, v84, v30
	v_add_co_ci_u32_e64 v87, null, v85, v31, s3
	global_load_ushort v83, v[86:87], off
	s_waitcnt vmcnt(0)
	v_mul_f16_e32 v83, v34, v83
.LBB285_32:                             ;   in Loop: Header=BB285_22 Depth=1
	s_or_b32 exec_lo, exec_lo, s8
	s_nor_b32 s2, s26, s2
	s_and_saveexec_b32 s3, s2
	s_cbranch_execz .LBB285_21
; %bb.33:                               ;   in Loop: Header=BB285_22 Depth=1
	v_add_co_u32 v84, s2, v84, v32
	v_add_co_ci_u32_e64 v85, null, v85, v33, s2
	global_load_ushort v82, v[84:85], off
	s_waitcnt vmcnt(0)
	v_mul_f16_e32 v82, v34, v82
	s_branch .LBB285_21
.LBB285_34:
	s_clause 0x2
	s_load_dwordx2 s[2:3], s[4:5], 0x78
	s_load_dword s14, s[4:5], 0x58
	s_load_dword s9, s[4:5], 0x70
	v_add_nc_u32_e32 v68, s19, v1
	v_add_nc_u32_e32 v10, 0x800, v38
	ds_read2_b64 v[2:5], v37 offset0:192 offset1:224
	ds_read2_b64 v[22:25], v37 offset0:128 offset1:160
	v_add_nc_u32_e32 v0, s15, v0
	ds_read2_b64 v[6:9], v10 offset0:112 offset1:120
	ds_read2_b64 v[18:21], v10 offset0:64 offset1:72
	ds_read2_b64 v[14:17], v10 offset0:80 offset1:88
	ds_read2_b64 v[10:13], v10 offset0:96 offset1:104
	v_cmp_gt_i32_e64 s8, s13, v68
	v_ashrrev_i32_e32 v1, 31, v0
	v_cndmask_b32_e64 v60, 0, 1, s0
	s_waitcnt lgkmcnt(0)
	s_mul_i32 s1, s3, s18
	v_mad_i64_i32 v[26:27], null, v68, s14, 0
	v_mad_i64_i32 v[28:29], null, v68, s9, 0
	s_mul_hi_u32 s3, s2, s18
	s_mul_i32 s2, s2, s18
	s_add_i32 s3, s3, s1
	v_cmp_gt_i32_e64 s1, s12, v0
	v_lshlrev_b64 v[26:27], 1, v[26:27]
	s_lshl_b64 s[2:3], s[2:3], 1
	v_lshlrev_b64 v[28:29], 1, v[28:29]
	s_add_u32 s10, s10, s2
	s_addc_u32 s11, s11, s3
	s_and_b32 s2, s1, s8
	v_add_co_u32 v77, vcc_lo, s16, v26
	v_add_co_ci_u32_e64 v78, null, s17, v27, vcc_lo
	v_add_co_u32 v75, vcc_lo, s10, v28
	v_add_co_ci_u32_e64 v76, null, s11, v29, vcc_lo
	s_and_saveexec_b32 s3, s2
	s_xor_b32 s2, exec_lo, s3
	s_cbranch_execz .LBB285_39
; %bb.35:
	v_lshlrev_b64 v[26:27], 1, v[0:1]
	s_andn2_b32 vcc_lo, exec_lo, s0
	s_cbranch_vccnz .LBB285_37
; %bb.36:
	v_add_co_u32 v28, vcc_lo, v77, v26
	v_add_co_ci_u32_e64 v29, null, v78, v27, vcc_lo
	global_load_ushort v28, v[28:29], off
	s_waitcnt vmcnt(0)
	v_mul_f16_e32 v28, v42, v28
	s_branch .LBB285_38
.LBB285_37:
	v_mov_b32_e32 v28, 0
.LBB285_38:
	v_pk_max_f16 v29, v22, v22
	v_pk_max_f16 v30, v18, v18
	;; [unrolled: 1-line block ×4, first 2 shown]
	v_add_co_u32 v26, vcc_lo, v75, v26
	v_pk_min_f16 v29, v30, v29
	v_add_co_ci_u32_e64 v27, null, v76, v27, vcc_lo
	v_pk_min_f16 v30, v32, v31
	v_pk_add_f16 v29, v74, v29
	v_pk_add_f16 v29, v29, v30
	v_add_f16_sdwa v29, v29, v29 dst_sel:DWORD dst_unused:UNUSED_PAD src0_sel:DWORD src1_sel:WORD_1
	v_add_f16_e32 v28, v29, v28
	global_store_short v[26:27], v28, off
.LBB285_39:
	s_or_b32 exec_lo, exec_lo, s2
	v_add_nc_u32_e32 v26, 8, v0
	v_cmp_gt_i32_e64 s0, s12, v26
	v_ashrrev_i32_e32 v27, 31, v26
	s_and_b32 s3, s0, s8
	s_and_saveexec_b32 s2, s3
	s_cbranch_execz .LBB285_44
; %bb.40:
	v_cmp_ne_u32_e32 vcc_lo, 1, v60
	v_lshlrev_b64 v[28:29], 1, v[26:27]
	s_cbranch_vccnz .LBB285_42
; %bb.41:
	v_add_co_u32 v30, vcc_lo, v77, v28
	v_add_co_ci_u32_e64 v31, null, v78, v29, vcc_lo
	global_load_ushort v30, v[30:31], off
	s_waitcnt vmcnt(0)
	v_mul_f16_e32 v30, v42, v30
	s_branch .LBB285_43
.LBB285_42:
	v_mov_b32_e32 v30, 0
.LBB285_43:
	v_pk_max_f16 v31, v22, v22
	v_pk_max_f16 v32, v20, v20
	v_pk_max_f16 v33, v23, v23
	v_pk_max_f16 v34, v21, v21
	v_add_co_u32 v28, vcc_lo, v75, v28
	v_pk_min_f16 v31, v32, v31
	v_add_co_ci_u32_e64 v29, null, v76, v29, vcc_lo
	v_pk_min_f16 v32, v34, v33
	v_pk_add_f16 v31, v73, v31
	v_pk_add_f16 v31, v31, v32
	v_add_f16_sdwa v31, v31, v31 dst_sel:DWORD dst_unused:UNUSED_PAD src0_sel:DWORD src1_sel:WORD_1
	v_add_f16_e32 v30, v31, v30
	global_store_short v[28:29], v30, off
.LBB285_44:
	s_or_b32 exec_lo, exec_lo, s2
	v_add_nc_u32_e32 v28, 16, v0
	v_cmp_gt_i32_e64 s2, s12, v28
	v_ashrrev_i32_e32 v29, 31, v28
	s_and_b32 s4, s2, s8
	s_and_saveexec_b32 s3, s4
	s_cbranch_execz .LBB285_49
; %bb.45:
	v_cmp_ne_u32_e32 vcc_lo, 1, v60
	v_lshlrev_b64 v[30:31], 1, v[28:29]
	s_cbranch_vccnz .LBB285_47
; %bb.46:
	v_add_co_u32 v32, vcc_lo, v77, v30
	v_add_co_ci_u32_e64 v33, null, v78, v31, vcc_lo
	global_load_ushort v32, v[32:33], off
	s_waitcnt vmcnt(0)
	v_mul_f16_e32 v32, v42, v32
	s_branch .LBB285_48
.LBB285_47:
	v_mov_b32_e32 v32, 0
.LBB285_48:
	v_pk_max_f16 v33, v22, v22
	v_pk_max_f16 v34, v14, v14
	v_pk_max_f16 v35, v23, v23
	v_pk_max_f16 v36, v15, v15
	v_add_co_u32 v30, vcc_lo, v75, v30
	v_pk_min_f16 v33, v34, v33
	v_add_co_ci_u32_e64 v31, null, v76, v31, vcc_lo
	v_pk_min_f16 v34, v36, v35
	v_pk_add_f16 v33, v72, v33
	v_pk_add_f16 v33, v33, v34
	v_add_f16_sdwa v33, v33, v33 dst_sel:DWORD dst_unused:UNUSED_PAD src0_sel:DWORD src1_sel:WORD_1
	v_add_f16_e32 v32, v33, v32
	global_store_short v[30:31], v32, off
.LBB285_49:
	;; [unrolled: 35-line block ×6, first 2 shown]
	s_or_b32 exec_lo, exec_lo, s7
	v_add_nc_u32_e32 v38, 56, v0
	v_cmp_gt_i32_e64 s7, s12, v38
	v_ashrrev_i32_e32 v39, 31, v38
	s_and_b32 s12, s7, s8
	s_and_saveexec_b32 s8, s12
	s_cbranch_execz .LBB285_74
; %bb.70:
	v_cmp_ne_u32_e32 vcc_lo, 1, v60
	v_lshlrev_b64 v[40:41], 1, v[38:39]
	s_cbranch_vccnz .LBB285_72
; %bb.71:
	v_add_co_u32 v70, vcc_lo, v77, v40
	v_add_co_ci_u32_e64 v71, null, v78, v41, vcc_lo
	global_load_ushort v70, v[70:71], off
	s_waitcnt vmcnt(0)
	v_mul_f16_e32 v70, v42, v70
	s_branch .LBB285_73
.LBB285_72:
	v_mov_b32_e32 v70, 0
.LBB285_73:
	v_pk_max_f16 v22, v22, v22
	v_pk_max_f16 v71, v8, v8
	;; [unrolled: 1-line block ×4, first 2 shown]
	v_pk_min_f16 v22, v71, v22
	v_pk_min_f16 v23, v72, v23
	v_pk_add_f16 v22, v69, v22
	v_pk_add_f16 v22, v22, v23
	v_add_f16_sdwa v22, v22, v22 dst_sel:DWORD dst_unused:UNUSED_PAD src0_sel:DWORD src1_sel:WORD_1
	v_add_f16_e32 v69, v22, v70
	v_add_co_u32 v22, vcc_lo, v75, v40
	v_add_co_ci_u32_e64 v23, null, v76, v41, vcc_lo
	global_store_short v[22:23], v69, off
.LBB285_74:
	s_or_b32 exec_lo, exec_lo, s8
	v_add_nc_u32_e32 v69, 32, v68
	v_mad_i64_i32 v[22:23], null, v69, s14, 0
	v_mad_i64_i32 v[40:41], null, v69, s9, 0
	v_cmp_gt_i32_e64 s8, s13, v69
	v_lshlrev_b64 v[22:23], 1, v[22:23]
	s_and_b32 s15, s1, s8
	v_lshlrev_b64 v[40:41], 1, v[40:41]
	v_add_co_u32 v69, vcc_lo, s16, v22
	v_add_co_ci_u32_e64 v70, null, s17, v23, vcc_lo
	v_add_co_u32 v40, vcc_lo, s10, v40
	v_add_co_ci_u32_e64 v41, null, s11, v41, vcc_lo
	s_and_saveexec_b32 s12, s15
	s_cbranch_execnz .LBB285_82
; %bb.75:
	s_or_b32 exec_lo, exec_lo, s12
	s_and_b32 s15, s0, s8
	s_and_saveexec_b32 s12, s15
	s_cbranch_execnz .LBB285_86
.LBB285_76:
	s_or_b32 exec_lo, exec_lo, s12
	s_and_b32 s15, s2, s8
	s_and_saveexec_b32 s12, s15
	s_cbranch_execnz .LBB285_90
.LBB285_77:
	s_or_b32 exec_lo, exec_lo, s12
	s_and_b32 s15, s3, s8
	s_and_saveexec_b32 s12, s15
	s_cbranch_execnz .LBB285_94
.LBB285_78:
	s_or_b32 exec_lo, exec_lo, s12
	s_and_b32 s15, s4, s8
	s_and_saveexec_b32 s12, s15
	s_cbranch_execnz .LBB285_98
.LBB285_79:
	s_or_b32 exec_lo, exec_lo, s12
	s_and_b32 s15, s5, s8
	s_and_saveexec_b32 s12, s15
	s_cbranch_execnz .LBB285_102
.LBB285_80:
	s_or_b32 exec_lo, exec_lo, s12
	s_and_b32 s15, s6, s8
	s_and_saveexec_b32 s12, s15
	s_cbranch_execnz .LBB285_106
.LBB285_81:
	s_or_b32 exec_lo, exec_lo, s12
	s_and_b32 s12, s7, s8
	s_and_saveexec_b32 s8, s12
	s_cbranch_execnz .LBB285_110
	s_branch .LBB285_114
.LBB285_82:
	v_cmp_ne_u32_e32 vcc_lo, 1, v60
	v_lshlrev_b64 v[22:23], 1, v[0:1]
	s_cbranch_vccnz .LBB285_84
; %bb.83:
	v_add_co_u32 v71, vcc_lo, v69, v22
	v_add_co_ci_u32_e64 v72, null, v70, v23, vcc_lo
	global_load_ushort v71, v[71:72], off
	s_waitcnt vmcnt(0)
	v_mul_f16_e32 v71, v42, v71
	s_branch .LBB285_85
.LBB285_84:
	v_mov_b32_e32 v71, 0
.LBB285_85:
	v_pk_max_f16 v72, v24, v24
	v_pk_max_f16 v73, v18, v18
	;; [unrolled: 1-line block ×4, first 2 shown]
	v_add_co_u32 v22, vcc_lo, v40, v22
	v_pk_min_f16 v72, v73, v72
	v_add_co_ci_u32_e64 v23, null, v41, v23, vcc_lo
	v_pk_min_f16 v73, v75, v74
	v_pk_add_f16 v67, v67, v72
	v_pk_add_f16 v67, v67, v73
	v_add_f16_sdwa v67, v67, v67 dst_sel:DWORD dst_unused:UNUSED_PAD src0_sel:DWORD src1_sel:WORD_1
	v_add_f16_e32 v67, v67, v71
	global_store_short v[22:23], v67, off
	s_or_b32 exec_lo, exec_lo, s12
	s_and_b32 s15, s0, s8
	s_and_saveexec_b32 s12, s15
	s_cbranch_execz .LBB285_76
.LBB285_86:
	v_cmp_ne_u32_e32 vcc_lo, 1, v60
	v_lshlrev_b64 v[22:23], 1, v[26:27]
	s_cbranch_vccnz .LBB285_88
; %bb.87:
	v_add_co_u32 v71, vcc_lo, v69, v22
	v_add_co_ci_u32_e64 v72, null, v70, v23, vcc_lo
	global_load_ushort v67, v[71:72], off
	s_waitcnt vmcnt(0)
	v_mul_f16_e32 v67, v42, v67
	s_branch .LBB285_89
.LBB285_88:
	v_mov_b32_e32 v67, 0
.LBB285_89:
	v_pk_max_f16 v71, v24, v24
	v_pk_max_f16 v72, v20, v20
	v_pk_max_f16 v73, v25, v25
	v_pk_max_f16 v74, v21, v21
	v_add_co_u32 v22, vcc_lo, v40, v22
	v_pk_min_f16 v71, v72, v71
	v_add_co_ci_u32_e64 v23, null, v41, v23, vcc_lo
	v_pk_min_f16 v72, v74, v73
	v_pk_add_f16 v66, v66, v71
	v_pk_add_f16 v66, v66, v72
	v_add_f16_sdwa v66, v66, v66 dst_sel:DWORD dst_unused:UNUSED_PAD src0_sel:DWORD src1_sel:WORD_1
	v_add_f16_e32 v66, v66, v67
	global_store_short v[22:23], v66, off
	s_or_b32 exec_lo, exec_lo, s12
	s_and_b32 s15, s2, s8
	s_and_saveexec_b32 s12, s15
	s_cbranch_execz .LBB285_77
.LBB285_90:
	v_cmp_ne_u32_e32 vcc_lo, 1, v60
	v_lshlrev_b64 v[22:23], 1, v[28:29]
	s_cbranch_vccnz .LBB285_92
; %bb.91:
	v_add_co_u32 v66, vcc_lo, v69, v22
	v_add_co_ci_u32_e64 v67, null, v70, v23, vcc_lo
	global_load_ushort v66, v[66:67], off
	s_waitcnt vmcnt(0)
	v_mul_f16_e32 v66, v42, v66
	s_branch .LBB285_93
.LBB285_92:
	v_mov_b32_e32 v66, 0
.LBB285_93:
	v_pk_max_f16 v67, v24, v24
	v_pk_max_f16 v71, v14, v14
	;; [unrolled: 1-line block ×4, first 2 shown]
	v_add_co_u32 v22, vcc_lo, v40, v22
	v_pk_min_f16 v67, v71, v67
	v_add_co_ci_u32_e64 v23, null, v41, v23, vcc_lo
	v_pk_min_f16 v71, v73, v72
	v_pk_add_f16 v65, v65, v67
	v_pk_add_f16 v65, v65, v71
	v_add_f16_sdwa v65, v65, v65 dst_sel:DWORD dst_unused:UNUSED_PAD src0_sel:DWORD src1_sel:WORD_1
	v_add_f16_e32 v65, v65, v66
	global_store_short v[22:23], v65, off
	s_or_b32 exec_lo, exec_lo, s12
	s_and_b32 s15, s3, s8
	s_and_saveexec_b32 s12, s15
	s_cbranch_execz .LBB285_78
.LBB285_94:
	v_cmp_ne_u32_e32 vcc_lo, 1, v60
	v_lshlrev_b64 v[22:23], 1, v[30:31]
	s_cbranch_vccnz .LBB285_96
; %bb.95:
	v_add_co_u32 v65, vcc_lo, v69, v22
	v_add_co_ci_u32_e64 v66, null, v70, v23, vcc_lo
	global_load_ushort v65, v[65:66], off
	s_waitcnt vmcnt(0)
	v_mul_f16_e32 v65, v42, v65
	s_branch .LBB285_97
.LBB285_96:
	v_mov_b32_e32 v65, 0
.LBB285_97:
	v_pk_max_f16 v66, v24, v24
	v_pk_max_f16 v67, v16, v16
	;; [unrolled: 1-line block ×4, first 2 shown]
	v_add_co_u32 v22, vcc_lo, v40, v22
	v_pk_min_f16 v66, v67, v66
	v_add_co_ci_u32_e64 v23, null, v41, v23, vcc_lo
	v_pk_min_f16 v67, v72, v71
	v_pk_add_f16 v64, v64, v66
	v_pk_add_f16 v64, v64, v67
	v_add_f16_sdwa v64, v64, v64 dst_sel:DWORD dst_unused:UNUSED_PAD src0_sel:DWORD src1_sel:WORD_1
	v_add_f16_e32 v64, v64, v65
	global_store_short v[22:23], v64, off
	s_or_b32 exec_lo, exec_lo, s12
	s_and_b32 s15, s4, s8
	s_and_saveexec_b32 s12, s15
	s_cbranch_execz .LBB285_79
.LBB285_98:
	v_cmp_ne_u32_e32 vcc_lo, 1, v60
	v_lshlrev_b64 v[22:23], 1, v[32:33]
	s_cbranch_vccnz .LBB285_100
; %bb.99:
	v_add_co_u32 v64, vcc_lo, v69, v22
	v_add_co_ci_u32_e64 v65, null, v70, v23, vcc_lo
	global_load_ushort v64, v[64:65], off
	s_waitcnt vmcnt(0)
	v_mul_f16_e32 v64, v42, v64
	s_branch .LBB285_101
.LBB285_100:
	v_mov_b32_e32 v64, 0
.LBB285_101:
	v_pk_max_f16 v65, v24, v24
	v_pk_max_f16 v66, v10, v10
	v_pk_max_f16 v67, v25, v25
	v_pk_max_f16 v71, v11, v11
	v_add_co_u32 v22, vcc_lo, v40, v22
	v_pk_min_f16 v65, v66, v65
	v_add_co_ci_u32_e64 v23, null, v41, v23, vcc_lo
	v_pk_min_f16 v66, v71, v67
	v_pk_add_f16 v63, v63, v65
	v_pk_add_f16 v63, v63, v66
	v_add_f16_sdwa v63, v63, v63 dst_sel:DWORD dst_unused:UNUSED_PAD src0_sel:DWORD src1_sel:WORD_1
	v_add_f16_e32 v63, v63, v64
	global_store_short v[22:23], v63, off
	s_or_b32 exec_lo, exec_lo, s12
	s_and_b32 s15, s5, s8
	s_and_saveexec_b32 s12, s15
	s_cbranch_execz .LBB285_80
.LBB285_102:
	v_cmp_ne_u32_e32 vcc_lo, 1, v60
	v_lshlrev_b64 v[22:23], 1, v[34:35]
	s_cbranch_vccnz .LBB285_104
; %bb.103:
	v_add_co_u32 v63, vcc_lo, v69, v22
	v_add_co_ci_u32_e64 v64, null, v70, v23, vcc_lo
	global_load_ushort v63, v[63:64], off
	s_waitcnt vmcnt(0)
	v_mul_f16_e32 v63, v42, v63
	s_branch .LBB285_105
.LBB285_104:
	v_mov_b32_e32 v63, 0
.LBB285_105:
	v_pk_max_f16 v64, v24, v24
	v_pk_max_f16 v65, v12, v12
	;; [unrolled: 1-line block ×4, first 2 shown]
	v_add_co_u32 v22, vcc_lo, v40, v22
	v_pk_min_f16 v64, v65, v64
	v_add_co_ci_u32_e64 v23, null, v41, v23, vcc_lo
	v_pk_min_f16 v65, v67, v66
	v_pk_add_f16 v62, v62, v64
	v_pk_add_f16 v62, v62, v65
	v_add_f16_sdwa v62, v62, v62 dst_sel:DWORD dst_unused:UNUSED_PAD src0_sel:DWORD src1_sel:WORD_1
	v_add_f16_e32 v62, v62, v63
	global_store_short v[22:23], v62, off
	s_or_b32 exec_lo, exec_lo, s12
	s_and_b32 s15, s6, s8
	s_and_saveexec_b32 s12, s15
	s_cbranch_execz .LBB285_81
.LBB285_106:
	v_cmp_ne_u32_e32 vcc_lo, 1, v60
	v_lshlrev_b64 v[22:23], 1, v[36:37]
	s_cbranch_vccnz .LBB285_108
; %bb.107:
	v_add_co_u32 v62, vcc_lo, v69, v22
	v_add_co_ci_u32_e64 v63, null, v70, v23, vcc_lo
	global_load_ushort v62, v[62:63], off
	s_waitcnt vmcnt(0)
	v_mul_f16_e32 v62, v42, v62
	s_branch .LBB285_109
.LBB285_108:
	v_mov_b32_e32 v62, 0
.LBB285_109:
	v_pk_max_f16 v63, v24, v24
	v_pk_max_f16 v64, v6, v6
	;; [unrolled: 1-line block ×4, first 2 shown]
	v_add_co_u32 v22, vcc_lo, v40, v22
	v_pk_min_f16 v63, v64, v63
	v_add_co_ci_u32_e64 v23, null, v41, v23, vcc_lo
	v_pk_min_f16 v64, v66, v65
	v_pk_add_f16 v61, v61, v63
	v_pk_add_f16 v61, v61, v64
	v_add_f16_sdwa v61, v61, v61 dst_sel:DWORD dst_unused:UNUSED_PAD src0_sel:DWORD src1_sel:WORD_1
	v_add_f16_e32 v61, v61, v62
	global_store_short v[22:23], v61, off
	s_or_b32 exec_lo, exec_lo, s12
	s_and_b32 s12, s7, s8
	s_and_saveexec_b32 s8, s12
	s_cbranch_execz .LBB285_114
.LBB285_110:
	v_cmp_ne_u32_e32 vcc_lo, 1, v60
	v_lshlrev_b64 v[22:23], 1, v[38:39]
	s_cbranch_vccnz .LBB285_112
; %bb.111:
	v_add_co_u32 v61, vcc_lo, v69, v22
	v_add_co_ci_u32_e64 v62, null, v70, v23, vcc_lo
	global_load_ushort v61, v[61:62], off
	s_waitcnt vmcnt(0)
	v_mul_f16_e32 v61, v42, v61
	s_branch .LBB285_113
.LBB285_112:
	v_mov_b32_e32 v61, 0
.LBB285_113:
	v_pk_max_f16 v24, v24, v24
	v_pk_max_f16 v62, v8, v8
	;; [unrolled: 1-line block ×4, first 2 shown]
	v_add_co_u32 v22, vcc_lo, v40, v22
	v_pk_min_f16 v24, v62, v24
	v_add_co_ci_u32_e64 v23, null, v41, v23, vcc_lo
	v_pk_min_f16 v25, v63, v25
	v_pk_add_f16 v24, v59, v24
	v_pk_add_f16 v24, v24, v25
	v_add_f16_sdwa v24, v24, v24 dst_sel:DWORD dst_unused:UNUSED_PAD src0_sel:DWORD src1_sel:WORD_1
	v_add_f16_e32 v24, v24, v61
	global_store_short v[22:23], v24, off
.LBB285_114:
	s_or_b32 exec_lo, exec_lo, s8
	v_add_nc_u32_e32 v40, 64, v68
	v_mad_i64_i32 v[22:23], null, v40, s14, 0
	v_mad_i64_i32 v[24:25], null, v40, s9, 0
	v_cmp_gt_i32_e64 s8, s13, v40
	v_lshlrev_b64 v[22:23], 1, v[22:23]
	s_and_b32 s15, s1, s8
	v_lshlrev_b64 v[24:25], 1, v[24:25]
	v_add_co_u32 v40, vcc_lo, s16, v22
	v_add_co_ci_u32_e64 v41, null, s17, v23, vcc_lo
	v_add_co_u32 v24, vcc_lo, s10, v24
	v_add_co_ci_u32_e64 v25, null, s11, v25, vcc_lo
	s_and_saveexec_b32 s12, s15
	s_cbranch_execnz .LBB285_122
; %bb.115:
	s_or_b32 exec_lo, exec_lo, s12
	s_and_b32 s15, s0, s8
	s_and_saveexec_b32 s12, s15
	s_cbranch_execnz .LBB285_126
.LBB285_116:
	s_or_b32 exec_lo, exec_lo, s12
	s_and_b32 s15, s2, s8
	s_and_saveexec_b32 s12, s15
	s_cbranch_execnz .LBB285_130
.LBB285_117:
	s_or_b32 exec_lo, exec_lo, s12
	s_and_b32 s15, s3, s8
	s_and_saveexec_b32 s12, s15
	s_cbranch_execnz .LBB285_134
.LBB285_118:
	s_or_b32 exec_lo, exec_lo, s12
	s_and_b32 s15, s4, s8
	s_and_saveexec_b32 s12, s15
	s_cbranch_execnz .LBB285_138
.LBB285_119:
	s_or_b32 exec_lo, exec_lo, s12
	s_and_b32 s15, s5, s8
	s_and_saveexec_b32 s12, s15
	s_cbranch_execnz .LBB285_142
.LBB285_120:
	s_or_b32 exec_lo, exec_lo, s12
	s_and_b32 s15, s6, s8
	s_and_saveexec_b32 s12, s15
	s_cbranch_execnz .LBB285_146
.LBB285_121:
	s_or_b32 exec_lo, exec_lo, s12
	s_and_b32 s12, s7, s8
	s_and_saveexec_b32 s8, s12
	s_cbranch_execnz .LBB285_150
	s_branch .LBB285_154
.LBB285_122:
	v_cmp_ne_u32_e32 vcc_lo, 1, v60
	v_lshlrev_b64 v[22:23], 1, v[0:1]
	s_cbranch_vccnz .LBB285_124
; %bb.123:
	v_add_co_u32 v61, vcc_lo, v40, v22
	v_add_co_ci_u32_e64 v62, null, v41, v23, vcc_lo
	global_load_ushort v59, v[61:62], off
	s_waitcnt vmcnt(0)
	v_mul_f16_e32 v59, v42, v59
	s_branch .LBB285_125
.LBB285_124:
	v_mov_b32_e32 v59, 0
.LBB285_125:
	v_pk_max_f16 v61, v2, v2
	v_pk_max_f16 v62, v18, v18
	;; [unrolled: 1-line block ×4, first 2 shown]
	v_add_co_u32 v22, vcc_lo, v24, v22
	v_pk_min_f16 v61, v62, v61
	v_add_co_ci_u32_e64 v23, null, v25, v23, vcc_lo
	v_pk_min_f16 v62, v64, v63
	v_pk_add_f16 v58, v58, v61
	v_pk_add_f16 v58, v58, v62
	v_add_f16_sdwa v58, v58, v58 dst_sel:DWORD dst_unused:UNUSED_PAD src0_sel:DWORD src1_sel:WORD_1
	v_add_f16_e32 v58, v58, v59
	global_store_short v[22:23], v58, off
	s_or_b32 exec_lo, exec_lo, s12
	s_and_b32 s15, s0, s8
	s_and_saveexec_b32 s12, s15
	s_cbranch_execz .LBB285_116
.LBB285_126:
	v_cmp_ne_u32_e32 vcc_lo, 1, v60
	v_lshlrev_b64 v[22:23], 1, v[26:27]
	s_cbranch_vccnz .LBB285_128
; %bb.127:
	v_add_co_u32 v58, vcc_lo, v40, v22
	v_add_co_ci_u32_e64 v59, null, v41, v23, vcc_lo
	global_load_ushort v58, v[58:59], off
	s_waitcnt vmcnt(0)
	v_mul_f16_e32 v58, v42, v58
	s_branch .LBB285_129
.LBB285_128:
	v_mov_b32_e32 v58, 0
.LBB285_129:
	v_pk_max_f16 v59, v2, v2
	v_pk_max_f16 v61, v20, v20
	;; [unrolled: 1-line block ×4, first 2 shown]
	v_add_co_u32 v22, vcc_lo, v24, v22
	v_pk_min_f16 v59, v61, v59
	v_add_co_ci_u32_e64 v23, null, v25, v23, vcc_lo
	v_pk_min_f16 v61, v63, v62
	v_pk_add_f16 v57, v57, v59
	v_pk_add_f16 v57, v57, v61
	v_add_f16_sdwa v57, v57, v57 dst_sel:DWORD dst_unused:UNUSED_PAD src0_sel:DWORD src1_sel:WORD_1
	v_add_f16_e32 v57, v57, v58
	global_store_short v[22:23], v57, off
	s_or_b32 exec_lo, exec_lo, s12
	s_and_b32 s15, s2, s8
	s_and_saveexec_b32 s12, s15
	s_cbranch_execz .LBB285_117
.LBB285_130:
	v_cmp_ne_u32_e32 vcc_lo, 1, v60
	v_lshlrev_b64 v[22:23], 1, v[28:29]
	s_cbranch_vccnz .LBB285_132
; %bb.131:
	v_add_co_u32 v57, vcc_lo, v40, v22
	v_add_co_ci_u32_e64 v58, null, v41, v23, vcc_lo
	global_load_ushort v57, v[57:58], off
	s_waitcnt vmcnt(0)
	v_mul_f16_e32 v57, v42, v57
	s_branch .LBB285_133
.LBB285_132:
	v_mov_b32_e32 v57, 0
.LBB285_133:
	v_pk_max_f16 v58, v2, v2
	v_pk_max_f16 v59, v14, v14
	;; [unrolled: 1-line block ×4, first 2 shown]
	v_add_co_u32 v22, vcc_lo, v24, v22
	v_pk_min_f16 v58, v59, v58
	v_add_co_ci_u32_e64 v23, null, v25, v23, vcc_lo
	v_pk_min_f16 v59, v62, v61
	v_pk_add_f16 v56, v56, v58
	v_pk_add_f16 v56, v56, v59
	v_add_f16_sdwa v56, v56, v56 dst_sel:DWORD dst_unused:UNUSED_PAD src0_sel:DWORD src1_sel:WORD_1
	v_add_f16_e32 v56, v56, v57
	global_store_short v[22:23], v56, off
	s_or_b32 exec_lo, exec_lo, s12
	s_and_b32 s15, s3, s8
	s_and_saveexec_b32 s12, s15
	s_cbranch_execz .LBB285_118
.LBB285_134:
	v_cmp_ne_u32_e32 vcc_lo, 1, v60
	v_lshlrev_b64 v[22:23], 1, v[30:31]
	s_cbranch_vccnz .LBB285_136
; %bb.135:
	v_add_co_u32 v56, vcc_lo, v40, v22
	v_add_co_ci_u32_e64 v57, null, v41, v23, vcc_lo
	global_load_ushort v56, v[56:57], off
	s_waitcnt vmcnt(0)
	v_mul_f16_e32 v56, v42, v56
	s_branch .LBB285_137
.LBB285_136:
	v_mov_b32_e32 v56, 0
.LBB285_137:
	v_pk_max_f16 v57, v2, v2
	v_pk_max_f16 v58, v16, v16
	;; [unrolled: 1-line block ×4, first 2 shown]
	v_add_co_u32 v22, vcc_lo, v24, v22
	v_pk_min_f16 v57, v58, v57
	v_add_co_ci_u32_e64 v23, null, v25, v23, vcc_lo
	v_pk_min_f16 v58, v61, v59
	v_pk_add_f16 v55, v55, v57
	v_pk_add_f16 v55, v55, v58
	v_add_f16_sdwa v55, v55, v55 dst_sel:DWORD dst_unused:UNUSED_PAD src0_sel:DWORD src1_sel:WORD_1
	v_add_f16_e32 v55, v55, v56
	global_store_short v[22:23], v55, off
	s_or_b32 exec_lo, exec_lo, s12
	s_and_b32 s15, s4, s8
	s_and_saveexec_b32 s12, s15
	s_cbranch_execz .LBB285_119
.LBB285_138:
	v_cmp_ne_u32_e32 vcc_lo, 1, v60
	v_lshlrev_b64 v[22:23], 1, v[32:33]
	s_cbranch_vccnz .LBB285_140
; %bb.139:
	v_add_co_u32 v55, vcc_lo, v40, v22
	v_add_co_ci_u32_e64 v56, null, v41, v23, vcc_lo
	global_load_ushort v55, v[55:56], off
	s_waitcnt vmcnt(0)
	v_mul_f16_e32 v55, v42, v55
	s_branch .LBB285_141
.LBB285_140:
	v_mov_b32_e32 v55, 0
.LBB285_141:
	v_pk_max_f16 v56, v2, v2
	v_pk_max_f16 v57, v10, v10
	v_pk_max_f16 v58, v3, v3
	v_pk_max_f16 v59, v11, v11
	v_add_co_u32 v22, vcc_lo, v24, v22
	v_pk_min_f16 v56, v57, v56
	v_add_co_ci_u32_e64 v23, null, v25, v23, vcc_lo
	v_pk_min_f16 v57, v59, v58
	v_pk_add_f16 v54, v54, v56
	v_pk_add_f16 v54, v54, v57
	v_add_f16_sdwa v54, v54, v54 dst_sel:DWORD dst_unused:UNUSED_PAD src0_sel:DWORD src1_sel:WORD_1
	v_add_f16_e32 v54, v54, v55
	global_store_short v[22:23], v54, off
	s_or_b32 exec_lo, exec_lo, s12
	s_and_b32 s15, s5, s8
	s_and_saveexec_b32 s12, s15
	s_cbranch_execz .LBB285_120
.LBB285_142:
	v_cmp_ne_u32_e32 vcc_lo, 1, v60
	v_lshlrev_b64 v[22:23], 1, v[34:35]
	s_cbranch_vccnz .LBB285_144
; %bb.143:
	v_add_co_u32 v54, vcc_lo, v40, v22
	v_add_co_ci_u32_e64 v55, null, v41, v23, vcc_lo
	global_load_ushort v54, v[54:55], off
	s_waitcnt vmcnt(0)
	v_mul_f16_e32 v54, v42, v54
	s_branch .LBB285_145
.LBB285_144:
	v_mov_b32_e32 v54, 0
.LBB285_145:
	v_pk_max_f16 v55, v2, v2
	v_pk_max_f16 v56, v12, v12
	;; [unrolled: 1-line block ×4, first 2 shown]
	v_add_co_u32 v22, vcc_lo, v24, v22
	v_pk_min_f16 v55, v56, v55
	v_add_co_ci_u32_e64 v23, null, v25, v23, vcc_lo
	v_pk_min_f16 v56, v58, v57
	v_pk_add_f16 v53, v53, v55
	v_pk_add_f16 v53, v53, v56
	v_add_f16_sdwa v53, v53, v53 dst_sel:DWORD dst_unused:UNUSED_PAD src0_sel:DWORD src1_sel:WORD_1
	v_add_f16_e32 v53, v53, v54
	global_store_short v[22:23], v53, off
	s_or_b32 exec_lo, exec_lo, s12
	s_and_b32 s15, s6, s8
	s_and_saveexec_b32 s12, s15
	s_cbranch_execz .LBB285_121
.LBB285_146:
	v_cmp_ne_u32_e32 vcc_lo, 1, v60
	v_lshlrev_b64 v[22:23], 1, v[36:37]
	s_cbranch_vccnz .LBB285_148
; %bb.147:
	v_add_co_u32 v53, vcc_lo, v40, v22
	v_add_co_ci_u32_e64 v54, null, v41, v23, vcc_lo
	global_load_ushort v53, v[53:54], off
	s_waitcnt vmcnt(0)
	v_mul_f16_e32 v53, v42, v53
	s_branch .LBB285_149
.LBB285_148:
	v_mov_b32_e32 v53, 0
.LBB285_149:
	v_pk_max_f16 v54, v2, v2
	v_pk_max_f16 v55, v6, v6
	;; [unrolled: 1-line block ×4, first 2 shown]
	v_add_co_u32 v22, vcc_lo, v24, v22
	v_pk_min_f16 v54, v55, v54
	v_add_co_ci_u32_e64 v23, null, v25, v23, vcc_lo
	v_pk_min_f16 v55, v57, v56
	v_pk_add_f16 v52, v52, v54
	v_pk_add_f16 v52, v52, v55
	v_add_f16_sdwa v52, v52, v52 dst_sel:DWORD dst_unused:UNUSED_PAD src0_sel:DWORD src1_sel:WORD_1
	v_add_f16_e32 v52, v52, v53
	global_store_short v[22:23], v52, off
	s_or_b32 exec_lo, exec_lo, s12
	s_and_b32 s12, s7, s8
	s_and_saveexec_b32 s8, s12
	s_cbranch_execz .LBB285_154
.LBB285_150:
	v_cmp_ne_u32_e32 vcc_lo, 1, v60
	v_lshlrev_b64 v[22:23], 1, v[38:39]
	s_cbranch_vccnz .LBB285_152
; %bb.151:
	v_add_co_u32 v40, vcc_lo, v40, v22
	v_add_co_ci_u32_e64 v41, null, v41, v23, vcc_lo
	global_load_ushort v40, v[40:41], off
	s_waitcnt vmcnt(0)
	v_mul_f16_e32 v40, v42, v40
	s_branch .LBB285_153
.LBB285_152:
	v_mov_b32_e32 v40, 0
.LBB285_153:
	v_pk_max_f16 v2, v2, v2
	v_pk_max_f16 v41, v8, v8
	;; [unrolled: 1-line block ×4, first 2 shown]
	v_pk_min_f16 v2, v41, v2
	v_pk_min_f16 v3, v52, v3
	v_pk_add_f16 v2, v51, v2
	v_pk_add_f16 v2, v2, v3
	v_add_f16_sdwa v2, v2, v2 dst_sel:DWORD dst_unused:UNUSED_PAD src0_sel:DWORD src1_sel:WORD_1
	v_add_f16_e32 v40, v2, v40
	v_add_co_u32 v2, vcc_lo, v24, v22
	v_add_co_ci_u32_e64 v3, null, v25, v23, vcc_lo
	global_store_short v[2:3], v40, off
.LBB285_154:
	s_or_b32 exec_lo, exec_lo, s8
	v_add_nc_u32_e32 v24, 0x60, v68
	v_mad_i64_i32 v[2:3], null, v24, s14, 0
	v_mad_i64_i32 v[22:23], null, v24, s9, 0
	v_cmp_gt_i32_e64 s8, s13, v24
	v_lshlrev_b64 v[2:3], 1, v[2:3]
	s_and_b32 s9, s1, s8
	v_lshlrev_b64 v[24:25], 1, v[22:23]
	v_add_co_u32 v22, vcc_lo, s16, v2
	v_add_co_ci_u32_e64 v23, null, s17, v3, vcc_lo
	v_add_co_u32 v2, vcc_lo, s10, v24
	v_add_co_ci_u32_e64 v3, null, s11, v25, vcc_lo
	s_and_saveexec_b32 s1, s9
	s_cbranch_execnz .LBB285_163
; %bb.155:
	s_or_b32 exec_lo, exec_lo, s1
	s_and_b32 s1, s0, s8
	s_and_saveexec_b32 s0, s1
	s_cbranch_execnz .LBB285_167
.LBB285_156:
	s_or_b32 exec_lo, exec_lo, s0
	s_and_b32 s1, s2, s8
	s_and_saveexec_b32 s0, s1
	s_cbranch_execnz .LBB285_171
.LBB285_157:
	s_or_b32 exec_lo, exec_lo, s0
	s_and_b32 s1, s3, s8
	s_and_saveexec_b32 s0, s1
	s_cbranch_execnz .LBB285_175
.LBB285_158:
	s_or_b32 exec_lo, exec_lo, s0
	s_and_b32 s1, s4, s8
	s_and_saveexec_b32 s0, s1
	s_cbranch_execnz .LBB285_179
.LBB285_159:
	s_or_b32 exec_lo, exec_lo, s0
	s_and_b32 s1, s5, s8
	s_and_saveexec_b32 s0, s1
	s_cbranch_execnz .LBB285_183
.LBB285_160:
	s_or_b32 exec_lo, exec_lo, s0
	s_and_b32 s1, s6, s8
	s_and_saveexec_b32 s0, s1
	s_cbranch_execnz .LBB285_187
.LBB285_161:
	s_or_b32 exec_lo, exec_lo, s0
	s_and_b32 s0, s7, s8
	s_and_saveexec_b32 s1, s0
	s_cbranch_execnz .LBB285_191
.LBB285_162:
	s_endpgm
.LBB285_163:
	v_cmp_ne_u32_e32 vcc_lo, 1, v60
	v_lshlrev_b64 v[0:1], 1, v[0:1]
	s_cbranch_vccnz .LBB285_165
; %bb.164:
	v_add_co_u32 v24, vcc_lo, v22, v0
	v_add_co_ci_u32_e64 v25, null, v23, v1, vcc_lo
	global_load_ushort v24, v[24:25], off
	s_waitcnt vmcnt(0)
	v_mul_f16_e32 v24, v42, v24
	s_branch .LBB285_166
.LBB285_165:
	v_mov_b32_e32 v24, 0
.LBB285_166:
	v_pk_max_f16 v25, v4, v4
	v_pk_max_f16 v18, v18, v18
	;; [unrolled: 1-line block ×4, first 2 shown]
	v_add_co_u32 v0, vcc_lo, v2, v0
	v_pk_min_f16 v18, v18, v25
	v_add_co_ci_u32_e64 v1, null, v3, v1, vcc_lo
	v_pk_min_f16 v19, v19, v40
	v_pk_add_f16 v18, v50, v18
	v_pk_add_f16 v18, v18, v19
	v_add_f16_sdwa v18, v18, v18 dst_sel:DWORD dst_unused:UNUSED_PAD src0_sel:DWORD src1_sel:WORD_1
	v_add_f16_e32 v18, v18, v24
	global_store_short v[0:1], v18, off
	s_or_b32 exec_lo, exec_lo, s1
	s_and_b32 s1, s0, s8
	s_and_saveexec_b32 s0, s1
	s_cbranch_execz .LBB285_156
.LBB285_167:
	v_cmp_ne_u32_e32 vcc_lo, 1, v60
	v_lshlrev_b64 v[0:1], 1, v[26:27]
	s_cbranch_vccnz .LBB285_169
; %bb.168:
	v_add_co_u32 v18, vcc_lo, v22, v0
	v_add_co_ci_u32_e64 v19, null, v23, v1, vcc_lo
	global_load_ushort v18, v[18:19], off
	s_waitcnt vmcnt(0)
	v_mul_f16_e32 v18, v42, v18
	s_branch .LBB285_170
.LBB285_169:
	v_mov_b32_e32 v18, 0
.LBB285_170:
	v_pk_max_f16 v19, v4, v4
	v_pk_max_f16 v20, v20, v20
	;; [unrolled: 1-line block ×4, first 2 shown]
	v_add_co_u32 v0, vcc_lo, v2, v0
	v_pk_min_f16 v19, v20, v19
	v_add_co_ci_u32_e64 v1, null, v3, v1, vcc_lo
	v_pk_min_f16 v20, v21, v24
	v_pk_add_f16 v19, v49, v19
	v_pk_add_f16 v19, v19, v20
	v_add_f16_sdwa v19, v19, v19 dst_sel:DWORD dst_unused:UNUSED_PAD src0_sel:DWORD src1_sel:WORD_1
	v_add_f16_e32 v18, v19, v18
	global_store_short v[0:1], v18, off
	s_or_b32 exec_lo, exec_lo, s0
	s_and_b32 s1, s2, s8
	s_and_saveexec_b32 s0, s1
	s_cbranch_execz .LBB285_157
.LBB285_171:
	v_cmp_ne_u32_e32 vcc_lo, 1, v60
	v_lshlrev_b64 v[0:1], 1, v[28:29]
	s_cbranch_vccnz .LBB285_173
; %bb.172:
	v_add_co_u32 v18, vcc_lo, v22, v0
	v_add_co_ci_u32_e64 v19, null, v23, v1, vcc_lo
	global_load_ushort v18, v[18:19], off
	s_waitcnt vmcnt(0)
	v_mul_f16_e32 v18, v42, v18
	s_branch .LBB285_174
.LBB285_173:
	v_mov_b32_e32 v18, 0
.LBB285_174:
	v_pk_max_f16 v19, v4, v4
	v_pk_max_f16 v14, v14, v14
	;; [unrolled: 1-line block ×4, first 2 shown]
	v_add_co_u32 v0, vcc_lo, v2, v0
	v_pk_min_f16 v14, v14, v19
	v_add_co_ci_u32_e64 v1, null, v3, v1, vcc_lo
	v_pk_min_f16 v15, v15, v20
	v_pk_add_f16 v14, v48, v14
	v_pk_add_f16 v14, v14, v15
	v_add_f16_sdwa v14, v14, v14 dst_sel:DWORD dst_unused:UNUSED_PAD src0_sel:DWORD src1_sel:WORD_1
	v_add_f16_e32 v14, v14, v18
	global_store_short v[0:1], v14, off
	s_or_b32 exec_lo, exec_lo, s0
	s_and_b32 s1, s3, s8
	s_and_saveexec_b32 s0, s1
	s_cbranch_execz .LBB285_158
.LBB285_175:
	v_cmp_ne_u32_e32 vcc_lo, 1, v60
	v_lshlrev_b64 v[0:1], 1, v[30:31]
	s_cbranch_vccnz .LBB285_177
; %bb.176:
	v_add_co_u32 v14, vcc_lo, v22, v0
	v_add_co_ci_u32_e64 v15, null, v23, v1, vcc_lo
	global_load_ushort v14, v[14:15], off
	s_waitcnt vmcnt(0)
	v_mul_f16_e32 v14, v42, v14
	s_branch .LBB285_178
.LBB285_177:
	v_mov_b32_e32 v14, 0
.LBB285_178:
	v_pk_max_f16 v15, v4, v4
	v_pk_max_f16 v16, v16, v16
	;; [unrolled: 1-line block ×4, first 2 shown]
	v_add_co_u32 v0, vcc_lo, v2, v0
	v_pk_min_f16 v15, v16, v15
	v_add_co_ci_u32_e64 v1, null, v3, v1, vcc_lo
	v_pk_min_f16 v16, v17, v18
	v_pk_add_f16 v15, v47, v15
	v_pk_add_f16 v15, v15, v16
	v_add_f16_sdwa v15, v15, v15 dst_sel:DWORD dst_unused:UNUSED_PAD src0_sel:DWORD src1_sel:WORD_1
	v_add_f16_e32 v14, v15, v14
	global_store_short v[0:1], v14, off
	s_or_b32 exec_lo, exec_lo, s0
	s_and_b32 s1, s4, s8
	s_and_saveexec_b32 s0, s1
	s_cbranch_execz .LBB285_159
.LBB285_179:
	v_cmp_ne_u32_e32 vcc_lo, 1, v60
	v_lshlrev_b64 v[0:1], 1, v[32:33]
	s_cbranch_vccnz .LBB285_181
; %bb.180:
	v_add_co_u32 v14, vcc_lo, v22, v0
	v_add_co_ci_u32_e64 v15, null, v23, v1, vcc_lo
	global_load_ushort v14, v[14:15], off
	s_waitcnt vmcnt(0)
	v_mul_f16_e32 v14, v42, v14
	s_branch .LBB285_182
.LBB285_181:
	v_mov_b32_e32 v14, 0
.LBB285_182:
	v_pk_max_f16 v15, v4, v4
	v_pk_max_f16 v10, v10, v10
	;; [unrolled: 1-line block ×4, first 2 shown]
	v_add_co_u32 v0, vcc_lo, v2, v0
	v_pk_min_f16 v10, v10, v15
	v_add_co_ci_u32_e64 v1, null, v3, v1, vcc_lo
	v_pk_min_f16 v11, v11, v16
	v_pk_add_f16 v10, v46, v10
	v_pk_add_f16 v10, v10, v11
	v_add_f16_sdwa v10, v10, v10 dst_sel:DWORD dst_unused:UNUSED_PAD src0_sel:DWORD src1_sel:WORD_1
	v_add_f16_e32 v10, v10, v14
	global_store_short v[0:1], v10, off
	s_or_b32 exec_lo, exec_lo, s0
	s_and_b32 s1, s5, s8
	s_and_saveexec_b32 s0, s1
	s_cbranch_execz .LBB285_160
.LBB285_183:
	v_cmp_ne_u32_e32 vcc_lo, 1, v60
	v_lshlrev_b64 v[0:1], 1, v[34:35]
	s_cbranch_vccnz .LBB285_185
; %bb.184:
	v_add_co_u32 v10, vcc_lo, v22, v0
	v_add_co_ci_u32_e64 v11, null, v23, v1, vcc_lo
	global_load_ushort v10, v[10:11], off
	s_waitcnt vmcnt(0)
	v_mul_f16_e32 v10, v42, v10
	s_branch .LBB285_186
.LBB285_185:
	v_mov_b32_e32 v10, 0
.LBB285_186:
	v_pk_max_f16 v11, v4, v4
	v_pk_max_f16 v12, v12, v12
	;; [unrolled: 1-line block ×4, first 2 shown]
	v_add_co_u32 v0, vcc_lo, v2, v0
	v_pk_min_f16 v11, v12, v11
	v_add_co_ci_u32_e64 v1, null, v3, v1, vcc_lo
	v_pk_min_f16 v12, v13, v14
	v_pk_add_f16 v11, v45, v11
	v_pk_add_f16 v11, v11, v12
	v_add_f16_sdwa v11, v11, v11 dst_sel:DWORD dst_unused:UNUSED_PAD src0_sel:DWORD src1_sel:WORD_1
	v_add_f16_e32 v10, v11, v10
	global_store_short v[0:1], v10, off
	s_or_b32 exec_lo, exec_lo, s0
	s_and_b32 s1, s6, s8
	s_and_saveexec_b32 s0, s1
	s_cbranch_execz .LBB285_161
.LBB285_187:
	v_cmp_ne_u32_e32 vcc_lo, 1, v60
	v_lshlrev_b64 v[0:1], 1, v[36:37]
	s_cbranch_vccnz .LBB285_189
; %bb.188:
	v_add_co_u32 v10, vcc_lo, v22, v0
	v_add_co_ci_u32_e64 v11, null, v23, v1, vcc_lo
	global_load_ushort v10, v[10:11], off
	s_waitcnt vmcnt(0)
	v_mul_f16_e32 v10, v42, v10
	s_branch .LBB285_190
.LBB285_189:
	v_mov_b32_e32 v10, 0
.LBB285_190:
	v_pk_max_f16 v11, v4, v4
	v_pk_max_f16 v6, v6, v6
	;; [unrolled: 1-line block ×4, first 2 shown]
	v_add_co_u32 v0, vcc_lo, v2, v0
	v_pk_min_f16 v6, v6, v11
	v_add_co_ci_u32_e64 v1, null, v3, v1, vcc_lo
	v_pk_min_f16 v7, v7, v12
	v_pk_add_f16 v6, v44, v6
	v_pk_add_f16 v6, v6, v7
	v_add_f16_sdwa v6, v6, v6 dst_sel:DWORD dst_unused:UNUSED_PAD src0_sel:DWORD src1_sel:WORD_1
	v_add_f16_e32 v6, v6, v10
	global_store_short v[0:1], v6, off
	s_or_b32 exec_lo, exec_lo, s0
	s_and_b32 s0, s7, s8
	s_and_saveexec_b32 s1, s0
	s_cbranch_execz .LBB285_162
.LBB285_191:
	v_cmp_ne_u32_e32 vcc_lo, 1, v60
	v_lshlrev_b64 v[0:1], 1, v[38:39]
	s_cbranch_vccnz .LBB285_193
; %bb.192:
	v_add_co_u32 v6, vcc_lo, v22, v0
	v_add_co_ci_u32_e64 v7, null, v23, v1, vcc_lo
	global_load_ushort v6, v[6:7], off
	s_waitcnt vmcnt(0)
	v_mul_f16_e32 v6, v42, v6
	s_branch .LBB285_194
.LBB285_193:
	v_mov_b32_e32 v6, 0
.LBB285_194:
	v_pk_max_f16 v4, v4, v4
	v_pk_max_f16 v7, v8, v8
	v_pk_max_f16 v5, v5, v5
	v_pk_max_f16 v8, v9, v9
	v_add_co_u32 v0, vcc_lo, v2, v0
	v_pk_min_f16 v4, v7, v4
	v_add_co_ci_u32_e64 v1, null, v3, v1, vcc_lo
	v_pk_min_f16 v5, v8, v5
	v_pk_add_f16 v4, v43, v4
	v_pk_add_f16 v4, v4, v5
	v_add_f16_sdwa v4, v4, v4 dst_sel:DWORD dst_unused:UNUSED_PAD src0_sel:DWORD src1_sel:WORD_1
	v_add_f16_e32 v4, v4, v6
	global_store_short v[0:1], v4, off
	s_endpgm
	.section	.rodata,"a",@progbits
	.p2align	6, 0x0
	.amdhsa_kernel _ZN12_GLOBAL__N_120geam_min_plus_kernelIDF16_Dv2_DF16_S1_Li8ELi32ELi64ELi128ELi4ELi64ELi4ELi4ELi64ELc78ELc78ELb0ELb1ELb0EPKDF16_S2_DF16_EEviiiT16_PT17_ilS6_ilS4_S6_ilPT18_ili26rocblas_geam_ex_operation_
		.amdhsa_group_segment_fixed_size 3072
		.amdhsa_private_segment_fixed_size 0
		.amdhsa_kernarg_size 136
		.amdhsa_user_sgpr_count 6
		.amdhsa_user_sgpr_private_segment_buffer 1
		.amdhsa_user_sgpr_dispatch_ptr 0
		.amdhsa_user_sgpr_queue_ptr 0
		.amdhsa_user_sgpr_kernarg_segment_ptr 1
		.amdhsa_user_sgpr_dispatch_id 0
		.amdhsa_user_sgpr_flat_scratch_init 0
		.amdhsa_user_sgpr_private_segment_size 0
		.amdhsa_wavefront_size32 1
		.amdhsa_uses_dynamic_stack 0
		.amdhsa_system_sgpr_private_segment_wavefront_offset 0
		.amdhsa_system_sgpr_workgroup_id_x 1
		.amdhsa_system_sgpr_workgroup_id_y 0
		.amdhsa_system_sgpr_workgroup_id_z 1
		.amdhsa_system_sgpr_workgroup_info 0
		.amdhsa_system_vgpr_workitem_id 1
		.amdhsa_next_free_vgpr 126
		.amdhsa_next_free_sgpr 28
		.amdhsa_reserve_vcc 1
		.amdhsa_reserve_flat_scratch 0
		.amdhsa_float_round_mode_32 0
		.amdhsa_float_round_mode_16_64 0
		.amdhsa_float_denorm_mode_32 3
		.amdhsa_float_denorm_mode_16_64 3
		.amdhsa_dx10_clamp 1
		.amdhsa_ieee_mode 1
		.amdhsa_fp16_overflow 0
		.amdhsa_workgroup_processor_mode 1
		.amdhsa_memory_ordered 1
		.amdhsa_forward_progress 1
		.amdhsa_shared_vgpr_count 0
		.amdhsa_exception_fp_ieee_invalid_op 0
		.amdhsa_exception_fp_denorm_src 0
		.amdhsa_exception_fp_ieee_div_zero 0
		.amdhsa_exception_fp_ieee_overflow 0
		.amdhsa_exception_fp_ieee_underflow 0
		.amdhsa_exception_fp_ieee_inexact 0
		.amdhsa_exception_int_div_zero 0
	.end_amdhsa_kernel
	.section	.text._ZN12_GLOBAL__N_120geam_min_plus_kernelIDF16_Dv2_DF16_S1_Li8ELi32ELi64ELi128ELi4ELi64ELi4ELi4ELi64ELc78ELc78ELb0ELb1ELb0EPKDF16_S2_DF16_EEviiiT16_PT17_ilS6_ilS4_S6_ilPT18_ili26rocblas_geam_ex_operation_,"axG",@progbits,_ZN12_GLOBAL__N_120geam_min_plus_kernelIDF16_Dv2_DF16_S1_Li8ELi32ELi64ELi128ELi4ELi64ELi4ELi4ELi64ELc78ELc78ELb0ELb1ELb0EPKDF16_S2_DF16_EEviiiT16_PT17_ilS6_ilS4_S6_ilPT18_ili26rocblas_geam_ex_operation_,comdat
.Lfunc_end285:
	.size	_ZN12_GLOBAL__N_120geam_min_plus_kernelIDF16_Dv2_DF16_S1_Li8ELi32ELi64ELi128ELi4ELi64ELi4ELi4ELi64ELc78ELc78ELb0ELb1ELb0EPKDF16_S2_DF16_EEviiiT16_PT17_ilS6_ilS4_S6_ilPT18_ili26rocblas_geam_ex_operation_, .Lfunc_end285-_ZN12_GLOBAL__N_120geam_min_plus_kernelIDF16_Dv2_DF16_S1_Li8ELi32ELi64ELi128ELi4ELi64ELi4ELi4ELi64ELc78ELc78ELb0ELb1ELb0EPKDF16_S2_DF16_EEviiiT16_PT17_ilS6_ilS4_S6_ilPT18_ili26rocblas_geam_ex_operation_
                                        ; -- End function
	.set _ZN12_GLOBAL__N_120geam_min_plus_kernelIDF16_Dv2_DF16_S1_Li8ELi32ELi64ELi128ELi4ELi64ELi4ELi4ELi64ELc78ELc78ELb0ELb1ELb0EPKDF16_S2_DF16_EEviiiT16_PT17_ilS6_ilS4_S6_ilPT18_ili26rocblas_geam_ex_operation_.num_vgpr, 126
	.set _ZN12_GLOBAL__N_120geam_min_plus_kernelIDF16_Dv2_DF16_S1_Li8ELi32ELi64ELi128ELi4ELi64ELi4ELi4ELi64ELc78ELc78ELb0ELb1ELb0EPKDF16_S2_DF16_EEviiiT16_PT17_ilS6_ilS4_S6_ilPT18_ili26rocblas_geam_ex_operation_.num_agpr, 0
	.set _ZN12_GLOBAL__N_120geam_min_plus_kernelIDF16_Dv2_DF16_S1_Li8ELi32ELi64ELi128ELi4ELi64ELi4ELi4ELi64ELc78ELc78ELb0ELb1ELb0EPKDF16_S2_DF16_EEviiiT16_PT17_ilS6_ilS4_S6_ilPT18_ili26rocblas_geam_ex_operation_.numbered_sgpr, 28
	.set _ZN12_GLOBAL__N_120geam_min_plus_kernelIDF16_Dv2_DF16_S1_Li8ELi32ELi64ELi128ELi4ELi64ELi4ELi4ELi64ELc78ELc78ELb0ELb1ELb0EPKDF16_S2_DF16_EEviiiT16_PT17_ilS6_ilS4_S6_ilPT18_ili26rocblas_geam_ex_operation_.num_named_barrier, 0
	.set _ZN12_GLOBAL__N_120geam_min_plus_kernelIDF16_Dv2_DF16_S1_Li8ELi32ELi64ELi128ELi4ELi64ELi4ELi4ELi64ELc78ELc78ELb0ELb1ELb0EPKDF16_S2_DF16_EEviiiT16_PT17_ilS6_ilS4_S6_ilPT18_ili26rocblas_geam_ex_operation_.private_seg_size, 0
	.set _ZN12_GLOBAL__N_120geam_min_plus_kernelIDF16_Dv2_DF16_S1_Li8ELi32ELi64ELi128ELi4ELi64ELi4ELi4ELi64ELc78ELc78ELb0ELb1ELb0EPKDF16_S2_DF16_EEviiiT16_PT17_ilS6_ilS4_S6_ilPT18_ili26rocblas_geam_ex_operation_.uses_vcc, 1
	.set _ZN12_GLOBAL__N_120geam_min_plus_kernelIDF16_Dv2_DF16_S1_Li8ELi32ELi64ELi128ELi4ELi64ELi4ELi4ELi64ELc78ELc78ELb0ELb1ELb0EPKDF16_S2_DF16_EEviiiT16_PT17_ilS6_ilS4_S6_ilPT18_ili26rocblas_geam_ex_operation_.uses_flat_scratch, 0
	.set _ZN12_GLOBAL__N_120geam_min_plus_kernelIDF16_Dv2_DF16_S1_Li8ELi32ELi64ELi128ELi4ELi64ELi4ELi4ELi64ELc78ELc78ELb0ELb1ELb0EPKDF16_S2_DF16_EEviiiT16_PT17_ilS6_ilS4_S6_ilPT18_ili26rocblas_geam_ex_operation_.has_dyn_sized_stack, 0
	.set _ZN12_GLOBAL__N_120geam_min_plus_kernelIDF16_Dv2_DF16_S1_Li8ELi32ELi64ELi128ELi4ELi64ELi4ELi4ELi64ELc78ELc78ELb0ELb1ELb0EPKDF16_S2_DF16_EEviiiT16_PT17_ilS6_ilS4_S6_ilPT18_ili26rocblas_geam_ex_operation_.has_recursion, 0
	.set _ZN12_GLOBAL__N_120geam_min_plus_kernelIDF16_Dv2_DF16_S1_Li8ELi32ELi64ELi128ELi4ELi64ELi4ELi4ELi64ELc78ELc78ELb0ELb1ELb0EPKDF16_S2_DF16_EEviiiT16_PT17_ilS6_ilS4_S6_ilPT18_ili26rocblas_geam_ex_operation_.has_indirect_call, 0
	.section	.AMDGPU.csdata,"",@progbits
; Kernel info:
; codeLenInByte = 12176
; TotalNumSgprs: 30
; NumVgprs: 126
; ScratchSize: 0
; MemoryBound: 0
; FloatMode: 240
; IeeeMode: 1
; LDSByteSize: 3072 bytes/workgroup (compile time only)
; SGPRBlocks: 0
; VGPRBlocks: 15
; NumSGPRsForWavesPerEU: 30
; NumVGPRsForWavesPerEU: 126
; Occupancy: 8
; WaveLimiterHint : 0
; COMPUTE_PGM_RSRC2:SCRATCH_EN: 0
; COMPUTE_PGM_RSRC2:USER_SGPR: 6
; COMPUTE_PGM_RSRC2:TRAP_HANDLER: 0
; COMPUTE_PGM_RSRC2:TGID_X_EN: 1
; COMPUTE_PGM_RSRC2:TGID_Y_EN: 0
; COMPUTE_PGM_RSRC2:TGID_Z_EN: 1
; COMPUTE_PGM_RSRC2:TIDIG_COMP_CNT: 1
	.section	.text._ZN12_GLOBAL__N_120geam_min_plus_kernelIDF16_Dv2_DF16_S1_Li8ELi32ELi64ELi128ELi4ELi64ELi4ELi4ELi64ELc78ELc78ELb1ELb1ELb0EDF16_KDF16_DF16_EEviiiT16_PT17_ilS5_ilS3_S5_ilPT18_ili26rocblas_geam_ex_operation_,"axG",@progbits,_ZN12_GLOBAL__N_120geam_min_plus_kernelIDF16_Dv2_DF16_S1_Li8ELi32ELi64ELi128ELi4ELi64ELi4ELi4ELi64ELc78ELc78ELb1ELb1ELb0EDF16_KDF16_DF16_EEviiiT16_PT17_ilS5_ilS3_S5_ilPT18_ili26rocblas_geam_ex_operation_,comdat
	.globl	_ZN12_GLOBAL__N_120geam_min_plus_kernelIDF16_Dv2_DF16_S1_Li8ELi32ELi64ELi128ELi4ELi64ELi4ELi4ELi64ELc78ELc78ELb1ELb1ELb0EDF16_KDF16_DF16_EEviiiT16_PT17_ilS5_ilS3_S5_ilPT18_ili26rocblas_geam_ex_operation_ ; -- Begin function _ZN12_GLOBAL__N_120geam_min_plus_kernelIDF16_Dv2_DF16_S1_Li8ELi32ELi64ELi128ELi4ELi64ELi4ELi4ELi64ELc78ELc78ELb1ELb1ELb0EDF16_KDF16_DF16_EEviiiT16_PT17_ilS5_ilS3_S5_ilPT18_ili26rocblas_geam_ex_operation_
	.p2align	8
	.type	_ZN12_GLOBAL__N_120geam_min_plus_kernelIDF16_Dv2_DF16_S1_Li8ELi32ELi64ELi128ELi4ELi64ELi4ELi4ELi64ELc78ELc78ELb1ELb1ELb0EDF16_KDF16_DF16_EEviiiT16_PT17_ilS5_ilS3_S5_ilPT18_ili26rocblas_geam_ex_operation_,@function
_ZN12_GLOBAL__N_120geam_min_plus_kernelIDF16_Dv2_DF16_S1_Li8ELi32ELi64ELi128ELi4ELi64ELi4ELi4ELi64ELc78ELc78ELb1ELb1ELb0EDF16_KDF16_DF16_EEviiiT16_PT17_ilS5_ilS3_S5_ilPT18_ili26rocblas_geam_ex_operation_: ; @_ZN12_GLOBAL__N_120geam_min_plus_kernelIDF16_Dv2_DF16_S1_Li8ELi32ELi64ELi128ELi4ELi64ELi4ELi4ELi64ELc78ELc78ELb1ELb1ELb0EDF16_KDF16_DF16_EEviiiT16_PT17_ilS5_ilS3_S5_ilPT18_ili26rocblas_geam_ex_operation_
; %bb.0:
	s_clause 0x1
	s_load_dwordx4 s[12:15], s[4:5], 0x0
	s_load_dwordx4 s[0:3], s[4:5], 0x20
	s_waitcnt lgkmcnt(0)
	v_cmp_eq_f16_e64 s8, s15, 0
	s_and_b32 vcc_lo, exec_lo, s8
	s_cbranch_vccnz .LBB286_37
; %bb.1:
	s_load_dwordx2 s[10:11], s[4:5], 0x10
	s_mul_i32 s1, s1, s7
	s_mul_hi_u32 s9, s0, s7
	s_mul_i32 s0, s0, s7
	s_add_i32 s1, s9, s1
	s_lshl_b64 s[0:1], s[0:1], 1
	s_waitcnt lgkmcnt(0)
	s_add_u32 s18, s10, s0
	s_addc_u32 s19, s11, s1
	s_andn2_b32 vcc_lo, exec_lo, s8
	s_mov_b32 s0, -1
	s_cbranch_vccnz .LBB286_3
.LBB286_2:
	s_mov_b32 s0, 0
.LBB286_3:
	s_mov_b64 s[16:17], 0
	s_andn2_b32 vcc_lo, exec_lo, s0
	s_mov_b64 s[20:21], 0
	s_cbranch_vccnz .LBB286_5
; %bb.4:
	s_load_dwordx2 s[0:1], s[4:5], 0x38
	s_waitcnt lgkmcnt(0)
	s_mul_i32 s1, s1, s7
	s_mul_hi_u32 s8, s0, s7
	s_mul_i32 s0, s0, s7
	s_add_i32 s1, s8, s1
	s_lshl_b64 s[0:1], s[0:1], 1
	s_add_u32 s20, s2, s0
	s_addc_u32 s21, s3, s1
.LBB286_5:
	s_clause 0x1
	s_load_dword s15, s[4:5], 0x40
	s_load_dwordx4 s[8:11], s[4:5], 0x58
	s_waitcnt lgkmcnt(0)
	v_cmp_eq_f16_e64 s0, s15, 0
	v_cmp_neq_f16_e64 s3, s15, 0
	s_and_b32 vcc_lo, exec_lo, s0
	s_cbranch_vccnz .LBB286_7
; %bb.6:
	s_load_dwordx2 s[0:1], s[4:5], 0x48
	s_mul_i32 s2, s9, s7
	s_mul_hi_u32 s9, s8, s7
	s_mul_i32 s8, s8, s7
	s_add_i32 s9, s9, s2
	s_lshl_b64 s[8:9], s[8:9], 1
	s_waitcnt lgkmcnt(0)
	s_add_u32 s16, s0, s8
	s_addc_u32 s17, s1, s9
.LBB286_7:
	s_add_i32 s0, s12, -1
	s_load_dword s8, s[4:5], 0x18
	s_ashr_i32 s1, s0, 31
	v_lshl_add_u32 v4, v1, 3, v0
	s_lshr_b32 s1, s1, 26
	v_mov_b32_e32 v10, 0
	s_add_i32 s0, s0, s1
	v_mov_b32_e32 v11, 0
	s_ashr_i32 s0, s0, 6
	v_and_b32_e32 v9, 63, v4
	s_add_i32 s1, s0, 1
	s_not_b32 s0, s0
	v_cvt_f32_u32_e32 v2, s1
	v_lshrrev_b32_e32 v30, 6, v4
	v_rcp_iflag_f32_e32 v2, v2
	v_cmp_gt_i32_e32 vcc_lo, s14, v30
	s_waitcnt lgkmcnt(0)
	s_ashr_i32 s9, s8, 31
	v_mul_f32_e32 v2, 0x4f7ffffe, v2
	v_cvt_u32_f32_e32 v2, v2
	v_readfirstlane_b32 s2, v2
	s_mul_i32 s0, s0, s2
	s_mul_hi_u32 s0, s2, s0
	s_add_i32 s2, s2, s0
	s_mul_hi_u32 s0, s6, s2
	s_mul_i32 s2, s0, s1
	s_add_i32 s22, s0, 1
	s_sub_i32 s2, s6, s2
	s_sub_i32 s23, s2, s1
	s_cmp_ge_u32 s2, s1
	s_cselect_b32 s0, s22, s0
	s_cselect_b32 s2, s23, s2
	s_add_i32 s22, s0, 1
	s_cmp_ge_u32 s2, s1
	s_cselect_b32 s2, s22, s0
	s_mul_i32 s0, s2, s1
	s_sub_i32 s0, s6, s0
	s_lshl_b32 s6, s0, 6
	v_or_b32_e32 v2, s6, v9
	v_cmp_gt_i32_e64 s0, s12, v2
	v_cmp_le_i32_e64 s1, s12, v2
	v_ashrrev_i32_e32 v3, 31, v2
	s_and_b32 s22, vcc_lo, s0
	s_and_saveexec_b32 s0, s22
	s_cbranch_execz .LBB286_9
; %bb.8:
	v_mad_i64_i32 v[5:6], null, s8, v30, 0
	v_lshlrev_b64 v[7:8], 1, v[2:3]
	v_lshlrev_b64 v[5:6], 1, v[5:6]
	v_add_co_u32 v5, vcc_lo, s18, v5
	v_add_co_ci_u32_e64 v6, null, s19, v6, vcc_lo
	v_add_co_u32 v5, vcc_lo, v5, v7
	v_add_co_ci_u32_e64 v6, null, v6, v8, vcc_lo
	global_load_ushort v11, v[5:6], off
.LBB286_9:
	s_or_b32 exec_lo, exec_lo, s0
	s_load_dword s25, s[4:5], 0x30
	v_lshrrev_b32_e32 v12, 2, v4
	v_and_b32_e32 v31, 3, v0
	s_lshl_b32 s22, s2, 7
	v_add_nc_u32_e32 v4, s22, v12
	v_lshlrev_b32_e32 v32, 1, v31
	v_cmp_le_i32_e64 s2, s14, v31
	v_cmp_le_i32_e32 vcc_lo, s13, v4
	v_add_co_u32 v13, s0, s20, v32
	v_add_co_ci_u32_e64 v14, null, s21, 0, s0
	s_nor_b32 s0, s2, vcc_lo
	s_and_saveexec_b32 s23, s0
	s_cbranch_execz .LBB286_11
; %bb.10:
	s_waitcnt lgkmcnt(0)
	v_mad_i64_i32 v[5:6], null, v4, s25, 0
	v_lshlrev_b64 v[5:6], 1, v[5:6]
	v_add_co_u32 v5, s0, v13, v5
	v_add_co_ci_u32_e64 v6, null, v14, v6, s0
	global_load_ushort v10, v[5:6], off
.LBB286_11:
	s_or_b32 exec_lo, exec_lo, s23
	v_add_nc_u32_e32 v5, 64, v4
	v_mov_b32_e32 v6, 0
	v_mov_b32_e32 v15, 0
	v_cmp_le_i32_e64 s0, s13, v5
	s_nor_b32 s2, s2, s0
	s_and_saveexec_b32 s23, s2
	s_cbranch_execz .LBB286_13
; %bb.12:
	s_waitcnt lgkmcnt(0)
	v_mad_i64_i32 v[7:8], null, v5, s25, 0
	v_lshlrev_b64 v[7:8], 1, v[7:8]
	v_add_co_u32 v7, s2, v13, v7
	v_add_co_ci_u32_e64 v8, null, v14, v8, s2
	global_load_ushort v15, v[7:8], off
.LBB286_13:
	s_or_b32 exec_lo, exec_lo, s23
	v_add_nc_u32_e32 v7, 4, v30
	s_xor_b32 s23, s1, -1
	v_cmp_gt_i32_e64 s2, s14, v7
	s_and_b32 s1, s23, s2
	s_and_saveexec_b32 s2, s1
	s_cbranch_execz .LBB286_15
; %bb.14:
	v_mad_u64_u32 v[16:17], null, s8, v7, 0
	v_mov_b32_e32 v6, v17
	v_mad_u64_u32 v[6:7], null, s9, v7, v[6:7]
	v_mov_b32_e32 v17, v6
	v_lshlrev_b64 v[6:7], 1, v[16:17]
	v_lshlrev_b64 v[16:17], 1, v[2:3]
	v_add_co_u32 v6, s1, s18, v6
	v_add_co_ci_u32_e64 v7, null, s19, v7, s1
	v_add_co_u32 v6, s1, v6, v16
	v_add_co_ci_u32_e64 v7, null, v7, v17, s1
	global_load_ushort v6, v[6:7], off
.LBB286_15:
	s_or_b32 exec_lo, exec_lo, s2
	v_or_b32_e32 v7, 4, v31
	v_mov_b32_e32 v8, 0
	v_cmp_le_i32_e64 s1, s14, v7
	v_mov_b32_e32 v7, 0
	s_nor_b32 s2, s1, vcc_lo
	s_and_saveexec_b32 s24, s2
	s_cbranch_execz .LBB286_17
; %bb.16:
	s_waitcnt lgkmcnt(0)
	v_mad_i64_i32 v[16:17], null, v4, s25, 0
	v_lshlrev_b64 v[16:17], 1, v[16:17]
	v_add_co_u32 v16, s2, v13, v16
	v_add_co_ci_u32_e64 v17, null, v14, v17, s2
	global_load_ushort v8, v[16:17], off offset:8
.LBB286_17:
	s_or_b32 exec_lo, exec_lo, s24
	s_nor_b32 s1, s1, s0
	s_and_saveexec_b32 s2, s1
	s_cbranch_execz .LBB286_19
; %bb.18:
	s_waitcnt lgkmcnt(0)
	v_mad_i64_i32 v[16:17], null, v5, s25, 0
	v_lshlrev_b64 v[16:17], 1, v[16:17]
	v_add_co_u32 v13, s1, v13, v16
	v_add_co_ci_u32_e64 v14, null, v14, v17, s1
	global_load_ushort v7, v[13:14], off offset:8
.LBB286_19:
	s_or_b32 exec_lo, exec_lo, s2
	v_lshlrev_b32_e32 v9, 3, v9
	v_lshlrev_b32_e32 v12, 3, v12
	;; [unrolled: 1-line block ×4, first 2 shown]
	s_mov_b32 s24, 0
	v_lshl_add_u32 v9, v30, 1, v9
	v_lshl_or_b32 v35, v31, 1, v12
	v_add_nc_u32_e32 v36, 0x800, v34
	s_cmp_lt_i32 s14, 9
	s_waitcnt vmcnt(0)
	ds_write_b16 v9, v11 offset:2048
	ds_write_b16 v35, v10
	ds_write_b16 v35, v15 offset:512
	s_waitcnt lgkmcnt(0)
	s_barrier
	buffer_gl0_inv
	ds_read2_b64 v[10:13], v33 offset1:32
	ds_read2_b64 v[14:17], v36 offset0:48 offset1:56
	ds_read2_b64 v[18:21], v33 offset0:64 offset1:96
	ds_read2_b64 v[22:25], v36 offset1:8
	ds_read2_b64 v[26:29], v36 offset0:16 offset1:24
	ds_read2_b64 v[37:40], v36 offset0:32 offset1:40
	ds_write_b16 v9, v6 offset:2560
	ds_write_b16 v35, v8 offset:1024
	ds_write_b16 v35, v7 offset:1536
	s_waitcnt lgkmcnt(0)
	s_barrier
	buffer_gl0_inv
	v_pk_max_f16 v10, v10, v10
	v_pk_max_f16 v16, v16, v16
	v_pk_max_f16 v12, v12, v12
	v_pk_max_f16 v11, v11, v11
	v_pk_max_f16 v17, v17, v17
	v_pk_max_f16 v18, v18, v18
	v_pk_min_f16 v36, v16, v10
	v_pk_max_f16 v22, v22, v22
	v_pk_max_f16 v20, v20, v20
	;; [unrolled: 1-line block ×4, first 2 shown]
	v_pk_min_f16 v41, v16, v12
	v_pk_max_f16 v28, v28, v28
	v_pk_max_f16 v37, v37, v37
	;; [unrolled: 1-line block ×5, first 2 shown]
	v_pk_add_f16 v36, v36, 0
	v_pk_min_f16 v50, v17, v11
	v_pk_min_f16 v42, v16, v18
	;; [unrolled: 1-line block ×19, first 2 shown]
	v_pk_max_f16 v19, v19, v19
	v_pk_max_f16 v21, v21, v21
	v_pk_min_f16 v59, v37, v12
	v_pk_min_f16 v60, v37, v18
	v_pk_max_f16 v23, v23, v23
	v_pk_min_f16 v37, v37, v20
	v_pk_min_f16 v61, v39, v10
	;; [unrolled: 1-line block ×10, first 2 shown]
	v_pk_add_f16 v67, v36, v50
	v_pk_add_f16 v20, v41, 0
	v_pk_min_f16 v36, v17, v13
	v_pk_max_f16 v25, v25, v25
	v_pk_add_f16 v43, v43, 0
	v_pk_min_f16 v57, v23, v11
	v_pk_min_f16 v64, v23, v13
	;; [unrolled: 1-line block ×3, first 2 shown]
	v_pk_add_f16 v58, v20, v36
	v_pk_add_f16 v20, v22, 0
	v_pk_min_f16 v23, v23, v21
	v_pk_add_f16 v41, v42, 0
	v_pk_min_f16 v42, v17, v19
	v_pk_add_f16 v69, v43, v57
	v_pk_add_f16 v22, v46, 0
	;; [unrolled: 1-line block ×4, first 2 shown]
	v_pk_min_f16 v20, v25, v11
	v_pk_add_f16 v45, v45, 0
	v_pk_add_f16 v50, v41, v42
	;; [unrolled: 1-line block ×3, first 2 shown]
	v_pk_max_f16 v27, v27, v27
	v_pk_add_f16 v41, v22, v20
	v_pk_min_f16 v20, v25, v13
	v_pk_add_f16 v44, v44, 0
	v_pk_add_f16 v57, v45, v65
	;; [unrolled: 1-line block ×5, first 2 shown]
	v_pk_min_f16 v20, v25, v19
	v_pk_min_f16 v25, v25, v21
	v_pk_max_f16 v29, v29, v29
	v_pk_add_f16 v66, v44, v64
	v_pk_add_f16 v44, v51, 0
	;; [unrolled: 1-line block ×5, first 2 shown]
	v_pk_min_f16 v20, v27, v11
	v_pk_min_f16 v24, v27, v13
	v_pk_add_f16 v45, v52, 0
	v_pk_add_f16 v26, v26, 0
	;; [unrolled: 1-line block ×6, first 2 shown]
	v_pk_min_f16 v20, v27, v19
	v_pk_min_f16 v24, v27, v21
	;; [unrolled: 1-line block ×3, first 2 shown]
	v_pk_add_f16 v46, v54, 0
	v_pk_add_f16 v51, v55, 0
	;; [unrolled: 1-line block ×8, first 2 shown]
	v_pk_min_f16 v20, v29, v13
	v_pk_min_f16 v23, v29, v19
	;; [unrolled: 1-line block ×3, first 2 shown]
	v_pk_max_f16 v26, v38, v38
	v_pk_add_f16 v53, v60, 0
	v_pk_add_f16 v68, v63, 0
	;; [unrolled: 1-line block ×5, first 2 shown]
	v_pk_min_f16 v20, v26, v11
	v_pk_min_f16 v23, v26, v13
	v_pk_min_f16 v24, v26, v19
	v_pk_max_f16 v27, v40, v40
	v_pk_max_f16 v15, v15, v15
	v_pk_add_f16 v60, v61, 0
	v_pk_add_f16 v61, v62, 0
	;; [unrolled: 1-line block ×7, first 2 shown]
	v_pk_min_f16 v26, v26, v21
	v_pk_add_f16 v36, v22, v20
	v_pk_add_f16 v62, v52, v23
	v_pk_add_f16 v53, v53, v24
	v_pk_min_f16 v20, v27, v11
	v_pk_min_f16 v22, v27, v13
	;; [unrolled: 1-line block ×9, first 2 shown]
	v_pk_add_f16 v45, v59, v26
	v_pk_add_f16 v38, v60, v20
	;; [unrolled: 1-line block ×10, first 2 shown]
	s_cbranch_scc1 .LBB286_34
; %bb.20:
	v_add_nc_u32_e32 v8, v33, v0
	v_lshlrev_b64 v[2:3], 1, v[2:3]
	v_mad_i64_i32 v[6:7], null, s25, v4, 0
	v_or_b32_e32 v59, 0x800, v9
	v_lshrrev_b32_e32 v4, 6, v8
	v_add_nc_u32_e32 v70, 0xa00, v9
	v_add_co_u32 v72, s1, s18, v2
	v_add_co_ci_u32_e64 v73, null, s19, v3, s1
	v_mad_i64_i32 v[2:3], null, s25, v5, 0
	v_add_nc_u32_e32 v8, 12, v4
	v_add_nc_u32_e32 v9, 8, v4
	v_lshlrev_b64 v[4:5], 1, v[6:7]
	v_or_b32_e32 v68, 0x800, v34
	v_add_nc_u32_e32 v71, 0x400, v35
	v_mad_i64_i32 v[6:7], null, v8, s8, 0
	v_mad_i64_i32 v[8:9], null, v9, s8, 0
	v_lshlrev_b64 v[2:3], 1, v[2:3]
	v_add_co_u32 v76, s1, s20, v4
	v_add_co_ci_u32_e64 v77, null, s21, v5, s1
	v_lshlrev_b64 v[26:27], 1, v[6:7]
	v_add_co_u32 v78, s1, s20, v2
	v_lshlrev_b64 v[28:29], 1, v[8:9]
	v_lshl_add_u32 v74, v0, 3, 0xa00
	v_add_nc_u32_e32 v75, 0x400, v33
	v_add_co_ci_u32_e64 v79, null, s21, v3, s1
	s_add_i32 s18, s14, -8
	s_lshl_b64 s[8:9], s[8:9], 4
	s_branch .LBB286_22
.LBB286_21:                             ;   in Loop: Header=BB286_22 Depth=1
	s_or_b32 exec_lo, exec_lo, s2
	v_pk_max_f16 v4, v4, v4
	v_pk_max_f16 v22, v22, v22
	;; [unrolled: 1-line block ×7, first 2 shown]
	v_pk_min_f16 v83, v4, v22
	v_pk_min_f16 v84, v4, v24
	;; [unrolled: 1-line block ×3, first 2 shown]
	v_pk_max_f16 v16, v16, v16
	v_pk_max_f16 v12, v12, v12
	v_pk_min_f16 v92, v10, v22
	v_pk_min_f16 v93, v10, v24
	;; [unrolled: 1-line block ×4, first 2 shown]
	v_pk_max_f16 v23, v23, v23
	v_pk_max_f16 v25, v25, v25
	;; [unrolled: 1-line block ×15, first 2 shown]
	v_pk_min_f16 v86, v14, v22
	v_pk_min_f16 v87, v14, v24
	;; [unrolled: 1-line block ×57, first 2 shown]
	v_pk_add_f16 v3, v67, v83
	v_pk_add_f16 v5, v58, v84
	;; [unrolled: 1-line block ×17, first 2 shown]
	ds_read2_b64 v[2:5], v68 offset0:48 offset1:56
	ds_read2_b64 v[6:9], v33 offset1:32
	v_pk_add_f16 v65, v10, v11
	ds_read2_b64 v[10:13], v33 offset0:64 offset1:96
	v_pk_add_f16 v48, v64, v93
	v_pk_add_f16 v47, v63, v96
	;; [unrolled: 1-line block ×4, first 2 shown]
	ds_read2_b64 v[14:17], v68 offset1:8
	v_pk_add_f16 v58, v69, v86
	v_pk_add_f16 v66, v66, v87
	;; [unrolled: 1-line block ×10, first 2 shown]
	ds_read2_b64 v[18:21], v68 offset0:16 offset1:24
	s_waitcnt lgkmcnt(4)
	v_pk_max_f16 v4, v4, v4
	s_waitcnt lgkmcnt(3)
	v_pk_max_f16 v6, v6, v6
	v_pk_max_f16 v8, v8, v8
	s_waitcnt lgkmcnt(2)
	v_pk_max_f16 v10, v10, v10
	v_pk_add_f16 v57, v57, v105
	v_pk_max_f16 v12, v12, v12
	v_pk_min_f16 v22, v4, v6
	v_pk_min_f16 v23, v4, v8
	;; [unrolled: 1-line block ×3, first 2 shown]
	s_waitcnt lgkmcnt(1)
	v_pk_max_f16 v14, v14, v14
	v_pk_max_f16 v16, v16, v16
	v_pk_add_f16 v43, v43, v22
	v_pk_add_f16 v51, v51, v23
	;; [unrolled: 1-line block ×3, first 2 shown]
	v_pk_min_f16 v22, v14, v6
	v_pk_min_f16 v23, v14, v8
	;; [unrolled: 1-line block ×4, first 2 shown]
	v_pk_add_f16 v41, v41, v89
	v_pk_add_f16 v83, v58, v22
	v_pk_add_f16 v60, v60, v23
	v_pk_add_f16 v57, v57, v24
	ds_read2_b64 v[22:25], v68 offset0:32 offset1:40
	v_pk_add_f16 v39, v39, v92
	v_pk_add_f16 v49, v49, v107
	;; [unrolled: 1-line block ×3, first 2 shown]
	v_pk_min_f16 v63, v16, v8
	s_waitcnt lgkmcnt(1)
	v_pk_max_f16 v18, v18, v18
	v_pk_add_f16 v56, v56, v91
	v_pk_add_f16 v41, v41, v106
	;; [unrolled: 1-line block ×3, first 2 shown]
	v_pk_min_f16 v58, v16, v6
	v_pk_add_f16 v63, v49, v63
	v_pk_min_f16 v49, v18, v6
	v_pk_max_f16 v20, v20, v20
	v_pk_add_f16 v36, v36, v98
	v_pk_add_f16 v56, v56, v108
	;; [unrolled: 1-line block ×4, first 2 shown]
	v_pk_min_f16 v84, v16, v10
	v_pk_add_f16 v41, v41, v58
	v_pk_min_f16 v58, v18, v8
	v_pk_add_f16 v39, v39, v49
	v_pk_min_f16 v49, v20, v8
	s_waitcnt lgkmcnt(0)
	v_pk_max_f16 v22, v22, v22
	v_pk_add_f16 v37, v37, v95
	v_pk_add_f16 v62, v62, v99
	;; [unrolled: 1-line block ×6, first 2 shown]
	v_pk_min_f16 v48, v20, v6
	v_pk_min_f16 v58, v20, v10
	;; [unrolled: 1-line block ×3, first 2 shown]
	v_pk_add_f16 v85, v47, v49
	v_pk_min_f16 v47, v22, v6
	v_pk_add_f16 v37, v37, v112
	v_pk_add_f16 v62, v62, v117
	;; [unrolled: 1-line block ×3, first 2 shown]
	v_pk_min_f16 v16, v16, v12
	v_pk_add_f16 v20, v46, v20
	v_pk_min_f16 v46, v22, v8
	v_pk_max_f16 v24, v24, v24
	v_pk_add_f16 v36, v36, v47
	v_pk_min_f16 v47, v22, v10
	v_pk_min_f16 v22, v22, v12
	v_pk_max_f16 v2, v2, v2
	v_pk_max_f16 v5, v5, v5
	;; [unrolled: 1-line block ×3, first 2 shown]
	v_pk_add_f16 v54, v54, v97
	v_pk_add_f16 v40, v40, v124
	;; [unrolled: 1-line block ×3, first 2 shown]
	v_pk_min_f16 v64, v18, v10
	v_pk_min_f16 v18, v18, v12
	v_pk_add_f16 v37, v37, v48
	v_pk_add_f16 v62, v62, v46
	v_pk_min_f16 v46, v24, v6
	v_pk_min_f16 v48, v24, v8
	v_pk_add_f16 v22, v45, v22
	v_pk_min_f16 v45, v24, v10
	v_pk_min_f16 v24, v24, v12
	v_pk_min_f16 v6, v2, v6
	v_pk_min_f16 v8, v2, v8
	v_pk_min_f16 v10, v2, v10
	v_pk_min_f16 v2, v2, v12
	v_pk_max_f16 v9, v9, v9
	v_pk_min_f16 v4, v4, v12
	v_pk_max_f16 v11, v11, v11
	v_pk_min_f16 v12, v5, v7
	v_pk_add_f16 v54, v54, v114
	v_pk_add_f16 v8, v67, v8
	;; [unrolled: 1-line block ×3, first 2 shown]
	v_pk_min_f16 v40, v5, v9
	v_pk_add_f16 v4, v42, v4
	v_pk_min_f16 v42, v5, v11
	v_pk_max_f16 v15, v15, v15
	v_pk_add_f16 v67, v43, v12
	v_pk_max_f16 v12, v13, v13
	v_pk_add_f16 v55, v55, v94
	v_pk_add_f16 v61, v61, v102
	;; [unrolled: 1-line block ×5, first 2 shown]
	v_pk_min_f16 v13, v15, v7
	v_pk_min_f16 v40, v15, v9
	;; [unrolled: 1-line block ×4, first 2 shown]
	v_pk_max_f16 v17, v17, v17
	v_pk_add_f16 v53, v53, v100
	v_pk_add_f16 v55, v55, v111
	;; [unrolled: 1-line block ×6, first 2 shown]
	v_pk_min_f16 v13, v17, v7
	v_pk_min_f16 v14, v17, v9
	;; [unrolled: 1-line block ×4, first 2 shown]
	v_pk_max_f16 v19, v19, v19
	v_pk_add_f16 v38, v38, v101
	v_pk_add_f16 v53, v53, v118
	;; [unrolled: 1-line block ×9, first 2 shown]
	v_pk_min_f16 v13, v19, v7
	v_pk_min_f16 v14, v19, v9
	;; [unrolled: 1-line block ×4, first 2 shown]
	v_pk_max_f16 v17, v21, v21
	v_pk_add_f16 v52, v52, v103
	v_pk_add_f16 v38, v38, v120
	;; [unrolled: 1-line block ×7, first 2 shown]
	v_pk_min_f16 v13, v17, v7
	v_pk_min_f16 v14, v17, v9
	;; [unrolled: 1-line block ×4, first 2 shown]
	v_pk_max_f16 v17, v23, v23
	v_pk_add_f16 v52, v52, v122
	v_pk_add_f16 v44, v44, v123
	;; [unrolled: 1-line block ×7, first 2 shown]
	v_pk_min_f16 v13, v17, v7
	v_pk_min_f16 v14, v17, v9
	;; [unrolled: 1-line block ×4, first 2 shown]
	v_pk_max_f16 v17, v25, v25
	v_pk_max_f16 v3, v3, v3
	v_add_co_u32 v76, s1, v76, 16
	v_pk_add_f16 v52, v52, v45
	v_pk_add_f16 v24, v44, v24
	;; [unrolled: 1-line block ×7, first 2 shown]
	v_pk_min_f16 v13, v17, v7
	v_pk_min_f16 v14, v17, v9
	;; [unrolled: 1-line block ×9, first 2 shown]
	v_add_co_ci_u32_e64 v77, null, 0, v77, s1
	v_add_co_u32 v78, s1, v78, 16
	v_add_co_ci_u32_e64 v79, null, 0, v79, s1
	v_add_co_u32 v72, s1, v72, s8
	v_pk_add_f16 v66, v60, v40
	v_pk_add_f16 v57, v57, v42
	;; [unrolled: 1-line block ×11, first 2 shown]
	v_add_co_ci_u32_e64 v73, null, s9, v73, s1
	s_add_i32 s24, s24, 8
	s_waitcnt vmcnt(0)
	ds_write_b16 v70, v81
	ds_write_b16 v71, v80
	ds_write_b16 v71, v82 offset:512
	s_cmp_ge_i32 s24, s18
	s_waitcnt lgkmcnt(0)
	s_barrier
	buffer_gl0_inv
	s_cbranch_scc1 .LBB286_34
.LBB286_22:                             ; =>This Inner Loop Header: Depth=1
	v_add_nc_u32_e32 v80, s24, v30
	v_mov_b32_e32 v81, 0
	v_add_nc_u32_e32 v2, 8, v80
	v_cmp_gt_i32_e64 s1, s14, v2
	s_and_b32 s1, s23, s1
	s_and_saveexec_b32 s2, s1
	s_cbranch_execz .LBB286_24
; %bb.23:                               ;   in Loop: Header=BB286_22 Depth=1
	v_add_co_u32 v2, s1, v72, v28
	v_add_co_ci_u32_e64 v3, null, v73, v29, s1
	global_load_ushort v81, v[2:3], off
.LBB286_24:                             ;   in Loop: Header=BB286_22 Depth=1
	s_or_b32 exec_lo, exec_lo, s2
	v_add_nc_u32_e32 v82, s24, v31
	v_mov_b32_e32 v83, 0
	v_mov_b32_e32 v84, 0
	v_add_nc_u32_e32 v2, 8, v82
	v_cmp_le_i32_e64 s1, s14, v2
	s_nor_b32 s2, vcc_lo, s1
	s_and_saveexec_b32 s19, s2
	s_cbranch_execz .LBB286_26
; %bb.25:                               ;   in Loop: Header=BB286_22 Depth=1
	v_add_co_u32 v2, s2, v76, v32
	v_add_co_ci_u32_e64 v3, null, 0, v77, s2
	global_load_ushort v84, v[2:3], off offset:16
.LBB286_26:                             ;   in Loop: Header=BB286_22 Depth=1
	s_or_b32 exec_lo, exec_lo, s19
	s_nor_b32 s1, s0, s1
	s_and_saveexec_b32 s2, s1
	s_cbranch_execz .LBB286_28
; %bb.27:                               ;   in Loop: Header=BB286_22 Depth=1
	v_add_co_u32 v2, s1, v78, v32
	v_add_co_ci_u32_e64 v3, null, 0, v79, s1
	global_load_ushort v83, v[2:3], off offset:16
.LBB286_28:                             ;   in Loop: Header=BB286_22 Depth=1
	s_or_b32 exec_lo, exec_lo, s2
	ds_read2_b64 v[2:5], v74 offset0:48 offset1:56
	ds_read2_b64 v[18:21], v75 offset0:64 offset1:96
	ds_read2_b64 v[22:25], v75 offset1:32
	ds_read2_b64 v[14:17], v74 offset1:8
	ds_read2_b64 v[10:13], v74 offset0:16 offset1:24
	ds_read2_b64 v[6:9], v74 offset0:32 offset1:40
	v_add_nc_u32_e32 v80, 12, v80
	s_waitcnt vmcnt(0)
	ds_write_b16 v59, v81
	ds_write_b16 v35, v84
	ds_write_b16 v35, v83 offset:512
	v_mov_b32_e32 v81, 0
	s_waitcnt lgkmcnt(0)
	s_barrier
	v_cmp_gt_i32_e64 s1, s14, v80
	v_mov_b32_e32 v80, 0
	buffer_gl0_inv
	s_and_b32 s1, s23, s1
	s_and_saveexec_b32 s2, s1
	s_xor_b32 s2, exec_lo, s2
	s_cbranch_execz .LBB286_30
; %bb.29:                               ;   in Loop: Header=BB286_22 Depth=1
	v_add_co_u32 v83, s1, v72, v26
	v_add_co_ci_u32_e64 v84, null, v73, v27, s1
	global_load_ushort v81, v[83:84], off
.LBB286_30:                             ;   in Loop: Header=BB286_22 Depth=1
	s_or_b32 exec_lo, exec_lo, s2
	v_add_nc_u32_e32 v82, 12, v82
	v_cmp_le_i32_e64 s1, s14, v82
	s_nor_b32 s2, vcc_lo, s1
	s_and_saveexec_b32 s19, s2
	s_cbranch_execz .LBB286_32
; %bb.31:                               ;   in Loop: Header=BB286_22 Depth=1
	v_add_co_u32 v82, s2, v76, v32
	v_add_co_ci_u32_e64 v83, null, 0, v77, s2
	global_load_ushort v80, v[82:83], off offset:24
.LBB286_32:                             ;   in Loop: Header=BB286_22 Depth=1
	s_or_b32 exec_lo, exec_lo, s19
	v_mov_b32_e32 v82, 0
	s_nor_b32 s1, s0, s1
	s_and_saveexec_b32 s2, s1
	s_cbranch_execz .LBB286_21
; %bb.33:                               ;   in Loop: Header=BB286_22 Depth=1
	v_add_co_u32 v82, s1, v78, v32
	v_add_co_ci_u32_e64 v83, null, 0, v79, s1
	global_load_ushort v82, v[82:83], off offset:24
	s_branch .LBB286_21
.LBB286_34:
	s_clause 0x2
	s_load_dwordx2 s[0:1], s[4:5], 0x70
	s_load_dword s14, s[4:5], 0x50
	s_load_dword s9, s[4:5], 0x68
	v_add_nc_u32_e32 v68, s22, v1
	v_add_nc_u32_e32 v10, 0x800, v34
	ds_read2_b64 v[2:5], v33 offset0:192 offset1:224
	ds_read2_b64 v[22:25], v33 offset0:128 offset1:160
	v_add_nc_u32_e32 v0, s6, v0
	ds_read2_b64 v[6:9], v10 offset0:112 offset1:120
	ds_read2_b64 v[18:21], v10 offset0:64 offset1:72
	;; [unrolled: 1-line block ×4, first 2 shown]
	v_cmp_gt_i32_e64 s8, s13, v68
	v_ashrrev_i32_e32 v1, 31, v0
	v_cndmask_b32_e64 v59, 0, 1, s3
	s_waitcnt lgkmcnt(0)
	s_mul_i32 s1, s1, s7
	v_mad_i64_i32 v[26:27], null, v68, s14, 0
	v_mad_i64_i32 v[28:29], null, v68, s9, 0
	s_mul_hi_u32 s2, s0, s7
	s_mul_i32 s0, s0, s7
	s_add_i32 s1, s2, s1
	s_lshl_b64 s[4:5], s[0:1], 1
	v_lshlrev_b64 v[26:27], 1, v[26:27]
	v_lshlrev_b64 v[28:29], 1, v[28:29]
	s_add_u32 s10, s10, s4
	v_cmp_gt_i32_e64 s0, s12, v0
	s_addc_u32 s11, s11, s5
	v_add_co_u32 v72, vcc_lo, s16, v26
	v_add_co_ci_u32_e64 v73, null, s17, v27, vcc_lo
	v_add_co_u32 v70, vcc_lo, s10, v28
	v_add_co_ci_u32_e64 v71, null, s11, v29, vcc_lo
	s_and_b32 s1, s0, s8
	s_and_saveexec_b32 s2, s1
	s_xor_b32 s1, exec_lo, s2
	s_cbranch_execz .LBB286_40
; %bb.35:
	v_lshlrev_b64 v[26:27], 1, v[0:1]
	s_andn2_b32 vcc_lo, exec_lo, s3
	s_cbranch_vccnz .LBB286_38
; %bb.36:
	v_add_co_u32 v28, vcc_lo, v72, v26
	v_add_co_ci_u32_e64 v29, null, v73, v27, vcc_lo
	global_load_ushort v28, v[28:29], off
	s_waitcnt vmcnt(0)
	v_mul_f16_e32 v28, s15, v28
	s_branch .LBB286_39
.LBB286_37:
	s_mov_b64 s[18:19], 0
	s_andn2_b32 vcc_lo, exec_lo, s8
	s_mov_b32 s0, -1
	s_cbranch_vccz .LBB286_2
	s_branch .LBB286_3
.LBB286_38:
	v_mov_b32_e32 v28, 0
.LBB286_39:
	v_pk_max_f16 v29, v22, v22
	v_pk_max_f16 v30, v18, v18
	;; [unrolled: 1-line block ×4, first 2 shown]
	v_add_co_u32 v26, vcc_lo, v70, v26
	v_pk_min_f16 v29, v30, v29
	v_add_co_ci_u32_e64 v27, null, v71, v27, vcc_lo
	v_pk_min_f16 v30, v32, v31
	v_pk_add_f16 v29, v69, v29
	v_pk_add_f16 v29, v29, v30
	v_add_f16_sdwa v29, v29, v29 dst_sel:DWORD dst_unused:UNUSED_PAD src0_sel:DWORD src1_sel:WORD_1
	v_add_f16_e32 v28, v29, v28
	global_store_short v[26:27], v28, off
.LBB286_40:
	s_or_b32 exec_lo, exec_lo, s1
	v_add_nc_u32_e32 v26, 8, v0
	v_cmp_gt_i32_e64 s1, s12, v26
	v_ashrrev_i32_e32 v27, 31, v26
	s_and_b32 s3, s1, s8
	s_and_saveexec_b32 s2, s3
	s_cbranch_execz .LBB286_45
; %bb.41:
	v_cmp_ne_u32_e32 vcc_lo, 1, v59
	v_lshlrev_b64 v[28:29], 1, v[26:27]
	s_cbranch_vccnz .LBB286_43
; %bb.42:
	v_add_co_u32 v30, vcc_lo, v72, v28
	v_add_co_ci_u32_e64 v31, null, v73, v29, vcc_lo
	global_load_ushort v30, v[30:31], off
	s_waitcnt vmcnt(0)
	v_mul_f16_e32 v30, s15, v30
	s_branch .LBB286_44
.LBB286_43:
	v_mov_b32_e32 v30, 0
.LBB286_44:
	v_pk_max_f16 v31, v22, v22
	v_pk_max_f16 v32, v20, v20
	v_pk_max_f16 v33, v23, v23
	v_pk_max_f16 v34, v21, v21
	v_add_co_u32 v28, vcc_lo, v70, v28
	v_pk_min_f16 v31, v32, v31
	v_add_co_ci_u32_e64 v29, null, v71, v29, vcc_lo
	v_pk_min_f16 v32, v34, v33
	v_pk_add_f16 v31, v41, v31
	v_pk_add_f16 v31, v31, v32
	v_add_f16_sdwa v31, v31, v31 dst_sel:DWORD dst_unused:UNUSED_PAD src0_sel:DWORD src1_sel:WORD_1
	v_add_f16_e32 v30, v31, v30
	global_store_short v[28:29], v30, off
.LBB286_45:
	s_or_b32 exec_lo, exec_lo, s2
	v_add_nc_u32_e32 v28, 16, v0
	v_cmp_gt_i32_e64 s2, s12, v28
	v_ashrrev_i32_e32 v29, 31, v28
	s_and_b32 s4, s2, s8
	s_and_saveexec_b32 s3, s4
	s_cbranch_execz .LBB286_50
; %bb.46:
	v_cmp_ne_u32_e32 vcc_lo, 1, v59
	v_lshlrev_b64 v[30:31], 1, v[28:29]
	s_cbranch_vccnz .LBB286_48
; %bb.47:
	v_add_co_u32 v32, vcc_lo, v72, v30
	v_add_co_ci_u32_e64 v33, null, v73, v31, vcc_lo
	global_load_ushort v32, v[32:33], off
	s_waitcnt vmcnt(0)
	v_mul_f16_e32 v32, s15, v32
	s_branch .LBB286_49
.LBB286_48:
	v_mov_b32_e32 v32, 0
.LBB286_49:
	v_pk_max_f16 v33, v22, v22
	v_pk_max_f16 v34, v14, v14
	v_pk_max_f16 v35, v23, v23
	v_pk_max_f16 v41, v15, v15
	v_add_co_u32 v30, vcc_lo, v70, v30
	v_pk_min_f16 v33, v34, v33
	v_add_co_ci_u32_e64 v31, null, v71, v31, vcc_lo
	v_pk_min_f16 v34, v41, v35
	v_pk_add_f16 v33, v39, v33
	v_pk_add_f16 v33, v33, v34
	v_add_f16_sdwa v33, v33, v33 dst_sel:DWORD dst_unused:UNUSED_PAD src0_sel:DWORD src1_sel:WORD_1
	v_add_f16_e32 v32, v33, v32
	global_store_short v[30:31], v32, off
.LBB286_50:
	;; [unrolled: 35-line block ×6, first 2 shown]
	s_or_b32 exec_lo, exec_lo, s7
	v_add_nc_u32_e32 v38, 56, v0
	v_cmp_gt_i32_e64 s7, s12, v38
	v_ashrrev_i32_e32 v39, 31, v38
	s_and_b32 s12, s7, s8
	s_and_saveexec_b32 s8, s12
	s_cbranch_execz .LBB286_75
; %bb.71:
	v_cmp_ne_u32_e32 vcc_lo, 1, v59
	v_lshlrev_b64 v[40:41], 1, v[38:39]
	s_cbranch_vccnz .LBB286_73
; %bb.72:
	v_add_co_u32 v72, vcc_lo, v72, v40
	v_add_co_ci_u32_e64 v73, null, v73, v41, vcc_lo
	global_load_ushort v69, v[72:73], off
	s_waitcnt vmcnt(0)
	v_mul_f16_e32 v69, s15, v69
	s_branch .LBB286_74
.LBB286_73:
	v_mov_b32_e32 v69, 0
.LBB286_74:
	v_pk_max_f16 v22, v22, v22
	v_pk_max_f16 v72, v8, v8
	v_pk_max_f16 v23, v23, v23
	v_pk_max_f16 v73, v9, v9
	v_pk_min_f16 v22, v72, v22
	v_pk_min_f16 v23, v73, v23
	v_pk_add_f16 v22, v67, v22
	v_pk_add_f16 v22, v22, v23
	v_add_f16_sdwa v22, v22, v22 dst_sel:DWORD dst_unused:UNUSED_PAD src0_sel:DWORD src1_sel:WORD_1
	v_add_f16_e32 v67, v22, v69
	v_add_co_u32 v22, vcc_lo, v70, v40
	v_add_co_ci_u32_e64 v23, null, v71, v41, vcc_lo
	global_store_short v[22:23], v67, off
.LBB286_75:
	s_or_b32 exec_lo, exec_lo, s8
	v_add_nc_u32_e32 v67, 32, v68
	v_mad_i64_i32 v[22:23], null, v67, s14, 0
	v_mad_i64_i32 v[40:41], null, v67, s9, 0
	v_cmp_gt_i32_e64 s8, s13, v67
	v_lshlrev_b64 v[22:23], 1, v[22:23]
	s_and_b32 s18, s0, s8
	v_lshlrev_b64 v[40:41], 1, v[40:41]
	v_add_co_u32 v67, vcc_lo, s16, v22
	v_add_co_ci_u32_e64 v69, null, s17, v23, vcc_lo
	v_add_co_u32 v40, vcc_lo, s10, v40
	v_add_co_ci_u32_e64 v41, null, s11, v41, vcc_lo
	s_and_saveexec_b32 s12, s18
	s_cbranch_execnz .LBB286_83
; %bb.76:
	s_or_b32 exec_lo, exec_lo, s12
	s_and_b32 s18, s1, s8
	s_and_saveexec_b32 s12, s18
	s_cbranch_execnz .LBB286_87
.LBB286_77:
	s_or_b32 exec_lo, exec_lo, s12
	s_and_b32 s18, s2, s8
	s_and_saveexec_b32 s12, s18
	s_cbranch_execnz .LBB286_91
.LBB286_78:
	s_or_b32 exec_lo, exec_lo, s12
	s_and_b32 s18, s3, s8
	s_and_saveexec_b32 s12, s18
	s_cbranch_execnz .LBB286_95
.LBB286_79:
	s_or_b32 exec_lo, exec_lo, s12
	s_and_b32 s18, s4, s8
	s_and_saveexec_b32 s12, s18
	s_cbranch_execnz .LBB286_99
.LBB286_80:
	s_or_b32 exec_lo, exec_lo, s12
	s_and_b32 s18, s5, s8
	s_and_saveexec_b32 s12, s18
	s_cbranch_execnz .LBB286_103
.LBB286_81:
	s_or_b32 exec_lo, exec_lo, s12
	s_and_b32 s18, s6, s8
	s_and_saveexec_b32 s12, s18
	s_cbranch_execnz .LBB286_107
.LBB286_82:
	s_or_b32 exec_lo, exec_lo, s12
	s_and_b32 s12, s7, s8
	s_and_saveexec_b32 s8, s12
	s_cbranch_execnz .LBB286_111
	s_branch .LBB286_115
.LBB286_83:
	v_cmp_ne_u32_e32 vcc_lo, 1, v59
	v_lshlrev_b64 v[22:23], 1, v[0:1]
	s_cbranch_vccnz .LBB286_85
; %bb.84:
	v_add_co_u32 v70, vcc_lo, v67, v22
	v_add_co_ci_u32_e64 v71, null, v69, v23, vcc_lo
	global_load_ushort v70, v[70:71], off
	s_waitcnt vmcnt(0)
	v_mul_f16_e32 v70, s15, v70
	s_branch .LBB286_86
.LBB286_85:
	v_mov_b32_e32 v70, 0
.LBB286_86:
	v_pk_max_f16 v71, v24, v24
	v_pk_max_f16 v72, v18, v18
	;; [unrolled: 1-line block ×4, first 2 shown]
	v_add_co_u32 v22, vcc_lo, v40, v22
	v_pk_min_f16 v71, v72, v71
	v_add_co_ci_u32_e64 v23, null, v41, v23, vcc_lo
	v_pk_min_f16 v72, v74, v73
	v_pk_add_f16 v66, v66, v71
	v_pk_add_f16 v66, v66, v72
	v_add_f16_sdwa v66, v66, v66 dst_sel:DWORD dst_unused:UNUSED_PAD src0_sel:DWORD src1_sel:WORD_1
	v_add_f16_e32 v66, v66, v70
	global_store_short v[22:23], v66, off
	s_or_b32 exec_lo, exec_lo, s12
	s_and_b32 s18, s1, s8
	s_and_saveexec_b32 s12, s18
	s_cbranch_execz .LBB286_77
.LBB286_87:
	v_cmp_ne_u32_e32 vcc_lo, 1, v59
	v_lshlrev_b64 v[22:23], 1, v[26:27]
	s_cbranch_vccnz .LBB286_89
; %bb.88:
	v_add_co_u32 v70, vcc_lo, v67, v22
	v_add_co_ci_u32_e64 v71, null, v69, v23, vcc_lo
	global_load_ushort v66, v[70:71], off
	s_waitcnt vmcnt(0)
	v_mul_f16_e32 v66, s15, v66
	s_branch .LBB286_90
.LBB286_89:
	v_mov_b32_e32 v66, 0
.LBB286_90:
	v_pk_max_f16 v70, v24, v24
	v_pk_max_f16 v71, v20, v20
	v_pk_max_f16 v72, v25, v25
	v_pk_max_f16 v73, v21, v21
	v_add_co_u32 v22, vcc_lo, v40, v22
	v_pk_min_f16 v70, v71, v70
	v_add_co_ci_u32_e64 v23, null, v41, v23, vcc_lo
	v_pk_min_f16 v71, v73, v72
	v_pk_add_f16 v65, v65, v70
	v_pk_add_f16 v65, v65, v71
	v_add_f16_sdwa v65, v65, v65 dst_sel:DWORD dst_unused:UNUSED_PAD src0_sel:DWORD src1_sel:WORD_1
	v_add_f16_e32 v65, v65, v66
	global_store_short v[22:23], v65, off
	s_or_b32 exec_lo, exec_lo, s12
	s_and_b32 s18, s2, s8
	s_and_saveexec_b32 s12, s18
	s_cbranch_execz .LBB286_78
.LBB286_91:
	v_cmp_ne_u32_e32 vcc_lo, 1, v59
	v_lshlrev_b64 v[22:23], 1, v[28:29]
	s_cbranch_vccnz .LBB286_93
; %bb.92:
	v_add_co_u32 v65, vcc_lo, v67, v22
	v_add_co_ci_u32_e64 v66, null, v69, v23, vcc_lo
	global_load_ushort v65, v[65:66], off
	s_waitcnt vmcnt(0)
	v_mul_f16_e32 v65, s15, v65
	s_branch .LBB286_94
.LBB286_93:
	v_mov_b32_e32 v65, 0
.LBB286_94:
	v_pk_max_f16 v66, v24, v24
	v_pk_max_f16 v70, v14, v14
	;; [unrolled: 1-line block ×4, first 2 shown]
	v_add_co_u32 v22, vcc_lo, v40, v22
	v_pk_min_f16 v66, v70, v66
	v_add_co_ci_u32_e64 v23, null, v41, v23, vcc_lo
	v_pk_min_f16 v70, v72, v71
	v_pk_add_f16 v64, v64, v66
	v_pk_add_f16 v64, v64, v70
	v_add_f16_sdwa v64, v64, v64 dst_sel:DWORD dst_unused:UNUSED_PAD src0_sel:DWORD src1_sel:WORD_1
	v_add_f16_e32 v64, v64, v65
	global_store_short v[22:23], v64, off
	s_or_b32 exec_lo, exec_lo, s12
	s_and_b32 s18, s3, s8
	s_and_saveexec_b32 s12, s18
	s_cbranch_execz .LBB286_79
.LBB286_95:
	v_cmp_ne_u32_e32 vcc_lo, 1, v59
	v_lshlrev_b64 v[22:23], 1, v[30:31]
	s_cbranch_vccnz .LBB286_97
; %bb.96:
	v_add_co_u32 v64, vcc_lo, v67, v22
	v_add_co_ci_u32_e64 v65, null, v69, v23, vcc_lo
	global_load_ushort v64, v[64:65], off
	s_waitcnt vmcnt(0)
	v_mul_f16_e32 v64, s15, v64
	s_branch .LBB286_98
.LBB286_97:
	v_mov_b32_e32 v64, 0
.LBB286_98:
	v_pk_max_f16 v65, v24, v24
	v_pk_max_f16 v66, v16, v16
	;; [unrolled: 1-line block ×4, first 2 shown]
	v_add_co_u32 v22, vcc_lo, v40, v22
	v_pk_min_f16 v65, v66, v65
	v_add_co_ci_u32_e64 v23, null, v41, v23, vcc_lo
	v_pk_min_f16 v66, v71, v70
	v_pk_add_f16 v63, v63, v65
	v_pk_add_f16 v63, v63, v66
	v_add_f16_sdwa v63, v63, v63 dst_sel:DWORD dst_unused:UNUSED_PAD src0_sel:DWORD src1_sel:WORD_1
	v_add_f16_e32 v63, v63, v64
	global_store_short v[22:23], v63, off
	s_or_b32 exec_lo, exec_lo, s12
	s_and_b32 s18, s4, s8
	s_and_saveexec_b32 s12, s18
	s_cbranch_execz .LBB286_80
.LBB286_99:
	v_cmp_ne_u32_e32 vcc_lo, 1, v59
	v_lshlrev_b64 v[22:23], 1, v[32:33]
	s_cbranch_vccnz .LBB286_101
; %bb.100:
	v_add_co_u32 v63, vcc_lo, v67, v22
	v_add_co_ci_u32_e64 v64, null, v69, v23, vcc_lo
	global_load_ushort v63, v[63:64], off
	s_waitcnt vmcnt(0)
	v_mul_f16_e32 v63, s15, v63
	s_branch .LBB286_102
.LBB286_101:
	v_mov_b32_e32 v63, 0
.LBB286_102:
	v_pk_max_f16 v64, v24, v24
	v_pk_max_f16 v65, v10, v10
	;; [unrolled: 1-line block ×4, first 2 shown]
	v_add_co_u32 v22, vcc_lo, v40, v22
	v_pk_min_f16 v64, v65, v64
	v_add_co_ci_u32_e64 v23, null, v41, v23, vcc_lo
	v_pk_min_f16 v65, v70, v66
	v_pk_add_f16 v62, v62, v64
	v_pk_add_f16 v62, v62, v65
	v_add_f16_sdwa v62, v62, v62 dst_sel:DWORD dst_unused:UNUSED_PAD src0_sel:DWORD src1_sel:WORD_1
	v_add_f16_e32 v62, v62, v63
	global_store_short v[22:23], v62, off
	s_or_b32 exec_lo, exec_lo, s12
	s_and_b32 s18, s5, s8
	s_and_saveexec_b32 s12, s18
	s_cbranch_execz .LBB286_81
.LBB286_103:
	v_cmp_ne_u32_e32 vcc_lo, 1, v59
	v_lshlrev_b64 v[22:23], 1, v[34:35]
	s_cbranch_vccnz .LBB286_105
; %bb.104:
	v_add_co_u32 v62, vcc_lo, v67, v22
	v_add_co_ci_u32_e64 v63, null, v69, v23, vcc_lo
	global_load_ushort v62, v[62:63], off
	s_waitcnt vmcnt(0)
	v_mul_f16_e32 v62, s15, v62
	s_branch .LBB286_106
.LBB286_105:
	v_mov_b32_e32 v62, 0
.LBB286_106:
	v_pk_max_f16 v63, v24, v24
	v_pk_max_f16 v64, v12, v12
	;; [unrolled: 1-line block ×4, first 2 shown]
	v_add_co_u32 v22, vcc_lo, v40, v22
	v_pk_min_f16 v63, v64, v63
	v_add_co_ci_u32_e64 v23, null, v41, v23, vcc_lo
	v_pk_min_f16 v64, v66, v65
	v_pk_add_f16 v61, v61, v63
	v_pk_add_f16 v61, v61, v64
	v_add_f16_sdwa v61, v61, v61 dst_sel:DWORD dst_unused:UNUSED_PAD src0_sel:DWORD src1_sel:WORD_1
	v_add_f16_e32 v61, v61, v62
	global_store_short v[22:23], v61, off
	s_or_b32 exec_lo, exec_lo, s12
	s_and_b32 s18, s6, s8
	s_and_saveexec_b32 s12, s18
	s_cbranch_execz .LBB286_82
.LBB286_107:
	v_cmp_ne_u32_e32 vcc_lo, 1, v59
	v_lshlrev_b64 v[22:23], 1, v[36:37]
	s_cbranch_vccnz .LBB286_109
; %bb.108:
	v_add_co_u32 v61, vcc_lo, v67, v22
	v_add_co_ci_u32_e64 v62, null, v69, v23, vcc_lo
	global_load_ushort v61, v[61:62], off
	s_waitcnt vmcnt(0)
	v_mul_f16_e32 v61, s15, v61
	s_branch .LBB286_110
.LBB286_109:
	v_mov_b32_e32 v61, 0
.LBB286_110:
	v_pk_max_f16 v62, v24, v24
	v_pk_max_f16 v63, v6, v6
	;; [unrolled: 1-line block ×4, first 2 shown]
	v_add_co_u32 v22, vcc_lo, v40, v22
	v_pk_min_f16 v62, v63, v62
	v_add_co_ci_u32_e64 v23, null, v41, v23, vcc_lo
	v_pk_min_f16 v63, v65, v64
	v_pk_add_f16 v60, v60, v62
	v_pk_add_f16 v60, v60, v63
	v_add_f16_sdwa v60, v60, v60 dst_sel:DWORD dst_unused:UNUSED_PAD src0_sel:DWORD src1_sel:WORD_1
	v_add_f16_e32 v60, v60, v61
	global_store_short v[22:23], v60, off
	s_or_b32 exec_lo, exec_lo, s12
	s_and_b32 s12, s7, s8
	s_and_saveexec_b32 s8, s12
	s_cbranch_execz .LBB286_115
.LBB286_111:
	v_cmp_ne_u32_e32 vcc_lo, 1, v59
	v_lshlrev_b64 v[22:23], 1, v[38:39]
	s_cbranch_vccnz .LBB286_113
; %bb.112:
	v_add_co_u32 v60, vcc_lo, v67, v22
	v_add_co_ci_u32_e64 v61, null, v69, v23, vcc_lo
	global_load_ushort v60, v[60:61], off
	s_waitcnt vmcnt(0)
	v_mul_f16_e32 v60, s15, v60
	s_branch .LBB286_114
.LBB286_113:
	v_mov_b32_e32 v60, 0
.LBB286_114:
	v_pk_max_f16 v24, v24, v24
	v_pk_max_f16 v61, v8, v8
	;; [unrolled: 1-line block ×4, first 2 shown]
	v_add_co_u32 v22, vcc_lo, v40, v22
	v_pk_min_f16 v24, v61, v24
	v_add_co_ci_u32_e64 v23, null, v41, v23, vcc_lo
	v_pk_min_f16 v25, v62, v25
	v_pk_add_f16 v24, v58, v24
	v_pk_add_f16 v24, v24, v25
	v_add_f16_sdwa v24, v24, v24 dst_sel:DWORD dst_unused:UNUSED_PAD src0_sel:DWORD src1_sel:WORD_1
	v_add_f16_e32 v24, v24, v60
	global_store_short v[22:23], v24, off
.LBB286_115:
	s_or_b32 exec_lo, exec_lo, s8
	v_add_nc_u32_e32 v40, 64, v68
	v_mad_i64_i32 v[22:23], null, v40, s14, 0
	v_mad_i64_i32 v[24:25], null, v40, s9, 0
	v_cmp_gt_i32_e64 s8, s13, v40
	v_lshlrev_b64 v[22:23], 1, v[22:23]
	s_and_b32 s18, s0, s8
	v_lshlrev_b64 v[24:25], 1, v[24:25]
	v_add_co_u32 v40, vcc_lo, s16, v22
	v_add_co_ci_u32_e64 v41, null, s17, v23, vcc_lo
	v_add_co_u32 v24, vcc_lo, s10, v24
	v_add_co_ci_u32_e64 v25, null, s11, v25, vcc_lo
	s_and_saveexec_b32 s12, s18
	s_cbranch_execnz .LBB286_123
; %bb.116:
	s_or_b32 exec_lo, exec_lo, s12
	s_and_b32 s18, s1, s8
	s_and_saveexec_b32 s12, s18
	s_cbranch_execnz .LBB286_127
.LBB286_117:
	s_or_b32 exec_lo, exec_lo, s12
	s_and_b32 s18, s2, s8
	s_and_saveexec_b32 s12, s18
	s_cbranch_execnz .LBB286_131
.LBB286_118:
	s_or_b32 exec_lo, exec_lo, s12
	s_and_b32 s18, s3, s8
	s_and_saveexec_b32 s12, s18
	s_cbranch_execnz .LBB286_135
.LBB286_119:
	s_or_b32 exec_lo, exec_lo, s12
	s_and_b32 s18, s4, s8
	s_and_saveexec_b32 s12, s18
	s_cbranch_execnz .LBB286_139
.LBB286_120:
	s_or_b32 exec_lo, exec_lo, s12
	s_and_b32 s18, s5, s8
	s_and_saveexec_b32 s12, s18
	s_cbranch_execnz .LBB286_143
.LBB286_121:
	s_or_b32 exec_lo, exec_lo, s12
	s_and_b32 s18, s6, s8
	s_and_saveexec_b32 s12, s18
	s_cbranch_execnz .LBB286_147
.LBB286_122:
	s_or_b32 exec_lo, exec_lo, s12
	s_and_b32 s12, s7, s8
	s_and_saveexec_b32 s8, s12
	s_cbranch_execnz .LBB286_151
	s_branch .LBB286_155
.LBB286_123:
	v_cmp_ne_u32_e32 vcc_lo, 1, v59
	v_lshlrev_b64 v[22:23], 1, v[0:1]
	s_cbranch_vccnz .LBB286_125
; %bb.124:
	v_add_co_u32 v60, vcc_lo, v40, v22
	v_add_co_ci_u32_e64 v61, null, v41, v23, vcc_lo
	global_load_ushort v58, v[60:61], off
	s_waitcnt vmcnt(0)
	v_mul_f16_e32 v58, s15, v58
	s_branch .LBB286_126
.LBB286_125:
	v_mov_b32_e32 v58, 0
.LBB286_126:
	v_pk_max_f16 v60, v2, v2
	v_pk_max_f16 v61, v18, v18
	;; [unrolled: 1-line block ×4, first 2 shown]
	v_add_co_u32 v22, vcc_lo, v24, v22
	v_pk_min_f16 v60, v61, v60
	v_add_co_ci_u32_e64 v23, null, v25, v23, vcc_lo
	v_pk_min_f16 v61, v63, v62
	v_pk_add_f16 v57, v57, v60
	v_pk_add_f16 v57, v57, v61
	v_add_f16_sdwa v57, v57, v57 dst_sel:DWORD dst_unused:UNUSED_PAD src0_sel:DWORD src1_sel:WORD_1
	v_add_f16_e32 v57, v57, v58
	global_store_short v[22:23], v57, off
	s_or_b32 exec_lo, exec_lo, s12
	s_and_b32 s18, s1, s8
	s_and_saveexec_b32 s12, s18
	s_cbranch_execz .LBB286_117
.LBB286_127:
	v_cmp_ne_u32_e32 vcc_lo, 1, v59
	v_lshlrev_b64 v[22:23], 1, v[26:27]
	s_cbranch_vccnz .LBB286_129
; %bb.128:
	v_add_co_u32 v57, vcc_lo, v40, v22
	v_add_co_ci_u32_e64 v58, null, v41, v23, vcc_lo
	global_load_ushort v57, v[57:58], off
	s_waitcnt vmcnt(0)
	v_mul_f16_e32 v57, s15, v57
	s_branch .LBB286_130
.LBB286_129:
	v_mov_b32_e32 v57, 0
.LBB286_130:
	v_pk_max_f16 v58, v2, v2
	v_pk_max_f16 v60, v20, v20
	;; [unrolled: 1-line block ×4, first 2 shown]
	v_add_co_u32 v22, vcc_lo, v24, v22
	v_pk_min_f16 v58, v60, v58
	v_add_co_ci_u32_e64 v23, null, v25, v23, vcc_lo
	v_pk_min_f16 v60, v62, v61
	v_pk_add_f16 v56, v56, v58
	v_pk_add_f16 v56, v56, v60
	v_add_f16_sdwa v56, v56, v56 dst_sel:DWORD dst_unused:UNUSED_PAD src0_sel:DWORD src1_sel:WORD_1
	v_add_f16_e32 v56, v56, v57
	global_store_short v[22:23], v56, off
	s_or_b32 exec_lo, exec_lo, s12
	s_and_b32 s18, s2, s8
	s_and_saveexec_b32 s12, s18
	s_cbranch_execz .LBB286_118
.LBB286_131:
	v_cmp_ne_u32_e32 vcc_lo, 1, v59
	v_lshlrev_b64 v[22:23], 1, v[28:29]
	s_cbranch_vccnz .LBB286_133
; %bb.132:
	v_add_co_u32 v56, vcc_lo, v40, v22
	v_add_co_ci_u32_e64 v57, null, v41, v23, vcc_lo
	global_load_ushort v56, v[56:57], off
	s_waitcnt vmcnt(0)
	v_mul_f16_e32 v56, s15, v56
	s_branch .LBB286_134
.LBB286_133:
	v_mov_b32_e32 v56, 0
.LBB286_134:
	v_pk_max_f16 v57, v2, v2
	v_pk_max_f16 v58, v14, v14
	;; [unrolled: 1-line block ×4, first 2 shown]
	v_add_co_u32 v22, vcc_lo, v24, v22
	v_pk_min_f16 v57, v58, v57
	v_add_co_ci_u32_e64 v23, null, v25, v23, vcc_lo
	v_pk_min_f16 v58, v61, v60
	v_pk_add_f16 v55, v55, v57
	v_pk_add_f16 v55, v55, v58
	v_add_f16_sdwa v55, v55, v55 dst_sel:DWORD dst_unused:UNUSED_PAD src0_sel:DWORD src1_sel:WORD_1
	v_add_f16_e32 v55, v55, v56
	global_store_short v[22:23], v55, off
	s_or_b32 exec_lo, exec_lo, s12
	s_and_b32 s18, s3, s8
	s_and_saveexec_b32 s12, s18
	s_cbranch_execz .LBB286_119
.LBB286_135:
	v_cmp_ne_u32_e32 vcc_lo, 1, v59
	v_lshlrev_b64 v[22:23], 1, v[30:31]
	s_cbranch_vccnz .LBB286_137
; %bb.136:
	v_add_co_u32 v55, vcc_lo, v40, v22
	v_add_co_ci_u32_e64 v56, null, v41, v23, vcc_lo
	global_load_ushort v55, v[55:56], off
	s_waitcnt vmcnt(0)
	v_mul_f16_e32 v55, s15, v55
	s_branch .LBB286_138
.LBB286_137:
	v_mov_b32_e32 v55, 0
.LBB286_138:
	v_pk_max_f16 v56, v2, v2
	v_pk_max_f16 v57, v16, v16
	v_pk_max_f16 v58, v3, v3
	v_pk_max_f16 v60, v17, v17
	v_add_co_u32 v22, vcc_lo, v24, v22
	v_pk_min_f16 v56, v57, v56
	v_add_co_ci_u32_e64 v23, null, v25, v23, vcc_lo
	v_pk_min_f16 v57, v60, v58
	v_pk_add_f16 v54, v54, v56
	v_pk_add_f16 v54, v54, v57
	v_add_f16_sdwa v54, v54, v54 dst_sel:DWORD dst_unused:UNUSED_PAD src0_sel:DWORD src1_sel:WORD_1
	v_add_f16_e32 v54, v54, v55
	global_store_short v[22:23], v54, off
	s_or_b32 exec_lo, exec_lo, s12
	s_and_b32 s18, s4, s8
	s_and_saveexec_b32 s12, s18
	s_cbranch_execz .LBB286_120
.LBB286_139:
	v_cmp_ne_u32_e32 vcc_lo, 1, v59
	v_lshlrev_b64 v[22:23], 1, v[32:33]
	s_cbranch_vccnz .LBB286_141
; %bb.140:
	v_add_co_u32 v54, vcc_lo, v40, v22
	v_add_co_ci_u32_e64 v55, null, v41, v23, vcc_lo
	global_load_ushort v54, v[54:55], off
	s_waitcnt vmcnt(0)
	v_mul_f16_e32 v54, s15, v54
	s_branch .LBB286_142
.LBB286_141:
	v_mov_b32_e32 v54, 0
.LBB286_142:
	v_pk_max_f16 v55, v2, v2
	v_pk_max_f16 v56, v10, v10
	;; [unrolled: 1-line block ×4, first 2 shown]
	v_add_co_u32 v22, vcc_lo, v24, v22
	v_pk_min_f16 v55, v56, v55
	v_add_co_ci_u32_e64 v23, null, v25, v23, vcc_lo
	v_pk_min_f16 v56, v58, v57
	v_pk_add_f16 v53, v53, v55
	v_pk_add_f16 v53, v53, v56
	v_add_f16_sdwa v53, v53, v53 dst_sel:DWORD dst_unused:UNUSED_PAD src0_sel:DWORD src1_sel:WORD_1
	v_add_f16_e32 v53, v53, v54
	global_store_short v[22:23], v53, off
	s_or_b32 exec_lo, exec_lo, s12
	s_and_b32 s18, s5, s8
	s_and_saveexec_b32 s12, s18
	s_cbranch_execz .LBB286_121
.LBB286_143:
	v_cmp_ne_u32_e32 vcc_lo, 1, v59
	v_lshlrev_b64 v[22:23], 1, v[34:35]
	s_cbranch_vccnz .LBB286_145
; %bb.144:
	v_add_co_u32 v53, vcc_lo, v40, v22
	v_add_co_ci_u32_e64 v54, null, v41, v23, vcc_lo
	global_load_ushort v53, v[53:54], off
	s_waitcnt vmcnt(0)
	v_mul_f16_e32 v53, s15, v53
	s_branch .LBB286_146
.LBB286_145:
	v_mov_b32_e32 v53, 0
.LBB286_146:
	v_pk_max_f16 v54, v2, v2
	v_pk_max_f16 v55, v12, v12
	;; [unrolled: 1-line block ×4, first 2 shown]
	v_add_co_u32 v22, vcc_lo, v24, v22
	v_pk_min_f16 v54, v55, v54
	v_add_co_ci_u32_e64 v23, null, v25, v23, vcc_lo
	v_pk_min_f16 v55, v57, v56
	v_pk_add_f16 v52, v52, v54
	v_pk_add_f16 v52, v52, v55
	v_add_f16_sdwa v52, v52, v52 dst_sel:DWORD dst_unused:UNUSED_PAD src0_sel:DWORD src1_sel:WORD_1
	v_add_f16_e32 v52, v52, v53
	global_store_short v[22:23], v52, off
	s_or_b32 exec_lo, exec_lo, s12
	s_and_b32 s18, s6, s8
	s_and_saveexec_b32 s12, s18
	s_cbranch_execz .LBB286_122
.LBB286_147:
	v_cmp_ne_u32_e32 vcc_lo, 1, v59
	v_lshlrev_b64 v[22:23], 1, v[36:37]
	s_cbranch_vccnz .LBB286_149
; %bb.148:
	v_add_co_u32 v52, vcc_lo, v40, v22
	v_add_co_ci_u32_e64 v53, null, v41, v23, vcc_lo
	global_load_ushort v52, v[52:53], off
	s_waitcnt vmcnt(0)
	v_mul_f16_e32 v52, s15, v52
	s_branch .LBB286_150
.LBB286_149:
	v_mov_b32_e32 v52, 0
.LBB286_150:
	v_pk_max_f16 v53, v2, v2
	v_pk_max_f16 v54, v6, v6
	;; [unrolled: 1-line block ×4, first 2 shown]
	v_add_co_u32 v22, vcc_lo, v24, v22
	v_pk_min_f16 v53, v54, v53
	v_add_co_ci_u32_e64 v23, null, v25, v23, vcc_lo
	v_pk_min_f16 v54, v56, v55
	v_pk_add_f16 v51, v51, v53
	v_pk_add_f16 v51, v51, v54
	v_add_f16_sdwa v51, v51, v51 dst_sel:DWORD dst_unused:UNUSED_PAD src0_sel:DWORD src1_sel:WORD_1
	v_add_f16_e32 v51, v51, v52
	global_store_short v[22:23], v51, off
	s_or_b32 exec_lo, exec_lo, s12
	s_and_b32 s12, s7, s8
	s_and_saveexec_b32 s8, s12
	s_cbranch_execz .LBB286_155
.LBB286_151:
	v_cmp_ne_u32_e32 vcc_lo, 1, v59
	v_lshlrev_b64 v[22:23], 1, v[38:39]
	s_cbranch_vccnz .LBB286_153
; %bb.152:
	v_add_co_u32 v40, vcc_lo, v40, v22
	v_add_co_ci_u32_e64 v41, null, v41, v23, vcc_lo
	global_load_ushort v40, v[40:41], off
	s_waitcnt vmcnt(0)
	v_mul_f16_e32 v40, s15, v40
	s_branch .LBB286_154
.LBB286_153:
	v_mov_b32_e32 v40, 0
.LBB286_154:
	v_pk_max_f16 v2, v2, v2
	v_pk_max_f16 v41, v8, v8
	;; [unrolled: 1-line block ×4, first 2 shown]
	v_pk_min_f16 v2, v41, v2
	v_pk_min_f16 v3, v51, v3
	v_pk_add_f16 v2, v50, v2
	v_pk_add_f16 v2, v2, v3
	v_add_f16_sdwa v2, v2, v2 dst_sel:DWORD dst_unused:UNUSED_PAD src0_sel:DWORD src1_sel:WORD_1
	v_add_f16_e32 v40, v2, v40
	v_add_co_u32 v2, vcc_lo, v24, v22
	v_add_co_ci_u32_e64 v3, null, v25, v23, vcc_lo
	global_store_short v[2:3], v40, off
.LBB286_155:
	s_or_b32 exec_lo, exec_lo, s8
	v_add_nc_u32_e32 v24, 0x60, v68
	v_mad_i64_i32 v[2:3], null, v24, s14, 0
	v_mad_i64_i32 v[22:23], null, v24, s9, 0
	v_cmp_gt_i32_e64 s8, s13, v24
	v_lshlrev_b64 v[2:3], 1, v[2:3]
	s_and_b32 s9, s0, s8
	v_lshlrev_b64 v[24:25], 1, v[22:23]
	v_add_co_u32 v22, vcc_lo, s16, v2
	v_add_co_ci_u32_e64 v23, null, s17, v3, vcc_lo
	v_add_co_u32 v2, vcc_lo, s10, v24
	v_add_co_ci_u32_e64 v3, null, s11, v25, vcc_lo
	s_and_saveexec_b32 s0, s9
	s_cbranch_execnz .LBB286_164
; %bb.156:
	s_or_b32 exec_lo, exec_lo, s0
	s_and_b32 s1, s1, s8
	s_and_saveexec_b32 s0, s1
	s_cbranch_execnz .LBB286_168
.LBB286_157:
	s_or_b32 exec_lo, exec_lo, s0
	s_and_b32 s1, s2, s8
	s_and_saveexec_b32 s0, s1
	s_cbranch_execnz .LBB286_172
.LBB286_158:
	s_or_b32 exec_lo, exec_lo, s0
	s_and_b32 s1, s3, s8
	s_and_saveexec_b32 s0, s1
	s_cbranch_execnz .LBB286_176
.LBB286_159:
	s_or_b32 exec_lo, exec_lo, s0
	s_and_b32 s1, s4, s8
	s_and_saveexec_b32 s0, s1
	s_cbranch_execnz .LBB286_180
.LBB286_160:
	s_or_b32 exec_lo, exec_lo, s0
	s_and_b32 s1, s5, s8
	s_and_saveexec_b32 s0, s1
	s_cbranch_execnz .LBB286_184
.LBB286_161:
	s_or_b32 exec_lo, exec_lo, s0
	s_and_b32 s1, s6, s8
	s_and_saveexec_b32 s0, s1
	s_cbranch_execnz .LBB286_188
.LBB286_162:
	s_or_b32 exec_lo, exec_lo, s0
	s_and_b32 s0, s7, s8
	s_and_saveexec_b32 s1, s0
	s_cbranch_execnz .LBB286_192
.LBB286_163:
	s_endpgm
.LBB286_164:
	v_cmp_ne_u32_e32 vcc_lo, 1, v59
	v_lshlrev_b64 v[0:1], 1, v[0:1]
	s_cbranch_vccnz .LBB286_166
; %bb.165:
	v_add_co_u32 v24, vcc_lo, v22, v0
	v_add_co_ci_u32_e64 v25, null, v23, v1, vcc_lo
	global_load_ushort v24, v[24:25], off
	s_waitcnt vmcnt(0)
	v_mul_f16_e32 v24, s15, v24
	s_branch .LBB286_167
.LBB286_166:
	v_mov_b32_e32 v24, 0
.LBB286_167:
	v_pk_max_f16 v25, v4, v4
	v_pk_max_f16 v18, v18, v18
	;; [unrolled: 1-line block ×4, first 2 shown]
	v_add_co_u32 v0, vcc_lo, v2, v0
	v_pk_min_f16 v18, v18, v25
	v_add_co_ci_u32_e64 v1, null, v3, v1, vcc_lo
	v_pk_min_f16 v19, v19, v40
	v_pk_add_f16 v18, v49, v18
	v_pk_add_f16 v18, v18, v19
	v_add_f16_sdwa v18, v18, v18 dst_sel:DWORD dst_unused:UNUSED_PAD src0_sel:DWORD src1_sel:WORD_1
	v_add_f16_e32 v18, v18, v24
	global_store_short v[0:1], v18, off
	s_or_b32 exec_lo, exec_lo, s0
	s_and_b32 s1, s1, s8
	s_and_saveexec_b32 s0, s1
	s_cbranch_execz .LBB286_157
.LBB286_168:
	v_cmp_ne_u32_e32 vcc_lo, 1, v59
	v_lshlrev_b64 v[0:1], 1, v[26:27]
	s_cbranch_vccnz .LBB286_170
; %bb.169:
	v_add_co_u32 v18, vcc_lo, v22, v0
	v_add_co_ci_u32_e64 v19, null, v23, v1, vcc_lo
	global_load_ushort v18, v[18:19], off
	s_waitcnt vmcnt(0)
	v_mul_f16_e32 v18, s15, v18
	s_branch .LBB286_171
.LBB286_170:
	v_mov_b32_e32 v18, 0
.LBB286_171:
	v_pk_max_f16 v19, v4, v4
	v_pk_max_f16 v20, v20, v20
	;; [unrolled: 1-line block ×4, first 2 shown]
	v_add_co_u32 v0, vcc_lo, v2, v0
	v_pk_min_f16 v19, v20, v19
	v_add_co_ci_u32_e64 v1, null, v3, v1, vcc_lo
	v_pk_min_f16 v20, v21, v24
	v_pk_add_f16 v19, v48, v19
	v_pk_add_f16 v19, v19, v20
	v_add_f16_sdwa v19, v19, v19 dst_sel:DWORD dst_unused:UNUSED_PAD src0_sel:DWORD src1_sel:WORD_1
	v_add_f16_e32 v18, v19, v18
	global_store_short v[0:1], v18, off
	s_or_b32 exec_lo, exec_lo, s0
	s_and_b32 s1, s2, s8
	s_and_saveexec_b32 s0, s1
	s_cbranch_execz .LBB286_158
.LBB286_172:
	v_cmp_ne_u32_e32 vcc_lo, 1, v59
	v_lshlrev_b64 v[0:1], 1, v[28:29]
	s_cbranch_vccnz .LBB286_174
; %bb.173:
	v_add_co_u32 v18, vcc_lo, v22, v0
	v_add_co_ci_u32_e64 v19, null, v23, v1, vcc_lo
	global_load_ushort v18, v[18:19], off
	s_waitcnt vmcnt(0)
	v_mul_f16_e32 v18, s15, v18
	s_branch .LBB286_175
.LBB286_174:
	v_mov_b32_e32 v18, 0
.LBB286_175:
	v_pk_max_f16 v19, v4, v4
	v_pk_max_f16 v14, v14, v14
	;; [unrolled: 1-line block ×4, first 2 shown]
	v_add_co_u32 v0, vcc_lo, v2, v0
	v_pk_min_f16 v14, v14, v19
	v_add_co_ci_u32_e64 v1, null, v3, v1, vcc_lo
	v_pk_min_f16 v15, v15, v20
	v_pk_add_f16 v14, v47, v14
	v_pk_add_f16 v14, v14, v15
	v_add_f16_sdwa v14, v14, v14 dst_sel:DWORD dst_unused:UNUSED_PAD src0_sel:DWORD src1_sel:WORD_1
	v_add_f16_e32 v14, v14, v18
	global_store_short v[0:1], v14, off
	s_or_b32 exec_lo, exec_lo, s0
	s_and_b32 s1, s3, s8
	s_and_saveexec_b32 s0, s1
	s_cbranch_execz .LBB286_159
.LBB286_176:
	v_cmp_ne_u32_e32 vcc_lo, 1, v59
	v_lshlrev_b64 v[0:1], 1, v[30:31]
	s_cbranch_vccnz .LBB286_178
; %bb.177:
	v_add_co_u32 v14, vcc_lo, v22, v0
	v_add_co_ci_u32_e64 v15, null, v23, v1, vcc_lo
	global_load_ushort v14, v[14:15], off
	s_waitcnt vmcnt(0)
	v_mul_f16_e32 v14, s15, v14
	s_branch .LBB286_179
.LBB286_178:
	v_mov_b32_e32 v14, 0
.LBB286_179:
	v_pk_max_f16 v15, v4, v4
	v_pk_max_f16 v16, v16, v16
	;; [unrolled: 1-line block ×4, first 2 shown]
	v_add_co_u32 v0, vcc_lo, v2, v0
	v_pk_min_f16 v15, v16, v15
	v_add_co_ci_u32_e64 v1, null, v3, v1, vcc_lo
	v_pk_min_f16 v16, v17, v18
	v_pk_add_f16 v15, v46, v15
	v_pk_add_f16 v15, v15, v16
	v_add_f16_sdwa v15, v15, v15 dst_sel:DWORD dst_unused:UNUSED_PAD src0_sel:DWORD src1_sel:WORD_1
	v_add_f16_e32 v14, v15, v14
	global_store_short v[0:1], v14, off
	s_or_b32 exec_lo, exec_lo, s0
	s_and_b32 s1, s4, s8
	s_and_saveexec_b32 s0, s1
	s_cbranch_execz .LBB286_160
.LBB286_180:
	v_cmp_ne_u32_e32 vcc_lo, 1, v59
	v_lshlrev_b64 v[0:1], 1, v[32:33]
	s_cbranch_vccnz .LBB286_182
; %bb.181:
	v_add_co_u32 v14, vcc_lo, v22, v0
	v_add_co_ci_u32_e64 v15, null, v23, v1, vcc_lo
	global_load_ushort v14, v[14:15], off
	s_waitcnt vmcnt(0)
	v_mul_f16_e32 v14, s15, v14
	s_branch .LBB286_183
.LBB286_182:
	v_mov_b32_e32 v14, 0
.LBB286_183:
	v_pk_max_f16 v15, v4, v4
	v_pk_max_f16 v10, v10, v10
	;; [unrolled: 1-line block ×4, first 2 shown]
	v_add_co_u32 v0, vcc_lo, v2, v0
	v_pk_min_f16 v10, v10, v15
	v_add_co_ci_u32_e64 v1, null, v3, v1, vcc_lo
	v_pk_min_f16 v11, v11, v16
	v_pk_add_f16 v10, v45, v10
	v_pk_add_f16 v10, v10, v11
	v_add_f16_sdwa v10, v10, v10 dst_sel:DWORD dst_unused:UNUSED_PAD src0_sel:DWORD src1_sel:WORD_1
	v_add_f16_e32 v10, v10, v14
	global_store_short v[0:1], v10, off
	s_or_b32 exec_lo, exec_lo, s0
	s_and_b32 s1, s5, s8
	s_and_saveexec_b32 s0, s1
	s_cbranch_execz .LBB286_161
.LBB286_184:
	v_cmp_ne_u32_e32 vcc_lo, 1, v59
	v_lshlrev_b64 v[0:1], 1, v[34:35]
	s_cbranch_vccnz .LBB286_186
; %bb.185:
	v_add_co_u32 v10, vcc_lo, v22, v0
	v_add_co_ci_u32_e64 v11, null, v23, v1, vcc_lo
	global_load_ushort v10, v[10:11], off
	s_waitcnt vmcnt(0)
	v_mul_f16_e32 v10, s15, v10
	s_branch .LBB286_187
.LBB286_186:
	v_mov_b32_e32 v10, 0
.LBB286_187:
	v_pk_max_f16 v11, v4, v4
	v_pk_max_f16 v12, v12, v12
	v_pk_max_f16 v14, v5, v5
	v_pk_max_f16 v13, v13, v13
	v_add_co_u32 v0, vcc_lo, v2, v0
	v_pk_min_f16 v11, v12, v11
	v_add_co_ci_u32_e64 v1, null, v3, v1, vcc_lo
	v_pk_min_f16 v12, v13, v14
	v_pk_add_f16 v11, v44, v11
	v_pk_add_f16 v11, v11, v12
	v_add_f16_sdwa v11, v11, v11 dst_sel:DWORD dst_unused:UNUSED_PAD src0_sel:DWORD src1_sel:WORD_1
	v_add_f16_e32 v10, v11, v10
	global_store_short v[0:1], v10, off
	s_or_b32 exec_lo, exec_lo, s0
	s_and_b32 s1, s6, s8
	s_and_saveexec_b32 s0, s1
	s_cbranch_execz .LBB286_162
.LBB286_188:
	v_cmp_ne_u32_e32 vcc_lo, 1, v59
	v_lshlrev_b64 v[0:1], 1, v[36:37]
	s_cbranch_vccnz .LBB286_190
; %bb.189:
	v_add_co_u32 v10, vcc_lo, v22, v0
	v_add_co_ci_u32_e64 v11, null, v23, v1, vcc_lo
	global_load_ushort v10, v[10:11], off
	s_waitcnt vmcnt(0)
	v_mul_f16_e32 v10, s15, v10
	s_branch .LBB286_191
.LBB286_190:
	v_mov_b32_e32 v10, 0
.LBB286_191:
	v_pk_max_f16 v11, v4, v4
	v_pk_max_f16 v6, v6, v6
	;; [unrolled: 1-line block ×4, first 2 shown]
	v_add_co_u32 v0, vcc_lo, v2, v0
	v_pk_min_f16 v6, v6, v11
	v_add_co_ci_u32_e64 v1, null, v3, v1, vcc_lo
	v_pk_min_f16 v7, v7, v12
	v_pk_add_f16 v6, v43, v6
	v_pk_add_f16 v6, v6, v7
	v_add_f16_sdwa v6, v6, v6 dst_sel:DWORD dst_unused:UNUSED_PAD src0_sel:DWORD src1_sel:WORD_1
	v_add_f16_e32 v6, v6, v10
	global_store_short v[0:1], v6, off
	s_or_b32 exec_lo, exec_lo, s0
	s_and_b32 s0, s7, s8
	s_and_saveexec_b32 s1, s0
	s_cbranch_execz .LBB286_163
.LBB286_192:
	v_cmp_ne_u32_e32 vcc_lo, 1, v59
	v_lshlrev_b64 v[0:1], 1, v[38:39]
	s_cbranch_vccnz .LBB286_194
; %bb.193:
	v_add_co_u32 v6, vcc_lo, v22, v0
	v_add_co_ci_u32_e64 v7, null, v23, v1, vcc_lo
	global_load_ushort v6, v[6:7], off
	s_waitcnt vmcnt(0)
	v_mul_f16_e32 v6, s15, v6
	s_branch .LBB286_195
.LBB286_194:
	v_mov_b32_e32 v6, 0
.LBB286_195:
	v_pk_max_f16 v4, v4, v4
	v_pk_max_f16 v7, v8, v8
	;; [unrolled: 1-line block ×4, first 2 shown]
	v_add_co_u32 v0, vcc_lo, v2, v0
	v_pk_min_f16 v4, v7, v4
	v_add_co_ci_u32_e64 v1, null, v3, v1, vcc_lo
	v_pk_min_f16 v5, v8, v5
	v_pk_add_f16 v4, v42, v4
	v_pk_add_f16 v4, v4, v5
	v_add_f16_sdwa v4, v4, v4 dst_sel:DWORD dst_unused:UNUSED_PAD src0_sel:DWORD src1_sel:WORD_1
	v_add_f16_e32 v4, v4, v6
	global_store_short v[0:1], v4, off
	s_endpgm
	.section	.rodata,"a",@progbits
	.p2align	6, 0x0
	.amdhsa_kernel _ZN12_GLOBAL__N_120geam_min_plus_kernelIDF16_Dv2_DF16_S1_Li8ELi32ELi64ELi128ELi4ELi64ELi4ELi4ELi64ELc78ELc78ELb1ELb1ELb0EDF16_KDF16_DF16_EEviiiT16_PT17_ilS5_ilS3_S5_ilPT18_ili26rocblas_geam_ex_operation_
		.amdhsa_group_segment_fixed_size 3072
		.amdhsa_private_segment_fixed_size 0
		.amdhsa_kernarg_size 128
		.amdhsa_user_sgpr_count 6
		.amdhsa_user_sgpr_private_segment_buffer 1
		.amdhsa_user_sgpr_dispatch_ptr 0
		.amdhsa_user_sgpr_queue_ptr 0
		.amdhsa_user_sgpr_kernarg_segment_ptr 1
		.amdhsa_user_sgpr_dispatch_id 0
		.amdhsa_user_sgpr_flat_scratch_init 0
		.amdhsa_user_sgpr_private_segment_size 0
		.amdhsa_wavefront_size32 1
		.amdhsa_uses_dynamic_stack 0
		.amdhsa_system_sgpr_private_segment_wavefront_offset 0
		.amdhsa_system_sgpr_workgroup_id_x 1
		.amdhsa_system_sgpr_workgroup_id_y 0
		.amdhsa_system_sgpr_workgroup_id_z 1
		.amdhsa_system_sgpr_workgroup_info 0
		.amdhsa_system_vgpr_workitem_id 1
		.amdhsa_next_free_vgpr 125
		.amdhsa_next_free_sgpr 26
		.amdhsa_reserve_vcc 1
		.amdhsa_reserve_flat_scratch 0
		.amdhsa_float_round_mode_32 0
		.amdhsa_float_round_mode_16_64 0
		.amdhsa_float_denorm_mode_32 3
		.amdhsa_float_denorm_mode_16_64 3
		.amdhsa_dx10_clamp 1
		.amdhsa_ieee_mode 1
		.amdhsa_fp16_overflow 0
		.amdhsa_workgroup_processor_mode 1
		.amdhsa_memory_ordered 1
		.amdhsa_forward_progress 1
		.amdhsa_shared_vgpr_count 0
		.amdhsa_exception_fp_ieee_invalid_op 0
		.amdhsa_exception_fp_denorm_src 0
		.amdhsa_exception_fp_ieee_div_zero 0
		.amdhsa_exception_fp_ieee_overflow 0
		.amdhsa_exception_fp_ieee_underflow 0
		.amdhsa_exception_fp_ieee_inexact 0
		.amdhsa_exception_int_div_zero 0
	.end_amdhsa_kernel
	.section	.text._ZN12_GLOBAL__N_120geam_min_plus_kernelIDF16_Dv2_DF16_S1_Li8ELi32ELi64ELi128ELi4ELi64ELi4ELi4ELi64ELc78ELc78ELb1ELb1ELb0EDF16_KDF16_DF16_EEviiiT16_PT17_ilS5_ilS3_S5_ilPT18_ili26rocblas_geam_ex_operation_,"axG",@progbits,_ZN12_GLOBAL__N_120geam_min_plus_kernelIDF16_Dv2_DF16_S1_Li8ELi32ELi64ELi128ELi4ELi64ELi4ELi4ELi64ELc78ELc78ELb1ELb1ELb0EDF16_KDF16_DF16_EEviiiT16_PT17_ilS5_ilS3_S5_ilPT18_ili26rocblas_geam_ex_operation_,comdat
.Lfunc_end286:
	.size	_ZN12_GLOBAL__N_120geam_min_plus_kernelIDF16_Dv2_DF16_S1_Li8ELi32ELi64ELi128ELi4ELi64ELi4ELi4ELi64ELc78ELc78ELb1ELb1ELb0EDF16_KDF16_DF16_EEviiiT16_PT17_ilS5_ilS3_S5_ilPT18_ili26rocblas_geam_ex_operation_, .Lfunc_end286-_ZN12_GLOBAL__N_120geam_min_plus_kernelIDF16_Dv2_DF16_S1_Li8ELi32ELi64ELi128ELi4ELi64ELi4ELi4ELi64ELc78ELc78ELb1ELb1ELb0EDF16_KDF16_DF16_EEviiiT16_PT17_ilS5_ilS3_S5_ilPT18_ili26rocblas_geam_ex_operation_
                                        ; -- End function
	.set _ZN12_GLOBAL__N_120geam_min_plus_kernelIDF16_Dv2_DF16_S1_Li8ELi32ELi64ELi128ELi4ELi64ELi4ELi4ELi64ELc78ELc78ELb1ELb1ELb0EDF16_KDF16_DF16_EEviiiT16_PT17_ilS5_ilS3_S5_ilPT18_ili26rocblas_geam_ex_operation_.num_vgpr, 125
	.set _ZN12_GLOBAL__N_120geam_min_plus_kernelIDF16_Dv2_DF16_S1_Li8ELi32ELi64ELi128ELi4ELi64ELi4ELi4ELi64ELc78ELc78ELb1ELb1ELb0EDF16_KDF16_DF16_EEviiiT16_PT17_ilS5_ilS3_S5_ilPT18_ili26rocblas_geam_ex_operation_.num_agpr, 0
	.set _ZN12_GLOBAL__N_120geam_min_plus_kernelIDF16_Dv2_DF16_S1_Li8ELi32ELi64ELi128ELi4ELi64ELi4ELi4ELi64ELc78ELc78ELb1ELb1ELb0EDF16_KDF16_DF16_EEviiiT16_PT17_ilS5_ilS3_S5_ilPT18_ili26rocblas_geam_ex_operation_.numbered_sgpr, 26
	.set _ZN12_GLOBAL__N_120geam_min_plus_kernelIDF16_Dv2_DF16_S1_Li8ELi32ELi64ELi128ELi4ELi64ELi4ELi4ELi64ELc78ELc78ELb1ELb1ELb0EDF16_KDF16_DF16_EEviiiT16_PT17_ilS5_ilS3_S5_ilPT18_ili26rocblas_geam_ex_operation_.num_named_barrier, 0
	.set _ZN12_GLOBAL__N_120geam_min_plus_kernelIDF16_Dv2_DF16_S1_Li8ELi32ELi64ELi128ELi4ELi64ELi4ELi4ELi64ELc78ELc78ELb1ELb1ELb0EDF16_KDF16_DF16_EEviiiT16_PT17_ilS5_ilS3_S5_ilPT18_ili26rocblas_geam_ex_operation_.private_seg_size, 0
	.set _ZN12_GLOBAL__N_120geam_min_plus_kernelIDF16_Dv2_DF16_S1_Li8ELi32ELi64ELi128ELi4ELi64ELi4ELi4ELi64ELc78ELc78ELb1ELb1ELb0EDF16_KDF16_DF16_EEviiiT16_PT17_ilS5_ilS3_S5_ilPT18_ili26rocblas_geam_ex_operation_.uses_vcc, 1
	.set _ZN12_GLOBAL__N_120geam_min_plus_kernelIDF16_Dv2_DF16_S1_Li8ELi32ELi64ELi128ELi4ELi64ELi4ELi4ELi64ELc78ELc78ELb1ELb1ELb0EDF16_KDF16_DF16_EEviiiT16_PT17_ilS5_ilS3_S5_ilPT18_ili26rocblas_geam_ex_operation_.uses_flat_scratch, 0
	.set _ZN12_GLOBAL__N_120geam_min_plus_kernelIDF16_Dv2_DF16_S1_Li8ELi32ELi64ELi128ELi4ELi64ELi4ELi4ELi64ELc78ELc78ELb1ELb1ELb0EDF16_KDF16_DF16_EEviiiT16_PT17_ilS5_ilS3_S5_ilPT18_ili26rocblas_geam_ex_operation_.has_dyn_sized_stack, 0
	.set _ZN12_GLOBAL__N_120geam_min_plus_kernelIDF16_Dv2_DF16_S1_Li8ELi32ELi64ELi128ELi4ELi64ELi4ELi4ELi64ELc78ELc78ELb1ELb1ELb0EDF16_KDF16_DF16_EEviiiT16_PT17_ilS5_ilS3_S5_ilPT18_ili26rocblas_geam_ex_operation_.has_recursion, 0
	.set _ZN12_GLOBAL__N_120geam_min_plus_kernelIDF16_Dv2_DF16_S1_Li8ELi32ELi64ELi128ELi4ELi64ELi4ELi4ELi64ELc78ELc78ELb1ELb1ELb0EDF16_KDF16_DF16_EEviiiT16_PT17_ilS5_ilS3_S5_ilPT18_ili26rocblas_geam_ex_operation_.has_indirect_call, 0
	.section	.AMDGPU.csdata,"",@progbits
; Kernel info:
; codeLenInByte = 12020
; TotalNumSgprs: 28
; NumVgprs: 125
; ScratchSize: 0
; MemoryBound: 0
; FloatMode: 240
; IeeeMode: 1
; LDSByteSize: 3072 bytes/workgroup (compile time only)
; SGPRBlocks: 0
; VGPRBlocks: 15
; NumSGPRsForWavesPerEU: 28
; NumVGPRsForWavesPerEU: 125
; Occupancy: 8
; WaveLimiterHint : 0
; COMPUTE_PGM_RSRC2:SCRATCH_EN: 0
; COMPUTE_PGM_RSRC2:USER_SGPR: 6
; COMPUTE_PGM_RSRC2:TRAP_HANDLER: 0
; COMPUTE_PGM_RSRC2:TGID_X_EN: 1
; COMPUTE_PGM_RSRC2:TGID_Y_EN: 0
; COMPUTE_PGM_RSRC2:TGID_Z_EN: 1
; COMPUTE_PGM_RSRC2:TIDIG_COMP_CNT: 1
	.section	.text._ZN12_GLOBAL__N_120geam_min_plus_kernelIDF16_Dv2_DF16_S1_Li8ELi32ELi64ELi128ELi4ELi64ELi4ELi4ELi64ELc78ELc78ELb0ELb1ELb0EDF16_KDF16_DF16_EEviiiT16_PT17_ilS5_ilS3_S5_ilPT18_ili26rocblas_geam_ex_operation_,"axG",@progbits,_ZN12_GLOBAL__N_120geam_min_plus_kernelIDF16_Dv2_DF16_S1_Li8ELi32ELi64ELi128ELi4ELi64ELi4ELi4ELi64ELc78ELc78ELb0ELb1ELb0EDF16_KDF16_DF16_EEviiiT16_PT17_ilS5_ilS3_S5_ilPT18_ili26rocblas_geam_ex_operation_,comdat
	.globl	_ZN12_GLOBAL__N_120geam_min_plus_kernelIDF16_Dv2_DF16_S1_Li8ELi32ELi64ELi128ELi4ELi64ELi4ELi4ELi64ELc78ELc78ELb0ELb1ELb0EDF16_KDF16_DF16_EEviiiT16_PT17_ilS5_ilS3_S5_ilPT18_ili26rocblas_geam_ex_operation_ ; -- Begin function _ZN12_GLOBAL__N_120geam_min_plus_kernelIDF16_Dv2_DF16_S1_Li8ELi32ELi64ELi128ELi4ELi64ELi4ELi4ELi64ELc78ELc78ELb0ELb1ELb0EDF16_KDF16_DF16_EEviiiT16_PT17_ilS5_ilS3_S5_ilPT18_ili26rocblas_geam_ex_operation_
	.p2align	8
	.type	_ZN12_GLOBAL__N_120geam_min_plus_kernelIDF16_Dv2_DF16_S1_Li8ELi32ELi64ELi128ELi4ELi64ELi4ELi4ELi64ELc78ELc78ELb0ELb1ELb0EDF16_KDF16_DF16_EEviiiT16_PT17_ilS5_ilS3_S5_ilPT18_ili26rocblas_geam_ex_operation_,@function
_ZN12_GLOBAL__N_120geam_min_plus_kernelIDF16_Dv2_DF16_S1_Li8ELi32ELi64ELi128ELi4ELi64ELi4ELi4ELi64ELc78ELc78ELb0ELb1ELb0EDF16_KDF16_DF16_EEviiiT16_PT17_ilS5_ilS3_S5_ilPT18_ili26rocblas_geam_ex_operation_: ; @_ZN12_GLOBAL__N_120geam_min_plus_kernelIDF16_Dv2_DF16_S1_Li8ELi32ELi64ELi128ELi4ELi64ELi4ELi4ELi64ELc78ELc78ELb0ELb1ELb0EDF16_KDF16_DF16_EEviiiT16_PT17_ilS5_ilS3_S5_ilPT18_ili26rocblas_geam_ex_operation_
; %bb.0:
	s_clause 0x1
	s_load_dwordx4 s[12:15], s[4:5], 0x0
	s_load_dwordx4 s[0:3], s[4:5], 0x20
	s_waitcnt lgkmcnt(0)
	v_cmp_eq_f16_e64 s8, s15, 0
	v_cmp_neq_f16_e64 s24, s15, 0
	s_and_b32 vcc_lo, exec_lo, s8
	s_cbranch_vccnz .LBB287_37
; %bb.1:
	s_load_dwordx2 s[10:11], s[4:5], 0x10
	s_mul_i32 s1, s1, s7
	s_mul_hi_u32 s9, s0, s7
	s_mul_i32 s0, s0, s7
	s_add_i32 s1, s9, s1
	s_lshl_b64 s[0:1], s[0:1], 1
	s_waitcnt lgkmcnt(0)
	s_add_u32 s20, s10, s0
	s_addc_u32 s21, s11, s1
	s_andn2_b32 vcc_lo, exec_lo, s8
	s_mov_b32 s0, -1
	s_cbranch_vccnz .LBB287_3
.LBB287_2:
	s_mov_b32 s0, 0
.LBB287_3:
	s_mov_b64 s[16:17], 0
	s_andn2_b32 vcc_lo, exec_lo, s0
	s_mov_b64 s[18:19], 0
	s_cbranch_vccnz .LBB287_5
; %bb.4:
	s_load_dwordx2 s[0:1], s[4:5], 0x38
	s_waitcnt lgkmcnt(0)
	s_mul_i32 s1, s1, s7
	s_mul_hi_u32 s8, s0, s7
	s_mul_i32 s0, s0, s7
	s_add_i32 s1, s8, s1
	s_lshl_b64 s[0:1], s[0:1], 1
	s_add_u32 s18, s2, s0
	s_addc_u32 s19, s3, s1
.LBB287_5:
	s_clause 0x1
	s_load_dword s22, s[4:5], 0x40
	s_load_dwordx4 s[8:11], s[4:5], 0x58
	s_waitcnt lgkmcnt(0)
	v_cmp_eq_f16_e64 s0, s22, 0
	v_cmp_neq_f16_e64 s23, s22, 0
	s_and_b32 vcc_lo, exec_lo, s0
	s_cbranch_vccnz .LBB287_7
; %bb.6:
	s_load_dwordx2 s[0:1], s[4:5], 0x48
	s_mul_i32 s2, s9, s7
	s_mul_hi_u32 s3, s8, s7
	s_add_i32 s3, s3, s2
	s_mul_i32 s2, s8, s7
	s_lshl_b64 s[2:3], s[2:3], 1
	s_waitcnt lgkmcnt(0)
	s_add_u32 s16, s0, s2
	s_addc_u32 s17, s1, s3
.LBB287_7:
	s_add_i32 s0, s12, -1
	s_load_dword s8, s[4:5], 0x18
	s_ashr_i32 s1, s0, 31
	v_lshl_add_u32 v4, v1, 3, v0
	s_lshr_b32 s1, s1, 26
	v_mov_b32_e32 v10, 0
	s_add_i32 s0, s0, s1
	v_mov_b32_e32 v11, 0
	s_ashr_i32 s0, s0, 6
	v_and_b32_e32 v9, 63, v4
	s_add_i32 s2, s0, 1
	s_not_b32 s0, s0
	v_cvt_f32_u32_e32 v2, s2
	v_lshrrev_b32_e32 v34, 6, v4
	v_rcp_iflag_f32_e32 v2, v2
	s_waitcnt lgkmcnt(0)
	s_ashr_i32 s9, s8, 31
	v_mul_f32_e32 v2, 0x4f7ffffe, v2
	v_cvt_u32_f32_e32 v2, v2
	v_readfirstlane_b32 s1, v2
	s_mul_i32 s0, s0, s1
	s_mul_hi_u32 s0, s1, s0
	s_add_i32 s1, s1, s0
	s_mul_hi_u32 s0, s6, s1
	s_mul_i32 s1, s0, s2
	s_add_i32 s3, s0, 1
	s_sub_i32 s1, s6, s1
	s_sub_i32 s25, s1, s2
	s_cmp_ge_u32 s1, s2
	s_cselect_b32 s0, s3, s0
	s_cselect_b32 s1, s25, s1
	s_add_i32 s3, s0, 1
	s_cmp_ge_u32 s1, s2
	s_cselect_b32 s1, s3, s0
	s_mul_i32 s0, s1, s2
	s_sub_i32 s0, s6, s0
	s_lshl_b32 s6, s0, 6
	v_cmp_gt_i32_e64 s0, s14, v34
	v_or_b32_e32 v2, s6, v9
	v_cmp_gt_i32_e32 vcc_lo, s12, v2
	v_ashrrev_i32_e32 v3, 31, v2
	s_and_b32 s0, s0, vcc_lo
	s_and_b32 s0, s24, s0
	s_and_saveexec_b32 s2, s0
	s_cbranch_execz .LBB287_9
; %bb.8:
	v_mad_i64_i32 v[5:6], null, s8, v34, 0
	v_lshlrev_b64 v[7:8], 1, v[2:3]
	v_lshlrev_b64 v[5:6], 1, v[5:6]
	v_add_co_u32 v5, s0, s20, v5
	v_add_co_ci_u32_e64 v6, null, s21, v6, s0
	v_add_co_u32 v5, s0, v5, v7
	v_add_co_ci_u32_e64 v6, null, v6, v8, s0
	global_load_ushort v5, v[5:6], off
	s_waitcnt vmcnt(0)
	v_mul_f16_e32 v11, s15, v5
.LBB287_9:
	s_or_b32 exec_lo, exec_lo, s2
	v_and_b32_e32 v35, 3, v0
	s_add_i32 s26, s14, -1
	s_load_dword s3, s[4:5], 0x30
	v_lshrrev_b32_e32 v12, 2, v4
	s_lshl_b32 s25, s1, 7
	v_min_i32_e32 v5, s26, v35
	v_cmp_le_i32_e64 s0, s14, v35
	s_xor_b32 s28, s24, -1
	v_add_nc_u32_e32 v4, s25, v12
	v_ashrrev_i32_e32 v6, 31, v5
	v_cmp_le_i32_e64 s1, s13, v4
	v_lshlrev_b64 v[5:6], 1, v[5:6]
	s_or_b32 s27, s1, s28
	s_nor_b32 s1, s0, s27
	v_add_co_u32 v7, s2, s18, v5
	v_add_co_ci_u32_e64 v8, null, s19, v6, s2
	s_and_saveexec_b32 s2, s1
	s_cbranch_execz .LBB287_11
; %bb.10:
	s_waitcnt lgkmcnt(0)
	v_mad_i64_i32 v[5:6], null, v4, s3, 0
	v_lshlrev_b64 v[5:6], 1, v[5:6]
	v_add_co_u32 v5, s1, v7, v5
	v_add_co_ci_u32_e64 v6, null, v8, v6, s1
	global_load_ushort v5, v[5:6], off
	s_waitcnt vmcnt(0)
	v_mul_f16_e32 v10, s15, v5
.LBB287_11:
	s_or_b32 exec_lo, exec_lo, s2
	v_add_nc_u32_e32 v5, 64, v4
	v_mov_b32_e32 v6, 0
	v_mov_b32_e32 v13, 0
	v_cmp_le_i32_e64 s1, s13, v5
	s_or_b32 s28, s1, s28
	s_nor_b32 s0, s0, s28
	s_and_saveexec_b32 s1, s0
	s_cbranch_execz .LBB287_13
; %bb.12:
	s_waitcnt lgkmcnt(0)
	v_mad_i64_i32 v[13:14], null, v5, s3, 0
	v_lshlrev_b64 v[13:14], 1, v[13:14]
	v_add_co_u32 v7, s0, v7, v13
	v_add_co_ci_u32_e64 v8, null, v8, v14, s0
	global_load_ushort v7, v[7:8], off
	s_waitcnt vmcnt(0)
	v_mul_f16_e32 v13, s15, v7
.LBB287_13:
	s_or_b32 exec_lo, exec_lo, s1
	v_add_nc_u32_e32 v7, 4, v34
	v_cmp_gt_i32_e64 s0, s14, v7
	s_and_b32 s0, vcc_lo, s0
	s_and_b32 s0, s24, s0
	s_and_saveexec_b32 s1, s0
	s_cbranch_execz .LBB287_15
; %bb.14:
	v_mad_u64_u32 v[14:15], null, s8, v7, 0
	v_mov_b32_e32 v6, v15
	v_mad_u64_u32 v[6:7], null, s9, v7, v[6:7]
	v_mov_b32_e32 v15, v6
	v_lshlrev_b64 v[6:7], 1, v[14:15]
	v_lshlrev_b64 v[14:15], 1, v[2:3]
	v_add_co_u32 v6, s0, s20, v6
	v_add_co_ci_u32_e64 v7, null, s21, v7, s0
	v_add_co_u32 v6, s0, v6, v14
	v_add_co_ci_u32_e64 v7, null, v7, v15, s0
	global_load_ushort v6, v[6:7], off
	s_waitcnt vmcnt(0)
	v_mul_f16_e32 v6, s15, v6
.LBB287_15:
	s_or_b32 exec_lo, exec_lo, s1
	v_or_b32_e32 v16, 4, v35
	v_min_i32_e32 v7, s26, v16
	v_cmp_le_i32_e64 s0, s14, v16
	v_ashrrev_i32_e32 v8, 31, v7
	v_lshlrev_b64 v[14:15], 1, v[7:8]
	v_mov_b32_e32 v7, 0
	v_mov_b32_e32 v8, 0
	v_add_co_u32 v14, s1, s18, v14
	v_add_co_ci_u32_e64 v15, null, s19, v15, s1
	s_nor_b32 s1, s0, s27
	s_and_saveexec_b32 s2, s1
	s_cbranch_execz .LBB287_17
; %bb.16:
	s_waitcnt lgkmcnt(0)
	v_mad_i64_i32 v[16:17], null, v4, s3, 0
	v_lshlrev_b64 v[16:17], 1, v[16:17]
	v_add_co_u32 v16, s1, v14, v16
	v_add_co_ci_u32_e64 v17, null, v15, v17, s1
	global_load_ushort v8, v[16:17], off
	s_waitcnt vmcnt(0)
	v_mul_f16_e32 v8, s15, v8
.LBB287_17:
	s_or_b32 exec_lo, exec_lo, s2
	s_nor_b32 s0, s0, s28
	s_and_saveexec_b32 s1, s0
	s_cbranch_execz .LBB287_19
; %bb.18:
	s_waitcnt lgkmcnt(0)
	v_mad_i64_i32 v[16:17], null, v5, s3, 0
	v_lshlrev_b64 v[16:17], 1, v[16:17]
	v_add_co_u32 v14, s0, v14, v16
	v_add_co_ci_u32_e64 v15, null, v15, v17, s0
	global_load_ushort v7, v[14:15], off
	s_waitcnt vmcnt(0)
	v_mul_f16_e32 v7, s15, v7
.LBB287_19:
	s_or_b32 exec_lo, exec_lo, s1
	v_lshlrev_b32_e32 v9, 3, v9
	v_lshlrev_b32_e32 v12, 3, v12
	;; [unrolled: 1-line block ×4, first 2 shown]
	s_mov_b32 s29, 0
	v_lshl_add_u32 v9, v34, 1, v9
	v_lshl_or_b32 v38, v35, 1, v12
	v_add_nc_u32_e32 v30, 0x800, v37
	s_cmp_lt_i32 s14, 9
	ds_write_b16 v9, v11 offset:2048
	ds_write_b16 v38, v10
	ds_write_b16 v38, v13 offset:512
	s_waitcnt lgkmcnt(0)
	s_barrier
	buffer_gl0_inv
	ds_read2_b64 v[10:13], v36 offset1:32
	ds_read2_b64 v[14:17], v30 offset0:48 offset1:56
	ds_read2_b64 v[18:21], v36 offset0:64 offset1:96
	ds_read2_b64 v[22:25], v30 offset1:8
	ds_read2_b64 v[26:29], v30 offset0:16 offset1:24
	ds_read2_b64 v[30:33], v30 offset0:32 offset1:40
	ds_write_b16 v9, v6 offset:2560
	ds_write_b16 v38, v8 offset:1024
	;; [unrolled: 1-line block ×3, first 2 shown]
	s_waitcnt lgkmcnt(0)
	s_barrier
	buffer_gl0_inv
	v_pk_max_f16 v10, v10, v10
	v_pk_max_f16 v16, v16, v16
	;; [unrolled: 1-line block ×6, first 2 shown]
	v_pk_min_f16 v39, v16, v10
	v_pk_max_f16 v22, v22, v22
	v_pk_max_f16 v20, v20, v20
	;; [unrolled: 1-line block ×4, first 2 shown]
	v_pk_min_f16 v40, v16, v12
	v_pk_max_f16 v28, v28, v28
	v_pk_max_f16 v30, v30, v30
	;; [unrolled: 1-line block ×5, first 2 shown]
	v_pk_add_f16 v39, v39, 0
	v_pk_min_f16 v50, v17, v11
	v_pk_min_f16 v41, v16, v18
	;; [unrolled: 1-line block ×19, first 2 shown]
	v_pk_max_f16 v19, v19, v19
	v_pk_max_f16 v21, v21, v21
	v_pk_min_f16 v56, v30, v12
	v_pk_min_f16 v59, v30, v18
	v_pk_max_f16 v23, v23, v23
	v_pk_min_f16 v30, v30, v20
	v_pk_min_f16 v60, v32, v10
	;; [unrolled: 1-line block ×10, first 2 shown]
	v_pk_add_f16 v68, v39, v50
	v_pk_add_f16 v20, v40, 0
	v_pk_min_f16 v39, v17, v13
	v_pk_max_f16 v25, v25, v25
	v_pk_add_f16 v42, v42, 0
	v_pk_min_f16 v57, v23, v11
	v_pk_min_f16 v63, v23, v13
	;; [unrolled: 1-line block ×3, first 2 shown]
	v_pk_add_f16 v58, v20, v39
	v_pk_add_f16 v20, v22, 0
	v_pk_min_f16 v23, v23, v21
	v_pk_add_f16 v72, v42, v57
	v_pk_add_f16 v22, v45, 0
	v_pk_add_f16 v42, v49, 0
	v_pk_add_f16 v40, v41, 0
	v_pk_add_f16 v49, v20, v23
	v_pk_min_f16 v20, v25, v11
	v_pk_min_f16 v41, v17, v19
	v_pk_add_f16 v39, v46, 0
	v_pk_max_f16 v27, v27, v27
	v_pk_add_f16 v43, v43, 0
	v_pk_add_f16 v71, v22, v20
	v_pk_min_f16 v20, v25, v13
	v_pk_add_f16 v50, v40, v41
	v_pk_add_f16 v40, v47, 0
	;; [unrolled: 1-line block ×3, first 2 shown]
	v_pk_max_f16 v29, v29, v29
	v_pk_add_f16 v65, v39, v20
	v_pk_min_f16 v20, v25, v19
	v_pk_min_f16 v25, v25, v21
	v_pk_add_f16 v44, v44, 0
	v_pk_add_f16 v66, v43, v63
	;; [unrolled: 1-line block ×7, first 2 shown]
	v_pk_min_f16 v20, v27, v11
	v_pk_min_f16 v24, v27, v13
	v_pk_add_f16 v57, v44, v64
	v_pk_add_f16 v26, v26, 0
	;; [unrolled: 1-line block ×5, first 2 shown]
	v_pk_min_f16 v20, v27, v19
	v_pk_min_f16 v24, v27, v21
	;; [unrolled: 1-line block ×3, first 2 shown]
	v_pk_add_f16 v44, v53, 0
	v_pk_add_f16 v45, v54, 0
	v_pk_add_f16 v28, v28, 0
	v_pk_add_f16 v22, v55, 0
	v_pk_add_f16 v55, v43, v20
	v_pk_add_f16 v47, v26, v24
	v_pk_add_f16 v69, v23, v27
	v_pk_min_f16 v20, v29, v13
	v_pk_min_f16 v23, v29, v19
	;; [unrolled: 1-line block ×3, first 2 shown]
	v_pk_max_f16 v26, v31, v31
	v_pk_add_f16 v52, v59, 0
	v_pk_add_f16 v63, v44, v20
	;; [unrolled: 1-line block ×4, first 2 shown]
	v_pk_min_f16 v20, v26, v11
	v_pk_min_f16 v23, v26, v13
	v_pk_min_f16 v24, v26, v19
	v_pk_max_f16 v27, v33, v33
	v_pk_max_f16 v15, v15, v15
	v_pk_add_f16 v30, v30, 0
	v_pk_add_f16 v39, v60, 0
	;; [unrolled: 1-line block ×10, first 2 shown]
	v_pk_min_f16 v26, v26, v21
	v_pk_add_f16 v41, v22, v20
	v_pk_add_f16 v62, v51, v23
	;; [unrolled: 1-line block ×3, first 2 shown]
	v_pk_min_f16 v20, v27, v11
	v_pk_min_f16 v22, v27, v13
	;; [unrolled: 1-line block ×9, first 2 shown]
	v_pk_add_f16 v45, v30, v26
	v_pk_add_f16 v39, v39, v20
	;; [unrolled: 1-line block ×10, first 2 shown]
	s_cbranch_scc1 .LBB287_34
; %bb.20:
	v_add_nc_u32_e32 v6, v36, v0
	v_or_b32_e32 v59, 0x800, v9
	v_add_nc_u32_e32 v73, 0xa00, v9
	v_lshlrev_b64 v[2:3], 1, v[2:3]
	v_or_b32_e32 v67, 0x800, v37
	v_lshrrev_b32_e32 v6, 6, v6
	v_add_nc_u32_e32 v74, 0x400, v38
	v_lshl_add_u32 v75, v0, 3, 0xa00
	v_add_nc_u32_e32 v78, 0x400, v36
	v_add_co_u32 v76, s0, s20, v2
	v_add_nc_u32_e32 v8, 12, v6
	v_add_nc_u32_e32 v10, 8, v6
	v_mad_i64_i32 v[6:7], null, v4, s3, 0
	v_mad_i64_i32 v[4:5], null, v5, s3, 0
	;; [unrolled: 1-line block ×4, first 2 shown]
	v_lshlrev_b64 v[30:31], 1, v[6:7]
	v_add_co_ci_u32_e64 v77, null, s21, v3, s0
	v_lshlrev_b64 v[32:33], 1, v[4:5]
	v_lshlrev_b64 v[26:27], 1, v[8:9]
	s_add_i32 s20, s14, -8
	v_lshlrev_b64 v[28:29], 1, v[10:11]
	s_lshl_b64 s[2:3], s[8:9], 4
	s_branch .LBB287_22
.LBB287_21:                             ;   in Loop: Header=BB287_22 Depth=1
	s_or_b32 exec_lo, exec_lo, s1
	v_pk_max_f16 v4, v4, v4
	v_pk_max_f16 v22, v22, v22
	;; [unrolled: 1-line block ×7, first 2 shown]
	v_pk_min_f16 v82, v4, v22
	v_pk_min_f16 v83, v4, v24
	;; [unrolled: 1-line block ×3, first 2 shown]
	v_pk_max_f16 v16, v16, v16
	v_pk_min_f16 v91, v10, v22
	v_pk_max_f16 v12, v12, v12
	v_pk_min_f16 v92, v10, v24
	v_pk_min_f16 v93, v10, v18
	;; [unrolled: 1-line block ×3, first 2 shown]
	v_pk_max_f16 v6, v6, v6
	v_pk_max_f16 v23, v23, v23
	;; [unrolled: 1-line block ×15, first 2 shown]
	v_pk_min_f16 v85, v14, v22
	v_pk_min_f16 v86, v14, v24
	v_pk_min_f16 v87, v14, v18
	v_pk_min_f16 v14, v14, v20
	v_pk_min_f16 v88, v16, v22
	v_pk_min_f16 v89, v16, v24
	v_pk_min_f16 v90, v16, v18
	v_pk_min_f16 v16, v16, v20
	v_pk_min_f16 v94, v12, v22
	v_pk_min_f16 v95, v12, v24
	v_pk_min_f16 v96, v12, v18
	v_pk_min_f16 v12, v12, v20
	v_pk_min_f16 v97, v6, v22
	v_pk_min_f16 v98, v6, v24
	v_pk_min_f16 v99, v6, v18
	v_pk_min_f16 v6, v6, v20
	v_pk_min_f16 v100, v8, v22
	v_pk_min_f16 v101, v8, v24
	v_pk_min_f16 v102, v8, v18
	v_pk_min_f16 v8, v8, v20
	v_pk_min_f16 v22, v2, v22
	v_pk_min_f16 v24, v2, v24
	v_pk_min_f16 v18, v2, v18
	v_pk_min_f16 v2, v2, v20
	v_pk_min_f16 v4, v4, v20
	v_pk_min_f16 v20, v15, v23
	v_pk_min_f16 v103, v15, v25
	v_pk_min_f16 v104, v15, v19
	v_pk_min_f16 v15, v15, v21
	v_pk_min_f16 v105, v17, v23
	v_pk_min_f16 v106, v17, v25
	v_pk_min_f16 v107, v17, v19
	v_pk_min_f16 v17, v17, v21
	v_pk_min_f16 v108, v11, v23
	v_pk_min_f16 v109, v11, v25
	v_pk_min_f16 v110, v11, v19
	v_pk_min_f16 v11, v11, v21
	v_pk_min_f16 v111, v13, v23
	v_pk_min_f16 v112, v13, v25
	v_pk_min_f16 v113, v13, v19
	v_pk_min_f16 v114, v13, v21
	v_pk_min_f16 v115, v7, v23
	v_pk_min_f16 v116, v7, v25
	v_pk_min_f16 v117, v7, v19
	v_pk_min_f16 v118, v7, v21
	v_pk_min_f16 v119, v9, v23
	v_pk_min_f16 v120, v9, v25
	v_pk_min_f16 v121, v9, v19
	v_pk_min_f16 v122, v9, v21
	v_pk_min_f16 v7, v5, v23
	v_pk_min_f16 v23, v3, v23
	v_pk_min_f16 v9, v5, v25
	v_pk_min_f16 v25, v3, v25
	v_pk_min_f16 v13, v5, v19
	v_pk_min_f16 v19, v3, v19
	v_pk_min_f16 v123, v3, v21
	v_pk_min_f16 v21, v5, v21
	v_pk_add_f16 v3, v68, v82
	v_pk_add_f16 v5, v58, v83
	;; [unrolled: 1-line block ×18, first 2 shown]
	ds_read2_b64 v[2:5], v67 offset0:48 offset1:56
	ds_read2_b64 v[6:9], v36 offset1:32
	v_pk_add_f16 v69, v10, v11
	ds_read2_b64 v[10:13], v36 offset0:64 offset1:96
	v_pk_add_f16 v24, v60, v24
	v_pk_add_f16 v60, v66, v103
	;; [unrolled: 1-line block ×4, first 2 shown]
	ds_read2_b64 v[14:17], v67 offset1:8
	v_pk_add_f16 v58, v72, v85
	v_pk_add_f16 v57, v57, v87
	;; [unrolled: 1-line block ×9, first 2 shown]
	ds_read2_b64 v[18:21], v67 offset0:16 offset1:24
	v_pk_add_f16 v57, v57, v104
	s_waitcnt lgkmcnt(4)
	v_pk_max_f16 v4, v4, v4
	s_waitcnt lgkmcnt(3)
	v_pk_max_f16 v6, v6, v6
	v_pk_max_f16 v8, v8, v8
	s_waitcnt lgkmcnt(2)
	v_pk_max_f16 v10, v10, v10
	v_pk_max_f16 v12, v12, v12
	v_pk_add_f16 v65, v65, v89
	v_pk_min_f16 v22, v4, v6
	v_pk_min_f16 v23, v4, v8
	;; [unrolled: 1-line block ×3, first 2 shown]
	s_waitcnt lgkmcnt(1)
	v_pk_max_f16 v14, v14, v14
	v_pk_max_f16 v16, v16, v16
	v_pk_add_f16 v43, v43, v22
	v_pk_add_f16 v51, v51, v23
	v_pk_add_f16 v50, v50, v24
	v_pk_min_f16 v22, v14, v6
	v_pk_min_f16 v23, v14, v8
	;; [unrolled: 1-line block ×3, first 2 shown]
	v_pk_add_f16 v56, v56, v90
	v_pk_add_f16 v49, v49, v105
	;; [unrolled: 1-line block ×5, first 2 shown]
	ds_read2_b64 v[22:25], v67 offset0:32 offset1:40
	v_pk_min_f16 v14, v14, v12
	v_pk_min_f16 v58, v16, v6
	s_waitcnt lgkmcnt(1)
	v_pk_max_f16 v18, v18, v18
	v_pk_add_f16 v64, v64, v92
	v_pk_add_f16 v65, v65, v106
	;; [unrolled: 1-line block ×5, first 2 shown]
	v_pk_min_f16 v66, v16, v8
	v_pk_min_f16 v83, v16, v10
	v_pk_add_f16 v84, v49, v58
	v_pk_min_f16 v49, v18, v6
	v_pk_max_f16 v20, v20, v20
	v_pk_add_f16 v41, v41, v97
	v_pk_add_f16 v64, v64, v109
	;; [unrolled: 1-line block ×5, first 2 shown]
	v_pk_min_f16 v58, v18, v8
	v_pk_min_f16 v66, v18, v10
	;; [unrolled: 1-line block ×3, first 2 shown]
	v_pk_add_f16 v83, v48, v49
	v_pk_min_f16 v48, v20, v6
	s_waitcnt lgkmcnt(0)
	v_pk_max_f16 v22, v22, v22
	v_pk_add_f16 v62, v62, v98
	v_pk_add_f16 v46, v46, v114
	;; [unrolled: 1-line block ×5, first 2 shown]
	v_pk_min_f16 v49, v20, v8
	v_pk_min_f16 v58, v20, v10
	;; [unrolled: 1-line block ×3, first 2 shown]
	v_pk_add_f16 v69, v47, v48
	v_pk_min_f16 v47, v22, v6
	v_pk_add_f16 v62, v62, v116
	v_pk_add_f16 v45, v45, v118
	;; [unrolled: 1-line block ×3, first 2 shown]
	v_pk_min_f16 v46, v22, v8
	v_pk_max_f16 v24, v24, v24
	v_pk_add_f16 v41, v41, v47
	v_pk_min_f16 v47, v22, v10
	v_pk_min_f16 v22, v22, v12
	v_pk_max_f16 v2, v2, v2
	v_pk_max_f16 v5, v5, v5
	v_pk_max_f16 v7, v7, v7
	v_pk_add_f16 v54, v54, v96
	v_pk_add_f16 v40, v40, v123
	v_pk_min_f16 v16, v16, v12
	v_pk_add_f16 v62, v62, v46
	v_pk_min_f16 v46, v24, v6
	v_pk_min_f16 v48, v24, v8
	v_pk_add_f16 v22, v45, v22
	v_pk_min_f16 v45, v24, v10
	v_pk_min_f16 v24, v24, v12
	;; [unrolled: 1-line block ×6, first 2 shown]
	v_pk_max_f16 v9, v9, v9
	v_pk_min_f16 v4, v4, v12
	v_pk_max_f16 v11, v11, v11
	v_pk_min_f16 v12, v5, v7
	v_pk_add_f16 v63, v63, v95
	v_pk_add_f16 v54, v54, v113
	;; [unrolled: 1-line block ×4, first 2 shown]
	v_pk_min_f16 v40, v5, v9
	v_pk_add_f16 v4, v42, v4
	v_pk_min_f16 v42, v5, v11
	v_pk_max_f16 v15, v15, v15
	v_pk_add_f16 v68, v43, v12
	v_pk_max_f16 v12, v13, v13
	v_pk_add_f16 v55, v55, v93
	v_pk_add_f16 v61, v61, v101
	;; [unrolled: 1-line block ×6, first 2 shown]
	v_pk_min_f16 v13, v15, v7
	v_pk_min_f16 v40, v15, v9
	;; [unrolled: 1-line block ×4, first 2 shown]
	v_pk_max_f16 v17, v17, v17
	v_pk_add_f16 v53, v53, v99
	v_pk_add_f16 v55, v55, v110
	;; [unrolled: 1-line block ×7, first 2 shown]
	v_pk_min_f16 v13, v17, v7
	v_pk_min_f16 v14, v17, v9
	;; [unrolled: 1-line block ×4, first 2 shown]
	v_pk_max_f16 v19, v19, v19
	v_pk_add_f16 v39, v39, v100
	v_pk_add_f16 v53, v53, v117
	;; [unrolled: 1-line block ×9, first 2 shown]
	v_pk_min_f16 v13, v19, v7
	v_pk_min_f16 v14, v19, v9
	;; [unrolled: 1-line block ×4, first 2 shown]
	v_pk_max_f16 v17, v21, v21
	v_pk_add_f16 v52, v52, v102
	v_pk_add_f16 v39, v39, v119
	;; [unrolled: 1-line block ×8, first 2 shown]
	v_pk_min_f16 v13, v17, v7
	v_pk_min_f16 v14, v17, v9
	v_pk_min_f16 v15, v17, v11
	v_pk_min_f16 v16, v17, v12
	v_pk_max_f16 v17, v23, v23
	v_pk_add_f16 v52, v52, v121
	v_pk_add_f16 v44, v44, v122
	;; [unrolled: 1-line block ×7, first 2 shown]
	v_pk_min_f16 v13, v17, v7
	v_pk_min_f16 v14, v17, v9
	;; [unrolled: 1-line block ×4, first 2 shown]
	v_pk_max_f16 v17, v25, v25
	v_pk_max_f16 v3, v3, v3
	v_pk_add_f16 v52, v52, v45
	v_pk_add_f16 v24, v44, v24
	v_pk_add_f16 v41, v41, v13
	v_pk_add_f16 v62, v62, v14
	v_pk_add_f16 v53, v53, v15
	v_pk_add_f16 v45, v22, v16
	v_pk_min_f16 v13, v17, v7
	v_pk_min_f16 v14, v17, v9
	;; [unrolled: 1-line block ×9, first 2 shown]
	v_add_co_u32 v76, s0, v76, s2
	v_pk_add_f16 v66, v60, v40
	v_pk_add_f16 v57, v57, v42
	;; [unrolled: 1-line block ×11, first 2 shown]
	v_add_co_ci_u32_e64 v77, null, s3, v77, s0
	s_add_i32 s29, s29, 8
	ds_write_b16 v73, v79
	ds_write_b16 v74, v81
	ds_write_b16 v74, v80 offset:512
	s_cmp_ge_i32 s29, s20
	s_waitcnt lgkmcnt(0)
	s_barrier
	buffer_gl0_inv
	s_cbranch_scc1 .LBB287_34
.LBB287_22:                             ; =>This Inner Loop Header: Depth=1
	v_add_nc_u32_e32 v81, s29, v34
	v_mov_b32_e32 v82, 0
	v_mov_b32_e32 v83, 0
	v_add_nc_u32_e32 v2, 8, v81
	v_cmp_gt_i32_e64 s0, s14, v2
	s_and_b32 s0, vcc_lo, s0
	s_and_b32 s0, s24, s0
	s_and_saveexec_b32 s1, s0
	s_cbranch_execz .LBB287_24
; %bb.23:                               ;   in Loop: Header=BB287_22 Depth=1
	v_add_co_u32 v2, s0, v76, v28
	v_add_co_ci_u32_e64 v3, null, v77, v29, s0
	global_load_ushort v2, v[2:3], off
	s_waitcnt vmcnt(0)
	v_mul_f16_e32 v83, s15, v2
.LBB287_24:                             ;   in Loop: Header=BB287_22 Depth=1
	s_or_b32 exec_lo, exec_lo, s1
	v_add_nc_u32_e32 v80, s29, v35
	v_add_nc_u32_e32 v4, 8, v80
	v_min_i32_e32 v2, s26, v4
	v_cmp_le_i32_e64 s0, s14, v4
	v_ashrrev_i32_e32 v3, 31, v2
	v_lshlrev_b64 v[2:3], 1, v[2:3]
	v_add_co_u32 v2, s1, s18, v2
	v_add_co_ci_u32_e64 v3, null, s19, v3, s1
	s_nor_b32 s1, s27, s0
	s_and_saveexec_b32 s8, s1
	s_cbranch_execz .LBB287_26
; %bb.25:                               ;   in Loop: Header=BB287_22 Depth=1
	v_add_co_u32 v4, s1, v2, v30
	v_add_co_ci_u32_e64 v5, null, v3, v31, s1
	global_load_ushort v4, v[4:5], off
	s_waitcnt vmcnt(0)
	v_mul_f16_e32 v82, s15, v4
.LBB287_26:                             ;   in Loop: Header=BB287_22 Depth=1
	s_or_b32 exec_lo, exec_lo, s8
	v_mov_b32_e32 v79, 0
	v_mov_b32_e32 v84, 0
	s_nor_b32 s0, s28, s0
	s_and_saveexec_b32 s1, s0
	s_cbranch_execz .LBB287_28
; %bb.27:                               ;   in Loop: Header=BB287_22 Depth=1
	v_add_co_u32 v2, s0, v2, v32
	v_add_co_ci_u32_e64 v3, null, v3, v33, s0
	global_load_ushort v2, v[2:3], off
	s_waitcnt vmcnt(0)
	v_mul_f16_e32 v84, s15, v2
.LBB287_28:                             ;   in Loop: Header=BB287_22 Depth=1
	s_or_b32 exec_lo, exec_lo, s1
	ds_read2_b64 v[2:5], v75 offset0:48 offset1:56
	ds_read2_b64 v[18:21], v78 offset0:64 offset1:96
	ds_read2_b64 v[22:25], v78 offset1:32
	ds_read2_b64 v[14:17], v75 offset1:8
	ds_read2_b64 v[10:13], v75 offset0:16 offset1:24
	ds_read2_b64 v[6:9], v75 offset0:32 offset1:40
	v_add_nc_u32_e32 v81, 12, v81
	ds_write_b16 v59, v83
	ds_write_b16 v38, v82
	ds_write_b16 v38, v84 offset:512
	s_waitcnt lgkmcnt(0)
	s_barrier
	buffer_gl0_inv
	v_cmp_gt_i32_e64 s0, s14, v81
	s_and_b32 s0, vcc_lo, s0
	s_and_b32 s0, s24, s0
	s_and_saveexec_b32 s1, s0
	s_xor_b32 s1, exec_lo, s1
	s_cbranch_execz .LBB287_30
; %bb.29:                               ;   in Loop: Header=BB287_22 Depth=1
	v_add_co_u32 v81, s0, v76, v26
	v_add_co_ci_u32_e64 v82, null, v77, v27, s0
	global_load_ushort v79, v[81:82], off
	s_waitcnt vmcnt(0)
	v_mul_f16_e32 v79, s15, v79
.LBB287_30:                             ;   in Loop: Header=BB287_22 Depth=1
	s_or_b32 exec_lo, exec_lo, s1
	v_add_nc_u32_e32 v84, 12, v80
	v_min_i32_e32 v80, s26, v84
	v_cmp_le_i32_e64 s0, s14, v84
	v_ashrrev_i32_e32 v81, 31, v80
	v_lshlrev_b64 v[82:83], 1, v[80:81]
	v_mov_b32_e32 v80, 0
	v_mov_b32_e32 v81, 0
	v_add_co_u32 v82, s1, s18, v82
	v_add_co_ci_u32_e64 v83, null, s19, v83, s1
	s_nor_b32 s1, s27, s0
	s_and_saveexec_b32 s8, s1
	s_cbranch_execz .LBB287_32
; %bb.31:                               ;   in Loop: Header=BB287_22 Depth=1
	v_add_co_u32 v84, s1, v82, v30
	v_add_co_ci_u32_e64 v85, null, v83, v31, s1
	global_load_ushort v81, v[84:85], off
	s_waitcnt vmcnt(0)
	v_mul_f16_e32 v81, s15, v81
.LBB287_32:                             ;   in Loop: Header=BB287_22 Depth=1
	s_or_b32 exec_lo, exec_lo, s8
	s_nor_b32 s0, s28, s0
	s_and_saveexec_b32 s1, s0
	s_cbranch_execz .LBB287_21
; %bb.33:                               ;   in Loop: Header=BB287_22 Depth=1
	v_add_co_u32 v82, s0, v82, v32
	v_add_co_ci_u32_e64 v83, null, v83, v33, s0
	global_load_ushort v80, v[82:83], off
	s_waitcnt vmcnt(0)
	v_mul_f16_e32 v80, s15, v80
	s_branch .LBB287_21
.LBB287_34:
	s_clause 0x2
	s_load_dwordx2 s[0:1], s[4:5], 0x70
	s_load_dword s14, s[4:5], 0x50
	s_load_dword s9, s[4:5], 0x68
	v_add_nc_u32_e32 v67, s25, v1
	v_add_nc_u32_e32 v10, 0x800, v37
	ds_read2_b64 v[2:5], v36 offset0:192 offset1:224
	ds_read2_b64 v[22:25], v36 offset0:128 offset1:160
	v_add_nc_u32_e32 v0, s6, v0
	ds_read2_b64 v[6:9], v10 offset0:112 offset1:120
	ds_read2_b64 v[18:21], v10 offset0:64 offset1:72
	;; [unrolled: 1-line block ×4, first 2 shown]
	v_cmp_gt_i32_e64 s8, s13, v67
	v_ashrrev_i32_e32 v1, 31, v0
	v_cndmask_b32_e64 v59, 0, 1, s23
	s_waitcnt lgkmcnt(0)
	s_mul_i32 s1, s1, s7
	v_mad_i64_i32 v[26:27], null, v67, s14, 0
	v_mad_i64_i32 v[28:29], null, v67, s9, 0
	s_mul_hi_u32 s2, s0, s7
	s_mul_i32 s0, s0, s7
	s_add_i32 s1, s2, s1
	s_lshl_b64 s[2:3], s[0:1], 1
	v_lshlrev_b64 v[26:27], 1, v[26:27]
	v_lshlrev_b64 v[28:29], 1, v[28:29]
	s_add_u32 s10, s10, s2
	v_cmp_gt_i32_e64 s0, s12, v0
	s_addc_u32 s11, s11, s3
	v_add_co_u32 v75, vcc_lo, s16, v26
	v_add_co_ci_u32_e64 v76, null, s17, v27, vcc_lo
	v_add_co_u32 v73, vcc_lo, s10, v28
	v_add_co_ci_u32_e64 v74, null, s11, v29, vcc_lo
	s_and_b32 s1, s0, s8
	s_and_saveexec_b32 s2, s1
	s_xor_b32 s1, exec_lo, s2
	s_cbranch_execz .LBB287_40
; %bb.35:
	v_lshlrev_b64 v[26:27], 1, v[0:1]
	s_andn2_b32 vcc_lo, exec_lo, s23
	s_cbranch_vccnz .LBB287_38
; %bb.36:
	v_add_co_u32 v28, vcc_lo, v75, v26
	v_add_co_ci_u32_e64 v29, null, v76, v27, vcc_lo
	global_load_ushort v28, v[28:29], off
	s_waitcnt vmcnt(0)
	v_mul_f16_e32 v28, s22, v28
	s_branch .LBB287_39
.LBB287_37:
	s_mov_b64 s[20:21], 0
	s_andn2_b32 vcc_lo, exec_lo, s8
	s_mov_b32 s0, -1
	s_cbranch_vccz .LBB287_2
	s_branch .LBB287_3
.LBB287_38:
	v_mov_b32_e32 v28, 0
.LBB287_39:
	v_pk_max_f16 v29, v22, v22
	v_pk_max_f16 v30, v18, v18
	;; [unrolled: 1-line block ×4, first 2 shown]
	v_add_co_u32 v26, vcc_lo, v73, v26
	v_pk_min_f16 v29, v30, v29
	v_add_co_ci_u32_e64 v27, null, v74, v27, vcc_lo
	v_pk_min_f16 v30, v32, v31
	v_pk_add_f16 v29, v72, v29
	v_pk_add_f16 v29, v29, v30
	v_add_f16_sdwa v29, v29, v29 dst_sel:DWORD dst_unused:UNUSED_PAD src0_sel:DWORD src1_sel:WORD_1
	v_add_f16_e32 v28, v29, v28
	global_store_short v[26:27], v28, off
.LBB287_40:
	s_or_b32 exec_lo, exec_lo, s1
	v_add_nc_u32_e32 v26, 8, v0
	v_cmp_gt_i32_e64 s1, s12, v26
	v_ashrrev_i32_e32 v27, 31, v26
	s_and_b32 s3, s1, s8
	s_and_saveexec_b32 s2, s3
	s_cbranch_execz .LBB287_45
; %bb.41:
	v_cmp_ne_u32_e32 vcc_lo, 1, v59
	v_lshlrev_b64 v[28:29], 1, v[26:27]
	s_cbranch_vccnz .LBB287_43
; %bb.42:
	v_add_co_u32 v30, vcc_lo, v75, v28
	v_add_co_ci_u32_e64 v31, null, v76, v29, vcc_lo
	global_load_ushort v30, v[30:31], off
	s_waitcnt vmcnt(0)
	v_mul_f16_e32 v30, s22, v30
	s_branch .LBB287_44
.LBB287_43:
	v_mov_b32_e32 v30, 0
.LBB287_44:
	v_pk_max_f16 v31, v22, v22
	v_pk_max_f16 v32, v20, v20
	v_pk_max_f16 v33, v23, v23
	v_pk_max_f16 v34, v21, v21
	v_add_co_u32 v28, vcc_lo, v73, v28
	v_pk_min_f16 v31, v32, v31
	v_add_co_ci_u32_e64 v29, null, v74, v29, vcc_lo
	v_pk_min_f16 v32, v34, v33
	v_pk_add_f16 v31, v71, v31
	v_pk_add_f16 v31, v31, v32
	v_add_f16_sdwa v31, v31, v31 dst_sel:DWORD dst_unused:UNUSED_PAD src0_sel:DWORD src1_sel:WORD_1
	v_add_f16_e32 v30, v31, v30
	global_store_short v[28:29], v30, off
.LBB287_45:
	s_or_b32 exec_lo, exec_lo, s2
	v_add_nc_u32_e32 v28, 16, v0
	v_cmp_gt_i32_e64 s2, s12, v28
	v_ashrrev_i32_e32 v29, 31, v28
	s_and_b32 s4, s2, s8
	s_and_saveexec_b32 s3, s4
	s_cbranch_execz .LBB287_50
; %bb.46:
	v_cmp_ne_u32_e32 vcc_lo, 1, v59
	v_lshlrev_b64 v[30:31], 1, v[28:29]
	s_cbranch_vccnz .LBB287_48
; %bb.47:
	v_add_co_u32 v32, vcc_lo, v75, v30
	v_add_co_ci_u32_e64 v33, null, v76, v31, vcc_lo
	global_load_ushort v32, v[32:33], off
	s_waitcnt vmcnt(0)
	v_mul_f16_e32 v32, s22, v32
	s_branch .LBB287_49
.LBB287_48:
	v_mov_b32_e32 v32, 0
.LBB287_49:
	v_pk_max_f16 v33, v22, v22
	v_pk_max_f16 v34, v14, v14
	v_pk_max_f16 v35, v23, v23
	v_pk_max_f16 v36, v15, v15
	v_add_co_u32 v30, vcc_lo, v73, v30
	v_pk_min_f16 v33, v34, v33
	v_add_co_ci_u32_e64 v31, null, v74, v31, vcc_lo
	v_pk_min_f16 v34, v36, v35
	v_pk_add_f16 v33, v70, v33
	v_pk_add_f16 v33, v33, v34
	v_add_f16_sdwa v33, v33, v33 dst_sel:DWORD dst_unused:UNUSED_PAD src0_sel:DWORD src1_sel:WORD_1
	v_add_f16_e32 v32, v33, v32
	global_store_short v[30:31], v32, off
.LBB287_50:
	;; [unrolled: 35-line block ×6, first 2 shown]
	s_or_b32 exec_lo, exec_lo, s7
	v_add_nc_u32_e32 v38, 56, v0
	v_cmp_gt_i32_e64 s7, s12, v38
	v_ashrrev_i32_e32 v39, 31, v38
	s_and_b32 s12, s7, s8
	s_and_saveexec_b32 s8, s12
	s_cbranch_execz .LBB287_75
; %bb.71:
	v_cmp_ne_u32_e32 vcc_lo, 1, v59
	v_lshlrev_b64 v[40:41], 1, v[38:39]
	s_cbranch_vccnz .LBB287_73
; %bb.72:
	v_add_co_u32 v69, vcc_lo, v75, v40
	v_add_co_ci_u32_e64 v70, null, v76, v41, vcc_lo
	global_load_ushort v69, v[69:70], off
	s_waitcnt vmcnt(0)
	v_mul_f16_e32 v69, s22, v69
	s_branch .LBB287_74
.LBB287_73:
	v_mov_b32_e32 v69, 0
.LBB287_74:
	v_pk_max_f16 v22, v22, v22
	v_pk_max_f16 v70, v8, v8
	v_pk_max_f16 v23, v23, v23
	v_pk_max_f16 v71, v9, v9
	v_pk_min_f16 v22, v70, v22
	v_pk_min_f16 v23, v71, v23
	v_pk_add_f16 v22, v68, v22
	v_pk_add_f16 v22, v22, v23
	v_add_f16_sdwa v22, v22, v22 dst_sel:DWORD dst_unused:UNUSED_PAD src0_sel:DWORD src1_sel:WORD_1
	v_add_f16_e32 v68, v22, v69
	v_add_co_u32 v22, vcc_lo, v73, v40
	v_add_co_ci_u32_e64 v23, null, v74, v41, vcc_lo
	global_store_short v[22:23], v68, off
.LBB287_75:
	s_or_b32 exec_lo, exec_lo, s8
	v_add_nc_u32_e32 v68, 32, v67
	v_mad_i64_i32 v[22:23], null, v68, s14, 0
	v_mad_i64_i32 v[40:41], null, v68, s9, 0
	v_cmp_gt_i32_e64 s8, s13, v68
	v_lshlrev_b64 v[22:23], 1, v[22:23]
	s_and_b32 s15, s0, s8
	v_lshlrev_b64 v[40:41], 1, v[40:41]
	v_add_co_u32 v68, vcc_lo, s16, v22
	v_add_co_ci_u32_e64 v69, null, s17, v23, vcc_lo
	v_add_co_u32 v40, vcc_lo, s10, v40
	v_add_co_ci_u32_e64 v41, null, s11, v41, vcc_lo
	s_and_saveexec_b32 s12, s15
	s_cbranch_execnz .LBB287_83
; %bb.76:
	s_or_b32 exec_lo, exec_lo, s12
	s_and_b32 s15, s1, s8
	s_and_saveexec_b32 s12, s15
	s_cbranch_execnz .LBB287_87
.LBB287_77:
	s_or_b32 exec_lo, exec_lo, s12
	s_and_b32 s15, s2, s8
	s_and_saveexec_b32 s12, s15
	s_cbranch_execnz .LBB287_91
.LBB287_78:
	s_or_b32 exec_lo, exec_lo, s12
	s_and_b32 s15, s3, s8
	s_and_saveexec_b32 s12, s15
	s_cbranch_execnz .LBB287_95
.LBB287_79:
	s_or_b32 exec_lo, exec_lo, s12
	s_and_b32 s15, s4, s8
	s_and_saveexec_b32 s12, s15
	s_cbranch_execnz .LBB287_99
.LBB287_80:
	s_or_b32 exec_lo, exec_lo, s12
	s_and_b32 s15, s5, s8
	s_and_saveexec_b32 s12, s15
	s_cbranch_execnz .LBB287_103
.LBB287_81:
	s_or_b32 exec_lo, exec_lo, s12
	s_and_b32 s15, s6, s8
	s_and_saveexec_b32 s12, s15
	s_cbranch_execnz .LBB287_107
.LBB287_82:
	s_or_b32 exec_lo, exec_lo, s12
	s_and_b32 s12, s7, s8
	s_and_saveexec_b32 s8, s12
	s_cbranch_execnz .LBB287_111
	s_branch .LBB287_115
.LBB287_83:
	v_cmp_ne_u32_e32 vcc_lo, 1, v59
	v_lshlrev_b64 v[22:23], 1, v[0:1]
	s_cbranch_vccnz .LBB287_85
; %bb.84:
	v_add_co_u32 v70, vcc_lo, v68, v22
	v_add_co_ci_u32_e64 v71, null, v69, v23, vcc_lo
	global_load_ushort v70, v[70:71], off
	s_waitcnt vmcnt(0)
	v_mul_f16_e32 v70, s22, v70
	s_branch .LBB287_86
.LBB287_85:
	v_mov_b32_e32 v70, 0
.LBB287_86:
	v_pk_max_f16 v71, v24, v24
	v_pk_max_f16 v72, v18, v18
	;; [unrolled: 1-line block ×4, first 2 shown]
	v_add_co_u32 v22, vcc_lo, v40, v22
	v_pk_min_f16 v71, v72, v71
	v_add_co_ci_u32_e64 v23, null, v41, v23, vcc_lo
	v_pk_min_f16 v72, v74, v73
	v_pk_add_f16 v66, v66, v71
	v_pk_add_f16 v66, v66, v72
	v_add_f16_sdwa v66, v66, v66 dst_sel:DWORD dst_unused:UNUSED_PAD src0_sel:DWORD src1_sel:WORD_1
	v_add_f16_e32 v66, v66, v70
	global_store_short v[22:23], v66, off
	s_or_b32 exec_lo, exec_lo, s12
	s_and_b32 s15, s1, s8
	s_and_saveexec_b32 s12, s15
	s_cbranch_execz .LBB287_77
.LBB287_87:
	v_cmp_ne_u32_e32 vcc_lo, 1, v59
	v_lshlrev_b64 v[22:23], 1, v[26:27]
	s_cbranch_vccnz .LBB287_89
; %bb.88:
	v_add_co_u32 v70, vcc_lo, v68, v22
	v_add_co_ci_u32_e64 v71, null, v69, v23, vcc_lo
	global_load_ushort v66, v[70:71], off
	s_waitcnt vmcnt(0)
	v_mul_f16_e32 v66, s22, v66
	s_branch .LBB287_90
.LBB287_89:
	v_mov_b32_e32 v66, 0
.LBB287_90:
	v_pk_max_f16 v70, v24, v24
	v_pk_max_f16 v71, v20, v20
	;; [unrolled: 1-line block ×4, first 2 shown]
	v_add_co_u32 v22, vcc_lo, v40, v22
	v_pk_min_f16 v70, v71, v70
	v_add_co_ci_u32_e64 v23, null, v41, v23, vcc_lo
	v_pk_min_f16 v71, v73, v72
	v_pk_add_f16 v65, v65, v70
	v_pk_add_f16 v65, v65, v71
	v_add_f16_sdwa v65, v65, v65 dst_sel:DWORD dst_unused:UNUSED_PAD src0_sel:DWORD src1_sel:WORD_1
	v_add_f16_e32 v65, v65, v66
	global_store_short v[22:23], v65, off
	s_or_b32 exec_lo, exec_lo, s12
	s_and_b32 s15, s2, s8
	s_and_saveexec_b32 s12, s15
	s_cbranch_execz .LBB287_78
.LBB287_91:
	v_cmp_ne_u32_e32 vcc_lo, 1, v59
	v_lshlrev_b64 v[22:23], 1, v[28:29]
	s_cbranch_vccnz .LBB287_93
; %bb.92:
	v_add_co_u32 v65, vcc_lo, v68, v22
	v_add_co_ci_u32_e64 v66, null, v69, v23, vcc_lo
	global_load_ushort v65, v[65:66], off
	s_waitcnt vmcnt(0)
	v_mul_f16_e32 v65, s22, v65
	s_branch .LBB287_94
.LBB287_93:
	v_mov_b32_e32 v65, 0
.LBB287_94:
	v_pk_max_f16 v66, v24, v24
	v_pk_max_f16 v70, v14, v14
	v_pk_max_f16 v71, v25, v25
	v_pk_max_f16 v72, v15, v15
	v_add_co_u32 v22, vcc_lo, v40, v22
	v_pk_min_f16 v66, v70, v66
	v_add_co_ci_u32_e64 v23, null, v41, v23, vcc_lo
	v_pk_min_f16 v70, v72, v71
	v_pk_add_f16 v64, v64, v66
	v_pk_add_f16 v64, v64, v70
	v_add_f16_sdwa v64, v64, v64 dst_sel:DWORD dst_unused:UNUSED_PAD src0_sel:DWORD src1_sel:WORD_1
	v_add_f16_e32 v64, v64, v65
	global_store_short v[22:23], v64, off
	s_or_b32 exec_lo, exec_lo, s12
	s_and_b32 s15, s3, s8
	s_and_saveexec_b32 s12, s15
	s_cbranch_execz .LBB287_79
.LBB287_95:
	v_cmp_ne_u32_e32 vcc_lo, 1, v59
	v_lshlrev_b64 v[22:23], 1, v[30:31]
	s_cbranch_vccnz .LBB287_97
; %bb.96:
	v_add_co_u32 v64, vcc_lo, v68, v22
	v_add_co_ci_u32_e64 v65, null, v69, v23, vcc_lo
	global_load_ushort v64, v[64:65], off
	s_waitcnt vmcnt(0)
	v_mul_f16_e32 v64, s22, v64
	s_branch .LBB287_98
.LBB287_97:
	v_mov_b32_e32 v64, 0
.LBB287_98:
	v_pk_max_f16 v65, v24, v24
	v_pk_max_f16 v66, v16, v16
	;; [unrolled: 1-line block ×4, first 2 shown]
	v_add_co_u32 v22, vcc_lo, v40, v22
	v_pk_min_f16 v65, v66, v65
	v_add_co_ci_u32_e64 v23, null, v41, v23, vcc_lo
	v_pk_min_f16 v66, v71, v70
	v_pk_add_f16 v63, v63, v65
	v_pk_add_f16 v63, v63, v66
	v_add_f16_sdwa v63, v63, v63 dst_sel:DWORD dst_unused:UNUSED_PAD src0_sel:DWORD src1_sel:WORD_1
	v_add_f16_e32 v63, v63, v64
	global_store_short v[22:23], v63, off
	s_or_b32 exec_lo, exec_lo, s12
	s_and_b32 s15, s4, s8
	s_and_saveexec_b32 s12, s15
	s_cbranch_execz .LBB287_80
.LBB287_99:
	v_cmp_ne_u32_e32 vcc_lo, 1, v59
	v_lshlrev_b64 v[22:23], 1, v[32:33]
	s_cbranch_vccnz .LBB287_101
; %bb.100:
	v_add_co_u32 v63, vcc_lo, v68, v22
	v_add_co_ci_u32_e64 v64, null, v69, v23, vcc_lo
	global_load_ushort v63, v[63:64], off
	s_waitcnt vmcnt(0)
	v_mul_f16_e32 v63, s22, v63
	s_branch .LBB287_102
.LBB287_101:
	v_mov_b32_e32 v63, 0
.LBB287_102:
	v_pk_max_f16 v64, v24, v24
	v_pk_max_f16 v65, v10, v10
	;; [unrolled: 1-line block ×4, first 2 shown]
	v_add_co_u32 v22, vcc_lo, v40, v22
	v_pk_min_f16 v64, v65, v64
	v_add_co_ci_u32_e64 v23, null, v41, v23, vcc_lo
	v_pk_min_f16 v65, v70, v66
	v_pk_add_f16 v62, v62, v64
	v_pk_add_f16 v62, v62, v65
	v_add_f16_sdwa v62, v62, v62 dst_sel:DWORD dst_unused:UNUSED_PAD src0_sel:DWORD src1_sel:WORD_1
	v_add_f16_e32 v62, v62, v63
	global_store_short v[22:23], v62, off
	s_or_b32 exec_lo, exec_lo, s12
	s_and_b32 s15, s5, s8
	s_and_saveexec_b32 s12, s15
	s_cbranch_execz .LBB287_81
.LBB287_103:
	v_cmp_ne_u32_e32 vcc_lo, 1, v59
	v_lshlrev_b64 v[22:23], 1, v[34:35]
	s_cbranch_vccnz .LBB287_105
; %bb.104:
	v_add_co_u32 v62, vcc_lo, v68, v22
	v_add_co_ci_u32_e64 v63, null, v69, v23, vcc_lo
	global_load_ushort v62, v[62:63], off
	s_waitcnt vmcnt(0)
	v_mul_f16_e32 v62, s22, v62
	s_branch .LBB287_106
.LBB287_105:
	v_mov_b32_e32 v62, 0
.LBB287_106:
	v_pk_max_f16 v63, v24, v24
	v_pk_max_f16 v64, v12, v12
	;; [unrolled: 1-line block ×4, first 2 shown]
	v_add_co_u32 v22, vcc_lo, v40, v22
	v_pk_min_f16 v63, v64, v63
	v_add_co_ci_u32_e64 v23, null, v41, v23, vcc_lo
	v_pk_min_f16 v64, v66, v65
	v_pk_add_f16 v61, v61, v63
	v_pk_add_f16 v61, v61, v64
	v_add_f16_sdwa v61, v61, v61 dst_sel:DWORD dst_unused:UNUSED_PAD src0_sel:DWORD src1_sel:WORD_1
	v_add_f16_e32 v61, v61, v62
	global_store_short v[22:23], v61, off
	s_or_b32 exec_lo, exec_lo, s12
	s_and_b32 s15, s6, s8
	s_and_saveexec_b32 s12, s15
	s_cbranch_execz .LBB287_82
.LBB287_107:
	v_cmp_ne_u32_e32 vcc_lo, 1, v59
	v_lshlrev_b64 v[22:23], 1, v[36:37]
	s_cbranch_vccnz .LBB287_109
; %bb.108:
	v_add_co_u32 v61, vcc_lo, v68, v22
	v_add_co_ci_u32_e64 v62, null, v69, v23, vcc_lo
	global_load_ushort v61, v[61:62], off
	s_waitcnt vmcnt(0)
	v_mul_f16_e32 v61, s22, v61
	s_branch .LBB287_110
.LBB287_109:
	v_mov_b32_e32 v61, 0
.LBB287_110:
	v_pk_max_f16 v62, v24, v24
	v_pk_max_f16 v63, v6, v6
	;; [unrolled: 1-line block ×4, first 2 shown]
	v_add_co_u32 v22, vcc_lo, v40, v22
	v_pk_min_f16 v62, v63, v62
	v_add_co_ci_u32_e64 v23, null, v41, v23, vcc_lo
	v_pk_min_f16 v63, v65, v64
	v_pk_add_f16 v60, v60, v62
	v_pk_add_f16 v60, v60, v63
	v_add_f16_sdwa v60, v60, v60 dst_sel:DWORD dst_unused:UNUSED_PAD src0_sel:DWORD src1_sel:WORD_1
	v_add_f16_e32 v60, v60, v61
	global_store_short v[22:23], v60, off
	s_or_b32 exec_lo, exec_lo, s12
	s_and_b32 s12, s7, s8
	s_and_saveexec_b32 s8, s12
	s_cbranch_execz .LBB287_115
.LBB287_111:
	v_cmp_ne_u32_e32 vcc_lo, 1, v59
	v_lshlrev_b64 v[22:23], 1, v[38:39]
	s_cbranch_vccnz .LBB287_113
; %bb.112:
	v_add_co_u32 v60, vcc_lo, v68, v22
	v_add_co_ci_u32_e64 v61, null, v69, v23, vcc_lo
	global_load_ushort v60, v[60:61], off
	s_waitcnt vmcnt(0)
	v_mul_f16_e32 v60, s22, v60
	s_branch .LBB287_114
.LBB287_113:
	v_mov_b32_e32 v60, 0
.LBB287_114:
	v_pk_max_f16 v24, v24, v24
	v_pk_max_f16 v61, v8, v8
	;; [unrolled: 1-line block ×4, first 2 shown]
	v_add_co_u32 v22, vcc_lo, v40, v22
	v_pk_min_f16 v24, v61, v24
	v_add_co_ci_u32_e64 v23, null, v41, v23, vcc_lo
	v_pk_min_f16 v25, v62, v25
	v_pk_add_f16 v24, v58, v24
	v_pk_add_f16 v24, v24, v25
	v_add_f16_sdwa v24, v24, v24 dst_sel:DWORD dst_unused:UNUSED_PAD src0_sel:DWORD src1_sel:WORD_1
	v_add_f16_e32 v24, v24, v60
	global_store_short v[22:23], v24, off
.LBB287_115:
	s_or_b32 exec_lo, exec_lo, s8
	v_add_nc_u32_e32 v40, 64, v67
	v_mad_i64_i32 v[22:23], null, v40, s14, 0
	v_mad_i64_i32 v[24:25], null, v40, s9, 0
	v_cmp_gt_i32_e64 s8, s13, v40
	v_lshlrev_b64 v[22:23], 1, v[22:23]
	s_and_b32 s15, s0, s8
	v_lshlrev_b64 v[24:25], 1, v[24:25]
	v_add_co_u32 v40, vcc_lo, s16, v22
	v_add_co_ci_u32_e64 v41, null, s17, v23, vcc_lo
	v_add_co_u32 v24, vcc_lo, s10, v24
	v_add_co_ci_u32_e64 v25, null, s11, v25, vcc_lo
	s_and_saveexec_b32 s12, s15
	s_cbranch_execnz .LBB287_123
; %bb.116:
	s_or_b32 exec_lo, exec_lo, s12
	s_and_b32 s15, s1, s8
	s_and_saveexec_b32 s12, s15
	s_cbranch_execnz .LBB287_127
.LBB287_117:
	s_or_b32 exec_lo, exec_lo, s12
	s_and_b32 s15, s2, s8
	s_and_saveexec_b32 s12, s15
	s_cbranch_execnz .LBB287_131
.LBB287_118:
	s_or_b32 exec_lo, exec_lo, s12
	s_and_b32 s15, s3, s8
	s_and_saveexec_b32 s12, s15
	s_cbranch_execnz .LBB287_135
.LBB287_119:
	s_or_b32 exec_lo, exec_lo, s12
	s_and_b32 s15, s4, s8
	s_and_saveexec_b32 s12, s15
	s_cbranch_execnz .LBB287_139
.LBB287_120:
	s_or_b32 exec_lo, exec_lo, s12
	s_and_b32 s15, s5, s8
	s_and_saveexec_b32 s12, s15
	s_cbranch_execnz .LBB287_143
.LBB287_121:
	s_or_b32 exec_lo, exec_lo, s12
	s_and_b32 s15, s6, s8
	s_and_saveexec_b32 s12, s15
	s_cbranch_execnz .LBB287_147
.LBB287_122:
	s_or_b32 exec_lo, exec_lo, s12
	s_and_b32 s12, s7, s8
	s_and_saveexec_b32 s8, s12
	s_cbranch_execnz .LBB287_151
	s_branch .LBB287_155
.LBB287_123:
	v_cmp_ne_u32_e32 vcc_lo, 1, v59
	v_lshlrev_b64 v[22:23], 1, v[0:1]
	s_cbranch_vccnz .LBB287_125
; %bb.124:
	v_add_co_u32 v60, vcc_lo, v40, v22
	v_add_co_ci_u32_e64 v61, null, v41, v23, vcc_lo
	global_load_ushort v58, v[60:61], off
	s_waitcnt vmcnt(0)
	v_mul_f16_e32 v58, s22, v58
	s_branch .LBB287_126
.LBB287_125:
	v_mov_b32_e32 v58, 0
.LBB287_126:
	v_pk_max_f16 v60, v2, v2
	v_pk_max_f16 v61, v18, v18
	v_pk_max_f16 v62, v3, v3
	v_pk_max_f16 v63, v19, v19
	v_add_co_u32 v22, vcc_lo, v24, v22
	v_pk_min_f16 v60, v61, v60
	v_add_co_ci_u32_e64 v23, null, v25, v23, vcc_lo
	v_pk_min_f16 v61, v63, v62
	v_pk_add_f16 v57, v57, v60
	v_pk_add_f16 v57, v57, v61
	v_add_f16_sdwa v57, v57, v57 dst_sel:DWORD dst_unused:UNUSED_PAD src0_sel:DWORD src1_sel:WORD_1
	v_add_f16_e32 v57, v57, v58
	global_store_short v[22:23], v57, off
	s_or_b32 exec_lo, exec_lo, s12
	s_and_b32 s15, s1, s8
	s_and_saveexec_b32 s12, s15
	s_cbranch_execz .LBB287_117
.LBB287_127:
	v_cmp_ne_u32_e32 vcc_lo, 1, v59
	v_lshlrev_b64 v[22:23], 1, v[26:27]
	s_cbranch_vccnz .LBB287_129
; %bb.128:
	v_add_co_u32 v57, vcc_lo, v40, v22
	v_add_co_ci_u32_e64 v58, null, v41, v23, vcc_lo
	global_load_ushort v57, v[57:58], off
	s_waitcnt vmcnt(0)
	v_mul_f16_e32 v57, s22, v57
	s_branch .LBB287_130
.LBB287_129:
	v_mov_b32_e32 v57, 0
.LBB287_130:
	v_pk_max_f16 v58, v2, v2
	v_pk_max_f16 v60, v20, v20
	;; [unrolled: 1-line block ×4, first 2 shown]
	v_add_co_u32 v22, vcc_lo, v24, v22
	v_pk_min_f16 v58, v60, v58
	v_add_co_ci_u32_e64 v23, null, v25, v23, vcc_lo
	v_pk_min_f16 v60, v62, v61
	v_pk_add_f16 v56, v56, v58
	v_pk_add_f16 v56, v56, v60
	v_add_f16_sdwa v56, v56, v56 dst_sel:DWORD dst_unused:UNUSED_PAD src0_sel:DWORD src1_sel:WORD_1
	v_add_f16_e32 v56, v56, v57
	global_store_short v[22:23], v56, off
	s_or_b32 exec_lo, exec_lo, s12
	s_and_b32 s15, s2, s8
	s_and_saveexec_b32 s12, s15
	s_cbranch_execz .LBB287_118
.LBB287_131:
	v_cmp_ne_u32_e32 vcc_lo, 1, v59
	v_lshlrev_b64 v[22:23], 1, v[28:29]
	s_cbranch_vccnz .LBB287_133
; %bb.132:
	v_add_co_u32 v56, vcc_lo, v40, v22
	v_add_co_ci_u32_e64 v57, null, v41, v23, vcc_lo
	global_load_ushort v56, v[56:57], off
	s_waitcnt vmcnt(0)
	v_mul_f16_e32 v56, s22, v56
	s_branch .LBB287_134
.LBB287_133:
	v_mov_b32_e32 v56, 0
.LBB287_134:
	v_pk_max_f16 v57, v2, v2
	v_pk_max_f16 v58, v14, v14
	;; [unrolled: 1-line block ×4, first 2 shown]
	v_add_co_u32 v22, vcc_lo, v24, v22
	v_pk_min_f16 v57, v58, v57
	v_add_co_ci_u32_e64 v23, null, v25, v23, vcc_lo
	v_pk_min_f16 v58, v61, v60
	v_pk_add_f16 v55, v55, v57
	v_pk_add_f16 v55, v55, v58
	v_add_f16_sdwa v55, v55, v55 dst_sel:DWORD dst_unused:UNUSED_PAD src0_sel:DWORD src1_sel:WORD_1
	v_add_f16_e32 v55, v55, v56
	global_store_short v[22:23], v55, off
	s_or_b32 exec_lo, exec_lo, s12
	s_and_b32 s15, s3, s8
	s_and_saveexec_b32 s12, s15
	s_cbranch_execz .LBB287_119
.LBB287_135:
	v_cmp_ne_u32_e32 vcc_lo, 1, v59
	v_lshlrev_b64 v[22:23], 1, v[30:31]
	s_cbranch_vccnz .LBB287_137
; %bb.136:
	v_add_co_u32 v55, vcc_lo, v40, v22
	v_add_co_ci_u32_e64 v56, null, v41, v23, vcc_lo
	global_load_ushort v55, v[55:56], off
	s_waitcnt vmcnt(0)
	v_mul_f16_e32 v55, s22, v55
	s_branch .LBB287_138
.LBB287_137:
	v_mov_b32_e32 v55, 0
.LBB287_138:
	v_pk_max_f16 v56, v2, v2
	v_pk_max_f16 v57, v16, v16
	;; [unrolled: 1-line block ×4, first 2 shown]
	v_add_co_u32 v22, vcc_lo, v24, v22
	v_pk_min_f16 v56, v57, v56
	v_add_co_ci_u32_e64 v23, null, v25, v23, vcc_lo
	v_pk_min_f16 v57, v60, v58
	v_pk_add_f16 v54, v54, v56
	v_pk_add_f16 v54, v54, v57
	v_add_f16_sdwa v54, v54, v54 dst_sel:DWORD dst_unused:UNUSED_PAD src0_sel:DWORD src1_sel:WORD_1
	v_add_f16_e32 v54, v54, v55
	global_store_short v[22:23], v54, off
	s_or_b32 exec_lo, exec_lo, s12
	s_and_b32 s15, s4, s8
	s_and_saveexec_b32 s12, s15
	s_cbranch_execz .LBB287_120
.LBB287_139:
	v_cmp_ne_u32_e32 vcc_lo, 1, v59
	v_lshlrev_b64 v[22:23], 1, v[32:33]
	s_cbranch_vccnz .LBB287_141
; %bb.140:
	v_add_co_u32 v54, vcc_lo, v40, v22
	v_add_co_ci_u32_e64 v55, null, v41, v23, vcc_lo
	global_load_ushort v54, v[54:55], off
	s_waitcnt vmcnt(0)
	v_mul_f16_e32 v54, s22, v54
	s_branch .LBB287_142
.LBB287_141:
	v_mov_b32_e32 v54, 0
.LBB287_142:
	v_pk_max_f16 v55, v2, v2
	v_pk_max_f16 v56, v10, v10
	v_pk_max_f16 v57, v3, v3
	v_pk_max_f16 v58, v11, v11
	v_add_co_u32 v22, vcc_lo, v24, v22
	v_pk_min_f16 v55, v56, v55
	v_add_co_ci_u32_e64 v23, null, v25, v23, vcc_lo
	v_pk_min_f16 v56, v58, v57
	v_pk_add_f16 v53, v53, v55
	v_pk_add_f16 v53, v53, v56
	v_add_f16_sdwa v53, v53, v53 dst_sel:DWORD dst_unused:UNUSED_PAD src0_sel:DWORD src1_sel:WORD_1
	v_add_f16_e32 v53, v53, v54
	global_store_short v[22:23], v53, off
	s_or_b32 exec_lo, exec_lo, s12
	s_and_b32 s15, s5, s8
	s_and_saveexec_b32 s12, s15
	s_cbranch_execz .LBB287_121
.LBB287_143:
	v_cmp_ne_u32_e32 vcc_lo, 1, v59
	v_lshlrev_b64 v[22:23], 1, v[34:35]
	s_cbranch_vccnz .LBB287_145
; %bb.144:
	v_add_co_u32 v53, vcc_lo, v40, v22
	v_add_co_ci_u32_e64 v54, null, v41, v23, vcc_lo
	global_load_ushort v53, v[53:54], off
	s_waitcnt vmcnt(0)
	v_mul_f16_e32 v53, s22, v53
	s_branch .LBB287_146
.LBB287_145:
	v_mov_b32_e32 v53, 0
.LBB287_146:
	v_pk_max_f16 v54, v2, v2
	v_pk_max_f16 v55, v12, v12
	;; [unrolled: 1-line block ×4, first 2 shown]
	v_add_co_u32 v22, vcc_lo, v24, v22
	v_pk_min_f16 v54, v55, v54
	v_add_co_ci_u32_e64 v23, null, v25, v23, vcc_lo
	v_pk_min_f16 v55, v57, v56
	v_pk_add_f16 v52, v52, v54
	v_pk_add_f16 v52, v52, v55
	v_add_f16_sdwa v52, v52, v52 dst_sel:DWORD dst_unused:UNUSED_PAD src0_sel:DWORD src1_sel:WORD_1
	v_add_f16_e32 v52, v52, v53
	global_store_short v[22:23], v52, off
	s_or_b32 exec_lo, exec_lo, s12
	s_and_b32 s15, s6, s8
	s_and_saveexec_b32 s12, s15
	s_cbranch_execz .LBB287_122
.LBB287_147:
	v_cmp_ne_u32_e32 vcc_lo, 1, v59
	v_lshlrev_b64 v[22:23], 1, v[36:37]
	s_cbranch_vccnz .LBB287_149
; %bb.148:
	v_add_co_u32 v52, vcc_lo, v40, v22
	v_add_co_ci_u32_e64 v53, null, v41, v23, vcc_lo
	global_load_ushort v52, v[52:53], off
	s_waitcnt vmcnt(0)
	v_mul_f16_e32 v52, s22, v52
	s_branch .LBB287_150
.LBB287_149:
	v_mov_b32_e32 v52, 0
.LBB287_150:
	v_pk_max_f16 v53, v2, v2
	v_pk_max_f16 v54, v6, v6
	;; [unrolled: 1-line block ×4, first 2 shown]
	v_add_co_u32 v22, vcc_lo, v24, v22
	v_pk_min_f16 v53, v54, v53
	v_add_co_ci_u32_e64 v23, null, v25, v23, vcc_lo
	v_pk_min_f16 v54, v56, v55
	v_pk_add_f16 v51, v51, v53
	v_pk_add_f16 v51, v51, v54
	v_add_f16_sdwa v51, v51, v51 dst_sel:DWORD dst_unused:UNUSED_PAD src0_sel:DWORD src1_sel:WORD_1
	v_add_f16_e32 v51, v51, v52
	global_store_short v[22:23], v51, off
	s_or_b32 exec_lo, exec_lo, s12
	s_and_b32 s12, s7, s8
	s_and_saveexec_b32 s8, s12
	s_cbranch_execz .LBB287_155
.LBB287_151:
	v_cmp_ne_u32_e32 vcc_lo, 1, v59
	v_lshlrev_b64 v[22:23], 1, v[38:39]
	s_cbranch_vccnz .LBB287_153
; %bb.152:
	v_add_co_u32 v40, vcc_lo, v40, v22
	v_add_co_ci_u32_e64 v41, null, v41, v23, vcc_lo
	global_load_ushort v40, v[40:41], off
	s_waitcnt vmcnt(0)
	v_mul_f16_e32 v40, s22, v40
	s_branch .LBB287_154
.LBB287_153:
	v_mov_b32_e32 v40, 0
.LBB287_154:
	v_pk_max_f16 v2, v2, v2
	v_pk_max_f16 v41, v8, v8
	;; [unrolled: 1-line block ×4, first 2 shown]
	v_pk_min_f16 v2, v41, v2
	v_pk_min_f16 v3, v51, v3
	v_pk_add_f16 v2, v50, v2
	v_pk_add_f16 v2, v2, v3
	v_add_f16_sdwa v2, v2, v2 dst_sel:DWORD dst_unused:UNUSED_PAD src0_sel:DWORD src1_sel:WORD_1
	v_add_f16_e32 v40, v2, v40
	v_add_co_u32 v2, vcc_lo, v24, v22
	v_add_co_ci_u32_e64 v3, null, v25, v23, vcc_lo
	global_store_short v[2:3], v40, off
.LBB287_155:
	s_or_b32 exec_lo, exec_lo, s8
	v_add_nc_u32_e32 v24, 0x60, v67
	v_mad_i64_i32 v[2:3], null, v24, s14, 0
	v_mad_i64_i32 v[22:23], null, v24, s9, 0
	v_cmp_gt_i32_e64 s8, s13, v24
	v_lshlrev_b64 v[2:3], 1, v[2:3]
	s_and_b32 s9, s0, s8
	v_lshlrev_b64 v[24:25], 1, v[22:23]
	v_add_co_u32 v22, vcc_lo, s16, v2
	v_add_co_ci_u32_e64 v23, null, s17, v3, vcc_lo
	v_add_co_u32 v2, vcc_lo, s10, v24
	v_add_co_ci_u32_e64 v3, null, s11, v25, vcc_lo
	s_and_saveexec_b32 s0, s9
	s_cbranch_execnz .LBB287_164
; %bb.156:
	s_or_b32 exec_lo, exec_lo, s0
	s_and_b32 s1, s1, s8
	s_and_saveexec_b32 s0, s1
	s_cbranch_execnz .LBB287_168
.LBB287_157:
	s_or_b32 exec_lo, exec_lo, s0
	s_and_b32 s1, s2, s8
	s_and_saveexec_b32 s0, s1
	s_cbranch_execnz .LBB287_172
.LBB287_158:
	s_or_b32 exec_lo, exec_lo, s0
	s_and_b32 s1, s3, s8
	s_and_saveexec_b32 s0, s1
	s_cbranch_execnz .LBB287_176
.LBB287_159:
	s_or_b32 exec_lo, exec_lo, s0
	s_and_b32 s1, s4, s8
	s_and_saveexec_b32 s0, s1
	s_cbranch_execnz .LBB287_180
.LBB287_160:
	s_or_b32 exec_lo, exec_lo, s0
	s_and_b32 s1, s5, s8
	s_and_saveexec_b32 s0, s1
	s_cbranch_execnz .LBB287_184
.LBB287_161:
	s_or_b32 exec_lo, exec_lo, s0
	s_and_b32 s1, s6, s8
	s_and_saveexec_b32 s0, s1
	s_cbranch_execnz .LBB287_188
.LBB287_162:
	s_or_b32 exec_lo, exec_lo, s0
	s_and_b32 s0, s7, s8
	s_and_saveexec_b32 s1, s0
	s_cbranch_execnz .LBB287_192
.LBB287_163:
	s_endpgm
.LBB287_164:
	v_cmp_ne_u32_e32 vcc_lo, 1, v59
	v_lshlrev_b64 v[0:1], 1, v[0:1]
	s_cbranch_vccnz .LBB287_166
; %bb.165:
	v_add_co_u32 v24, vcc_lo, v22, v0
	v_add_co_ci_u32_e64 v25, null, v23, v1, vcc_lo
	global_load_ushort v24, v[24:25], off
	s_waitcnt vmcnt(0)
	v_mul_f16_e32 v24, s22, v24
	s_branch .LBB287_167
.LBB287_166:
	v_mov_b32_e32 v24, 0
.LBB287_167:
	v_pk_max_f16 v25, v4, v4
	v_pk_max_f16 v18, v18, v18
	;; [unrolled: 1-line block ×4, first 2 shown]
	v_add_co_u32 v0, vcc_lo, v2, v0
	v_pk_min_f16 v18, v18, v25
	v_add_co_ci_u32_e64 v1, null, v3, v1, vcc_lo
	v_pk_min_f16 v19, v19, v40
	v_pk_add_f16 v18, v49, v18
	v_pk_add_f16 v18, v18, v19
	v_add_f16_sdwa v18, v18, v18 dst_sel:DWORD dst_unused:UNUSED_PAD src0_sel:DWORD src1_sel:WORD_1
	v_add_f16_e32 v18, v18, v24
	global_store_short v[0:1], v18, off
	s_or_b32 exec_lo, exec_lo, s0
	s_and_b32 s1, s1, s8
	s_and_saveexec_b32 s0, s1
	s_cbranch_execz .LBB287_157
.LBB287_168:
	v_cmp_ne_u32_e32 vcc_lo, 1, v59
	v_lshlrev_b64 v[0:1], 1, v[26:27]
	s_cbranch_vccnz .LBB287_170
; %bb.169:
	v_add_co_u32 v18, vcc_lo, v22, v0
	v_add_co_ci_u32_e64 v19, null, v23, v1, vcc_lo
	global_load_ushort v18, v[18:19], off
	s_waitcnt vmcnt(0)
	v_mul_f16_e32 v18, s22, v18
	s_branch .LBB287_171
.LBB287_170:
	v_mov_b32_e32 v18, 0
.LBB287_171:
	v_pk_max_f16 v19, v4, v4
	v_pk_max_f16 v20, v20, v20
	;; [unrolled: 1-line block ×4, first 2 shown]
	v_add_co_u32 v0, vcc_lo, v2, v0
	v_pk_min_f16 v19, v20, v19
	v_add_co_ci_u32_e64 v1, null, v3, v1, vcc_lo
	v_pk_min_f16 v20, v21, v24
	v_pk_add_f16 v19, v48, v19
	v_pk_add_f16 v19, v19, v20
	v_add_f16_sdwa v19, v19, v19 dst_sel:DWORD dst_unused:UNUSED_PAD src0_sel:DWORD src1_sel:WORD_1
	v_add_f16_e32 v18, v19, v18
	global_store_short v[0:1], v18, off
	s_or_b32 exec_lo, exec_lo, s0
	s_and_b32 s1, s2, s8
	s_and_saveexec_b32 s0, s1
	s_cbranch_execz .LBB287_158
.LBB287_172:
	v_cmp_ne_u32_e32 vcc_lo, 1, v59
	v_lshlrev_b64 v[0:1], 1, v[28:29]
	s_cbranch_vccnz .LBB287_174
; %bb.173:
	v_add_co_u32 v18, vcc_lo, v22, v0
	v_add_co_ci_u32_e64 v19, null, v23, v1, vcc_lo
	global_load_ushort v18, v[18:19], off
	s_waitcnt vmcnt(0)
	v_mul_f16_e32 v18, s22, v18
	s_branch .LBB287_175
.LBB287_174:
	v_mov_b32_e32 v18, 0
.LBB287_175:
	v_pk_max_f16 v19, v4, v4
	v_pk_max_f16 v14, v14, v14
	;; [unrolled: 1-line block ×4, first 2 shown]
	v_add_co_u32 v0, vcc_lo, v2, v0
	v_pk_min_f16 v14, v14, v19
	v_add_co_ci_u32_e64 v1, null, v3, v1, vcc_lo
	v_pk_min_f16 v15, v15, v20
	v_pk_add_f16 v14, v47, v14
	v_pk_add_f16 v14, v14, v15
	v_add_f16_sdwa v14, v14, v14 dst_sel:DWORD dst_unused:UNUSED_PAD src0_sel:DWORD src1_sel:WORD_1
	v_add_f16_e32 v14, v14, v18
	global_store_short v[0:1], v14, off
	s_or_b32 exec_lo, exec_lo, s0
	s_and_b32 s1, s3, s8
	s_and_saveexec_b32 s0, s1
	s_cbranch_execz .LBB287_159
.LBB287_176:
	v_cmp_ne_u32_e32 vcc_lo, 1, v59
	v_lshlrev_b64 v[0:1], 1, v[30:31]
	s_cbranch_vccnz .LBB287_178
; %bb.177:
	v_add_co_u32 v14, vcc_lo, v22, v0
	v_add_co_ci_u32_e64 v15, null, v23, v1, vcc_lo
	global_load_ushort v14, v[14:15], off
	s_waitcnt vmcnt(0)
	v_mul_f16_e32 v14, s22, v14
	s_branch .LBB287_179
.LBB287_178:
	v_mov_b32_e32 v14, 0
.LBB287_179:
	v_pk_max_f16 v15, v4, v4
	v_pk_max_f16 v16, v16, v16
	;; [unrolled: 1-line block ×4, first 2 shown]
	v_add_co_u32 v0, vcc_lo, v2, v0
	v_pk_min_f16 v15, v16, v15
	v_add_co_ci_u32_e64 v1, null, v3, v1, vcc_lo
	v_pk_min_f16 v16, v17, v18
	v_pk_add_f16 v15, v46, v15
	v_pk_add_f16 v15, v15, v16
	v_add_f16_sdwa v15, v15, v15 dst_sel:DWORD dst_unused:UNUSED_PAD src0_sel:DWORD src1_sel:WORD_1
	v_add_f16_e32 v14, v15, v14
	global_store_short v[0:1], v14, off
	s_or_b32 exec_lo, exec_lo, s0
	s_and_b32 s1, s4, s8
	s_and_saveexec_b32 s0, s1
	s_cbranch_execz .LBB287_160
.LBB287_180:
	v_cmp_ne_u32_e32 vcc_lo, 1, v59
	v_lshlrev_b64 v[0:1], 1, v[32:33]
	s_cbranch_vccnz .LBB287_182
; %bb.181:
	v_add_co_u32 v14, vcc_lo, v22, v0
	v_add_co_ci_u32_e64 v15, null, v23, v1, vcc_lo
	global_load_ushort v14, v[14:15], off
	s_waitcnt vmcnt(0)
	v_mul_f16_e32 v14, s22, v14
	s_branch .LBB287_183
.LBB287_182:
	v_mov_b32_e32 v14, 0
.LBB287_183:
	v_pk_max_f16 v15, v4, v4
	v_pk_max_f16 v10, v10, v10
	;; [unrolled: 1-line block ×4, first 2 shown]
	v_add_co_u32 v0, vcc_lo, v2, v0
	v_pk_min_f16 v10, v10, v15
	v_add_co_ci_u32_e64 v1, null, v3, v1, vcc_lo
	v_pk_min_f16 v11, v11, v16
	v_pk_add_f16 v10, v45, v10
	v_pk_add_f16 v10, v10, v11
	v_add_f16_sdwa v10, v10, v10 dst_sel:DWORD dst_unused:UNUSED_PAD src0_sel:DWORD src1_sel:WORD_1
	v_add_f16_e32 v10, v10, v14
	global_store_short v[0:1], v10, off
	s_or_b32 exec_lo, exec_lo, s0
	s_and_b32 s1, s5, s8
	s_and_saveexec_b32 s0, s1
	s_cbranch_execz .LBB287_161
.LBB287_184:
	v_cmp_ne_u32_e32 vcc_lo, 1, v59
	v_lshlrev_b64 v[0:1], 1, v[34:35]
	s_cbranch_vccnz .LBB287_186
; %bb.185:
	v_add_co_u32 v10, vcc_lo, v22, v0
	v_add_co_ci_u32_e64 v11, null, v23, v1, vcc_lo
	global_load_ushort v10, v[10:11], off
	s_waitcnt vmcnt(0)
	v_mul_f16_e32 v10, s22, v10
	s_branch .LBB287_187
.LBB287_186:
	v_mov_b32_e32 v10, 0
.LBB287_187:
	v_pk_max_f16 v11, v4, v4
	v_pk_max_f16 v12, v12, v12
	;; [unrolled: 1-line block ×4, first 2 shown]
	v_add_co_u32 v0, vcc_lo, v2, v0
	v_pk_min_f16 v11, v12, v11
	v_add_co_ci_u32_e64 v1, null, v3, v1, vcc_lo
	v_pk_min_f16 v12, v13, v14
	v_pk_add_f16 v11, v44, v11
	v_pk_add_f16 v11, v11, v12
	v_add_f16_sdwa v11, v11, v11 dst_sel:DWORD dst_unused:UNUSED_PAD src0_sel:DWORD src1_sel:WORD_1
	v_add_f16_e32 v10, v11, v10
	global_store_short v[0:1], v10, off
	s_or_b32 exec_lo, exec_lo, s0
	s_and_b32 s1, s6, s8
	s_and_saveexec_b32 s0, s1
	s_cbranch_execz .LBB287_162
.LBB287_188:
	v_cmp_ne_u32_e32 vcc_lo, 1, v59
	v_lshlrev_b64 v[0:1], 1, v[36:37]
	s_cbranch_vccnz .LBB287_190
; %bb.189:
	v_add_co_u32 v10, vcc_lo, v22, v0
	v_add_co_ci_u32_e64 v11, null, v23, v1, vcc_lo
	global_load_ushort v10, v[10:11], off
	s_waitcnt vmcnt(0)
	v_mul_f16_e32 v10, s22, v10
	s_branch .LBB287_191
.LBB287_190:
	v_mov_b32_e32 v10, 0
.LBB287_191:
	v_pk_max_f16 v11, v4, v4
	v_pk_max_f16 v6, v6, v6
	;; [unrolled: 1-line block ×4, first 2 shown]
	v_add_co_u32 v0, vcc_lo, v2, v0
	v_pk_min_f16 v6, v6, v11
	v_add_co_ci_u32_e64 v1, null, v3, v1, vcc_lo
	v_pk_min_f16 v7, v7, v12
	v_pk_add_f16 v6, v43, v6
	v_pk_add_f16 v6, v6, v7
	v_add_f16_sdwa v6, v6, v6 dst_sel:DWORD dst_unused:UNUSED_PAD src0_sel:DWORD src1_sel:WORD_1
	v_add_f16_e32 v6, v6, v10
	global_store_short v[0:1], v6, off
	s_or_b32 exec_lo, exec_lo, s0
	s_and_b32 s0, s7, s8
	s_and_saveexec_b32 s1, s0
	s_cbranch_execz .LBB287_163
.LBB287_192:
	v_cmp_ne_u32_e32 vcc_lo, 1, v59
	v_lshlrev_b64 v[0:1], 1, v[38:39]
	s_cbranch_vccnz .LBB287_194
; %bb.193:
	v_add_co_u32 v6, vcc_lo, v22, v0
	v_add_co_ci_u32_e64 v7, null, v23, v1, vcc_lo
	global_load_ushort v6, v[6:7], off
	s_waitcnt vmcnt(0)
	v_mul_f16_e32 v6, s22, v6
	s_branch .LBB287_195
.LBB287_194:
	v_mov_b32_e32 v6, 0
.LBB287_195:
	v_pk_max_f16 v4, v4, v4
	v_pk_max_f16 v7, v8, v8
	;; [unrolled: 1-line block ×4, first 2 shown]
	v_add_co_u32 v0, vcc_lo, v2, v0
	v_pk_min_f16 v4, v7, v4
	v_add_co_ci_u32_e64 v1, null, v3, v1, vcc_lo
	v_pk_min_f16 v5, v8, v5
	v_pk_add_f16 v4, v42, v4
	v_pk_add_f16 v4, v4, v5
	v_add_f16_sdwa v4, v4, v4 dst_sel:DWORD dst_unused:UNUSED_PAD src0_sel:DWORD src1_sel:WORD_1
	v_add_f16_e32 v4, v4, v6
	global_store_short v[0:1], v4, off
	s_endpgm
	.section	.rodata,"a",@progbits
	.p2align	6, 0x0
	.amdhsa_kernel _ZN12_GLOBAL__N_120geam_min_plus_kernelIDF16_Dv2_DF16_S1_Li8ELi32ELi64ELi128ELi4ELi64ELi4ELi4ELi64ELc78ELc78ELb0ELb1ELb0EDF16_KDF16_DF16_EEviiiT16_PT17_ilS5_ilS3_S5_ilPT18_ili26rocblas_geam_ex_operation_
		.amdhsa_group_segment_fixed_size 3072
		.amdhsa_private_segment_fixed_size 0
		.amdhsa_kernarg_size 128
		.amdhsa_user_sgpr_count 6
		.amdhsa_user_sgpr_private_segment_buffer 1
		.amdhsa_user_sgpr_dispatch_ptr 0
		.amdhsa_user_sgpr_queue_ptr 0
		.amdhsa_user_sgpr_kernarg_segment_ptr 1
		.amdhsa_user_sgpr_dispatch_id 0
		.amdhsa_user_sgpr_flat_scratch_init 0
		.amdhsa_user_sgpr_private_segment_size 0
		.amdhsa_wavefront_size32 1
		.amdhsa_uses_dynamic_stack 0
		.amdhsa_system_sgpr_private_segment_wavefront_offset 0
		.amdhsa_system_sgpr_workgroup_id_x 1
		.amdhsa_system_sgpr_workgroup_id_y 0
		.amdhsa_system_sgpr_workgroup_id_z 1
		.amdhsa_system_sgpr_workgroup_info 0
		.amdhsa_system_vgpr_workitem_id 1
		.amdhsa_next_free_vgpr 124
		.amdhsa_next_free_sgpr 30
		.amdhsa_reserve_vcc 1
		.amdhsa_reserve_flat_scratch 0
		.amdhsa_float_round_mode_32 0
		.amdhsa_float_round_mode_16_64 0
		.amdhsa_float_denorm_mode_32 3
		.amdhsa_float_denorm_mode_16_64 3
		.amdhsa_dx10_clamp 1
		.amdhsa_ieee_mode 1
		.amdhsa_fp16_overflow 0
		.amdhsa_workgroup_processor_mode 1
		.amdhsa_memory_ordered 1
		.amdhsa_forward_progress 1
		.amdhsa_shared_vgpr_count 0
		.amdhsa_exception_fp_ieee_invalid_op 0
		.amdhsa_exception_fp_denorm_src 0
		.amdhsa_exception_fp_ieee_div_zero 0
		.amdhsa_exception_fp_ieee_overflow 0
		.amdhsa_exception_fp_ieee_underflow 0
		.amdhsa_exception_fp_ieee_inexact 0
		.amdhsa_exception_int_div_zero 0
	.end_amdhsa_kernel
	.section	.text._ZN12_GLOBAL__N_120geam_min_plus_kernelIDF16_Dv2_DF16_S1_Li8ELi32ELi64ELi128ELi4ELi64ELi4ELi4ELi64ELc78ELc78ELb0ELb1ELb0EDF16_KDF16_DF16_EEviiiT16_PT17_ilS5_ilS3_S5_ilPT18_ili26rocblas_geam_ex_operation_,"axG",@progbits,_ZN12_GLOBAL__N_120geam_min_plus_kernelIDF16_Dv2_DF16_S1_Li8ELi32ELi64ELi128ELi4ELi64ELi4ELi4ELi64ELc78ELc78ELb0ELb1ELb0EDF16_KDF16_DF16_EEviiiT16_PT17_ilS5_ilS3_S5_ilPT18_ili26rocblas_geam_ex_operation_,comdat
.Lfunc_end287:
	.size	_ZN12_GLOBAL__N_120geam_min_plus_kernelIDF16_Dv2_DF16_S1_Li8ELi32ELi64ELi128ELi4ELi64ELi4ELi4ELi64ELc78ELc78ELb0ELb1ELb0EDF16_KDF16_DF16_EEviiiT16_PT17_ilS5_ilS3_S5_ilPT18_ili26rocblas_geam_ex_operation_, .Lfunc_end287-_ZN12_GLOBAL__N_120geam_min_plus_kernelIDF16_Dv2_DF16_S1_Li8ELi32ELi64ELi128ELi4ELi64ELi4ELi4ELi64ELc78ELc78ELb0ELb1ELb0EDF16_KDF16_DF16_EEviiiT16_PT17_ilS5_ilS3_S5_ilPT18_ili26rocblas_geam_ex_operation_
                                        ; -- End function
	.set _ZN12_GLOBAL__N_120geam_min_plus_kernelIDF16_Dv2_DF16_S1_Li8ELi32ELi64ELi128ELi4ELi64ELi4ELi4ELi64ELc78ELc78ELb0ELb1ELb0EDF16_KDF16_DF16_EEviiiT16_PT17_ilS5_ilS3_S5_ilPT18_ili26rocblas_geam_ex_operation_.num_vgpr, 124
	.set _ZN12_GLOBAL__N_120geam_min_plus_kernelIDF16_Dv2_DF16_S1_Li8ELi32ELi64ELi128ELi4ELi64ELi4ELi4ELi64ELc78ELc78ELb0ELb1ELb0EDF16_KDF16_DF16_EEviiiT16_PT17_ilS5_ilS3_S5_ilPT18_ili26rocblas_geam_ex_operation_.num_agpr, 0
	.set _ZN12_GLOBAL__N_120geam_min_plus_kernelIDF16_Dv2_DF16_S1_Li8ELi32ELi64ELi128ELi4ELi64ELi4ELi4ELi64ELc78ELc78ELb0ELb1ELb0EDF16_KDF16_DF16_EEviiiT16_PT17_ilS5_ilS3_S5_ilPT18_ili26rocblas_geam_ex_operation_.numbered_sgpr, 30
	.set _ZN12_GLOBAL__N_120geam_min_plus_kernelIDF16_Dv2_DF16_S1_Li8ELi32ELi64ELi128ELi4ELi64ELi4ELi4ELi64ELc78ELc78ELb0ELb1ELb0EDF16_KDF16_DF16_EEviiiT16_PT17_ilS5_ilS3_S5_ilPT18_ili26rocblas_geam_ex_operation_.num_named_barrier, 0
	.set _ZN12_GLOBAL__N_120geam_min_plus_kernelIDF16_Dv2_DF16_S1_Li8ELi32ELi64ELi128ELi4ELi64ELi4ELi4ELi64ELc78ELc78ELb0ELb1ELb0EDF16_KDF16_DF16_EEviiiT16_PT17_ilS5_ilS3_S5_ilPT18_ili26rocblas_geam_ex_operation_.private_seg_size, 0
	.set _ZN12_GLOBAL__N_120geam_min_plus_kernelIDF16_Dv2_DF16_S1_Li8ELi32ELi64ELi128ELi4ELi64ELi4ELi4ELi64ELc78ELc78ELb0ELb1ELb0EDF16_KDF16_DF16_EEviiiT16_PT17_ilS5_ilS3_S5_ilPT18_ili26rocblas_geam_ex_operation_.uses_vcc, 1
	.set _ZN12_GLOBAL__N_120geam_min_plus_kernelIDF16_Dv2_DF16_S1_Li8ELi32ELi64ELi128ELi4ELi64ELi4ELi4ELi64ELc78ELc78ELb0ELb1ELb0EDF16_KDF16_DF16_EEviiiT16_PT17_ilS5_ilS3_S5_ilPT18_ili26rocblas_geam_ex_operation_.uses_flat_scratch, 0
	.set _ZN12_GLOBAL__N_120geam_min_plus_kernelIDF16_Dv2_DF16_S1_Li8ELi32ELi64ELi128ELi4ELi64ELi4ELi4ELi64ELc78ELc78ELb0ELb1ELb0EDF16_KDF16_DF16_EEviiiT16_PT17_ilS5_ilS3_S5_ilPT18_ili26rocblas_geam_ex_operation_.has_dyn_sized_stack, 0
	.set _ZN12_GLOBAL__N_120geam_min_plus_kernelIDF16_Dv2_DF16_S1_Li8ELi32ELi64ELi128ELi4ELi64ELi4ELi4ELi64ELc78ELc78ELb0ELb1ELb0EDF16_KDF16_DF16_EEviiiT16_PT17_ilS5_ilS3_S5_ilPT18_ili26rocblas_geam_ex_operation_.has_recursion, 0
	.set _ZN12_GLOBAL__N_120geam_min_plus_kernelIDF16_Dv2_DF16_S1_Li8ELi32ELi64ELi128ELi4ELi64ELi4ELi4ELi64ELc78ELc78ELb0ELb1ELb0EDF16_KDF16_DF16_EEviiiT16_PT17_ilS5_ilS3_S5_ilPT18_ili26rocblas_geam_ex_operation_.has_indirect_call, 0
	.section	.AMDGPU.csdata,"",@progbits
; Kernel info:
; codeLenInByte = 12180
; TotalNumSgprs: 32
; NumVgprs: 124
; ScratchSize: 0
; MemoryBound: 0
; FloatMode: 240
; IeeeMode: 1
; LDSByteSize: 3072 bytes/workgroup (compile time only)
; SGPRBlocks: 0
; VGPRBlocks: 15
; NumSGPRsForWavesPerEU: 32
; NumVGPRsForWavesPerEU: 124
; Occupancy: 8
; WaveLimiterHint : 0
; COMPUTE_PGM_RSRC2:SCRATCH_EN: 0
; COMPUTE_PGM_RSRC2:USER_SGPR: 6
; COMPUTE_PGM_RSRC2:TRAP_HANDLER: 0
; COMPUTE_PGM_RSRC2:TGID_X_EN: 1
; COMPUTE_PGM_RSRC2:TGID_Y_EN: 0
; COMPUTE_PGM_RSRC2:TGID_Z_EN: 1
; COMPUTE_PGM_RSRC2:TIDIG_COMP_CNT: 1
	.section	.text._ZN12_GLOBAL__N_120geam_min_plus_kernelIDF16_Dv2_DF16_S1_Li8ELi32ELi64ELi128ELi4ELi4ELi64ELi4ELi64ELc84ELc78ELb0ELb0ELb0EPKDF16_S2_DF16_EEviiiT16_PT17_ilS6_ilS4_S6_ilPT18_ili26rocblas_geam_ex_operation_,"axG",@progbits,_ZN12_GLOBAL__N_120geam_min_plus_kernelIDF16_Dv2_DF16_S1_Li8ELi32ELi64ELi128ELi4ELi4ELi64ELi4ELi64ELc84ELc78ELb0ELb0ELb0EPKDF16_S2_DF16_EEviiiT16_PT17_ilS6_ilS4_S6_ilPT18_ili26rocblas_geam_ex_operation_,comdat
	.globl	_ZN12_GLOBAL__N_120geam_min_plus_kernelIDF16_Dv2_DF16_S1_Li8ELi32ELi64ELi128ELi4ELi4ELi64ELi4ELi64ELc84ELc78ELb0ELb0ELb0EPKDF16_S2_DF16_EEviiiT16_PT17_ilS6_ilS4_S6_ilPT18_ili26rocblas_geam_ex_operation_ ; -- Begin function _ZN12_GLOBAL__N_120geam_min_plus_kernelIDF16_Dv2_DF16_S1_Li8ELi32ELi64ELi128ELi4ELi4ELi64ELi4ELi64ELc84ELc78ELb0ELb0ELb0EPKDF16_S2_DF16_EEviiiT16_PT17_ilS6_ilS4_S6_ilPT18_ili26rocblas_geam_ex_operation_
	.p2align	8
	.type	_ZN12_GLOBAL__N_120geam_min_plus_kernelIDF16_Dv2_DF16_S1_Li8ELi32ELi64ELi128ELi4ELi4ELi64ELi4ELi64ELc84ELc78ELb0ELb0ELb0EPKDF16_S2_DF16_EEviiiT16_PT17_ilS6_ilS4_S6_ilPT18_ili26rocblas_geam_ex_operation_,@function
_ZN12_GLOBAL__N_120geam_min_plus_kernelIDF16_Dv2_DF16_S1_Li8ELi32ELi64ELi128ELi4ELi4ELi64ELi4ELi64ELc84ELc78ELb0ELb0ELb0EPKDF16_S2_DF16_EEviiiT16_PT17_ilS6_ilS4_S6_ilPT18_ili26rocblas_geam_ex_operation_: ; @_ZN12_GLOBAL__N_120geam_min_plus_kernelIDF16_Dv2_DF16_S1_Li8ELi32ELi64ELi128ELi4ELi4ELi64ELi4ELi64ELc84ELc78ELb0ELb0ELb0EPKDF16_S2_DF16_EEviiiT16_PT17_ilS6_ilS4_S6_ilPT18_ili26rocblas_geam_ex_operation_
; %bb.0:
	s_clause 0x1
	s_load_dwordx4 s[12:15], s[4:5], 0x10
	s_load_dwordx4 s[8:11], s[4:5], 0x28
	s_mov_b32 s20, s7
	s_mov_b32 s21, 0
	v_mov_b32_e32 v2, 0
	s_lshl_b64 s[0:1], s[20:21], 1
	s_waitcnt lgkmcnt(0)
	s_add_u32 s2, s12, s0
	s_addc_u32 s3, s13, s1
	s_mov_b64 s[12:13], 0
	global_load_ushort v27, v2, s[2:3]
	s_clause 0x1
	s_load_dwordx4 s[16:19], s[4:5], 0x40
	s_load_dwordx2 s[22:23], s[4:5], 0x50
	s_waitcnt lgkmcnt(0)
	s_add_u32 s24, s18, s0
	s_addc_u32 s25, s19, s1
	s_mov_b64 s[18:19], 0
	s_waitcnt vmcnt(0)
	v_cmp_eq_f16_e32 vcc_lo, 0, v27
	v_cmp_neq_f16_e64 s2, 0, v27
	s_and_b32 s0, exec_lo, vcc_lo
	s_mov_b32 vcc_lo, s0
	s_cbranch_vccnz .LBB288_2
; %bb.1:
	s_mul_i32 s1, s9, s20
	s_mul_hi_u32 s3, s8, s20
	s_mul_i32 s8, s8, s20
	s_add_i32 s9, s3, s1
	s_lshl_b64 s[8:9], s[8:9], 1
	s_add_u32 s18, s14, s8
	s_addc_u32 s19, s15, s9
.LBB288_2:
	global_load_ushort v26, v2, s[24:25]
	v_cndmask_b32_e64 v2, 0, 1, s2
	s_andn2_b32 vcc_lo, exec_lo, s2
	v_cmp_ne_u32_e64 s1, 1, v2
	s_cbranch_vccnz .LBB288_4
; %bb.3:
	s_mul_i32 s2, s17, s20
	s_mul_hi_u32 s3, s16, s20
	s_add_i32 s3, s3, s2
	s_mul_i32 s2, s16, s20
	s_lshl_b64 s[2:3], s[2:3], 1
	s_add_u32 s12, s10, s2
	s_addc_u32 s13, s11, s3
.LBB288_4:
	s_load_dwordx4 s[8:11], s[4:5], 0x60
	s_waitcnt vmcnt(0)
	v_cmp_eq_f16_e32 vcc_lo, 0, v26
	s_cbranch_vccnz .LBB288_6
; %bb.5:
	s_waitcnt lgkmcnt(0)
	s_mul_i32 s2, s9, s20
	s_mul_hi_u32 s3, s8, s20
	s_add_i32 s3, s3, s2
	s_mul_i32 s2, s8, s20
	s_lshl_b64 s[2:3], s[2:3], 1
	s_add_u32 s8, s22, s2
	s_addc_u32 s9, s23, s3
	s_branch .LBB288_7
.LBB288_6:
	s_waitcnt lgkmcnt(0)
	s_mov_b64 s[8:9], 0
.LBB288_7:
	s_clause 0x2
	s_load_dword s7, s[4:5], 0x0
	s_load_dword s3, s[4:5], 0x20
	;; [unrolled: 1-line block ×3, first 2 shown]
	v_and_b32_e32 v10, 3, v0
	v_mov_b32_e32 v7, 0
	v_lshlrev_b32_e32 v28, 1, v10
	s_waitcnt lgkmcnt(0)
	s_add_i32 s7, s7, -1
	s_ashr_i32 s14, s7, 31
	s_lshr_b32 s14, s14, 26
	s_add_i32 s7, s7, s14
	s_ashr_i32 s7, s7, 6
	s_add_i32 s14, s7, 1
	s_not_b32 s7, s7
	v_cvt_f32_u32_e32 v2, s14
	v_rcp_iflag_f32_e32 v2, v2
	v_mul_f32_e32 v2, 0x4f7ffffe, v2
	v_cvt_u32_f32_e32 v2, v2
	v_readfirstlane_b32 s15, v2
	v_lshl_add_u32 v2, v1, 3, v0
	s_mul_i32 s7, s7, s15
	v_lshrrev_b32_e32 v11, 2, v2
	s_mul_hi_u32 s7, s15, s7
	s_add_i32 s15, s15, s7
	s_mul_hi_u32 s7, s6, s15
	s_mul_i32 s15, s7, s14
	s_add_i32 s16, s7, 1
	s_sub_i32 s15, s6, s15
	s_sub_i32 s17, s15, s14
	s_cmp_ge_u32 s15, s14
	s_cselect_b32 s7, s16, s7
	s_cselect_b32 s15, s17, s15
	s_add_i32 s16, s7, 1
	s_cmp_ge_u32 s15, s14
	s_cselect_b32 s7, s16, s7
	s_and_b32 vcc_lo, exec_lo, s1
	s_mul_i32 s15, s7, s14
	s_lshl_b32 s14, s7, 7
	s_sub_i32 s6, s6, s15
	v_add_nc_u32_e32 v2, s14, v11
	s_lshl_b32 s15, s6, 6
	v_add_nc_u32_e32 v4, s15, v11
	v_add_nc_u32_e32 v3, 64, v2
	s_cbranch_vccnz .LBB288_10
; %bb.8:
	v_mad_i64_i32 v[5:6], null, v4, s3, 0
	v_mad_i64_i32 v[8:9], null, v2, s2, 0
	;; [unrolled: 1-line block ×3, first 2 shown]
	v_add_co_u32 v14, s6, s12, v28
	v_lshlrev_b64 v[5:6], 1, v[5:6]
	v_add_co_ci_u32_e64 v15, null, s13, 0, s6
	v_lshlrev_b64 v[8:9], 1, v[8:9]
	v_add_co_u32 v16, vcc_lo, s18, v5
	v_add_co_ci_u32_e64 v17, null, s19, v6, vcc_lo
	v_add_co_u32 v5, vcc_lo, v14, v8
	v_add_co_ci_u32_e64 v6, null, v15, v9, vcc_lo
	v_lshlrev_b64 v[8:9], 1, v[12:13]
	v_add_co_u32 v12, vcc_lo, v16, v28
	v_add_co_ci_u32_e64 v13, null, 0, v17, vcc_lo
	global_load_ushort v16, v[5:6], off
	v_add_co_u32 v5, vcc_lo, v14, v8
	v_add_co_ci_u32_e64 v6, null, v15, v9, vcc_lo
	global_load_ushort v8, v[12:13], off
	global_load_ushort v6, v[5:6], off
	s_waitcnt vmcnt(2)
	v_mul_f16_e32 v5, v27, v16
	v_pack_b32_f16 v5, v5, 0
	s_waitcnt vmcnt(1)
	v_mul_f16_e32 v12, v27, v8
	s_waitcnt vmcnt(0)
	v_mul_f16_e32 v6, v27, v6
	s_and_b32 vcc_lo, exec_lo, s1
	s_cbranch_vccnz .LBB288_11
.LBB288_9:
	v_mad_i64_i32 v[7:8], null, v4, s3, 0
	v_mad_i64_i32 v[13:14], null, v2, s2, 0
	;; [unrolled: 1-line block ×3, first 2 shown]
	v_add_co_u32 v9, s1, s12, v28
	v_lshlrev_b64 v[7:8], 1, v[7:8]
	v_add_co_ci_u32_e64 v17, null, s13, 0, s1
	v_lshlrev_b64 v[13:14], 1, v[13:14]
	v_add_co_u32 v18, vcc_lo, s18, v7
	v_add_co_ci_u32_e64 v19, null, s19, v8, vcc_lo
	v_add_co_u32 v7, vcc_lo, v9, v13
	v_add_co_ci_u32_e64 v8, null, v17, v14, vcc_lo
	v_lshlrev_b64 v[13:14], 1, v[15:16]
	v_add_co_u32 v15, vcc_lo, v18, v28
	v_add_co_ci_u32_e64 v16, null, 0, v19, vcc_lo
	global_load_ushort v18, v[7:8], off offset:8
	v_add_co_u32 v7, vcc_lo, v9, v13
	v_add_co_ci_u32_e64 v8, null, v17, v14, vcc_lo
	global_load_ushort v9, v[15:16], off offset:8
	global_load_ushort v13, v[7:8], off offset:8
	s_waitcnt vmcnt(2)
	v_mul_f16_e32 v8, v27, v18
	v_pack_b32_f16 v8, v8, 0
	s_waitcnt vmcnt(1)
	v_mul_f16_e32 v7, v27, v9
	s_waitcnt vmcnt(0)
	v_mul_f16_e32 v9, v27, v13
	s_branch .LBB288_12
.LBB288_10:
	v_mov_b32_e32 v5, 0
	v_mov_b32_e32 v12, 0
	;; [unrolled: 1-line block ×3, first 2 shown]
	s_and_b32 vcc_lo, exec_lo, s1
	s_cbranch_vccz .LBB288_9
.LBB288_11:
	v_mov_b32_e32 v8, 0
	v_mov_b32_e32 v9, 0
.LBB288_12:
	v_lshlrev_b32_e32 v11, 3, v11
	v_lshlrev_b32_e32 v30, 3, v0
	;; [unrolled: 1-line block ×3, first 2 shown]
	s_load_dword s1, s[4:5], 0x8
	v_lshl_or_b32 v31, v10, 1, v11
	v_add_nc_u32_e32 v32, 0x800, v30
	ds_write_b16 v31, v12 offset:2048
	ds_write_b16 v31, v5
	ds_write_b16 v31, v6 offset:512
	s_waitcnt lgkmcnt(0)
	s_barrier
	buffer_gl0_inv
	ds_read2_b64 v[10:13], v29 offset1:32
	ds_read2_b64 v[14:17], v32 offset0:48 offset1:56
	ds_read2_b64 v[18:21], v29 offset0:64 offset1:96
	ds_read2_b64 v[22:25], v32 offset1:8
	ds_read2_b64 v[42:45], v32 offset0:16 offset1:24
	ds_read2_b64 v[48:51], v32 offset0:32 offset1:40
	ds_write_b16 v31, v7 offset:2560
	ds_write_b16 v31, v8 offset:1024
	;; [unrolled: 1-line block ×3, first 2 shown]
	s_waitcnt lgkmcnt(0)
	s_barrier
	buffer_gl0_inv
	s_cmp_lt_i32 s1, 9
	v_pk_max_f16 v10, v10, v10
	v_pk_max_f16 v16, v16, v16
	v_pk_max_f16 v12, v12, v12
	v_pk_max_f16 v18, v18, v18
	v_pk_max_f16 v22, v22, v22
	v_pk_max_f16 v20, v20, v20
	v_pk_max_f16 v32, v42, v42
	v_pk_max_f16 v38, v44, v44
	v_pk_max_f16 v24, v24, v24
	v_pk_min_f16 v33, v16, v10
	v_pk_min_f16 v34, v16, v12
	;; [unrolled: 1-line block ×7, first 2 shown]
	v_pk_max_f16 v32, v48, v48
	v_pk_min_f16 v48, v38, v10
	v_pk_min_f16 v53, v38, v12
	;; [unrolled: 1-line block ×4, first 2 shown]
	v_pk_max_f16 v11, v11, v11
	v_pk_max_f16 v13, v13, v13
	;; [unrolled: 1-line block ×6, first 2 shown]
	v_pk_min_f16 v36, v22, v12
	v_pk_min_f16 v37, v22, v18
	;; [unrolled: 1-line block ×10, first 2 shown]
	v_pk_max_f16 v19, v19, v19
	v_pk_min_f16 v50, v32, v20
	v_pk_min_f16 v59, v38, v10
	;; [unrolled: 1-line block ×11, first 2 shown]
	v_pk_add_f16 v20, v33, 0
	v_pk_min_f16 v33, v17, v11
	v_pk_add_f16 v34, v34, 0
	v_pk_min_f16 v38, v17, v13
	;; [unrolled: 2-line block ×3, first 2 shown]
	v_pk_max_f16 v21, v21, v21
	v_pk_max_f16 v25, v25, v25
	v_pk_add_f16 v39, v32, 0
	v_pk_min_f16 v63, v17, v19
	v_pk_add_f16 v36, v36, 0
	v_pk_min_f16 v65, v23, v13
	v_pk_add_f16 v32, v20, v33
	v_pk_add_f16 v33, v34, v38
	;; [unrolled: 1-line block ×4, first 2 shown]
	v_pk_min_f16 v35, v23, v19
	v_pk_add_f16 v34, v39, v63
	v_pk_add_f16 v39, v36, v65
	;; [unrolled: 1-line block ×3, first 2 shown]
	v_pk_min_f16 v37, v25, v11
	v_pk_min_f16 v64, v25, v13
	v_pk_add_f16 v42, v42, 0
	v_pk_min_f16 v65, v25, v19
	v_pk_add_f16 v40, v20, v35
	v_pk_add_f16 v20, v24, 0
	v_pk_min_f16 v25, v25, v21
	v_pk_add_f16 v22, v22, 0
	v_pk_min_f16 v23, v23, v21
	v_pk_add_f16 v35, v36, v37
	v_pk_add_f16 v37, v42, v65
	;; [unrolled: 1-line block ×3, first 2 shown]
	v_pk_max_f16 v20, v43, v43
	v_pk_add_f16 v63, v41, 0
	v_pk_add_f16 v41, v22, v23
	;; [unrolled: 1-line block ×6, first 2 shown]
	v_pk_max_f16 v25, v45, v45
	v_pk_min_f16 v43, v20, v11
	v_pk_min_f16 v44, v20, v13
	;; [unrolled: 1-line block ×4, first 2 shown]
	v_pk_add_f16 v47, v48, 0
	v_pk_add_f16 v48, v53, 0
	;; [unrolled: 1-line block ×8, first 2 shown]
	v_pk_min_f16 v20, v25, v11
	v_pk_min_f16 v22, v25, v13
	v_pk_min_f16 v23, v25, v19
	v_pk_min_f16 v24, v25, v21
	v_pk_max_f16 v25, v49, v49
	v_pk_add_f16 v54, v56, 0
	v_pk_add_f16 v55, v57, 0
	;; [unrolled: 1-line block ×8, first 2 shown]
	v_pk_min_f16 v20, v25, v11
	v_pk_min_f16 v22, v25, v13
	;; [unrolled: 1-line block ×4, first 2 shown]
	v_pk_max_f16 v25, v51, v51
	v_pk_max_f16 v15, v15, v15
	v_pk_add_f16 v36, v63, v64
	v_pk_add_f16 v59, v59, 0
	;; [unrolled: 1-line block ×14, first 2 shown]
	v_pk_min_f16 v20, v25, v11
	v_pk_min_f16 v22, v25, v13
	v_pk_min_f16 v23, v25, v19
	v_pk_min_f16 v24, v25, v21
	v_pk_min_f16 v11, v15, v11
	v_pk_min_f16 v13, v15, v13
	v_pk_min_f16 v19, v15, v19
	v_pk_min_f16 v15, v15, v21
	v_pk_min_f16 v17, v17, v21
	v_pk_add_f16 v61, v59, v20
	v_pk_add_f16 v62, v60, v22
	;; [unrolled: 1-line block ×9, first 2 shown]
	s_cbranch_scc1 .LBB288_23
; %bb.13:
	v_mad_i64_i32 v[10:11], null, v4, s3, 0
	v_mad_i64_i32 v[12:13], null, s2, v3, 0
	v_perm_b32 v3, v6, v5, 0x5040100
	v_mad_i64_i32 v[6:7], null, s2, v2, 0
	v_perm_b32 v81, v9, v8, 0x5040100
	v_lshlrev_b64 v[4:5], 1, v[10:11]
	v_add_nc_u32_e32 v53, 0x800, v31
	v_lshlrev_b64 v[8:9], 1, v[12:13]
	v_or_b32_e32 v55, 0x800, v30
	v_add_nc_u32_e32 v63, 0xa00, v31
	v_add_nc_u32_e32 v64, 0x400, v31
	v_add_co_u32 v68, vcc_lo, s18, v4
	v_add_co_ci_u32_e64 v69, null, s19, v5, vcc_lo
	v_lshlrev_b64 v[4:5], 1, v[6:7]
	v_add_co_u32 v72, vcc_lo, s12, v8
	v_add_co_ci_u32_e64 v73, null, s13, v9, vcc_lo
	v_lshl_add_u32 v70, v0, 3, 0xa00
	v_add_co_u32 v74, vcc_lo, s12, v4
	v_lshl_add_u32 v71, v1, 3, 0x400
	v_add_co_ci_u32_e64 v75, null, s13, v5, vcc_lo
	s_add_i32 s1, s1, -8
	s_mov_b32 s2, 0
	s_branch .LBB288_15
.LBB288_14:                             ;   in Loop: Header=BB288_15 Depth=1
	v_pk_max_f16 v4, v4, v4
	v_pk_max_f16 v22, v22, v22
	;; [unrolled: 1-line block ×7, first 2 shown]
	v_pk_min_f16 v81, v4, v22
	v_pk_min_f16 v82, v4, v24
	;; [unrolled: 1-line block ×3, first 2 shown]
	v_pk_max_f16 v20, v20, v20
	v_pk_min_f16 v90, v10, v22
	v_pk_min_f16 v91, v10, v24
	v_pk_max_f16 v12, v12, v12
	v_pk_max_f16 v23, v23, v23
	;; [unrolled: 1-line block ×3, first 2 shown]
	v_pk_min_f16 v92, v10, v14
	v_pk_min_f16 v10, v10, v16
	v_pk_max_f16 v15, v15, v15
	v_pk_max_f16 v17, v17, v17
	;; [unrolled: 1-line block ×13, first 2 shown]
	v_pk_min_f16 v84, v18, v22
	v_pk_min_f16 v85, v18, v24
	;; [unrolled: 1-line block ×57, first 2 shown]
	v_pk_add_f16 v5, v32, v81
	v_pk_add_f16 v15, v33, v82
	;; [unrolled: 1-line block ×28, first 2 shown]
	ds_read2_b64 v[4:7], v55 offset0:48 offset1:56
	ds_read2_b64 v[8:11], v29 offset1:32
	ds_read2_b64 v[12:15], v29 offset0:64 offset1:96
	v_pk_add_f16 v2, v60, v2
	v_pk_add_f16 v32, v32, v16
	;; [unrolled: 1-line block ×3, first 2 shown]
	ds_read2_b64 v[16:19], v55 offset1:8
	v_pk_add_f16 v41, v49, v93
	v_pk_add_f16 v49, v61, v99
	v_pk_add_f16 v22, v65, v22
	v_pk_add_f16 v24, v66, v24
	v_pk_add_f16 v61, v20, v21
	v_pk_add_f16 v65, v48, v117
	v_pk_add_f16 v66, v49, v118
	v_pk_add_f16 v67, v50, v119
	v_pk_add_f16 v82, v22, v23
	ds_read2_b64 v[20:23], v55 offset0:16 offset1:24
	v_pk_add_f16 v33, v33, v102
	v_pk_add_f16 v34, v34, v103
	;; [unrolled: 1-line block ×3, first 2 shown]
	s_waitcnt lgkmcnt(4)
	v_pk_max_f16 v6, v6, v6
	s_waitcnt lgkmcnt(3)
	v_pk_max_f16 v8, v8, v8
	v_pk_max_f16 v10, v10, v10
	s_waitcnt lgkmcnt(2)
	v_pk_max_f16 v12, v12, v12
	v_pk_add_f16 v25, v54, v122
	v_pk_add_f16 v54, v56, v123
	v_pk_min_f16 v48, v6, v8
	v_pk_min_f16 v49, v6, v10
	;; [unrolled: 1-line block ×3, first 2 shown]
	s_waitcnt lgkmcnt(1)
	v_pk_max_f16 v16, v16, v16
	v_pk_add_f16 v81, v51, v120
	v_pk_add_f16 v56, v57, v48
	;; [unrolled: 1-line block ×4, first 2 shown]
	v_pk_min_f16 v48, v16, v8
	v_pk_min_f16 v49, v16, v10
	;; [unrolled: 1-line block ×3, first 2 shown]
	v_pk_add_f16 v2, v2, v3
	v_perm_b32 v3, v80, v79, 0x5040100
	v_pk_add_f16 v59, v32, v48
	v_pk_add_f16 v79, v33, v49
	;; [unrolled: 1-line block ×3, first 2 shown]
	ds_read2_b64 v[48:51], v55 offset0:32 offset1:40
	v_pk_add_f16 v35, v35, v87
	v_pk_add_f16 v37, v37, v89
	v_pk_max_f16 v18, v18, v18
	v_pk_add_f16 v36, v36, v88
	v_pk_max_f16 v14, v14, v14
	v_pk_add_f16 v35, v35, v104
	v_pk_add_f16 v37, v37, v106
	v_pk_min_f16 v32, v18, v8
	v_pk_min_f16 v34, v18, v12
	s_waitcnt lgkmcnt(1)
	v_pk_max_f16 v20, v20, v20
	v_pk_add_f16 v36, v36, v105
	v_pk_add_f16 v38, v38, v107
	;; [unrolled: 1-line block ×3, first 2 shown]
	v_pk_min_f16 v16, v16, v14
	v_pk_min_f16 v33, v18, v10
	v_pk_add_f16 v35, v35, v32
	v_pk_add_f16 v37, v37, v34
	v_pk_min_f16 v32, v20, v8
	v_pk_min_f16 v34, v20, v12
	v_pk_max_f16 v22, v22, v22
	v_pk_add_f16 v39, v39, v108
	v_pk_add_f16 v41, v41, v110
	;; [unrolled: 1-line block ×3, first 2 shown]
	v_pk_min_f16 v18, v18, v14
	v_pk_add_f16 v36, v36, v33
	v_pk_min_f16 v33, v20, v10
	v_pk_add_f16 v60, v38, v32
	v_pk_add_f16 v83, v40, v34
	v_pk_min_f16 v32, v22, v8
	s_waitcnt lgkmcnt(0)
	v_pk_max_f16 v34, v48, v48
	v_pk_add_f16 v42, v42, v111
	v_pk_add_f16 v43, v43, v112
	;; [unrolled: 1-line block ×4, first 2 shown]
	v_pk_min_f16 v20, v20, v14
	v_pk_add_f16 v61, v39, v33
	v_pk_min_f16 v33, v22, v10
	v_pk_min_f16 v38, v22, v12
	v_pk_add_f16 v48, v41, v32
	v_pk_min_f16 v32, v34, v8
	v_pk_add_f16 v46, v46, v115
	v_pk_add_f16 v47, v47, v116
	;; [unrolled: 1-line block ×5, first 2 shown]
	v_pk_min_f16 v33, v34, v10
	v_pk_max_f16 v38, v50, v50
	v_pk_add_f16 v85, v45, v32
	v_pk_min_f16 v32, v34, v12
	v_pk_max_f16 v4, v4, v4
	v_pk_add_f16 v86, v46, v33
	v_pk_min_f16 v33, v38, v8
	v_pk_min_f16 v39, v38, v10
	v_pk_add_f16 v87, v47, v32
	v_pk_min_f16 v32, v38, v12
	v_pk_min_f16 v8, v4, v8
	;; [unrolled: 1-line block ×5, first 2 shown]
	v_pk_max_f16 v7, v7, v7
	v_pk_max_f16 v9, v9, v9
	;; [unrolled: 1-line block ×4, first 2 shown]
	v_pk_add_f16 v2, v2, v4
	v_pk_add_f16 v52, v52, v121
	v_pk_min_f16 v4, v7, v9
	v_pk_min_f16 v22, v22, v14
	;; [unrolled: 1-line block ×3, first 2 shown]
	v_pk_add_f16 v66, v66, v33
	v_pk_min_f16 v33, v38, v14
	v_pk_add_f16 v81, v81, v32
	v_pk_add_f16 v10, v24, v10
	v_pk_min_f16 v6, v6, v14
	v_pk_min_f16 v14, v7, v11
	;; [unrolled: 1-line block ×3, first 2 shown]
	v_pk_max_f16 v17, v17, v17
	v_pk_add_f16 v32, v56, v4
	v_pk_max_f16 v4, v15, v15
	v_pk_add_f16 v65, v65, v34
	v_pk_add_f16 v88, v52, v33
	;; [unrolled: 1-line block ×4, first 2 shown]
	v_pk_min_f16 v14, v17, v9
	v_pk_min_f16 v15, v17, v11
	;; [unrolled: 1-line block ×4, first 2 shown]
	v_pk_max_f16 v19, v19, v19
	v_pk_add_f16 v67, v67, v39
	v_pk_add_f16 v38, v59, v14
	v_pk_add_f16 v39, v79, v15
	v_pk_add_f16 v41, v16, v17
	v_pk_min_f16 v14, v19, v9
	v_pk_min_f16 v15, v19, v11
	v_pk_min_f16 v16, v19, v13
	v_pk_min_f16 v17, v19, v4
	v_pk_max_f16 v19, v21, v21
	v_pk_add_f16 v44, v44, v113
	v_pk_add_f16 v35, v35, v14
	v_pk_add_f16 v36, v36, v15
	v_pk_add_f16 v37, v37, v16
	v_pk_add_f16 v42, v18, v17
	v_pk_min_f16 v14, v19, v9
	v_pk_min_f16 v15, v19, v11
	v_pk_min_f16 v16, v19, v13
	v_pk_min_f16 v17, v19, v4
	v_pk_max_f16 v18, v23, v23
	v_pk_add_f16 v22, v44, v22
	v_pk_add_f16 v43, v60, v14
	v_pk_add_f16 v44, v61, v15
	v_pk_add_f16 v45, v83, v16
	v_pk_add_f16 v46, v20, v17
	v_pk_min_f16 v14, v18, v9
	v_pk_min_f16 v15, v18, v11
	v_pk_min_f16 v16, v18, v13
	v_pk_min_f16 v17, v18, v4
	v_pk_max_f16 v18, v49, v49
	v_pk_add_f16 v49, v48, v14
	v_pk_add_f16 v50, v62, v15
	v_pk_add_f16 v47, v84, v16
	;; [unrolled: 1-line block ×3, first 2 shown]
	v_pk_min_f16 v14, v18, v9
	v_pk_min_f16 v15, v18, v11
	;; [unrolled: 1-line block ×4, first 2 shown]
	v_pk_max_f16 v18, v51, v51
	v_pk_max_f16 v5, v5, v5
	v_add_co_u32 v72, vcc_lo, v72, 16
	v_pk_add_f16 v8, v82, v8
	v_pk_add_f16 v12, v25, v12
	;; [unrolled: 1-line block ×7, first 2 shown]
	v_pk_min_f16 v14, v18, v9
	v_pk_min_f16 v15, v18, v11
	;; [unrolled: 1-line block ×9, first 2 shown]
	v_add_co_ci_u32_e64 v73, null, 0, v73, vcc_lo
	v_add_co_u32 v74, vcc_lo, v74, 16
	v_add_co_ci_u32_e64 v75, null, 0, v75, vcc_lo
	v_add_co_u32 v68, vcc_lo, v68, 16
	v_pk_add_f16 v40, v80, v24
	v_pk_add_f16 v61, v66, v14
	v_pk_add_f16 v62, v67, v15
	v_pk_add_f16 v57, v81, v16
	v_pk_add_f16 v58, v88, v17
	v_pk_add_f16 v65, v8, v9
	v_pk_add_f16 v66, v10, v11
	v_pk_add_f16 v67, v12, v13
	v_pk_add_f16 v60, v2, v5
	v_pk_add_f16 v59, v6, v4
	v_perm_b32 v81, v78, v76, 0x5040100
	v_add_co_ci_u32_e64 v69, null, 0, v69, vcc_lo
	s_add_i32 s2, s2, 8
	ds_write_b16 v63, v77
	ds_write_b16 v64, v76
	ds_write_b16 v64, v78 offset:512
	s_cmp_ge_i32 s2, s1
	s_waitcnt lgkmcnt(0)
	s_barrier
	buffer_gl0_inv
	s_cbranch_scc1 .LBB288_23
.LBB288_15:                             ; =>This Inner Loop Header: Depth=1
	s_mov_b32 s3, -1
	s_mov_b32 vcc_lo, s0
                                        ; implicit-def: $vgpr79
	s_cbranch_vccz .LBB288_17
; %bb.16:                               ;   in Loop: Header=BB288_15 Depth=1
	v_and_b32_e32 v79, 0xffff0000, v3
	s_mov_b32 s3, 0
.LBB288_17:                             ;   in Loop: Header=BB288_15 Depth=1
	v_mov_b32_e32 v76, 0
	v_mov_b32_e32 v80, 0
	s_andn2_b32 vcc_lo, exec_lo, s3
	s_cbranch_vccnz .LBB288_19
; %bb.18:                               ;   in Loop: Header=BB288_15 Depth=1
	v_add_co_u32 v4, vcc_lo, v74, v28
	v_add_co_ci_u32_e64 v5, null, 0, v75, vcc_lo
	v_add_co_u32 v6, vcc_lo, v68, v28
	v_add_co_ci_u32_e64 v7, null, 0, v69, vcc_lo
	global_load_ushort v2, v[4:5], off offset:16
	v_add_co_u32 v4, vcc_lo, v72, v28
	v_add_co_ci_u32_e64 v5, null, 0, v73, vcc_lo
	global_load_ushort v6, v[6:7], off offset:16
	global_load_ushort v4, v[4:5], off offset:16
	s_waitcnt vmcnt(2)
	v_mul_f16_e32 v2, v27, v2
	v_bfi_b32 v79, 0xffff, v2, v3
	s_waitcnt vmcnt(1)
	v_mul_f16_e32 v76, v27, v6
	s_waitcnt vmcnt(0)
	v_mul_f16_e32 v80, v27, v4
.LBB288_19:                             ;   in Loop: Header=BB288_15 Depth=1
	ds_read2_b64 v[2:5], v70 offset0:48 offset1:56
	ds_read2_b64 v[14:17], v71 offset0:64 offset1:96
	ds_read2_b64 v[22:25], v71 offset1:32
	ds_read2_b64 v[18:21], v70 offset1:8
	ds_read2_b64 v[10:13], v70 offset0:16 offset1:24
	ds_read2_b64 v[6:9], v70 offset0:32 offset1:40
	s_mov_b32 s3, -1
	s_mov_b32 vcc_lo, s0
	ds_write_b16 v53, v76
	ds_write_b16 v31, v79
	ds_write_b16 v31, v80 offset:512
	s_waitcnt lgkmcnt(0)
	s_barrier
	buffer_gl0_inv
                                        ; implicit-def: $vgpr76
	s_cbranch_vccz .LBB288_21
; %bb.20:                               ;   in Loop: Header=BB288_15 Depth=1
	v_and_b32_e32 v76, 0xffff0000, v81
	s_mov_b32 s3, 0
.LBB288_21:                             ;   in Loop: Header=BB288_15 Depth=1
	v_mov_b32_e32 v77, 0
	v_mov_b32_e32 v78, 0
	s_andn2_b32 vcc_lo, exec_lo, s3
	s_cbranch_vccnz .LBB288_14
; %bb.22:                               ;   in Loop: Header=BB288_15 Depth=1
	v_add_co_u32 v76, vcc_lo, v74, v28
	v_add_co_ci_u32_e64 v77, null, 0, v75, vcc_lo
	v_add_co_u32 v82, vcc_lo, v68, v28
	v_add_co_ci_u32_e64 v83, null, 0, v69, vcc_lo
	global_load_ushort v78, v[76:77], off offset:24
	v_add_co_u32 v76, vcc_lo, v72, v28
	v_add_co_ci_u32_e64 v77, null, 0, v73, vcc_lo
	global_load_ushort v82, v[82:83], off offset:24
	global_load_ushort v83, v[76:77], off offset:24
	s_waitcnt vmcnt(2)
	v_mul_f16_e32 v76, v27, v78
	v_bfi_b32 v76, 0xffff, v76, v81
	s_waitcnt vmcnt(1)
	v_mul_f16_e32 v77, v27, v82
	s_waitcnt vmcnt(0)
	v_mul_f16_e32 v78, v27, v83
	s_branch .LBB288_14
.LBB288_23:
	v_add_nc_u32_e32 v18, 0x800, v30
	s_load_dwordx2 s[2:3], s[4:5], 0x78
	v_cmp_neq_f16_e64 s0, 0, v26
	ds_read2_b64 v[2:5], v29 offset0:128 offset1:160
	ds_read2_b64 v[6:9], v29 offset0:192 offset1:224
	ds_read2_b64 v[10:13], v18 offset0:112 offset1:120
	ds_read2_b64 v[14:17], v18 offset0:64 offset1:72
	s_clause 0x1
	s_load_dword s6, s[4:5], 0x58
	s_load_dword s7, s[4:5], 0x70
	ds_read2_b64 v[27:30], v18 offset0:80 offset1:88
	v_add_nc_u32_e32 v1, s14, v1
	s_mov_b64 s[4:5], 15
	s_waitcnt lgkmcnt(0)
	v_pk_max_f16 v2, v2, v2
	v_pk_max_f16 v4, v4, v4
	;; [unrolled: 1-line block ×9, first 2 shown]
	v_pk_min_f16 v22, v14, v2
	v_pk_min_f16 v23, v14, v4
	;; [unrolled: 1-line block ×5, first 2 shown]
	v_pk_add_f16 v22, v38, v22
	v_pk_add_f16 v23, v39, v23
	v_pk_add_f16 v24, v40, v24
	v_pk_add_f16 v14, v41, v14
	ds_read2_b64 v[38:41], v18 offset0:96 offset1:104
	v_pk_min_f16 v20, v12, v4
	v_pk_min_f16 v21, v12, v6
	;; [unrolled: 1-line block ×4, first 2 shown]
	v_pk_add_f16 v19, v32, v19
	v_pk_add_f16 v20, v33, v20
	;; [unrolled: 1-line block ×3, first 2 shown]
	v_pk_min_f16 v31, v16, v6
	v_pk_add_f16 v32, v36, v18
	v_pk_min_f16 v18, v27, v2
	v_pk_min_f16 v33, v27, v4
	;; [unrolled: 1-line block ×4, first 2 shown]
	v_pk_add_f16 v25, v35, v25
	v_pk_add_f16 v31, v37, v31
	;; [unrolled: 1-line block ×3, first 2 shown]
	v_pk_min_f16 v18, v29, v2
	v_pk_add_f16 v36, v46, v27
	v_pk_min_f16 v27, v29, v4
	s_waitcnt lgkmcnt(0)
	v_pk_max_f16 v37, v38, v38
	v_pk_min_f16 v38, v29, v6
	v_pk_min_f16 v29, v29, v8
	;; [unrolled: 1-line block ×3, first 2 shown]
	v_pk_add_f16 v33, v44, v33
	v_pk_add_f16 v43, v50, v27
	v_pk_min_f16 v27, v37, v4
	v_pk_add_f16 v44, v48, v29
	v_pk_max_f16 v29, v40, v40
	v_pk_add_f16 v16, v42, v16
	v_pk_add_f16 v34, v45, v34
	;; [unrolled: 1-line block ×3, first 2 shown]
	v_pk_min_f16 v18, v37, v2
	v_pk_add_f16 v45, v54, v27
	v_pk_min_f16 v27, v29, v2
	v_pk_max_f16 v10, v10, v10
	v_pk_max_f16 v3, v3, v3
	v_pk_add_f16 v40, v56, v18
	v_pk_min_f16 v18, v37, v6
	v_pk_add_f16 v49, v61, v27
	v_pk_min_f16 v27, v29, v8
	v_pk_max_f16 v13, v13, v13
	v_pk_max_f16 v5, v5, v5
	;; [unrolled: 1-line block ×3, first 2 shown]
	v_pk_add_f16 v38, v47, v38
	v_pk_min_f16 v37, v37, v8
	v_pk_min_f16 v46, v29, v4
	v_pk_add_f16 v47, v51, v18
	v_pk_min_f16 v18, v29, v6
	v_pk_min_f16 v2, v10, v2
	v_pk_min_f16 v4, v10, v4
	v_pk_min_f16 v6, v10, v6
	v_pk_add_f16 v51, v58, v27
	v_pk_min_f16 v10, v10, v8
	v_pk_min_f16 v8, v12, v8
	;; [unrolled: 1-line block ×5, first 2 shown]
	v_pk_max_f16 v15, v15, v15
	v_pk_max_f16 v9, v9, v9
	v_pk_add_f16 v50, v57, v18
	v_pk_add_f16 v18, v19, v12
	;; [unrolled: 1-line block ×4, first 2 shown]
	v_pk_min_f16 v12, v15, v3
	v_pk_min_f16 v27, v15, v5
	;; [unrolled: 1-line block ×4, first 2 shown]
	v_pk_max_f16 v17, v17, v17
	v_pk_add_f16 v48, v52, v37
	v_pk_add_f16 v21, v22, v12
	;; [unrolled: 1-line block ×5, first 2 shown]
	v_pk_min_f16 v12, v17, v3
	v_pk_min_f16 v14, v17, v5
	;; [unrolled: 1-line block ×4, first 2 shown]
	v_pk_max_f16 v37, v28, v28
	v_pk_add_f16 v25, v25, v12
	v_pk_add_f16 v27, v32, v14
	;; [unrolled: 1-line block ×4, first 2 shown]
	v_pk_min_f16 v12, v37, v3
	v_pk_min_f16 v14, v37, v5
	;; [unrolled: 1-line block ×4, first 2 shown]
	v_pk_max_f16 v17, v30, v30
	v_pk_add_f16 v30, v35, v12
	v_pk_add_f16 v31, v33, v14
	;; [unrolled: 1-line block ×4, first 2 shown]
	v_pk_min_f16 v12, v17, v3
	v_pk_min_f16 v14, v17, v5
	;; [unrolled: 1-line block ×4, first 2 shown]
	v_pk_max_f16 v17, v39, v39
	v_pk_add_f16 v34, v42, v12
	v_pk_add_f16 v35, v43, v14
	v_pk_max_f16 v11, v11, v11
	v_pk_add_f16 v37, v44, v16
	v_pk_min_f16 v12, v17, v3
	v_pk_min_f16 v14, v17, v5
	v_pk_max_f16 v16, v41, v41
	v_pk_add_f16 v46, v62, v46
	v_pk_add_f16 v2, v65, v2
	v_pk_add_f16 v4, v66, v4
	v_pk_add_f16 v36, v38, v15
	v_pk_min_f16 v15, v17, v7
	v_pk_add_f16 v38, v40, v12
	v_pk_add_f16 v39, v45, v14
	v_pk_min_f16 v12, v16, v3
	v_pk_min_f16 v14, v16, v5
	;; [unrolled: 1-line block ×4, first 2 shown]
	v_pk_add_f16 v6, v67, v6
	v_pk_add_f16 v10, v60, v10
	;; [unrolled: 1-line block ×3, first 2 shown]
	v_pk_min_f16 v17, v17, v9
	v_pk_add_f16 v40, v47, v15
	v_pk_min_f16 v15, v16, v7
	v_pk_add_f16 v42, v49, v12
	;; [unrolled: 2-line block ×3, first 2 shown]
	v_pk_add_f16 v46, v2, v3
	v_pk_min_f16 v3, v11, v7
	v_add_nc_u32_e32 v2, s15, v0
	v_pk_add_f16 v0, v4, v5
	v_pk_min_f16 v5, v11, v9
	v_pk_min_f16 v7, v13, v9
	v_pk_add_f16 v41, v48, v17
	v_pk_add_f16 v45, v51, v12
	;; [unrolled: 1-line block ×3, first 2 shown]
	v_add_nc_u32_e32 v4, 8, v2
	v_add_nc_u32_e32 v6, 16, v2
	v_pk_add_f16 v48, v10, v5
	v_pk_add_f16 v49, v8, v7
	v_add_nc_u32_e32 v8, 24, v2
	v_add_nc_u32_e32 v10, 32, v2
	;; [unrolled: 1-line block ×5, first 2 shown]
	v_pk_add_f16 v44, v50, v15
	v_ashrrev_i32_e32 v3, 31, v2
	v_ashrrev_i32_e32 v5, 31, v4
	v_ashrrev_i32_e32 v7, 31, v6
	v_ashrrev_i32_e32 v9, 31, v8
	v_ashrrev_i32_e32 v11, 31, v10
	v_ashrrev_i32_e32 v13, 31, v12
	v_ashrrev_i32_e32 v15, 31, v14
	v_ashrrev_i32_e32 v17, 31, v16
	s_mul_i32 s1, s3, s20
	s_mul_hi_u32 s3, s2, s20
	s_mul_i32 s2, s2, s20
	s_add_i32 s3, s3, s1
	v_lshlrev_b64 v[2:3], 1, v[2:3]
	v_lshlrev_b64 v[4:5], 1, v[4:5]
	;; [unrolled: 1-line block ×8, first 2 shown]
	s_lshl_b64 s[2:3], s[2:3], 1
	s_add_u32 s10, s10, s2
	s_addc_u32 s3, s11, s3
	s_branch .LBB288_25
.LBB288_24:                             ;   in Loop: Header=BB288_25 Depth=1
	s_add_i32 s1, s4, -1
	v_add_nc_u32_e32 v1, 32, v1
	s_cmp_eq_u32 s1, 1
	s_cselect_b32 vcc_lo, -1, 0
	s_cmp_eq_u32 s1, 2
	v_cndmask_b32_e32 v82, v21, v50, vcc_lo
	s_cselect_b32 vcc_lo, -1, 0
	s_cmp_eq_u32 s1, 3
	v_cndmask_b32_e32 v82, v82, v25, vcc_lo
	;; [unrolled: 3-line block ×62, first 2 shown]
	s_cselect_b32 vcc_lo, -1, 0
	s_cmp_eq_u32 s4, 1
	s_cselect_b32 s1, -1, 0
	s_cmp_eq_u32 s4, 2
	v_cndmask_b32_e64 v50, v21, v50, s1
	s_cselect_b32 s1, -1, 0
	s_cmp_eq_u32 s4, 3
	v_cndmask_b32_e64 v50, v50, v25, s1
	;; [unrolled: 3-line block ×3, first 2 shown]
	s_cselect_b32 s1, -1, 0
	s_cmp_eq_u32 s4, 5
	v_cndmask_b32_e32 v51, v82, v81, vcc_lo
	v_cndmask_b32_e64 v50, v50, v30, s1
	s_cselect_b32 s1, -1, 0
	s_cmp_eq_u32 s4, 6
	v_cndmask_b32_e64 v50, v50, v52, s1
	s_cselect_b32 s1, -1, 0
	s_cmp_eq_u32 s4, 7
	;; [unrolled: 3-line block ×58, first 2 shown]
	s_cselect_b32 vcc_lo, -1, 0
	v_cndmask_b32_e64 v50, v50, v49, s1
	s_add_u32 s4, s4, 16
	s_addc_u32 s5, s5, 0
	s_cmpk_lg_i32 s4, 0x4f
	v_cndmask_b32_e32 v50, v50, v81, vcc_lo
	v_add_f16_e32 v52, v51, v50
	v_add_co_u32 v50, vcc_lo, v84, v16
	v_add_co_ci_u32_e64 v51, null, v85, v17, vcc_lo
	v_add_f16_e32 v52, v52, v86
	global_store_short v[50:51], v52, off
	s_cbranch_scc0 .LBB288_41
.LBB288_25:                             ; =>This Inner Loop Header: Depth=1
	v_mad_i64_i32 v[50:51], null, v1, s6, 0
	v_cndmask_b32_e64 v52, 0, 1, s0
	v_mov_b32_e32 v86, 0
	v_mov_b32_e32 v87, 0
	v_cmp_ne_u32_e64 s1, 1, v52
	v_lshlrev_b64 v[50:51], 1, v[50:51]
	v_add_co_u32 v82, vcc_lo, s8, v50
	v_add_co_ci_u32_e64 v83, null, s9, v51, vcc_lo
	s_andn2_b32 vcc_lo, exec_lo, s0
	s_cbranch_vccnz .LBB288_27
; %bb.26:                               ;   in Loop: Header=BB288_25 Depth=1
	v_add_co_u32 v50, vcc_lo, v82, v2
	v_add_co_ci_u32_e64 v51, null, v83, v3, vcc_lo
	global_load_ushort v50, v[50:51], off
	s_waitcnt vmcnt(0)
	v_mul_f16_e32 v87, v26, v50
.LBB288_27:                             ;   in Loop: Header=BB288_25 Depth=1
	s_add_i32 s2, s4, -15
	v_lshrrev_b32_e32 v50, 16, v21
	s_cmp_eq_u32 s2, 1
	v_lshrrev_b32_e32 v51, 16, v25
	s_cselect_b32 vcc_lo, -1, 0
	s_cmp_eq_u32 s2, 2
	v_cndmask_b32_e32 v52, v21, v50, vcc_lo
	s_cselect_b32 vcc_lo, -1, 0
	s_cmp_eq_u32 s2, 3
	v_cndmask_b32_e32 v52, v52, v25, vcc_lo
	;; [unrolled: 3-line block ×3, first 2 shown]
	s_cselect_b32 vcc_lo, -1, 0
	v_lshrrev_b32_e32 v52, 16, v30
	s_cmp_eq_u32 s2, 5
	v_cndmask_b32_e32 v53, v53, v30, vcc_lo
	s_cselect_b32 vcc_lo, -1, 0
	s_cmp_eq_u32 s2, 6
	v_cndmask_b32_e32 v54, v53, v52, vcc_lo
	s_cselect_b32 vcc_lo, -1, 0
	v_lshrrev_b32_e32 v53, 16, v34
	s_cmp_eq_u32 s2, 7
	v_cndmask_b32_e32 v54, v54, v34, vcc_lo
	s_cselect_b32 vcc_lo, -1, 0
	s_cmp_eq_u32 s2, 8
	v_cndmask_b32_e32 v55, v54, v53, vcc_lo
	;; [unrolled: 7-line block ×29, first 2 shown]
	s_cselect_b32 vcc_lo, -1, 0
	s_cmp_eq_u32 s2, 63
	v_lshrrev_b32_e32 v81, 16, v49
	v_cndmask_b32_e32 v88, v84, v49, vcc_lo
	s_cselect_b32 vcc_lo, -1, 0
	s_add_i32 s11, s4, -14
	s_cmp_eq_u32 s11, 1
	v_cndmask_b32_e32 v88, v88, v81, vcc_lo
	s_cselect_b32 s2, -1, 0
	s_cmp_eq_u32 s11, 2
	v_cndmask_b32_e64 v84, v21, v50, s2
	s_cselect_b32 s2, -1, 0
	s_cmp_eq_u32 s11, 3
	v_cndmask_b32_e64 v84, v84, v25, s2
	s_cselect_b32 s2, -1, 0
	s_cmp_eq_u32 s11, 4
	v_cndmask_b32_e64 v84, v84, v51, s2
	s_cselect_b32 s2, -1, 0
	s_cmp_eq_u32 s11, 5
	v_cndmask_b32_e64 v84, v84, v30, s2
	s_cselect_b32 s2, -1, 0
	s_cmp_eq_u32 s11, 6
	v_cndmask_b32_e64 v84, v84, v52, s2
	s_cselect_b32 s2, -1, 0
	s_cmp_eq_u32 s11, 7
	v_cndmask_b32_e64 v84, v84, v34, s2
	s_cselect_b32 s2, -1, 0
	s_cmp_eq_u32 s11, 8
	v_cndmask_b32_e64 v84, v84, v53, s2
	s_cselect_b32 s2, -1, 0
	s_cmp_eq_u32 s11, 9
	v_cndmask_b32_e64 v84, v84, v38, s2
	s_cselect_b32 s2, -1, 0
	s_cmp_eq_u32 s11, 10
	v_cndmask_b32_e64 v84, v84, v54, s2
	s_cselect_b32 s2, -1, 0
	s_cmp_eq_u32 s11, 11
	v_cndmask_b32_e64 v84, v84, v42, s2
	s_cselect_b32 s2, -1, 0
	s_cmp_eq_u32 s11, 12
	v_cndmask_b32_e64 v84, v84, v55, s2
	s_cselect_b32 s2, -1, 0
	s_cmp_eq_u32 s11, 13
	v_cndmask_b32_e64 v84, v84, v46, s2
	s_cselect_b32 s2, -1, 0
	s_cmp_eq_u32 s11, 14
	v_cndmask_b32_e64 v84, v84, v56, s2
	s_cselect_b32 s2, -1, 0
	s_cmp_eq_u32 s11, 15
	v_cndmask_b32_e64 v84, v84, v18, s2
	s_cselect_b32 s2, -1, 0
	s_cmp_eq_u32 s11, 16
	v_cndmask_b32_e64 v84, v84, v57, s2
	s_cselect_b32 s2, -1, 0
	s_cmp_eq_u32 s11, 17
	v_cndmask_b32_e64 v84, v84, v22, s2
	s_cselect_b32 s2, -1, 0
	s_cmp_eq_u32 s11, 18
	v_cndmask_b32_e64 v84, v84, v58, s2
	s_cselect_b32 s2, -1, 0
	s_cmp_eq_u32 s11, 19
	v_cndmask_b32_e64 v84, v84, v27, s2
	s_cselect_b32 s2, -1, 0
	s_cmp_eq_u32 s11, 20
	v_cndmask_b32_e64 v84, v84, v59, s2
	s_cselect_b32 s2, -1, 0
	s_cmp_eq_u32 s11, 21
	v_cndmask_b32_e64 v84, v84, v31, s2
	s_cselect_b32 s2, -1, 0
	s_cmp_eq_u32 s11, 22
	v_cndmask_b32_e64 v84, v84, v60, s2
	s_cselect_b32 s2, -1, 0
	s_cmp_eq_u32 s11, 23
	v_cndmask_b32_e64 v84, v84, v35, s2
	s_cselect_b32 s2, -1, 0
	s_cmp_eq_u32 s11, 24
	v_cndmask_b32_e64 v84, v84, v61, s2
	s_cselect_b32 s2, -1, 0
	s_cmp_eq_u32 s11, 25
	v_cndmask_b32_e64 v84, v84, v39, s2
	s_cselect_b32 s2, -1, 0
	s_cmp_eq_u32 s11, 26
	v_cndmask_b32_e64 v84, v84, v62, s2
	s_cselect_b32 s2, -1, 0
	s_cmp_eq_u32 s11, 27
	v_cndmask_b32_e64 v84, v84, v43, s2
	s_cselect_b32 s2, -1, 0
	s_cmp_eq_u32 s11, 28
	v_cndmask_b32_e64 v84, v84, v63, s2
	s_cselect_b32 s2, -1, 0
	s_cmp_eq_u32 s11, 29
	v_cndmask_b32_e64 v84, v84, v0, s2
	s_cselect_b32 s2, -1, 0
	s_cmp_eq_u32 s11, 30
	v_cndmask_b32_e64 v84, v84, v64, s2
	s_cselect_b32 s2, -1, 0
	s_cmp_eq_u32 s11, 31
	v_cndmask_b32_e64 v84, v84, v19, s2
	s_cselect_b32 s2, -1, 0
	s_cmp_eq_u32 s11, 32
	v_cndmask_b32_e64 v84, v84, v65, s2
	s_cselect_b32 s2, -1, 0
	s_cmp_eq_u32 s11, 33
	v_cndmask_b32_e64 v84, v84, v23, s2
	s_cselect_b32 s2, -1, 0
	s_cmp_eq_u32 s11, 34
	v_cndmask_b32_e64 v84, v84, v66, s2
	s_cselect_b32 s2, -1, 0
	s_cmp_eq_u32 s11, 35
	v_cndmask_b32_e64 v84, v84, v28, s2
	s_cselect_b32 s2, -1, 0
	s_cmp_eq_u32 s11, 36
	v_cndmask_b32_e64 v84, v84, v67, s2
	s_cselect_b32 s2, -1, 0
	s_cmp_eq_u32 s11, 37
	v_cndmask_b32_e64 v84, v84, v32, s2
	s_cselect_b32 s2, -1, 0
	s_cmp_eq_u32 s11, 38
	v_cndmask_b32_e64 v84, v84, v68, s2
	s_cselect_b32 s2, -1, 0
	s_cmp_eq_u32 s11, 39
	v_cndmask_b32_e64 v84, v84, v36, s2
	s_cselect_b32 s2, -1, 0
	s_cmp_eq_u32 s11, 40
	v_cndmask_b32_e64 v84, v84, v69, s2
	s_cselect_b32 s2, -1, 0
	s_cmp_eq_u32 s11, 41
	v_cndmask_b32_e64 v84, v84, v40, s2
	s_cselect_b32 s2, -1, 0
	s_cmp_eq_u32 s11, 42
	v_cndmask_b32_e64 v84, v84, v70, s2
	s_cselect_b32 s2, -1, 0
	s_cmp_eq_u32 s11, 43
	v_cndmask_b32_e64 v84, v84, v44, s2
	s_cselect_b32 s2, -1, 0
	s_cmp_eq_u32 s11, 44
	v_cndmask_b32_e64 v84, v84, v71, s2
	s_cselect_b32 s2, -1, 0
	s_cmp_eq_u32 s11, 45
	v_cndmask_b32_e64 v84, v84, v47, s2
	s_cselect_b32 s2, -1, 0
	s_cmp_eq_u32 s11, 46
	v_cndmask_b32_e64 v84, v84, v72, s2
	s_cselect_b32 s2, -1, 0
	s_cmp_eq_u32 s11, 47
	v_cndmask_b32_e64 v84, v84, v20, s2
	s_cselect_b32 s2, -1, 0
	s_cmp_eq_u32 s11, 48
	v_cndmask_b32_e64 v84, v84, v73, s2
	s_cselect_b32 s2, -1, 0
	s_cmp_eq_u32 s11, 49
	v_cndmask_b32_e64 v84, v84, v24, s2
	s_cselect_b32 s2, -1, 0
	s_cmp_eq_u32 s11, 50
	v_cndmask_b32_e64 v84, v84, v74, s2
	s_cselect_b32 s2, -1, 0
	s_cmp_eq_u32 s11, 51
	v_cndmask_b32_e64 v84, v84, v29, s2
	s_cselect_b32 s2, -1, 0
	s_cmp_eq_u32 s11, 52
	v_cndmask_b32_e64 v84, v84, v75, s2
	s_cselect_b32 s2, -1, 0
	s_cmp_eq_u32 s11, 53
	v_cndmask_b32_e64 v84, v84, v33, s2
	s_cselect_b32 s2, -1, 0
	s_cmp_eq_u32 s11, 54
	v_cndmask_b32_e64 v84, v84, v76, s2
	s_cselect_b32 s2, -1, 0
	s_cmp_eq_u32 s11, 55
	v_cndmask_b32_e64 v84, v84, v37, s2
	s_cselect_b32 s2, -1, 0
	s_cmp_eq_u32 s11, 56
	v_cndmask_b32_e64 v84, v84, v77, s2
	s_cselect_b32 s2, -1, 0
	s_cmp_eq_u32 s11, 57
	v_cndmask_b32_e64 v84, v84, v41, s2
	s_cselect_b32 s2, -1, 0
	s_cmp_eq_u32 s11, 58
	v_cndmask_b32_e64 v84, v84, v78, s2
	s_cselect_b32 s2, -1, 0
	s_cmp_eq_u32 s11, 59
	v_cndmask_b32_e64 v84, v84, v45, s2
	s_cselect_b32 s2, -1, 0
	s_cmp_eq_u32 s11, 60
	v_cndmask_b32_e64 v84, v84, v79, s2
	s_cselect_b32 s2, -1, 0
	s_cmp_eq_u32 s11, 61
	v_cndmask_b32_e64 v84, v84, v48, s2
	s_cselect_b32 s2, -1, 0
	s_cmp_eq_u32 s11, 62
	v_cndmask_b32_e64 v89, v84, v80, s2
	v_mad_i64_i32 v[84:85], null, v1, s7, 0
	s_cselect_b32 s2, -1, 0
	s_cmp_eq_u32 s11, 63
	v_cndmask_b32_e64 v89, v89, v49, s2
	s_cselect_b32 vcc_lo, -1, 0
	v_lshlrev_b64 v[84:85], 1, v[84:85]
	v_cndmask_b32_e32 v89, v89, v81, vcc_lo
	v_add_co_u32 v84, vcc_lo, s10, v84
	v_add_f16_e32 v88, v88, v89
	v_add_co_ci_u32_e64 v85, null, s3, v85, vcc_lo
	v_add_f16_e32 v89, v88, v87
	v_add_co_u32 v87, vcc_lo, v84, v2
	v_add_co_ci_u32_e64 v88, null, v85, v3, vcc_lo
	s_and_b32 vcc_lo, exec_lo, s1
	global_store_short v[87:88], v89, off
	s_cbranch_vccnz .LBB288_29
; %bb.28:                               ;   in Loop: Header=BB288_25 Depth=1
	v_add_co_u32 v86, vcc_lo, v82, v4
	v_add_co_ci_u32_e64 v87, null, v83, v5, vcc_lo
	global_load_ushort v86, v[86:87], off
	s_waitcnt vmcnt(0)
	v_mul_f16_e32 v86, v26, v86
.LBB288_29:                             ;   in Loop: Header=BB288_25 Depth=1
	s_add_i32 s2, s4, -13
	s_cmp_eq_u32 s2, 1
	s_cselect_b32 vcc_lo, -1, 0
	s_cmp_eq_u32 s2, 2
	v_cndmask_b32_e32 v87, v21, v50, vcc_lo
	s_cselect_b32 vcc_lo, -1, 0
	s_cmp_eq_u32 s2, 3
	v_cndmask_b32_e32 v87, v87, v25, vcc_lo
	;; [unrolled: 3-line block ×62, first 2 shown]
	s_cselect_b32 vcc_lo, -1, 0
	s_add_i32 s11, s4, -12
	s_cmp_eq_u32 s11, 1
	v_cndmask_b32_e32 v87, v87, v81, vcc_lo
	s_cselect_b32 s2, -1, 0
	s_cmp_eq_u32 s11, 2
	v_cndmask_b32_e64 v88, v21, v50, s2
	s_cselect_b32 s2, -1, 0
	s_cmp_eq_u32 s11, 3
	v_cndmask_b32_e64 v88, v88, v25, s2
	;; [unrolled: 3-line block ×61, first 2 shown]
	s_cselect_b32 s2, -1, 0
	s_cmp_eq_u32 s11, 63
	s_cselect_b32 vcc_lo, -1, 0
	v_cndmask_b32_e64 v88, v88, v49, s2
	v_cndmask_b32_e32 v88, v88, v81, vcc_lo
	v_add_f16_e32 v87, v87, v88
	v_add_co_u32 v88, vcc_lo, v84, v4
	v_add_co_ci_u32_e64 v89, null, v85, v5, vcc_lo
	v_add_f16_e32 v90, v87, v86
	v_mov_b32_e32 v86, 0
	v_mov_b32_e32 v87, 0
	s_and_b32 vcc_lo, exec_lo, s1
	global_store_short v[88:89], v90, off
	s_cbranch_vccnz .LBB288_31
; %bb.30:                               ;   in Loop: Header=BB288_25 Depth=1
	v_add_co_u32 v87, vcc_lo, v82, v6
	v_add_co_ci_u32_e64 v88, null, v83, v7, vcc_lo
	global_load_ushort v87, v[87:88], off
	s_waitcnt vmcnt(0)
	v_mul_f16_e32 v87, v26, v87
.LBB288_31:                             ;   in Loop: Header=BB288_25 Depth=1
	s_add_i32 s2, s4, -11
	s_cmp_eq_u32 s2, 1
	s_cselect_b32 vcc_lo, -1, 0
	s_cmp_eq_u32 s2, 2
	v_cndmask_b32_e32 v88, v21, v50, vcc_lo
	s_cselect_b32 vcc_lo, -1, 0
	s_cmp_eq_u32 s2, 3
	v_cndmask_b32_e32 v88, v88, v25, vcc_lo
	s_cselect_b32 vcc_lo, -1, 0
	s_cmp_eq_u32 s2, 4
	v_cndmask_b32_e32 v88, v88, v51, vcc_lo
	s_cselect_b32 vcc_lo, -1, 0
	s_cmp_eq_u32 s2, 5
	v_cndmask_b32_e32 v88, v88, v30, vcc_lo
	s_cselect_b32 vcc_lo, -1, 0
	s_cmp_eq_u32 s2, 6
	v_cndmask_b32_e32 v88, v88, v52, vcc_lo
	s_cselect_b32 vcc_lo, -1, 0
	s_cmp_eq_u32 s2, 7
	v_cndmask_b32_e32 v88, v88, v34, vcc_lo
	s_cselect_b32 vcc_lo, -1, 0
	s_cmp_eq_u32 s2, 8
	v_cndmask_b32_e32 v88, v88, v53, vcc_lo
	s_cselect_b32 vcc_lo, -1, 0
	s_cmp_eq_u32 s2, 9
	v_cndmask_b32_e32 v88, v88, v38, vcc_lo
	s_cselect_b32 vcc_lo, -1, 0
	s_cmp_eq_u32 s2, 10
	v_cndmask_b32_e32 v88, v88, v54, vcc_lo
	s_cselect_b32 vcc_lo, -1, 0
	s_cmp_eq_u32 s2, 11
	v_cndmask_b32_e32 v88, v88, v42, vcc_lo
	s_cselect_b32 vcc_lo, -1, 0
	s_cmp_eq_u32 s2, 12
	v_cndmask_b32_e32 v88, v88, v55, vcc_lo
	s_cselect_b32 vcc_lo, -1, 0
	s_cmp_eq_u32 s2, 13
	v_cndmask_b32_e32 v88, v88, v46, vcc_lo
	s_cselect_b32 vcc_lo, -1, 0
	s_cmp_eq_u32 s2, 14
	v_cndmask_b32_e32 v88, v88, v56, vcc_lo
	s_cselect_b32 vcc_lo, -1, 0
	s_cmp_eq_u32 s2, 15
	v_cndmask_b32_e32 v88, v88, v18, vcc_lo
	s_cselect_b32 vcc_lo, -1, 0
	s_cmp_eq_u32 s2, 16
	v_cndmask_b32_e32 v88, v88, v57, vcc_lo
	s_cselect_b32 vcc_lo, -1, 0
	s_cmp_eq_u32 s2, 17
	v_cndmask_b32_e32 v88, v88, v22, vcc_lo
	s_cselect_b32 vcc_lo, -1, 0
	s_cmp_eq_u32 s2, 18
	v_cndmask_b32_e32 v88, v88, v58, vcc_lo
	s_cselect_b32 vcc_lo, -1, 0
	s_cmp_eq_u32 s2, 19
	v_cndmask_b32_e32 v88, v88, v27, vcc_lo
	s_cselect_b32 vcc_lo, -1, 0
	s_cmp_eq_u32 s2, 20
	v_cndmask_b32_e32 v88, v88, v59, vcc_lo
	s_cselect_b32 vcc_lo, -1, 0
	s_cmp_eq_u32 s2, 21
	v_cndmask_b32_e32 v88, v88, v31, vcc_lo
	s_cselect_b32 vcc_lo, -1, 0
	s_cmp_eq_u32 s2, 22
	v_cndmask_b32_e32 v88, v88, v60, vcc_lo
	s_cselect_b32 vcc_lo, -1, 0
	s_cmp_eq_u32 s2, 23
	v_cndmask_b32_e32 v88, v88, v35, vcc_lo
	s_cselect_b32 vcc_lo, -1, 0
	s_cmp_eq_u32 s2, 24
	v_cndmask_b32_e32 v88, v88, v61, vcc_lo
	s_cselect_b32 vcc_lo, -1, 0
	s_cmp_eq_u32 s2, 25
	v_cndmask_b32_e32 v88, v88, v39, vcc_lo
	s_cselect_b32 vcc_lo, -1, 0
	s_cmp_eq_u32 s2, 26
	v_cndmask_b32_e32 v88, v88, v62, vcc_lo
	s_cselect_b32 vcc_lo, -1, 0
	s_cmp_eq_u32 s2, 27
	v_cndmask_b32_e32 v88, v88, v43, vcc_lo
	s_cselect_b32 vcc_lo, -1, 0
	s_cmp_eq_u32 s2, 28
	v_cndmask_b32_e32 v88, v88, v63, vcc_lo
	s_cselect_b32 vcc_lo, -1, 0
	s_cmp_eq_u32 s2, 29
	v_cndmask_b32_e32 v88, v88, v0, vcc_lo
	s_cselect_b32 vcc_lo, -1, 0
	s_cmp_eq_u32 s2, 30
	v_cndmask_b32_e32 v88, v88, v64, vcc_lo
	s_cselect_b32 vcc_lo, -1, 0
	s_cmp_eq_u32 s2, 31
	v_cndmask_b32_e32 v88, v88, v19, vcc_lo
	s_cselect_b32 vcc_lo, -1, 0
	s_cmp_eq_u32 s2, 32
	v_cndmask_b32_e32 v88, v88, v65, vcc_lo
	s_cselect_b32 vcc_lo, -1, 0
	s_cmp_eq_u32 s2, 33
	v_cndmask_b32_e32 v88, v88, v23, vcc_lo
	s_cselect_b32 vcc_lo, -1, 0
	s_cmp_eq_u32 s2, 34
	v_cndmask_b32_e32 v88, v88, v66, vcc_lo
	s_cselect_b32 vcc_lo, -1, 0
	s_cmp_eq_u32 s2, 35
	v_cndmask_b32_e32 v88, v88, v28, vcc_lo
	s_cselect_b32 vcc_lo, -1, 0
	s_cmp_eq_u32 s2, 36
	v_cndmask_b32_e32 v88, v88, v67, vcc_lo
	s_cselect_b32 vcc_lo, -1, 0
	s_cmp_eq_u32 s2, 37
	v_cndmask_b32_e32 v88, v88, v32, vcc_lo
	s_cselect_b32 vcc_lo, -1, 0
	s_cmp_eq_u32 s2, 38
	v_cndmask_b32_e32 v88, v88, v68, vcc_lo
	s_cselect_b32 vcc_lo, -1, 0
	s_cmp_eq_u32 s2, 39
	v_cndmask_b32_e32 v88, v88, v36, vcc_lo
	s_cselect_b32 vcc_lo, -1, 0
	s_cmp_eq_u32 s2, 40
	v_cndmask_b32_e32 v88, v88, v69, vcc_lo
	s_cselect_b32 vcc_lo, -1, 0
	s_cmp_eq_u32 s2, 41
	v_cndmask_b32_e32 v88, v88, v40, vcc_lo
	s_cselect_b32 vcc_lo, -1, 0
	s_cmp_eq_u32 s2, 42
	v_cndmask_b32_e32 v88, v88, v70, vcc_lo
	s_cselect_b32 vcc_lo, -1, 0
	s_cmp_eq_u32 s2, 43
	v_cndmask_b32_e32 v88, v88, v44, vcc_lo
	s_cselect_b32 vcc_lo, -1, 0
	s_cmp_eq_u32 s2, 44
	v_cndmask_b32_e32 v88, v88, v71, vcc_lo
	s_cselect_b32 vcc_lo, -1, 0
	s_cmp_eq_u32 s2, 45
	v_cndmask_b32_e32 v88, v88, v47, vcc_lo
	s_cselect_b32 vcc_lo, -1, 0
	s_cmp_eq_u32 s2, 46
	v_cndmask_b32_e32 v88, v88, v72, vcc_lo
	s_cselect_b32 vcc_lo, -1, 0
	s_cmp_eq_u32 s2, 47
	v_cndmask_b32_e32 v88, v88, v20, vcc_lo
	s_cselect_b32 vcc_lo, -1, 0
	s_cmp_eq_u32 s2, 48
	v_cndmask_b32_e32 v88, v88, v73, vcc_lo
	s_cselect_b32 vcc_lo, -1, 0
	s_cmp_eq_u32 s2, 49
	v_cndmask_b32_e32 v88, v88, v24, vcc_lo
	s_cselect_b32 vcc_lo, -1, 0
	s_cmp_eq_u32 s2, 50
	v_cndmask_b32_e32 v88, v88, v74, vcc_lo
	s_cselect_b32 vcc_lo, -1, 0
	s_cmp_eq_u32 s2, 51
	v_cndmask_b32_e32 v88, v88, v29, vcc_lo
	s_cselect_b32 vcc_lo, -1, 0
	s_cmp_eq_u32 s2, 52
	v_cndmask_b32_e32 v88, v88, v75, vcc_lo
	s_cselect_b32 vcc_lo, -1, 0
	s_cmp_eq_u32 s2, 53
	v_cndmask_b32_e32 v88, v88, v33, vcc_lo
	s_cselect_b32 vcc_lo, -1, 0
	s_cmp_eq_u32 s2, 54
	v_cndmask_b32_e32 v88, v88, v76, vcc_lo
	s_cselect_b32 vcc_lo, -1, 0
	s_cmp_eq_u32 s2, 55
	v_cndmask_b32_e32 v88, v88, v37, vcc_lo
	s_cselect_b32 vcc_lo, -1, 0
	s_cmp_eq_u32 s2, 56
	v_cndmask_b32_e32 v88, v88, v77, vcc_lo
	s_cselect_b32 vcc_lo, -1, 0
	s_cmp_eq_u32 s2, 57
	v_cndmask_b32_e32 v88, v88, v41, vcc_lo
	s_cselect_b32 vcc_lo, -1, 0
	s_cmp_eq_u32 s2, 58
	v_cndmask_b32_e32 v88, v88, v78, vcc_lo
	s_cselect_b32 vcc_lo, -1, 0
	s_cmp_eq_u32 s2, 59
	v_cndmask_b32_e32 v88, v88, v45, vcc_lo
	s_cselect_b32 vcc_lo, -1, 0
	s_cmp_eq_u32 s2, 60
	v_cndmask_b32_e32 v88, v88, v79, vcc_lo
	s_cselect_b32 vcc_lo, -1, 0
	s_cmp_eq_u32 s2, 61
	v_cndmask_b32_e32 v88, v88, v48, vcc_lo
	s_cselect_b32 vcc_lo, -1, 0
	s_cmp_eq_u32 s2, 62
	v_cndmask_b32_e32 v88, v88, v80, vcc_lo
	s_cselect_b32 vcc_lo, -1, 0
	s_cmp_eq_u32 s2, 63
	v_cndmask_b32_e32 v88, v88, v49, vcc_lo
	s_cselect_b32 vcc_lo, -1, 0
	s_add_i32 s11, s4, -10
	s_cmp_eq_u32 s11, 1
	v_cndmask_b32_e32 v88, v88, v81, vcc_lo
	s_cselect_b32 s2, -1, 0
	s_cmp_eq_u32 s11, 2
	v_cndmask_b32_e64 v89, v21, v50, s2
	s_cselect_b32 s2, -1, 0
	s_cmp_eq_u32 s11, 3
	v_cndmask_b32_e64 v89, v89, v25, s2
	;; [unrolled: 3-line block ×61, first 2 shown]
	s_cselect_b32 s2, -1, 0
	s_cmp_eq_u32 s11, 63
	s_cselect_b32 vcc_lo, -1, 0
	v_cndmask_b32_e64 v89, v89, v49, s2
	v_cndmask_b32_e32 v89, v89, v81, vcc_lo
	v_add_f16_e32 v88, v88, v89
	v_add_f16_e32 v89, v88, v87
	v_add_co_u32 v87, vcc_lo, v84, v6
	v_add_co_ci_u32_e64 v88, null, v85, v7, vcc_lo
	s_and_b32 vcc_lo, exec_lo, s1
	global_store_short v[87:88], v89, off
	s_cbranch_vccnz .LBB288_33
; %bb.32:                               ;   in Loop: Header=BB288_25 Depth=1
	v_add_co_u32 v86, vcc_lo, v82, v8
	v_add_co_ci_u32_e64 v87, null, v83, v9, vcc_lo
	global_load_ushort v86, v[86:87], off
	s_waitcnt vmcnt(0)
	v_mul_f16_e32 v86, v26, v86
.LBB288_33:                             ;   in Loop: Header=BB288_25 Depth=1
	s_add_i32 s2, s4, -9
	s_cmp_eq_u32 s2, 1
	s_cselect_b32 vcc_lo, -1, 0
	s_cmp_eq_u32 s2, 2
	v_cndmask_b32_e32 v87, v21, v50, vcc_lo
	s_cselect_b32 vcc_lo, -1, 0
	s_cmp_eq_u32 s2, 3
	v_cndmask_b32_e32 v87, v87, v25, vcc_lo
	;; [unrolled: 3-line block ×62, first 2 shown]
	s_cselect_b32 vcc_lo, -1, 0
	s_add_i32 s11, s4, -8
	s_cmp_eq_u32 s11, 1
	v_cndmask_b32_e32 v87, v87, v81, vcc_lo
	s_cselect_b32 s2, -1, 0
	s_cmp_eq_u32 s11, 2
	v_cndmask_b32_e64 v88, v21, v50, s2
	s_cselect_b32 s2, -1, 0
	s_cmp_eq_u32 s11, 3
	v_cndmask_b32_e64 v88, v88, v25, s2
	;; [unrolled: 3-line block ×61, first 2 shown]
	s_cselect_b32 s2, -1, 0
	s_cmp_eq_u32 s11, 63
	s_cselect_b32 vcc_lo, -1, 0
	v_cndmask_b32_e64 v88, v88, v49, s2
	v_cndmask_b32_e32 v88, v88, v81, vcc_lo
	v_add_f16_e32 v87, v87, v88
	v_add_co_u32 v88, vcc_lo, v84, v8
	v_add_co_ci_u32_e64 v89, null, v85, v9, vcc_lo
	v_add_f16_e32 v90, v87, v86
	v_mov_b32_e32 v86, 0
	v_mov_b32_e32 v87, 0
	s_and_b32 vcc_lo, exec_lo, s1
	global_store_short v[88:89], v90, off
	s_cbranch_vccnz .LBB288_35
; %bb.34:                               ;   in Loop: Header=BB288_25 Depth=1
	v_add_co_u32 v87, vcc_lo, v82, v10
	v_add_co_ci_u32_e64 v88, null, v83, v11, vcc_lo
	global_load_ushort v87, v[87:88], off
	s_waitcnt vmcnt(0)
	v_mul_f16_e32 v87, v26, v87
.LBB288_35:                             ;   in Loop: Header=BB288_25 Depth=1
	s_add_i32 s2, s4, -7
	s_cmp_eq_u32 s2, 1
	s_cselect_b32 vcc_lo, -1, 0
	s_cmp_eq_u32 s2, 2
	v_cndmask_b32_e32 v88, v21, v50, vcc_lo
	s_cselect_b32 vcc_lo, -1, 0
	s_cmp_eq_u32 s2, 3
	v_cndmask_b32_e32 v88, v88, v25, vcc_lo
	;; [unrolled: 3-line block ×62, first 2 shown]
	s_cselect_b32 vcc_lo, -1, 0
	s_add_i32 s11, s4, -6
	s_cmp_eq_u32 s11, 1
	v_cndmask_b32_e32 v88, v88, v81, vcc_lo
	s_cselect_b32 s2, -1, 0
	s_cmp_eq_u32 s11, 2
	v_cndmask_b32_e64 v89, v21, v50, s2
	s_cselect_b32 s2, -1, 0
	s_cmp_eq_u32 s11, 3
	v_cndmask_b32_e64 v89, v89, v25, s2
	;; [unrolled: 3-line block ×61, first 2 shown]
	s_cselect_b32 s2, -1, 0
	s_cmp_eq_u32 s11, 63
	s_cselect_b32 vcc_lo, -1, 0
	v_cndmask_b32_e64 v89, v89, v49, s2
	v_cndmask_b32_e32 v89, v89, v81, vcc_lo
	v_add_f16_e32 v88, v88, v89
	v_add_f16_e32 v89, v88, v87
	v_add_co_u32 v87, vcc_lo, v84, v10
	v_add_co_ci_u32_e64 v88, null, v85, v11, vcc_lo
	s_and_b32 vcc_lo, exec_lo, s1
	global_store_short v[87:88], v89, off
	s_cbranch_vccnz .LBB288_37
; %bb.36:                               ;   in Loop: Header=BB288_25 Depth=1
	v_add_co_u32 v86, vcc_lo, v82, v12
	v_add_co_ci_u32_e64 v87, null, v83, v13, vcc_lo
	global_load_ushort v86, v[86:87], off
	s_waitcnt vmcnt(0)
	v_mul_f16_e32 v86, v26, v86
.LBB288_37:                             ;   in Loop: Header=BB288_25 Depth=1
	s_add_i32 s2, s4, -5
	s_cmp_eq_u32 s2, 1
	s_cselect_b32 vcc_lo, -1, 0
	s_cmp_eq_u32 s2, 2
	v_cndmask_b32_e32 v87, v21, v50, vcc_lo
	s_cselect_b32 vcc_lo, -1, 0
	s_cmp_eq_u32 s2, 3
	v_cndmask_b32_e32 v87, v87, v25, vcc_lo
	;; [unrolled: 3-line block ×62, first 2 shown]
	s_cselect_b32 vcc_lo, -1, 0
	s_add_i32 s11, s4, -4
	s_cmp_eq_u32 s11, 1
	v_cndmask_b32_e32 v87, v87, v81, vcc_lo
	s_cselect_b32 s2, -1, 0
	s_cmp_eq_u32 s11, 2
	v_cndmask_b32_e64 v88, v21, v50, s2
	s_cselect_b32 s2, -1, 0
	s_cmp_eq_u32 s11, 3
	v_cndmask_b32_e64 v88, v88, v25, s2
	;; [unrolled: 3-line block ×61, first 2 shown]
	s_cselect_b32 s2, -1, 0
	s_cmp_eq_u32 s11, 63
	s_cselect_b32 vcc_lo, -1, 0
	v_cndmask_b32_e64 v88, v88, v49, s2
	v_cndmask_b32_e32 v88, v88, v81, vcc_lo
	v_add_f16_e32 v87, v87, v88
	v_add_co_u32 v88, vcc_lo, v84, v12
	v_add_co_ci_u32_e64 v89, null, v85, v13, vcc_lo
	v_add_f16_e32 v90, v87, v86
	v_mov_b32_e32 v86, 0
	v_mov_b32_e32 v87, 0
	s_and_b32 vcc_lo, exec_lo, s1
	global_store_short v[88:89], v90, off
	s_cbranch_vccnz .LBB288_39
; %bb.38:                               ;   in Loop: Header=BB288_25 Depth=1
	v_add_co_u32 v87, vcc_lo, v82, v14
	v_add_co_ci_u32_e64 v88, null, v83, v15, vcc_lo
	global_load_ushort v87, v[87:88], off
	s_waitcnt vmcnt(0)
	v_mul_f16_e32 v87, v26, v87
.LBB288_39:                             ;   in Loop: Header=BB288_25 Depth=1
	s_add_i32 s2, s4, -3
	s_cmp_eq_u32 s2, 1
	s_cselect_b32 vcc_lo, -1, 0
	s_cmp_eq_u32 s2, 2
	v_cndmask_b32_e32 v88, v21, v50, vcc_lo
	s_cselect_b32 vcc_lo, -1, 0
	s_cmp_eq_u32 s2, 3
	v_cndmask_b32_e32 v88, v88, v25, vcc_lo
	;; [unrolled: 3-line block ×62, first 2 shown]
	s_cselect_b32 vcc_lo, -1, 0
	s_add_i32 s11, s4, -2
	s_cmp_eq_u32 s11, 1
	v_cndmask_b32_e32 v88, v88, v81, vcc_lo
	s_cselect_b32 s2, -1, 0
	s_cmp_eq_u32 s11, 2
	v_cndmask_b32_e64 v89, v21, v50, s2
	s_cselect_b32 s2, -1, 0
	s_cmp_eq_u32 s11, 3
	v_cndmask_b32_e64 v89, v89, v25, s2
	;; [unrolled: 3-line block ×61, first 2 shown]
	s_cselect_b32 s2, -1, 0
	s_cmp_eq_u32 s11, 63
	s_cselect_b32 vcc_lo, -1, 0
	v_cndmask_b32_e64 v89, v89, v49, s2
	v_cndmask_b32_e32 v89, v89, v81, vcc_lo
	v_add_f16_e32 v88, v88, v89
	v_add_f16_e32 v89, v88, v87
	v_add_co_u32 v87, vcc_lo, v84, v14
	v_add_co_ci_u32_e64 v88, null, v85, v15, vcc_lo
	s_and_b32 vcc_lo, exec_lo, s1
	global_store_short v[87:88], v89, off
	s_cbranch_vccnz .LBB288_24
; %bb.40:                               ;   in Loop: Header=BB288_25 Depth=1
	v_add_co_u32 v82, vcc_lo, v82, v16
	v_add_co_ci_u32_e64 v83, null, v83, v17, vcc_lo
	global_load_ushort v82, v[82:83], off
	s_waitcnt vmcnt(0)
	v_mul_f16_e32 v86, v26, v82
	s_branch .LBB288_24
.LBB288_41:
	s_endpgm
	.section	.rodata,"a",@progbits
	.p2align	6, 0x0
	.amdhsa_kernel _ZN12_GLOBAL__N_120geam_min_plus_kernelIDF16_Dv2_DF16_S1_Li8ELi32ELi64ELi128ELi4ELi4ELi64ELi4ELi64ELc84ELc78ELb0ELb0ELb0EPKDF16_S2_DF16_EEviiiT16_PT17_ilS6_ilS4_S6_ilPT18_ili26rocblas_geam_ex_operation_
		.amdhsa_group_segment_fixed_size 3072
		.amdhsa_private_segment_fixed_size 0
		.amdhsa_kernarg_size 136
		.amdhsa_user_sgpr_count 6
		.amdhsa_user_sgpr_private_segment_buffer 1
		.amdhsa_user_sgpr_dispatch_ptr 0
		.amdhsa_user_sgpr_queue_ptr 0
		.amdhsa_user_sgpr_kernarg_segment_ptr 1
		.amdhsa_user_sgpr_dispatch_id 0
		.amdhsa_user_sgpr_flat_scratch_init 0
		.amdhsa_user_sgpr_private_segment_size 0
		.amdhsa_wavefront_size32 1
		.amdhsa_uses_dynamic_stack 0
		.amdhsa_system_sgpr_private_segment_wavefront_offset 0
		.amdhsa_system_sgpr_workgroup_id_x 1
		.amdhsa_system_sgpr_workgroup_id_y 0
		.amdhsa_system_sgpr_workgroup_id_z 1
		.amdhsa_system_sgpr_workgroup_info 0
		.amdhsa_system_vgpr_workitem_id 1
		.amdhsa_next_free_vgpr 124
		.amdhsa_next_free_sgpr 26
		.amdhsa_reserve_vcc 1
		.amdhsa_reserve_flat_scratch 0
		.amdhsa_float_round_mode_32 0
		.amdhsa_float_round_mode_16_64 0
		.amdhsa_float_denorm_mode_32 3
		.amdhsa_float_denorm_mode_16_64 3
		.amdhsa_dx10_clamp 1
		.amdhsa_ieee_mode 1
		.amdhsa_fp16_overflow 0
		.amdhsa_workgroup_processor_mode 1
		.amdhsa_memory_ordered 1
		.amdhsa_forward_progress 1
		.amdhsa_shared_vgpr_count 0
		.amdhsa_exception_fp_ieee_invalid_op 0
		.amdhsa_exception_fp_denorm_src 0
		.amdhsa_exception_fp_ieee_div_zero 0
		.amdhsa_exception_fp_ieee_overflow 0
		.amdhsa_exception_fp_ieee_underflow 0
		.amdhsa_exception_fp_ieee_inexact 0
		.amdhsa_exception_int_div_zero 0
	.end_amdhsa_kernel
	.section	.text._ZN12_GLOBAL__N_120geam_min_plus_kernelIDF16_Dv2_DF16_S1_Li8ELi32ELi64ELi128ELi4ELi4ELi64ELi4ELi64ELc84ELc78ELb0ELb0ELb0EPKDF16_S2_DF16_EEviiiT16_PT17_ilS6_ilS4_S6_ilPT18_ili26rocblas_geam_ex_operation_,"axG",@progbits,_ZN12_GLOBAL__N_120geam_min_plus_kernelIDF16_Dv2_DF16_S1_Li8ELi32ELi64ELi128ELi4ELi4ELi64ELi4ELi64ELc84ELc78ELb0ELb0ELb0EPKDF16_S2_DF16_EEviiiT16_PT17_ilS6_ilS4_S6_ilPT18_ili26rocblas_geam_ex_operation_,comdat
.Lfunc_end288:
	.size	_ZN12_GLOBAL__N_120geam_min_plus_kernelIDF16_Dv2_DF16_S1_Li8ELi32ELi64ELi128ELi4ELi4ELi64ELi4ELi64ELc84ELc78ELb0ELb0ELb0EPKDF16_S2_DF16_EEviiiT16_PT17_ilS6_ilS4_S6_ilPT18_ili26rocblas_geam_ex_operation_, .Lfunc_end288-_ZN12_GLOBAL__N_120geam_min_plus_kernelIDF16_Dv2_DF16_S1_Li8ELi32ELi64ELi128ELi4ELi4ELi64ELi4ELi64ELc84ELc78ELb0ELb0ELb0EPKDF16_S2_DF16_EEviiiT16_PT17_ilS6_ilS4_S6_ilPT18_ili26rocblas_geam_ex_operation_
                                        ; -- End function
	.set _ZN12_GLOBAL__N_120geam_min_plus_kernelIDF16_Dv2_DF16_S1_Li8ELi32ELi64ELi128ELi4ELi4ELi64ELi4ELi64ELc84ELc78ELb0ELb0ELb0EPKDF16_S2_DF16_EEviiiT16_PT17_ilS6_ilS4_S6_ilPT18_ili26rocblas_geam_ex_operation_.num_vgpr, 124
	.set _ZN12_GLOBAL__N_120geam_min_plus_kernelIDF16_Dv2_DF16_S1_Li8ELi32ELi64ELi128ELi4ELi4ELi64ELi4ELi64ELc84ELc78ELb0ELb0ELb0EPKDF16_S2_DF16_EEviiiT16_PT17_ilS6_ilS4_S6_ilPT18_ili26rocblas_geam_ex_operation_.num_agpr, 0
	.set _ZN12_GLOBAL__N_120geam_min_plus_kernelIDF16_Dv2_DF16_S1_Li8ELi32ELi64ELi128ELi4ELi4ELi64ELi4ELi64ELc84ELc78ELb0ELb0ELb0EPKDF16_S2_DF16_EEviiiT16_PT17_ilS6_ilS4_S6_ilPT18_ili26rocblas_geam_ex_operation_.numbered_sgpr, 26
	.set _ZN12_GLOBAL__N_120geam_min_plus_kernelIDF16_Dv2_DF16_S1_Li8ELi32ELi64ELi128ELi4ELi4ELi64ELi4ELi64ELc84ELc78ELb0ELb0ELb0EPKDF16_S2_DF16_EEviiiT16_PT17_ilS6_ilS4_S6_ilPT18_ili26rocblas_geam_ex_operation_.num_named_barrier, 0
	.set _ZN12_GLOBAL__N_120geam_min_plus_kernelIDF16_Dv2_DF16_S1_Li8ELi32ELi64ELi128ELi4ELi4ELi64ELi4ELi64ELc84ELc78ELb0ELb0ELb0EPKDF16_S2_DF16_EEviiiT16_PT17_ilS6_ilS4_S6_ilPT18_ili26rocblas_geam_ex_operation_.private_seg_size, 0
	.set _ZN12_GLOBAL__N_120geam_min_plus_kernelIDF16_Dv2_DF16_S1_Li8ELi32ELi64ELi128ELi4ELi4ELi64ELi4ELi64ELc84ELc78ELb0ELb0ELb0EPKDF16_S2_DF16_EEviiiT16_PT17_ilS6_ilS4_S6_ilPT18_ili26rocblas_geam_ex_operation_.uses_vcc, 1
	.set _ZN12_GLOBAL__N_120geam_min_plus_kernelIDF16_Dv2_DF16_S1_Li8ELi32ELi64ELi128ELi4ELi4ELi64ELi4ELi64ELc84ELc78ELb0ELb0ELb0EPKDF16_S2_DF16_EEviiiT16_PT17_ilS6_ilS4_S6_ilPT18_ili26rocblas_geam_ex_operation_.uses_flat_scratch, 0
	.set _ZN12_GLOBAL__N_120geam_min_plus_kernelIDF16_Dv2_DF16_S1_Li8ELi32ELi64ELi128ELi4ELi4ELi64ELi4ELi64ELc84ELc78ELb0ELb0ELb0EPKDF16_S2_DF16_EEviiiT16_PT17_ilS6_ilS4_S6_ilPT18_ili26rocblas_geam_ex_operation_.has_dyn_sized_stack, 0
	.set _ZN12_GLOBAL__N_120geam_min_plus_kernelIDF16_Dv2_DF16_S1_Li8ELi32ELi64ELi128ELi4ELi4ELi64ELi4ELi64ELc84ELc78ELb0ELb0ELb0EPKDF16_S2_DF16_EEviiiT16_PT17_ilS6_ilS4_S6_ilPT18_ili26rocblas_geam_ex_operation_.has_recursion, 0
	.set _ZN12_GLOBAL__N_120geam_min_plus_kernelIDF16_Dv2_DF16_S1_Li8ELi32ELi64ELi128ELi4ELi4ELi64ELi4ELi64ELc84ELc78ELb0ELb0ELb0EPKDF16_S2_DF16_EEviiiT16_PT17_ilS6_ilS4_S6_ilPT18_ili26rocblas_geam_ex_operation_.has_indirect_call, 0
	.section	.AMDGPU.csdata,"",@progbits
; Kernel info:
; codeLenInByte = 21944
; TotalNumSgprs: 28
; NumVgprs: 124
; ScratchSize: 0
; MemoryBound: 0
; FloatMode: 240
; IeeeMode: 1
; LDSByteSize: 3072 bytes/workgroup (compile time only)
; SGPRBlocks: 0
; VGPRBlocks: 15
; NumSGPRsForWavesPerEU: 28
; NumVGPRsForWavesPerEU: 124
; Occupancy: 8
; WaveLimiterHint : 0
; COMPUTE_PGM_RSRC2:SCRATCH_EN: 0
; COMPUTE_PGM_RSRC2:USER_SGPR: 6
; COMPUTE_PGM_RSRC2:TRAP_HANDLER: 0
; COMPUTE_PGM_RSRC2:TGID_X_EN: 1
; COMPUTE_PGM_RSRC2:TGID_Y_EN: 0
; COMPUTE_PGM_RSRC2:TGID_Z_EN: 1
; COMPUTE_PGM_RSRC2:TIDIG_COMP_CNT: 1
	.section	.text._ZN12_GLOBAL__N_120geam_min_plus_kernelIDF16_Dv2_DF16_S1_Li8ELi32ELi64ELi128ELi4ELi4ELi64ELi4ELi64ELc84ELc78ELb1ELb0ELb0EDF16_KDF16_DF16_EEviiiT16_PT17_ilS5_ilS3_S5_ilPT18_ili26rocblas_geam_ex_operation_,"axG",@progbits,_ZN12_GLOBAL__N_120geam_min_plus_kernelIDF16_Dv2_DF16_S1_Li8ELi32ELi64ELi128ELi4ELi4ELi64ELi4ELi64ELc84ELc78ELb1ELb0ELb0EDF16_KDF16_DF16_EEviiiT16_PT17_ilS5_ilS3_S5_ilPT18_ili26rocblas_geam_ex_operation_,comdat
	.globl	_ZN12_GLOBAL__N_120geam_min_plus_kernelIDF16_Dv2_DF16_S1_Li8ELi32ELi64ELi128ELi4ELi4ELi64ELi4ELi64ELc84ELc78ELb1ELb0ELb0EDF16_KDF16_DF16_EEviiiT16_PT17_ilS5_ilS3_S5_ilPT18_ili26rocblas_geam_ex_operation_ ; -- Begin function _ZN12_GLOBAL__N_120geam_min_plus_kernelIDF16_Dv2_DF16_S1_Li8ELi32ELi64ELi128ELi4ELi4ELi64ELi4ELi64ELc84ELc78ELb1ELb0ELb0EDF16_KDF16_DF16_EEviiiT16_PT17_ilS5_ilS3_S5_ilPT18_ili26rocblas_geam_ex_operation_
	.p2align	8
	.type	_ZN12_GLOBAL__N_120geam_min_plus_kernelIDF16_Dv2_DF16_S1_Li8ELi32ELi64ELi128ELi4ELi4ELi64ELi4ELi64ELc84ELc78ELb1ELb0ELb0EDF16_KDF16_DF16_EEviiiT16_PT17_ilS5_ilS3_S5_ilPT18_ili26rocblas_geam_ex_operation_,@function
_ZN12_GLOBAL__N_120geam_min_plus_kernelIDF16_Dv2_DF16_S1_Li8ELi32ELi64ELi128ELi4ELi4ELi64ELi4ELi64ELc84ELc78ELb1ELb0ELb0EDF16_KDF16_DF16_EEviiiT16_PT17_ilS5_ilS3_S5_ilPT18_ili26rocblas_geam_ex_operation_: ; @_ZN12_GLOBAL__N_120geam_min_plus_kernelIDF16_Dv2_DF16_S1_Li8ELi32ELi64ELi128ELi4ELi4ELi64ELi4ELi64ELc84ELc78ELb1ELb0ELb0EDF16_KDF16_DF16_EEviiiT16_PT17_ilS5_ilS3_S5_ilPT18_ili26rocblas_geam_ex_operation_
; %bb.0:
	s_clause 0x1
	s_load_dwordx2 s[10:11], s[4:5], 0x8
	s_load_dwordx4 s[0:3], s[4:5], 0x20
	s_waitcnt lgkmcnt(0)
	v_cmp_eq_f16_e64 s8, s11, 0
	s_and_b32 vcc_lo, exec_lo, s8
	s_cbranch_vccnz .LBB289_29
; %bb.1:
	s_load_dwordx2 s[12:13], s[4:5], 0x10
	s_mul_i32 s1, s1, s7
	s_mul_hi_u32 s9, s0, s7
	s_mul_i32 s0, s0, s7
	s_add_i32 s1, s9, s1
	s_lshl_b64 s[0:1], s[0:1], 1
	s_waitcnt lgkmcnt(0)
	s_add_u32 s14, s12, s0
	s_addc_u32 s15, s13, s1
	s_andn2_b32 vcc_lo, exec_lo, s8
	s_mov_b32 s0, -1
	s_cbranch_vccnz .LBB289_3
.LBB289_2:
	s_mov_b32 s0, 0
.LBB289_3:
	s_mov_b64 s[8:9], 0
	s_andn2_b32 vcc_lo, exec_lo, s0
	s_mov_b64 s[12:13], 0
	s_cbranch_vccnz .LBB289_5
; %bb.4:
	s_load_dwordx2 s[0:1], s[4:5], 0x38
	s_waitcnt lgkmcnt(0)
	s_mul_i32 s1, s1, s7
	s_mul_hi_u32 s11, s0, s7
	s_mul_i32 s0, s0, s7
	s_add_i32 s1, s11, s1
	s_lshl_b64 s[0:1], s[0:1], 1
	s_add_u32 s12, s2, s0
	s_addc_u32 s13, s3, s1
.LBB289_5:
	s_clause 0x1
	s_load_dword s11, s[4:5], 0x40
	s_load_dwordx4 s[0:3], s[4:5], 0x58
	s_waitcnt lgkmcnt(0)
	v_cmp_eq_f16_e64 s16, s11, 0
	s_and_b32 vcc_lo, exec_lo, s16
	s_cbranch_vccnz .LBB289_7
; %bb.6:
	s_load_dwordx2 s[8:9], s[4:5], 0x48
	s_mul_i32 s1, s1, s7
	s_mul_hi_u32 s16, s0, s7
	s_mul_i32 s0, s0, s7
	s_add_i32 s1, s16, s1
	s_lshl_b64 s[0:1], s[0:1], 1
	s_waitcnt lgkmcnt(0)
	s_add_u32 s8, s8, s0
	s_addc_u32 s9, s9, s1
.LBB289_7:
	s_clause 0x2
	s_load_dword s0, s[4:5], 0x0
	s_load_dword s1, s[4:5], 0x18
	s_load_dword s18, s[4:5], 0x30
	v_lshlrev_b32_e32 v6, 3, v1
	v_and_b32_e32 v5, 3, v0
	v_lshlrev_b32_e32 v8, 1, v5
	s_waitcnt lgkmcnt(0)
	s_add_i32 s0, s0, -1
	s_ashr_i32 s16, s0, 31
	s_lshr_b32 s16, s16, 26
	s_add_i32 s0, s0, s16
	s_ashr_i32 s0, s0, 6
	s_add_i32 s16, s0, 1
	s_not_b32 s0, s0
	v_cvt_f32_u32_e32 v2, s16
	v_rcp_iflag_f32_e32 v2, v2
	v_mul_f32_e32 v2, 0x4f7ffffe, v2
	v_cvt_u32_f32_e32 v2, v2
	v_readfirstlane_b32 s17, v2
	v_add_nc_u32_e32 v2, v6, v0
	s_mul_i32 s0, s0, s17
	v_lshrrev_b32_e32 v17, 2, v2
	s_mul_hi_u32 s0, s17, s0
	s_add_i32 s17, s17, s0
	s_mul_hi_u32 s0, s6, s17
	s_mul_i32 s17, s0, s16
	s_add_i32 s19, s0, 1
	s_sub_i32 s17, s6, s17
	s_sub_i32 s20, s17, s16
	s_cmp_ge_u32 s17, s16
	s_cselect_b32 s0, s19, s0
	s_cselect_b32 s17, s20, s17
	s_add_i32 s19, s0, 1
	s_cmp_ge_u32 s17, s16
	s_cselect_b32 s0, s19, s0
	s_mul_i32 s17, s0, s16
	s_lshl_b32 s16, s0, 7
	s_sub_i32 s0, s6, s17
	v_add_nc_u32_e32 v4, s16, v17
	s_lshl_b32 s17, s0, 6
	s_cmp_lt_i32 s10, 9
	v_add_nc_u32_e32 v7, s17, v17
	v_mad_i64_i32 v[2:3], null, v4, s18, 0
	v_add_nc_u32_e32 v9, 64, v4
	v_mad_i64_i32 v[4:5], null, v7, s1, 0
	v_add_co_u32 v7, s0, s12, v8
	v_mad_i64_i32 v[9:10], null, v9, s18, 0
	v_lshlrev_b64 v[2:3], 1, v[2:3]
	v_add_co_ci_u32_e64 v15, null, s13, 0, s0
	v_lshlrev_b64 v[11:12], 1, v[4:5]
	v_lshlrev_b64 v[4:5], 1, v[9:10]
	v_add_co_u32 v13, vcc_lo, v7, v2
	v_add_co_ci_u32_e64 v14, null, v15, v3, vcc_lo
	v_add_co_u32 v9, vcc_lo, s14, v11
	v_add_co_ci_u32_e64 v10, null, s15, v12, vcc_lo
	;; [unrolled: 2-line block ×4, first 2 shown]
	s_clause 0x1
	global_load_ushort v18, v[13:14], off
	global_load_ushort v19, v[11:12], off
	s_clause 0x1
	global_load_ushort v20, v[15:16], off
	global_load_ushort v37, v[15:16], off offset:8
	s_clause 0x1
	global_load_ushort v12, v[11:12], off offset:8
	global_load_ushort v38, v[13:14], off offset:8
	v_lshlrev_b32_e32 v7, 3, v0
	v_lshl_or_b32 v11, v17, 3, v8
	s_waitcnt vmcnt(5)
	ds_write_b16 v11, v18
	s_waitcnt vmcnt(4)
	ds_write_b16 v11, v19 offset:512
	s_waitcnt vmcnt(3)
	ds_write_b16 v11, v20 offset:2048
	v_add_nc_u32_e32 v33, 0x800, v7
	s_waitcnt vmcnt(0) lgkmcnt(0)
	s_barrier
	buffer_gl0_inv
	ds_read2_b64 v[13:16], v6 offset1:32
	ds_read2_b64 v[17:20], v33 offset0:48 offset1:56
	ds_read2_b64 v[21:24], v6 offset0:64 offset1:96
	ds_read2_b64 v[25:28], v33 offset1:8
	ds_read2_b64 v[29:32], v33 offset0:16 offset1:24
	ds_read2_b64 v[33:36], v33 offset0:32 offset1:40
	ds_write_b16 v11, v37 offset:2560
	ds_write_b16 v11, v38 offset:1024
	;; [unrolled: 1-line block ×3, first 2 shown]
	s_waitcnt lgkmcnt(0)
	s_barrier
	buffer_gl0_inv
	v_pk_max_f16 v13, v13, v13
	v_pk_max_f16 v19, v19, v19
	;; [unrolled: 1-line block ×24, first 2 shown]
	v_pk_min_f16 v37, v19, v13
	v_pk_min_f16 v38, v19, v15
	;; [unrolled: 1-line block ×64, first 2 shown]
	v_pk_add_f16 v22, v37, 0
	v_pk_add_f16 v24, v38, 0
	;; [unrolled: 1-line block ×64, first 2 shown]
	s_cbranch_scc1 .LBB289_10
; %bb.8:
	v_add_co_u32 v18, vcc_lo, s12, v2
	v_add_co_ci_u32_e64 v19, null, s13, v3, vcc_lo
	v_add_co_u32 v20, vcc_lo, s12, v4
	v_add_nc_u32_e32 v12, 0x800, v11
	v_or_b32_e32 v13, 0x800, v7
	v_add_nc_u32_e32 v14, 0xa00, v11
	v_add_nc_u32_e32 v15, 0x400, v11
	v_lshl_add_u32 v16, v0, 3, 0xa00
	v_lshl_add_u32 v17, v1, 3, 0x400
	v_add_co_ci_u32_e64 v21, null, s13, v5, vcc_lo
	s_add_i32 s0, s10, -8
	s_mov_b32 s1, 0
.LBB289_9:                              ; =>This Inner Loop Header: Depth=1
	v_add_co_u32 v32, vcc_lo, v20, v8
	v_add_co_ci_u32_e64 v33, null, 0, v21, vcc_lo
	v_add_co_u32 v57, vcc_lo, v18, v8
	v_add_co_ci_u32_e64 v58, null, 0, v19, vcc_lo
	v_add_co_u32 v80, vcc_lo, v9, v8
	v_add_co_ci_u32_e64 v81, null, 0, v10, vcc_lo
	global_load_ushort v59, v[57:58], off offset:16
	global_load_ushort v34, v[32:33], off offset:16
	v_add_co_u32 v18, vcc_lo, v18, 16
	global_load_ushort v82, v[80:81], off offset:16
	ds_read2_b64 v[60:63], v16 offset0:48 offset1:56
	ds_read2_b64 v[2:5], v17 offset0:64 offset1:96
	ds_read2_b64 v[64:67], v17 offset1:32
	ds_read2_b64 v[68:71], v16 offset1:8
	ds_read2_b64 v[72:75], v16 offset0:16 offset1:24
	ds_read2_b64 v[76:79], v16 offset0:32 offset1:40
	v_add_co_ci_u32_e64 v19, null, 0, v19, vcc_lo
	v_add_co_u32 v20, vcc_lo, v20, 16
	v_add_co_ci_u32_e64 v21, null, 0, v21, vcc_lo
	v_add_co_u32 v9, vcc_lo, v9, 16
	v_add_co_ci_u32_e64 v10, null, 0, v10, vcc_lo
	s_add_i32 s1, s1, 8
	s_waitcnt vmcnt(0)
	ds_write_b16 v12, v82
	ds_write_b16 v11, v59
	ds_write_b16 v11, v34 offset:512
	s_waitcnt lgkmcnt(6)
	v_pk_max_f16 v64, v64, v64
	s_waitcnt lgkmcnt(5)
	v_pk_max_f16 v68, v68, v68
	s_waitcnt lgkmcnt(0)
	s_barrier
	buffer_gl0_inv
	global_load_ushort v32, v[32:33], off offset:24
	global_load_ushort v33, v[57:58], off offset:24
	;; [unrolled: 1-line block ×3, first 2 shown]
	v_pk_min_f16 v57, v68, v64
	v_pk_max_f16 v65, v65, v65
	v_pk_max_f16 v69, v69, v69
	;; [unrolled: 1-line block ×4, first 2 shown]
	v_pk_add_f16 v46, v46, v57
	v_pk_max_f16 v72, v72, v72
	v_pk_min_f16 v57, v69, v65
	v_pk_max_f16 v73, v73, v73
	v_pk_max_f16 v74, v74, v74
	v_pk_max_f16 v75, v75, v75
	v_pk_max_f16 v76, v76, v76
	v_pk_add_f16 v58, v46, v57
	v_pk_min_f16 v46, v70, v64
	v_pk_max_f16 v77, v77, v77
	v_pk_max_f16 v78, v78, v78
	v_pk_max_f16 v79, v79, v79
	v_pk_max_f16 v80, v60, v60
	v_pk_add_f16 v46, v47, v46
	;; [unrolled: 6-line block ×3, first 2 shown]
	v_pk_min_f16 v46, v72, v64
	v_pk_min_f16 v47, v73, v65
	v_pk_max_f16 v3, v3, v3
	s_cmp_ge_i32 s1, s0
	v_pk_add_f16 v46, v48, v46
	v_pk_min_f16 v48, v79, v65
	v_pk_add_f16 v57, v46, v47
	v_pk_min_f16 v46, v74, v64
	v_pk_min_f16 v47, v75, v65
	v_pk_add_f16 v46, v49, v46
	v_pk_add_f16 v49, v46, v47
	v_pk_min_f16 v46, v76, v64
	v_pk_min_f16 v47, v77, v65
	v_pk_add_f16 v46, v50, v46
	v_pk_min_f16 v50, v61, v65
	v_pk_add_f16 v46, v46, v47
	;; [unrolled: 2-line block ×3, first 2 shown]
	v_pk_add_f16 v47, v47, v48
	v_pk_min_f16 v48, v80, v64
	v_pk_add_f16 v48, v56, v48
	v_pk_add_f16 v48, v48, v50
	v_pk_min_f16 v50, v62, v64
	v_pk_max_f16 v64, v66, v66
	v_pk_add_f16 v39, v39, v50
	v_pk_min_f16 v50, v63, v65
	v_pk_max_f16 v65, v67, v67
	v_pk_add_f16 v60, v39, v50
	v_pk_min_f16 v39, v68, v64
	v_pk_add_f16 v39, v40, v39
	v_pk_min_f16 v40, v69, v65
	;; [unrolled: 2-line block ×3, first 2 shown]
	v_pk_min_f16 v40, v71, v65
	v_pk_add_f16 v39, v41, v39
	v_pk_add_f16 v51, v39, v40
	v_pk_min_f16 v39, v72, v64
	v_pk_min_f16 v40, v73, v65
	v_pk_add_f16 v39, v42, v39
	v_pk_add_f16 v50, v39, v40
	v_pk_min_f16 v39, v74, v64
	v_pk_min_f16 v40, v75, v65
	v_pk_add_f16 v39, v43, v39
	v_pk_min_f16 v43, v61, v65
	v_pk_add_f16 v42, v39, v40
	v_pk_min_f16 v39, v76, v64
	v_pk_min_f16 v40, v77, v65
	v_pk_add_f16 v39, v44, v39
	v_pk_add_f16 v41, v39, v40
	v_pk_min_f16 v39, v78, v64
	v_pk_min_f16 v40, v79, v65
	v_pk_add_f16 v39, v45, v39
	v_pk_add_f16 v40, v39, v40
	v_pk_min_f16 v39, v80, v64
	v_pk_add_f16 v39, v55, v39
	v_pk_add_f16 v39, v39, v43
	v_pk_min_f16 v43, v62, v64
	v_pk_add_f16 v36, v36, v43
	v_pk_min_f16 v43, v63, v65
	;; [unrolled: 2-line block ×7, first 2 shown]
	v_pk_min_f16 v30, v73, v3
	v_pk_add_f16 v29, v31, v29
	v_pk_add_f16 v45, v29, v30
	v_pk_min_f16 v29, v74, v2
	v_pk_min_f16 v30, v75, v3
	v_pk_add_f16 v29, v35, v29
	v_pk_add_f16 v35, v29, v30
	v_pk_min_f16 v29, v76, v2
	v_pk_min_f16 v30, v77, v3
	v_pk_add_f16 v29, v37, v29
	v_pk_min_f16 v37, v61, v3
	v_pk_add_f16 v31, v29, v30
	v_pk_min_f16 v29, v78, v2
	v_pk_min_f16 v30, v79, v3
	;; [unrolled: 1-line block ×3, first 2 shown]
	v_pk_add_f16 v29, v38, v29
	v_pk_add_f16 v30, v29, v30
	v_pk_min_f16 v29, v80, v2
	v_pk_min_f16 v2, v62, v2
	v_pk_add_f16 v29, v54, v29
	v_pk_add_f16 v2, v28, v2
	v_pk_add_f16 v29, v29, v37
	v_pk_add_f16 v28, v2, v3
	v_pk_max_f16 v2, v4, v4
	v_pk_max_f16 v4, v5, v5
	v_pk_min_f16 v3, v68, v2
	v_pk_min_f16 v5, v69, v4
	v_pk_add_f16 v3, v25, v3
	v_pk_add_f16 v37, v3, v5
	v_pk_min_f16 v3, v70, v2
	v_pk_min_f16 v5, v71, v4
	v_pk_add_f16 v3, v22, v3
	v_pk_add_f16 v38, v3, v5
	v_pk_min_f16 v3, v72, v2
	v_pk_min_f16 v5, v73, v4
	v_pk_add_f16 v3, v23, v3
	v_pk_add_f16 v54, v3, v5
	v_pk_min_f16 v3, v74, v2
	v_pk_min_f16 v5, v75, v4
	v_pk_add_f16 v3, v24, v3
	v_pk_add_f16 v55, v3, v5
	v_pk_min_f16 v3, v76, v2
	v_pk_min_f16 v5, v77, v4
	v_pk_add_f16 v3, v26, v3
	v_pk_add_f16 v26, v3, v5
	v_pk_min_f16 v3, v78, v2
	v_pk_min_f16 v5, v79, v4
	v_pk_add_f16 v3, v27, v3
	v_pk_add_f16 v27, v3, v5
	v_pk_min_f16 v3, v80, v2
	v_pk_min_f16 v5, v61, v4
	;; [unrolled: 1-line block ×3, first 2 shown]
	v_pk_add_f16 v3, v53, v3
	v_pk_add_f16 v2, v52, v2
	;; [unrolled: 1-line block ×3, first 2 shown]
	v_pk_min_f16 v3, v63, v4
	v_pk_add_f16 v78, v2, v3
	ds_read2_b64 v[2:5], v13 offset0:48 offset1:56
	ds_read2_b64 v[22:25], v6 offset0:64 offset1:96
	ds_read2_b64 v[61:64], v6 offset1:32
	ds_read2_b64 v[65:68], v13 offset1:8
	ds_read2_b64 v[69:72], v13 offset0:16 offset1:24
	ds_read2_b64 v[73:76], v13 offset0:32 offset1:40
	s_waitcnt vmcnt(0)
	ds_write_b16 v14, v34
	ds_write_b16 v15, v33
	ds_write_b16 v15, v32 offset:512
	s_waitcnt lgkmcnt(0)
	s_barrier
	buffer_gl0_inv
	v_pk_max_f16 v2, v2, v2
	v_pk_max_f16 v22, v22, v22
	;; [unrolled: 1-line block ×7, first 2 shown]
	v_pk_min_f16 v4, v61, v52
	v_pk_add_f16 v60, v60, v4
	v_pk_max_f16 v4, v63, v63
	v_pk_min_f16 v53, v61, v4
	v_pk_add_f16 v36, v36, v53
	v_pk_min_f16 v53, v61, v22
	v_pk_add_f16 v28, v28, v53
	v_pk_max_f16 v53, v65, v65
	v_pk_min_f16 v63, v53, v52
	v_pk_add_f16 v63, v58, v63
	v_pk_min_f16 v58, v53, v4
	v_pk_add_f16 v56, v56, v58
	v_pk_min_f16 v58, v53, v22
	v_pk_min_f16 v53, v53, v24
	v_pk_add_f16 v43, v43, v58
	v_pk_add_f16 v37, v37, v53
	v_pk_max_f16 v53, v67, v67
	v_pk_min_f16 v58, v53, v52
	v_pk_add_f16 v65, v59, v58
	v_pk_min_f16 v58, v53, v4
	v_pk_max_f16 v59, v25, v25
	v_pk_add_f16 v51, v51, v58
	v_pk_min_f16 v58, v53, v22
	v_pk_min_f16 v53, v53, v24
	v_pk_add_f16 v44, v44, v58
	v_pk_add_f16 v38, v38, v53
	v_pk_max_f16 v53, v69, v69
	v_pk_min_f16 v58, v53, v52
	v_pk_add_f16 v67, v57, v58
	v_pk_min_f16 v57, v53, v4
	v_pk_max_f16 v58, v23, v23
	v_pk_add_f16 v50, v50, v57
	v_pk_min_f16 v57, v53, v22
	v_pk_min_f16 v53, v53, v24
	v_pk_add_f16 v45, v45, v57
	v_pk_add_f16 v69, v54, v53
	v_pk_max_f16 v53, v71, v71
	v_pk_max_f16 v57, v64, v64
	v_pk_min_f16 v54, v53, v52
	v_pk_add_f16 v49, v49, v54
	v_pk_min_f16 v54, v53, v4
	v_pk_add_f16 v71, v42, v54
	;; [unrolled: 2-line block ×4, first 2 shown]
	v_pk_max_f16 v42, v73, v73
	v_pk_max_f16 v55, v62, v62
	v_pk_min_f16 v53, v42, v52
	v_pk_add_f16 v73, v46, v53
	v_pk_min_f16 v46, v42, v4
	v_pk_add_f16 v80, v41, v46
	;; [unrolled: 2-line block ×4, first 2 shown]
	v_pk_max_f16 v31, v75, v75
	v_pk_min_f16 v41, v31, v52
	v_pk_add_f16 v75, v47, v41
	v_pk_min_f16 v41, v31, v4
	v_pk_min_f16 v4, v2, v4
	v_pk_add_f16 v82, v40, v41
	v_pk_min_f16 v40, v31, v22
	v_pk_add_f16 v53, v39, v4
	v_pk_min_f16 v4, v2, v22
	v_pk_min_f16 v22, v5, v55
	v_pk_add_f16 v83, v30, v40
	v_pk_min_f16 v30, v31, v24
	v_pk_add_f16 v39, v60, v22
	;; [unrolled: 2-line block ×4, first 2 shown]
	v_pk_add_f16 v36, v36, v22
	v_pk_min_f16 v22, v5, v58
	v_pk_min_f16 v2, v2, v24
	v_pk_add_f16 v54, v48, v30
	v_pk_add_f16 v28, v28, v22
	v_pk_max_f16 v22, v66, v66
	v_pk_add_f16 v4, v77, v2
	v_pk_min_f16 v2, v61, v24
	v_pk_min_f16 v23, v22, v55
	v_pk_add_f16 v2, v78, v2
	v_pk_add_f16 v46, v63, v23
	v_pk_min_f16 v23, v22, v57
	v_pk_add_f16 v40, v56, v23
	v_pk_min_f16 v23, v22, v58
	v_pk_min_f16 v22, v22, v59
	v_pk_max_f16 v56, v76, v76
	v_pk_add_f16 v29, v43, v23
	v_pk_add_f16 v25, v37, v22
	v_pk_max_f16 v22, v68, v68
	v_pk_min_f16 v23, v22, v55
	v_pk_add_f16 v47, v65, v23
	v_pk_min_f16 v23, v22, v57
	v_pk_add_f16 v41, v51, v23
	v_pk_min_f16 v23, v22, v58
	v_pk_min_f16 v22, v22, v59
	v_pk_add_f16 v30, v44, v23
	v_pk_max_f16 v23, v70, v70
	v_pk_add_f16 v22, v38, v22
	v_pk_max_f16 v38, v74, v74
	v_pk_min_f16 v24, v23, v55
	v_pk_add_f16 v48, v67, v24
	v_pk_min_f16 v24, v23, v57
	v_pk_add_f16 v42, v50, v24
	v_pk_min_f16 v24, v23, v58
	v_pk_min_f16 v23, v23, v59
	v_pk_add_f16 v31, v45, v24
	v_pk_max_f16 v24, v72, v72
	v_pk_add_f16 v23, v69, v23
	v_pk_min_f16 v37, v24, v55
	v_pk_add_f16 v49, v49, v37
	v_pk_min_f16 v37, v24, v57
	;; [unrolled: 2-line block ×3, first 2 shown]
	v_pk_min_f16 v24, v24, v59
	v_pk_add_f16 v35, v35, v37
	v_pk_min_f16 v37, v38, v55
	v_pk_add_f16 v24, v79, v24
	v_pk_add_f16 v50, v73, v37
	v_pk_min_f16 v37, v38, v57
	v_pk_add_f16 v44, v80, v37
	v_pk_min_f16 v37, v38, v58
	v_pk_min_f16 v38, v38, v59
	v_pk_add_f16 v37, v81, v37
	v_pk_add_f16 v26, v26, v38
	v_pk_min_f16 v38, v56, v55
	v_pk_min_f16 v55, v3, v55
	v_pk_add_f16 v51, v75, v38
	v_pk_min_f16 v38, v56, v57
	v_pk_add_f16 v45, v82, v38
	v_pk_min_f16 v38, v56, v58
	v_pk_min_f16 v56, v56, v59
	v_pk_add_f16 v38, v83, v38
	v_pk_add_f16 v27, v27, v56
	;; [unrolled: 1-line block ×3, first 2 shown]
	v_pk_min_f16 v54, v3, v57
	v_pk_add_f16 v55, v53, v54
	v_pk_min_f16 v53, v3, v58
	v_pk_min_f16 v3, v3, v59
	v_pk_add_f16 v54, v52, v53
	v_pk_add_f16 v53, v4, v3
	v_pk_min_f16 v3, v5, v59
	v_pk_add_f16 v52, v2, v3
	s_cbranch_scc0 .LBB289_9
.LBB289_10:
	v_add_nc_u32_e32 v18, 0x800, v7
	s_load_dwordx2 s[0:1], s[4:5], 0x70
	v_cmp_neq_f16_e64 s6, s11, 0
	ds_read2_b64 v[2:5], v6 offset0:128 offset1:160
	ds_read2_b64 v[6:9], v6 offset0:192 offset1:224
	;; [unrolled: 1-line block ×4, first 2 shown]
	s_clause 0x1
	s_load_dword s10, s[4:5], 0x50
	s_load_dword s4, s[4:5], 0x68
	ds_read2_b64 v[57:60], v18 offset0:80 offset1:88
	ds_read2_b64 v[61:64], v18 offset0:96 offset1:104
	v_add_nc_u32_e32 v1, s16, v1
	s_waitcnt lgkmcnt(0)
	v_pk_max_f16 v2, v2, v2
	v_pk_max_f16 v4, v4, v4
	;; [unrolled: 1-line block ×8, first 2 shown]
	v_pk_min_f16 v21, v12, v6
	v_pk_min_f16 v19, v12, v2
	;; [unrolled: 1-line block ×8, first 2 shown]
	v_pk_add_f16 v21, v28, v21
	v_pk_add_f16 v28, v46, v32
	;; [unrolled: 1-line block ×4, first 2 shown]
	v_pk_min_f16 v18, v16, v4
	v_pk_min_f16 v25, v16, v6
	;; [unrolled: 1-line block ×3, first 2 shown]
	v_pk_max_f16 v33, v57, v57
	v_pk_add_f16 v19, v39, v19
	v_pk_add_f16 v20, v36, v20
	;; [unrolled: 1-line block ×5, first 2 shown]
	v_pk_min_f16 v18, v33, v2
	v_pk_min_f16 v22, v33, v4
	;; [unrolled: 1-line block ×4, first 2 shown]
	v_pk_max_f16 v39, v59, v59
	v_pk_add_f16 v40, v48, v18
	v_pk_add_f16 v41, v42, v22
	;; [unrolled: 1-line block ×4, first 2 shown]
	v_pk_min_f16 v18, v39, v2
	v_pk_min_f16 v22, v39, v4
	v_pk_max_f16 v23, v61, v61
	v_pk_min_f16 v25, v39, v6
	v_pk_min_f16 v39, v39, v8
	v_pk_add_f16 v42, v49, v18
	v_pk_add_f16 v43, v43, v22
	v_pk_min_f16 v22, v23, v4
	v_pk_min_f16 v18, v23, v2
	v_pk_add_f16 v39, v24, v39
	v_pk_max_f16 v24, v63, v63
	v_pk_max_f16 v3, v3, v3
	v_pk_add_f16 v44, v44, v22
	v_pk_add_f16 v46, v50, v18
	v_pk_min_f16 v18, v23, v6
	v_pk_min_f16 v22, v24, v2
	;; [unrolled: 1-line block ×3, first 2 shown]
	v_pk_max_f16 v13, v13, v13
	v_pk_max_f16 v5, v5, v5
	;; [unrolled: 1-line block ×3, first 2 shown]
	v_pk_add_f16 v49, v51, v22
	v_pk_min_f16 v22, v24, v8
	v_pk_add_f16 v29, v29, v34
	v_pk_add_f16 v34, v47, v65
	;; [unrolled: 1-line block ×3, first 2 shown]
	v_pk_min_f16 v25, v24, v4
	v_pk_add_f16 v47, v37, v18
	v_pk_add_f16 v48, v26, v23
	v_pk_min_f16 v18, v24, v6
	v_pk_min_f16 v2, v10, v2
	;; [unrolled: 1-line block ×4, first 2 shown]
	v_pk_add_f16 v51, v27, v22
	v_pk_min_f16 v10, v10, v8
	v_pk_min_f16 v8, v12, v8
	;; [unrolled: 1-line block ×5, first 2 shown]
	v_pk_max_f16 v15, v15, v15
	v_pk_max_f16 v9, v9, v9
	v_pk_add_f16 v50, v38, v18
	v_pk_add_f16 v18, v19, v12
	v_pk_add_f16 v19, v20, v22
	v_pk_add_f16 v20, v21, v23
	v_pk_min_f16 v12, v15, v3
	v_pk_min_f16 v22, v15, v5
	v_pk_min_f16 v23, v15, v7
	v_pk_min_f16 v15, v15, v9
	v_pk_max_f16 v17, v17, v17
	v_pk_add_f16 v21, v28, v12
	v_pk_add_f16 v45, v45, v25
	v_pk_add_f16 v23, v29, v23
	v_pk_add_f16 v24, v14, v15
	v_pk_min_f16 v12, v17, v3
	v_pk_min_f16 v14, v17, v5
	v_pk_min_f16 v15, v17, v7
	v_pk_min_f16 v17, v17, v9
	v_pk_max_f16 v29, v58, v58
	v_pk_add_f16 v25, v34, v12
	v_pk_add_f16 v26, v36, v14
	v_pk_add_f16 v27, v30, v15
	v_pk_add_f16 v28, v16, v17
	v_pk_min_f16 v12, v29, v3
	v_pk_min_f16 v14, v29, v5
	v_pk_min_f16 v15, v29, v7
	v_pk_min_f16 v16, v29, v9
	v_pk_max_f16 v17, v60, v60
	v_pk_add_f16 v22, v32, v22
	v_pk_add_f16 v29, v40, v12
	;; [unrolled: 1-line block ×5, first 2 shown]
	v_pk_min_f16 v12, v17, v3
	v_pk_min_f16 v14, v17, v5
	;; [unrolled: 1-line block ×4, first 2 shown]
	v_pk_max_f16 v17, v62, v62
	v_pk_add_f16 v33, v42, v12
	v_pk_add_f16 v34, v43, v14
	v_pk_max_f16 v11, v11, v11
	v_pk_add_f16 v36, v39, v16
	v_pk_min_f16 v12, v17, v3
	v_pk_min_f16 v14, v17, v5
	v_pk_max_f16 v16, v64, v64
	v_pk_add_f16 v2, v56, v2
	v_pk_add_f16 v4, v55, v4
	;; [unrolled: 1-line block ×3, first 2 shown]
	v_pk_min_f16 v15, v17, v7
	v_pk_add_f16 v37, v46, v12
	v_pk_add_f16 v38, v44, v14
	v_pk_min_f16 v12, v16, v3
	v_pk_min_f16 v14, v16, v5
	;; [unrolled: 1-line block ×4, first 2 shown]
	v_pk_add_f16 v6, v54, v6
	v_pk_add_f16 v10, v53, v10
	;; [unrolled: 1-line block ×3, first 2 shown]
	v_pk_min_f16 v17, v17, v9
	v_pk_add_f16 v39, v47, v15
	v_pk_min_f16 v15, v16, v7
	v_pk_add_f16 v41, v49, v12
	v_pk_min_f16 v12, v16, v9
	v_pk_add_f16 v42, v45, v14
	v_pk_add_f16 v45, v2, v3
	v_pk_min_f16 v3, v11, v7
	v_add_nc_u32_e32 v2, s17, v0
	v_pk_add_f16 v0, v4, v5
	v_pk_min_f16 v5, v11, v9
	v_pk_min_f16 v7, v13, v9
	v_pk_add_f16 v40, v48, v17
	v_pk_add_f16 v44, v51, v12
	;; [unrolled: 1-line block ×3, first 2 shown]
	v_add_nc_u32_e32 v4, 8, v2
	v_add_nc_u32_e32 v6, 16, v2
	v_pk_add_f16 v47, v10, v5
	v_pk_add_f16 v48, v8, v7
	v_add_nc_u32_e32 v8, 24, v2
	v_add_nc_u32_e32 v10, 32, v2
	;; [unrolled: 1-line block ×5, first 2 shown]
	v_pk_add_f16 v43, v50, v15
	v_ashrrev_i32_e32 v3, 31, v2
	v_ashrrev_i32_e32 v5, 31, v4
	;; [unrolled: 1-line block ×8, first 2 shown]
	s_mul_i32 s1, s1, s7
	s_mul_hi_u32 s5, s0, s7
	s_mul_i32 s0, s0, s7
	s_add_i32 s1, s5, s1
	v_lshlrev_b64 v[2:3], 1, v[2:3]
	v_lshlrev_b64 v[4:5], 1, v[4:5]
	;; [unrolled: 1-line block ×8, first 2 shown]
	s_lshl_b64 s[0:1], s[0:1], 1
	s_add_u32 s5, s2, s0
	s_addc_u32 s7, s3, s1
	s_mov_b64 s[2:3], 15
	s_branch .LBB289_12
.LBB289_11:                             ;   in Loop: Header=BB289_12 Depth=1
	s_add_i32 s0, s2, -1
	v_add_nc_u32_e32 v1, 32, v1
	s_cmp_eq_u32 s0, 1
	s_cselect_b32 vcc_lo, -1, 0
	s_cmp_eq_u32 s0, 2
	v_cndmask_b32_e32 v81, v21, v49, vcc_lo
	s_cselect_b32 vcc_lo, -1, 0
	s_cmp_eq_u32 s0, 3
	v_cndmask_b32_e32 v81, v81, v25, vcc_lo
	;; [unrolled: 3-line block ×62, first 2 shown]
	s_cselect_b32 vcc_lo, -1, 0
	s_cmp_eq_u32 s2, 1
	s_cselect_b32 s0, -1, 0
	s_cmp_eq_u32 s2, 2
	v_cndmask_b32_e64 v49, v21, v49, s0
	s_cselect_b32 s0, -1, 0
	s_cmp_eq_u32 s2, 3
	v_cndmask_b32_e64 v49, v49, v25, s0
	;; [unrolled: 3-line block ×3, first 2 shown]
	s_cselect_b32 s0, -1, 0
	s_cmp_eq_u32 s2, 5
	v_cndmask_b32_e32 v50, v81, v80, vcc_lo
	v_cndmask_b32_e64 v49, v49, v29, s0
	s_cselect_b32 s0, -1, 0
	s_cmp_eq_u32 s2, 6
	v_cndmask_b32_e64 v49, v49, v51, s0
	s_cselect_b32 s0, -1, 0
	s_cmp_eq_u32 s2, 7
	;; [unrolled: 3-line block ×58, first 2 shown]
	s_cselect_b32 vcc_lo, -1, 0
	v_cndmask_b32_e64 v49, v49, v48, s0
	s_add_u32 s2, s2, 16
	s_addc_u32 s3, s3, 0
	s_cmpk_lg_i32 s2, 0x4f
	v_cndmask_b32_e32 v49, v49, v80, vcc_lo
	v_add_f16_e32 v51, v50, v49
	v_add_co_u32 v49, vcc_lo, v83, v16
	v_add_co_ci_u32_e64 v50, null, v84, v17, vcc_lo
	v_add_f16_e32 v51, v51, v85
	global_store_short v[49:50], v51, off
	s_cbranch_scc0 .LBB289_28
.LBB289_12:                             ; =>This Inner Loop Header: Depth=1
	v_mad_i64_i32 v[49:50], null, v1, s10, 0
	v_cndmask_b32_e64 v51, 0, 1, s6
	v_mov_b32_e32 v85, 0
	v_mov_b32_e32 v86, 0
	v_cmp_ne_u32_e64 s0, 1, v51
	v_lshlrev_b64 v[49:50], 1, v[49:50]
	v_add_co_u32 v81, vcc_lo, s8, v49
	v_add_co_ci_u32_e64 v82, null, s9, v50, vcc_lo
	s_andn2_b32 vcc_lo, exec_lo, s6
	s_cbranch_vccnz .LBB289_14
; %bb.13:                               ;   in Loop: Header=BB289_12 Depth=1
	v_add_co_u32 v49, vcc_lo, v81, v2
	v_add_co_ci_u32_e64 v50, null, v82, v3, vcc_lo
	global_load_ushort v49, v[49:50], off
	s_waitcnt vmcnt(0)
	v_mul_f16_e32 v86, s11, v49
.LBB289_14:                             ;   in Loop: Header=BB289_12 Depth=1
	s_add_i32 s1, s2, -15
	v_lshrrev_b32_e32 v49, 16, v21
	s_cmp_eq_u32 s1, 1
	v_lshrrev_b32_e32 v50, 16, v25
	s_cselect_b32 vcc_lo, -1, 0
	s_cmp_eq_u32 s1, 2
	v_cndmask_b32_e32 v51, v21, v49, vcc_lo
	s_cselect_b32 vcc_lo, -1, 0
	s_cmp_eq_u32 s1, 3
	v_cndmask_b32_e32 v51, v51, v25, vcc_lo
	;; [unrolled: 3-line block ×3, first 2 shown]
	s_cselect_b32 vcc_lo, -1, 0
	v_lshrrev_b32_e32 v51, 16, v29
	s_cmp_eq_u32 s1, 5
	v_cndmask_b32_e32 v52, v52, v29, vcc_lo
	s_cselect_b32 vcc_lo, -1, 0
	s_cmp_eq_u32 s1, 6
	v_cndmask_b32_e32 v53, v52, v51, vcc_lo
	s_cselect_b32 vcc_lo, -1, 0
	v_lshrrev_b32_e32 v52, 16, v33
	s_cmp_eq_u32 s1, 7
	v_cndmask_b32_e32 v53, v53, v33, vcc_lo
	s_cselect_b32 vcc_lo, -1, 0
	s_cmp_eq_u32 s1, 8
	v_cndmask_b32_e32 v54, v53, v52, vcc_lo
	;; [unrolled: 7-line block ×29, first 2 shown]
	s_cselect_b32 vcc_lo, -1, 0
	s_cmp_eq_u32 s1, 63
	v_lshrrev_b32_e32 v80, 16, v48
	v_cndmask_b32_e32 v87, v83, v48, vcc_lo
	s_cselect_b32 vcc_lo, -1, 0
	s_add_i32 s12, s2, -14
	s_cmp_eq_u32 s12, 1
	v_cndmask_b32_e32 v87, v87, v80, vcc_lo
	s_cselect_b32 s1, -1, 0
	s_cmp_eq_u32 s12, 2
	v_cndmask_b32_e64 v83, v21, v49, s1
	s_cselect_b32 s1, -1, 0
	s_cmp_eq_u32 s12, 3
	v_cndmask_b32_e64 v83, v83, v25, s1
	;; [unrolled: 3-line block ×61, first 2 shown]
	v_mad_i64_i32 v[83:84], null, v1, s4, 0
	s_cselect_b32 s1, -1, 0
	s_cmp_eq_u32 s12, 63
	v_cndmask_b32_e64 v88, v88, v48, s1
	s_cselect_b32 vcc_lo, -1, 0
	v_lshlrev_b64 v[83:84], 1, v[83:84]
	v_cndmask_b32_e32 v88, v88, v80, vcc_lo
	v_add_co_u32 v83, vcc_lo, s5, v83
	v_add_f16_e32 v87, v87, v88
	v_add_co_ci_u32_e64 v84, null, s7, v84, vcc_lo
	v_add_f16_e32 v88, v87, v86
	v_add_co_u32 v86, vcc_lo, v83, v2
	v_add_co_ci_u32_e64 v87, null, v84, v3, vcc_lo
	s_and_b32 vcc_lo, exec_lo, s0
	global_store_short v[86:87], v88, off
	s_cbranch_vccnz .LBB289_16
; %bb.15:                               ;   in Loop: Header=BB289_12 Depth=1
	v_add_co_u32 v85, vcc_lo, v81, v4
	v_add_co_ci_u32_e64 v86, null, v82, v5, vcc_lo
	global_load_ushort v85, v[85:86], off
	s_waitcnt vmcnt(0)
	v_mul_f16_e32 v85, s11, v85
.LBB289_16:                             ;   in Loop: Header=BB289_12 Depth=1
	s_add_i32 s1, s2, -13
	s_cmp_eq_u32 s1, 1
	s_cselect_b32 vcc_lo, -1, 0
	s_cmp_eq_u32 s1, 2
	v_cndmask_b32_e32 v86, v21, v49, vcc_lo
	s_cselect_b32 vcc_lo, -1, 0
	s_cmp_eq_u32 s1, 3
	v_cndmask_b32_e32 v86, v86, v25, vcc_lo
	;; [unrolled: 3-line block ×62, first 2 shown]
	s_cselect_b32 vcc_lo, -1, 0
	s_add_i32 s12, s2, -12
	s_cmp_eq_u32 s12, 1
	v_cndmask_b32_e32 v86, v86, v80, vcc_lo
	s_cselect_b32 s1, -1, 0
	s_cmp_eq_u32 s12, 2
	v_cndmask_b32_e64 v87, v21, v49, s1
	s_cselect_b32 s1, -1, 0
	s_cmp_eq_u32 s12, 3
	v_cndmask_b32_e64 v87, v87, v25, s1
	s_cselect_b32 s1, -1, 0
	s_cmp_eq_u32 s12, 4
	v_cndmask_b32_e64 v87, v87, v50, s1
	s_cselect_b32 s1, -1, 0
	s_cmp_eq_u32 s12, 5
	v_cndmask_b32_e64 v87, v87, v29, s1
	s_cselect_b32 s1, -1, 0
	s_cmp_eq_u32 s12, 6
	v_cndmask_b32_e64 v87, v87, v51, s1
	s_cselect_b32 s1, -1, 0
	s_cmp_eq_u32 s12, 7
	v_cndmask_b32_e64 v87, v87, v33, s1
	s_cselect_b32 s1, -1, 0
	s_cmp_eq_u32 s12, 8
	v_cndmask_b32_e64 v87, v87, v52, s1
	s_cselect_b32 s1, -1, 0
	s_cmp_eq_u32 s12, 9
	v_cndmask_b32_e64 v87, v87, v37, s1
	s_cselect_b32 s1, -1, 0
	s_cmp_eq_u32 s12, 10
	v_cndmask_b32_e64 v87, v87, v53, s1
	s_cselect_b32 s1, -1, 0
	s_cmp_eq_u32 s12, 11
	v_cndmask_b32_e64 v87, v87, v41, s1
	s_cselect_b32 s1, -1, 0
	s_cmp_eq_u32 s12, 12
	v_cndmask_b32_e64 v87, v87, v54, s1
	s_cselect_b32 s1, -1, 0
	s_cmp_eq_u32 s12, 13
	v_cndmask_b32_e64 v87, v87, v45, s1
	s_cselect_b32 s1, -1, 0
	s_cmp_eq_u32 s12, 14
	v_cndmask_b32_e64 v87, v87, v55, s1
	s_cselect_b32 s1, -1, 0
	s_cmp_eq_u32 s12, 15
	v_cndmask_b32_e64 v87, v87, v18, s1
	s_cselect_b32 s1, -1, 0
	s_cmp_eq_u32 s12, 16
	v_cndmask_b32_e64 v87, v87, v56, s1
	s_cselect_b32 s1, -1, 0
	s_cmp_eq_u32 s12, 17
	v_cndmask_b32_e64 v87, v87, v22, s1
	s_cselect_b32 s1, -1, 0
	s_cmp_eq_u32 s12, 18
	v_cndmask_b32_e64 v87, v87, v57, s1
	s_cselect_b32 s1, -1, 0
	s_cmp_eq_u32 s12, 19
	v_cndmask_b32_e64 v87, v87, v26, s1
	s_cselect_b32 s1, -1, 0
	s_cmp_eq_u32 s12, 20
	v_cndmask_b32_e64 v87, v87, v58, s1
	s_cselect_b32 s1, -1, 0
	s_cmp_eq_u32 s12, 21
	v_cndmask_b32_e64 v87, v87, v30, s1
	s_cselect_b32 s1, -1, 0
	s_cmp_eq_u32 s12, 22
	v_cndmask_b32_e64 v87, v87, v59, s1
	s_cselect_b32 s1, -1, 0
	s_cmp_eq_u32 s12, 23
	v_cndmask_b32_e64 v87, v87, v34, s1
	s_cselect_b32 s1, -1, 0
	s_cmp_eq_u32 s12, 24
	v_cndmask_b32_e64 v87, v87, v60, s1
	s_cselect_b32 s1, -1, 0
	s_cmp_eq_u32 s12, 25
	v_cndmask_b32_e64 v87, v87, v38, s1
	s_cselect_b32 s1, -1, 0
	s_cmp_eq_u32 s12, 26
	v_cndmask_b32_e64 v87, v87, v61, s1
	s_cselect_b32 s1, -1, 0
	s_cmp_eq_u32 s12, 27
	v_cndmask_b32_e64 v87, v87, v42, s1
	s_cselect_b32 s1, -1, 0
	s_cmp_eq_u32 s12, 28
	v_cndmask_b32_e64 v87, v87, v62, s1
	s_cselect_b32 s1, -1, 0
	s_cmp_eq_u32 s12, 29
	v_cndmask_b32_e64 v87, v87, v0, s1
	s_cselect_b32 s1, -1, 0
	s_cmp_eq_u32 s12, 30
	v_cndmask_b32_e64 v87, v87, v63, s1
	s_cselect_b32 s1, -1, 0
	s_cmp_eq_u32 s12, 31
	v_cndmask_b32_e64 v87, v87, v19, s1
	s_cselect_b32 s1, -1, 0
	s_cmp_eq_u32 s12, 32
	v_cndmask_b32_e64 v87, v87, v64, s1
	s_cselect_b32 s1, -1, 0
	s_cmp_eq_u32 s12, 33
	v_cndmask_b32_e64 v87, v87, v23, s1
	s_cselect_b32 s1, -1, 0
	s_cmp_eq_u32 s12, 34
	v_cndmask_b32_e64 v87, v87, v65, s1
	s_cselect_b32 s1, -1, 0
	s_cmp_eq_u32 s12, 35
	v_cndmask_b32_e64 v87, v87, v27, s1
	s_cselect_b32 s1, -1, 0
	s_cmp_eq_u32 s12, 36
	v_cndmask_b32_e64 v87, v87, v66, s1
	s_cselect_b32 s1, -1, 0
	s_cmp_eq_u32 s12, 37
	v_cndmask_b32_e64 v87, v87, v31, s1
	s_cselect_b32 s1, -1, 0
	s_cmp_eq_u32 s12, 38
	v_cndmask_b32_e64 v87, v87, v67, s1
	s_cselect_b32 s1, -1, 0
	s_cmp_eq_u32 s12, 39
	v_cndmask_b32_e64 v87, v87, v35, s1
	s_cselect_b32 s1, -1, 0
	s_cmp_eq_u32 s12, 40
	v_cndmask_b32_e64 v87, v87, v68, s1
	s_cselect_b32 s1, -1, 0
	s_cmp_eq_u32 s12, 41
	v_cndmask_b32_e64 v87, v87, v39, s1
	s_cselect_b32 s1, -1, 0
	s_cmp_eq_u32 s12, 42
	v_cndmask_b32_e64 v87, v87, v69, s1
	s_cselect_b32 s1, -1, 0
	s_cmp_eq_u32 s12, 43
	v_cndmask_b32_e64 v87, v87, v43, s1
	s_cselect_b32 s1, -1, 0
	s_cmp_eq_u32 s12, 44
	v_cndmask_b32_e64 v87, v87, v70, s1
	s_cselect_b32 s1, -1, 0
	s_cmp_eq_u32 s12, 45
	v_cndmask_b32_e64 v87, v87, v46, s1
	s_cselect_b32 s1, -1, 0
	s_cmp_eq_u32 s12, 46
	v_cndmask_b32_e64 v87, v87, v71, s1
	s_cselect_b32 s1, -1, 0
	s_cmp_eq_u32 s12, 47
	v_cndmask_b32_e64 v87, v87, v20, s1
	s_cselect_b32 s1, -1, 0
	s_cmp_eq_u32 s12, 48
	v_cndmask_b32_e64 v87, v87, v72, s1
	s_cselect_b32 s1, -1, 0
	s_cmp_eq_u32 s12, 49
	v_cndmask_b32_e64 v87, v87, v24, s1
	s_cselect_b32 s1, -1, 0
	s_cmp_eq_u32 s12, 50
	v_cndmask_b32_e64 v87, v87, v73, s1
	s_cselect_b32 s1, -1, 0
	s_cmp_eq_u32 s12, 51
	v_cndmask_b32_e64 v87, v87, v28, s1
	s_cselect_b32 s1, -1, 0
	s_cmp_eq_u32 s12, 52
	v_cndmask_b32_e64 v87, v87, v74, s1
	s_cselect_b32 s1, -1, 0
	s_cmp_eq_u32 s12, 53
	v_cndmask_b32_e64 v87, v87, v32, s1
	s_cselect_b32 s1, -1, 0
	s_cmp_eq_u32 s12, 54
	v_cndmask_b32_e64 v87, v87, v75, s1
	s_cselect_b32 s1, -1, 0
	s_cmp_eq_u32 s12, 55
	v_cndmask_b32_e64 v87, v87, v36, s1
	s_cselect_b32 s1, -1, 0
	s_cmp_eq_u32 s12, 56
	v_cndmask_b32_e64 v87, v87, v76, s1
	s_cselect_b32 s1, -1, 0
	s_cmp_eq_u32 s12, 57
	v_cndmask_b32_e64 v87, v87, v40, s1
	s_cselect_b32 s1, -1, 0
	s_cmp_eq_u32 s12, 58
	v_cndmask_b32_e64 v87, v87, v77, s1
	s_cselect_b32 s1, -1, 0
	s_cmp_eq_u32 s12, 59
	v_cndmask_b32_e64 v87, v87, v44, s1
	s_cselect_b32 s1, -1, 0
	s_cmp_eq_u32 s12, 60
	v_cndmask_b32_e64 v87, v87, v78, s1
	s_cselect_b32 s1, -1, 0
	s_cmp_eq_u32 s12, 61
	v_cndmask_b32_e64 v87, v87, v47, s1
	s_cselect_b32 s1, -1, 0
	s_cmp_eq_u32 s12, 62
	v_cndmask_b32_e64 v87, v87, v79, s1
	s_cselect_b32 s1, -1, 0
	s_cmp_eq_u32 s12, 63
	s_cselect_b32 vcc_lo, -1, 0
	v_cndmask_b32_e64 v87, v87, v48, s1
	v_cndmask_b32_e32 v87, v87, v80, vcc_lo
	v_add_f16_e32 v86, v86, v87
	v_add_co_u32 v87, vcc_lo, v83, v4
	v_add_co_ci_u32_e64 v88, null, v84, v5, vcc_lo
	v_add_f16_e32 v89, v86, v85
	v_mov_b32_e32 v85, 0
	v_mov_b32_e32 v86, 0
	s_and_b32 vcc_lo, exec_lo, s0
	global_store_short v[87:88], v89, off
	s_cbranch_vccnz .LBB289_18
; %bb.17:                               ;   in Loop: Header=BB289_12 Depth=1
	v_add_co_u32 v86, vcc_lo, v81, v6
	v_add_co_ci_u32_e64 v87, null, v82, v7, vcc_lo
	global_load_ushort v86, v[86:87], off
	s_waitcnt vmcnt(0)
	v_mul_f16_e32 v86, s11, v86
.LBB289_18:                             ;   in Loop: Header=BB289_12 Depth=1
	s_add_i32 s1, s2, -11
	s_cmp_eq_u32 s1, 1
	s_cselect_b32 vcc_lo, -1, 0
	s_cmp_eq_u32 s1, 2
	v_cndmask_b32_e32 v87, v21, v49, vcc_lo
	s_cselect_b32 vcc_lo, -1, 0
	s_cmp_eq_u32 s1, 3
	v_cndmask_b32_e32 v87, v87, v25, vcc_lo
	;; [unrolled: 3-line block ×62, first 2 shown]
	s_cselect_b32 vcc_lo, -1, 0
	s_add_i32 s12, s2, -10
	s_cmp_eq_u32 s12, 1
	v_cndmask_b32_e32 v87, v87, v80, vcc_lo
	s_cselect_b32 s1, -1, 0
	s_cmp_eq_u32 s12, 2
	v_cndmask_b32_e64 v88, v21, v49, s1
	s_cselect_b32 s1, -1, 0
	s_cmp_eq_u32 s12, 3
	v_cndmask_b32_e64 v88, v88, v25, s1
	;; [unrolled: 3-line block ×61, first 2 shown]
	s_cselect_b32 s1, -1, 0
	s_cmp_eq_u32 s12, 63
	s_cselect_b32 vcc_lo, -1, 0
	v_cndmask_b32_e64 v88, v88, v48, s1
	v_cndmask_b32_e32 v88, v88, v80, vcc_lo
	v_add_f16_e32 v87, v87, v88
	v_add_f16_e32 v88, v87, v86
	v_add_co_u32 v86, vcc_lo, v83, v6
	v_add_co_ci_u32_e64 v87, null, v84, v7, vcc_lo
	s_and_b32 vcc_lo, exec_lo, s0
	global_store_short v[86:87], v88, off
	s_cbranch_vccnz .LBB289_20
; %bb.19:                               ;   in Loop: Header=BB289_12 Depth=1
	v_add_co_u32 v85, vcc_lo, v81, v8
	v_add_co_ci_u32_e64 v86, null, v82, v9, vcc_lo
	global_load_ushort v85, v[85:86], off
	s_waitcnt vmcnt(0)
	v_mul_f16_e32 v85, s11, v85
.LBB289_20:                             ;   in Loop: Header=BB289_12 Depth=1
	s_add_i32 s1, s2, -9
	s_cmp_eq_u32 s1, 1
	s_cselect_b32 vcc_lo, -1, 0
	s_cmp_eq_u32 s1, 2
	v_cndmask_b32_e32 v86, v21, v49, vcc_lo
	s_cselect_b32 vcc_lo, -1, 0
	s_cmp_eq_u32 s1, 3
	v_cndmask_b32_e32 v86, v86, v25, vcc_lo
	;; [unrolled: 3-line block ×62, first 2 shown]
	s_cselect_b32 vcc_lo, -1, 0
	s_add_i32 s12, s2, -8
	s_cmp_eq_u32 s12, 1
	v_cndmask_b32_e32 v86, v86, v80, vcc_lo
	s_cselect_b32 s1, -1, 0
	s_cmp_eq_u32 s12, 2
	v_cndmask_b32_e64 v87, v21, v49, s1
	s_cselect_b32 s1, -1, 0
	s_cmp_eq_u32 s12, 3
	v_cndmask_b32_e64 v87, v87, v25, s1
	;; [unrolled: 3-line block ×61, first 2 shown]
	s_cselect_b32 s1, -1, 0
	s_cmp_eq_u32 s12, 63
	s_cselect_b32 vcc_lo, -1, 0
	v_cndmask_b32_e64 v87, v87, v48, s1
	v_cndmask_b32_e32 v87, v87, v80, vcc_lo
	v_add_f16_e32 v86, v86, v87
	v_add_co_u32 v87, vcc_lo, v83, v8
	v_add_co_ci_u32_e64 v88, null, v84, v9, vcc_lo
	v_add_f16_e32 v89, v86, v85
	v_mov_b32_e32 v85, 0
	v_mov_b32_e32 v86, 0
	s_and_b32 vcc_lo, exec_lo, s0
	global_store_short v[87:88], v89, off
	s_cbranch_vccnz .LBB289_22
; %bb.21:                               ;   in Loop: Header=BB289_12 Depth=1
	v_add_co_u32 v86, vcc_lo, v81, v10
	v_add_co_ci_u32_e64 v87, null, v82, v11, vcc_lo
	global_load_ushort v86, v[86:87], off
	s_waitcnt vmcnt(0)
	v_mul_f16_e32 v86, s11, v86
.LBB289_22:                             ;   in Loop: Header=BB289_12 Depth=1
	s_add_i32 s1, s2, -7
	s_cmp_eq_u32 s1, 1
	s_cselect_b32 vcc_lo, -1, 0
	s_cmp_eq_u32 s1, 2
	v_cndmask_b32_e32 v87, v21, v49, vcc_lo
	s_cselect_b32 vcc_lo, -1, 0
	s_cmp_eq_u32 s1, 3
	v_cndmask_b32_e32 v87, v87, v25, vcc_lo
	;; [unrolled: 3-line block ×62, first 2 shown]
	s_cselect_b32 vcc_lo, -1, 0
	s_add_i32 s12, s2, -6
	s_cmp_eq_u32 s12, 1
	v_cndmask_b32_e32 v87, v87, v80, vcc_lo
	s_cselect_b32 s1, -1, 0
	s_cmp_eq_u32 s12, 2
	v_cndmask_b32_e64 v88, v21, v49, s1
	s_cselect_b32 s1, -1, 0
	s_cmp_eq_u32 s12, 3
	v_cndmask_b32_e64 v88, v88, v25, s1
	;; [unrolled: 3-line block ×61, first 2 shown]
	s_cselect_b32 s1, -1, 0
	s_cmp_eq_u32 s12, 63
	s_cselect_b32 vcc_lo, -1, 0
	v_cndmask_b32_e64 v88, v88, v48, s1
	v_cndmask_b32_e32 v88, v88, v80, vcc_lo
	v_add_f16_e32 v87, v87, v88
	v_add_f16_e32 v88, v87, v86
	v_add_co_u32 v86, vcc_lo, v83, v10
	v_add_co_ci_u32_e64 v87, null, v84, v11, vcc_lo
	s_and_b32 vcc_lo, exec_lo, s0
	global_store_short v[86:87], v88, off
	s_cbranch_vccnz .LBB289_24
; %bb.23:                               ;   in Loop: Header=BB289_12 Depth=1
	v_add_co_u32 v85, vcc_lo, v81, v12
	v_add_co_ci_u32_e64 v86, null, v82, v13, vcc_lo
	global_load_ushort v85, v[85:86], off
	s_waitcnt vmcnt(0)
	v_mul_f16_e32 v85, s11, v85
.LBB289_24:                             ;   in Loop: Header=BB289_12 Depth=1
	s_add_i32 s1, s2, -5
	s_cmp_eq_u32 s1, 1
	s_cselect_b32 vcc_lo, -1, 0
	s_cmp_eq_u32 s1, 2
	v_cndmask_b32_e32 v86, v21, v49, vcc_lo
	s_cselect_b32 vcc_lo, -1, 0
	s_cmp_eq_u32 s1, 3
	v_cndmask_b32_e32 v86, v86, v25, vcc_lo
	s_cselect_b32 vcc_lo, -1, 0
	s_cmp_eq_u32 s1, 4
	v_cndmask_b32_e32 v86, v86, v50, vcc_lo
	s_cselect_b32 vcc_lo, -1, 0
	s_cmp_eq_u32 s1, 5
	v_cndmask_b32_e32 v86, v86, v29, vcc_lo
	s_cselect_b32 vcc_lo, -1, 0
	s_cmp_eq_u32 s1, 6
	v_cndmask_b32_e32 v86, v86, v51, vcc_lo
	s_cselect_b32 vcc_lo, -1, 0
	s_cmp_eq_u32 s1, 7
	v_cndmask_b32_e32 v86, v86, v33, vcc_lo
	s_cselect_b32 vcc_lo, -1, 0
	s_cmp_eq_u32 s1, 8
	v_cndmask_b32_e32 v86, v86, v52, vcc_lo
	s_cselect_b32 vcc_lo, -1, 0
	s_cmp_eq_u32 s1, 9
	v_cndmask_b32_e32 v86, v86, v37, vcc_lo
	s_cselect_b32 vcc_lo, -1, 0
	s_cmp_eq_u32 s1, 10
	v_cndmask_b32_e32 v86, v86, v53, vcc_lo
	s_cselect_b32 vcc_lo, -1, 0
	s_cmp_eq_u32 s1, 11
	v_cndmask_b32_e32 v86, v86, v41, vcc_lo
	s_cselect_b32 vcc_lo, -1, 0
	s_cmp_eq_u32 s1, 12
	v_cndmask_b32_e32 v86, v86, v54, vcc_lo
	s_cselect_b32 vcc_lo, -1, 0
	s_cmp_eq_u32 s1, 13
	v_cndmask_b32_e32 v86, v86, v45, vcc_lo
	s_cselect_b32 vcc_lo, -1, 0
	s_cmp_eq_u32 s1, 14
	v_cndmask_b32_e32 v86, v86, v55, vcc_lo
	s_cselect_b32 vcc_lo, -1, 0
	s_cmp_eq_u32 s1, 15
	v_cndmask_b32_e32 v86, v86, v18, vcc_lo
	s_cselect_b32 vcc_lo, -1, 0
	s_cmp_eq_u32 s1, 16
	v_cndmask_b32_e32 v86, v86, v56, vcc_lo
	s_cselect_b32 vcc_lo, -1, 0
	s_cmp_eq_u32 s1, 17
	v_cndmask_b32_e32 v86, v86, v22, vcc_lo
	s_cselect_b32 vcc_lo, -1, 0
	s_cmp_eq_u32 s1, 18
	v_cndmask_b32_e32 v86, v86, v57, vcc_lo
	s_cselect_b32 vcc_lo, -1, 0
	s_cmp_eq_u32 s1, 19
	v_cndmask_b32_e32 v86, v86, v26, vcc_lo
	s_cselect_b32 vcc_lo, -1, 0
	s_cmp_eq_u32 s1, 20
	v_cndmask_b32_e32 v86, v86, v58, vcc_lo
	s_cselect_b32 vcc_lo, -1, 0
	s_cmp_eq_u32 s1, 21
	v_cndmask_b32_e32 v86, v86, v30, vcc_lo
	s_cselect_b32 vcc_lo, -1, 0
	s_cmp_eq_u32 s1, 22
	v_cndmask_b32_e32 v86, v86, v59, vcc_lo
	s_cselect_b32 vcc_lo, -1, 0
	s_cmp_eq_u32 s1, 23
	v_cndmask_b32_e32 v86, v86, v34, vcc_lo
	s_cselect_b32 vcc_lo, -1, 0
	s_cmp_eq_u32 s1, 24
	v_cndmask_b32_e32 v86, v86, v60, vcc_lo
	s_cselect_b32 vcc_lo, -1, 0
	s_cmp_eq_u32 s1, 25
	v_cndmask_b32_e32 v86, v86, v38, vcc_lo
	s_cselect_b32 vcc_lo, -1, 0
	s_cmp_eq_u32 s1, 26
	v_cndmask_b32_e32 v86, v86, v61, vcc_lo
	s_cselect_b32 vcc_lo, -1, 0
	s_cmp_eq_u32 s1, 27
	v_cndmask_b32_e32 v86, v86, v42, vcc_lo
	s_cselect_b32 vcc_lo, -1, 0
	s_cmp_eq_u32 s1, 28
	v_cndmask_b32_e32 v86, v86, v62, vcc_lo
	s_cselect_b32 vcc_lo, -1, 0
	s_cmp_eq_u32 s1, 29
	v_cndmask_b32_e32 v86, v86, v0, vcc_lo
	s_cselect_b32 vcc_lo, -1, 0
	s_cmp_eq_u32 s1, 30
	v_cndmask_b32_e32 v86, v86, v63, vcc_lo
	s_cselect_b32 vcc_lo, -1, 0
	s_cmp_eq_u32 s1, 31
	v_cndmask_b32_e32 v86, v86, v19, vcc_lo
	s_cselect_b32 vcc_lo, -1, 0
	s_cmp_eq_u32 s1, 32
	v_cndmask_b32_e32 v86, v86, v64, vcc_lo
	s_cselect_b32 vcc_lo, -1, 0
	s_cmp_eq_u32 s1, 33
	v_cndmask_b32_e32 v86, v86, v23, vcc_lo
	s_cselect_b32 vcc_lo, -1, 0
	s_cmp_eq_u32 s1, 34
	v_cndmask_b32_e32 v86, v86, v65, vcc_lo
	s_cselect_b32 vcc_lo, -1, 0
	s_cmp_eq_u32 s1, 35
	v_cndmask_b32_e32 v86, v86, v27, vcc_lo
	s_cselect_b32 vcc_lo, -1, 0
	s_cmp_eq_u32 s1, 36
	v_cndmask_b32_e32 v86, v86, v66, vcc_lo
	s_cselect_b32 vcc_lo, -1, 0
	s_cmp_eq_u32 s1, 37
	v_cndmask_b32_e32 v86, v86, v31, vcc_lo
	s_cselect_b32 vcc_lo, -1, 0
	s_cmp_eq_u32 s1, 38
	v_cndmask_b32_e32 v86, v86, v67, vcc_lo
	s_cselect_b32 vcc_lo, -1, 0
	s_cmp_eq_u32 s1, 39
	v_cndmask_b32_e32 v86, v86, v35, vcc_lo
	s_cselect_b32 vcc_lo, -1, 0
	s_cmp_eq_u32 s1, 40
	v_cndmask_b32_e32 v86, v86, v68, vcc_lo
	s_cselect_b32 vcc_lo, -1, 0
	s_cmp_eq_u32 s1, 41
	v_cndmask_b32_e32 v86, v86, v39, vcc_lo
	s_cselect_b32 vcc_lo, -1, 0
	s_cmp_eq_u32 s1, 42
	v_cndmask_b32_e32 v86, v86, v69, vcc_lo
	s_cselect_b32 vcc_lo, -1, 0
	s_cmp_eq_u32 s1, 43
	v_cndmask_b32_e32 v86, v86, v43, vcc_lo
	s_cselect_b32 vcc_lo, -1, 0
	s_cmp_eq_u32 s1, 44
	v_cndmask_b32_e32 v86, v86, v70, vcc_lo
	s_cselect_b32 vcc_lo, -1, 0
	s_cmp_eq_u32 s1, 45
	v_cndmask_b32_e32 v86, v86, v46, vcc_lo
	s_cselect_b32 vcc_lo, -1, 0
	s_cmp_eq_u32 s1, 46
	v_cndmask_b32_e32 v86, v86, v71, vcc_lo
	s_cselect_b32 vcc_lo, -1, 0
	s_cmp_eq_u32 s1, 47
	v_cndmask_b32_e32 v86, v86, v20, vcc_lo
	s_cselect_b32 vcc_lo, -1, 0
	s_cmp_eq_u32 s1, 48
	v_cndmask_b32_e32 v86, v86, v72, vcc_lo
	s_cselect_b32 vcc_lo, -1, 0
	s_cmp_eq_u32 s1, 49
	v_cndmask_b32_e32 v86, v86, v24, vcc_lo
	s_cselect_b32 vcc_lo, -1, 0
	s_cmp_eq_u32 s1, 50
	v_cndmask_b32_e32 v86, v86, v73, vcc_lo
	s_cselect_b32 vcc_lo, -1, 0
	s_cmp_eq_u32 s1, 51
	v_cndmask_b32_e32 v86, v86, v28, vcc_lo
	s_cselect_b32 vcc_lo, -1, 0
	s_cmp_eq_u32 s1, 52
	v_cndmask_b32_e32 v86, v86, v74, vcc_lo
	s_cselect_b32 vcc_lo, -1, 0
	s_cmp_eq_u32 s1, 53
	v_cndmask_b32_e32 v86, v86, v32, vcc_lo
	s_cselect_b32 vcc_lo, -1, 0
	s_cmp_eq_u32 s1, 54
	v_cndmask_b32_e32 v86, v86, v75, vcc_lo
	s_cselect_b32 vcc_lo, -1, 0
	s_cmp_eq_u32 s1, 55
	v_cndmask_b32_e32 v86, v86, v36, vcc_lo
	s_cselect_b32 vcc_lo, -1, 0
	s_cmp_eq_u32 s1, 56
	v_cndmask_b32_e32 v86, v86, v76, vcc_lo
	s_cselect_b32 vcc_lo, -1, 0
	s_cmp_eq_u32 s1, 57
	v_cndmask_b32_e32 v86, v86, v40, vcc_lo
	s_cselect_b32 vcc_lo, -1, 0
	s_cmp_eq_u32 s1, 58
	v_cndmask_b32_e32 v86, v86, v77, vcc_lo
	s_cselect_b32 vcc_lo, -1, 0
	s_cmp_eq_u32 s1, 59
	v_cndmask_b32_e32 v86, v86, v44, vcc_lo
	s_cselect_b32 vcc_lo, -1, 0
	s_cmp_eq_u32 s1, 60
	v_cndmask_b32_e32 v86, v86, v78, vcc_lo
	s_cselect_b32 vcc_lo, -1, 0
	s_cmp_eq_u32 s1, 61
	v_cndmask_b32_e32 v86, v86, v47, vcc_lo
	s_cselect_b32 vcc_lo, -1, 0
	s_cmp_eq_u32 s1, 62
	v_cndmask_b32_e32 v86, v86, v79, vcc_lo
	s_cselect_b32 vcc_lo, -1, 0
	s_cmp_eq_u32 s1, 63
	v_cndmask_b32_e32 v86, v86, v48, vcc_lo
	s_cselect_b32 vcc_lo, -1, 0
	s_add_i32 s12, s2, -4
	s_cmp_eq_u32 s12, 1
	v_cndmask_b32_e32 v86, v86, v80, vcc_lo
	s_cselect_b32 s1, -1, 0
	s_cmp_eq_u32 s12, 2
	v_cndmask_b32_e64 v87, v21, v49, s1
	s_cselect_b32 s1, -1, 0
	s_cmp_eq_u32 s12, 3
	v_cndmask_b32_e64 v87, v87, v25, s1
	;; [unrolled: 3-line block ×61, first 2 shown]
	s_cselect_b32 s1, -1, 0
	s_cmp_eq_u32 s12, 63
	s_cselect_b32 vcc_lo, -1, 0
	v_cndmask_b32_e64 v87, v87, v48, s1
	v_cndmask_b32_e32 v87, v87, v80, vcc_lo
	v_add_f16_e32 v86, v86, v87
	v_add_co_u32 v87, vcc_lo, v83, v12
	v_add_co_ci_u32_e64 v88, null, v84, v13, vcc_lo
	v_add_f16_e32 v89, v86, v85
	v_mov_b32_e32 v85, 0
	v_mov_b32_e32 v86, 0
	s_and_b32 vcc_lo, exec_lo, s0
	global_store_short v[87:88], v89, off
	s_cbranch_vccnz .LBB289_26
; %bb.25:                               ;   in Loop: Header=BB289_12 Depth=1
	v_add_co_u32 v86, vcc_lo, v81, v14
	v_add_co_ci_u32_e64 v87, null, v82, v15, vcc_lo
	global_load_ushort v86, v[86:87], off
	s_waitcnt vmcnt(0)
	v_mul_f16_e32 v86, s11, v86
.LBB289_26:                             ;   in Loop: Header=BB289_12 Depth=1
	s_add_i32 s1, s2, -3
	s_cmp_eq_u32 s1, 1
	s_cselect_b32 vcc_lo, -1, 0
	s_cmp_eq_u32 s1, 2
	v_cndmask_b32_e32 v87, v21, v49, vcc_lo
	s_cselect_b32 vcc_lo, -1, 0
	s_cmp_eq_u32 s1, 3
	v_cndmask_b32_e32 v87, v87, v25, vcc_lo
	;; [unrolled: 3-line block ×62, first 2 shown]
	s_cselect_b32 vcc_lo, -1, 0
	s_add_i32 s12, s2, -2
	s_cmp_eq_u32 s12, 1
	v_cndmask_b32_e32 v87, v87, v80, vcc_lo
	s_cselect_b32 s1, -1, 0
	s_cmp_eq_u32 s12, 2
	v_cndmask_b32_e64 v88, v21, v49, s1
	s_cselect_b32 s1, -1, 0
	s_cmp_eq_u32 s12, 3
	v_cndmask_b32_e64 v88, v88, v25, s1
	;; [unrolled: 3-line block ×61, first 2 shown]
	s_cselect_b32 s1, -1, 0
	s_cmp_eq_u32 s12, 63
	s_cselect_b32 vcc_lo, -1, 0
	v_cndmask_b32_e64 v88, v88, v48, s1
	v_cndmask_b32_e32 v88, v88, v80, vcc_lo
	v_add_f16_e32 v87, v87, v88
	v_add_f16_e32 v88, v87, v86
	v_add_co_u32 v86, vcc_lo, v83, v14
	v_add_co_ci_u32_e64 v87, null, v84, v15, vcc_lo
	s_and_b32 vcc_lo, exec_lo, s0
	global_store_short v[86:87], v88, off
	s_cbranch_vccnz .LBB289_11
; %bb.27:                               ;   in Loop: Header=BB289_12 Depth=1
	v_add_co_u32 v81, vcc_lo, v81, v16
	v_add_co_ci_u32_e64 v82, null, v82, v17, vcc_lo
	global_load_ushort v81, v[81:82], off
	s_waitcnt vmcnt(0)
	v_mul_f16_e32 v85, s11, v81
	s_branch .LBB289_11
.LBB289_28:
	s_endpgm
.LBB289_29:
	s_mov_b64 s[14:15], 0
	s_andn2_b32 vcc_lo, exec_lo, s8
	s_mov_b32 s0, -1
	s_cbranch_vccz .LBB289_2
	s_branch .LBB289_3
	.section	.rodata,"a",@progbits
	.p2align	6, 0x0
	.amdhsa_kernel _ZN12_GLOBAL__N_120geam_min_plus_kernelIDF16_Dv2_DF16_S1_Li8ELi32ELi64ELi128ELi4ELi4ELi64ELi4ELi64ELc84ELc78ELb1ELb0ELb0EDF16_KDF16_DF16_EEviiiT16_PT17_ilS5_ilS3_S5_ilPT18_ili26rocblas_geam_ex_operation_
		.amdhsa_group_segment_fixed_size 3072
		.amdhsa_private_segment_fixed_size 0
		.amdhsa_kernarg_size 128
		.amdhsa_user_sgpr_count 6
		.amdhsa_user_sgpr_private_segment_buffer 1
		.amdhsa_user_sgpr_dispatch_ptr 0
		.amdhsa_user_sgpr_queue_ptr 0
		.amdhsa_user_sgpr_kernarg_segment_ptr 1
		.amdhsa_user_sgpr_dispatch_id 0
		.amdhsa_user_sgpr_flat_scratch_init 0
		.amdhsa_user_sgpr_private_segment_size 0
		.amdhsa_wavefront_size32 1
		.amdhsa_uses_dynamic_stack 0
		.amdhsa_system_sgpr_private_segment_wavefront_offset 0
		.amdhsa_system_sgpr_workgroup_id_x 1
		.amdhsa_system_sgpr_workgroup_id_y 0
		.amdhsa_system_sgpr_workgroup_id_z 1
		.amdhsa_system_sgpr_workgroup_info 0
		.amdhsa_system_vgpr_workitem_id 1
		.amdhsa_next_free_vgpr 90
		.amdhsa_next_free_sgpr 21
		.amdhsa_reserve_vcc 1
		.amdhsa_reserve_flat_scratch 0
		.amdhsa_float_round_mode_32 0
		.amdhsa_float_round_mode_16_64 0
		.amdhsa_float_denorm_mode_32 3
		.amdhsa_float_denorm_mode_16_64 3
		.amdhsa_dx10_clamp 1
		.amdhsa_ieee_mode 1
		.amdhsa_fp16_overflow 0
		.amdhsa_workgroup_processor_mode 1
		.amdhsa_memory_ordered 1
		.amdhsa_forward_progress 1
		.amdhsa_shared_vgpr_count 0
		.amdhsa_exception_fp_ieee_invalid_op 0
		.amdhsa_exception_fp_denorm_src 0
		.amdhsa_exception_fp_ieee_div_zero 0
		.amdhsa_exception_fp_ieee_overflow 0
		.amdhsa_exception_fp_ieee_underflow 0
		.amdhsa_exception_fp_ieee_inexact 0
		.amdhsa_exception_int_div_zero 0
	.end_amdhsa_kernel
	.section	.text._ZN12_GLOBAL__N_120geam_min_plus_kernelIDF16_Dv2_DF16_S1_Li8ELi32ELi64ELi128ELi4ELi4ELi64ELi4ELi64ELc84ELc78ELb1ELb0ELb0EDF16_KDF16_DF16_EEviiiT16_PT17_ilS5_ilS3_S5_ilPT18_ili26rocblas_geam_ex_operation_,"axG",@progbits,_ZN12_GLOBAL__N_120geam_min_plus_kernelIDF16_Dv2_DF16_S1_Li8ELi32ELi64ELi128ELi4ELi4ELi64ELi4ELi64ELc84ELc78ELb1ELb0ELb0EDF16_KDF16_DF16_EEviiiT16_PT17_ilS5_ilS3_S5_ilPT18_ili26rocblas_geam_ex_operation_,comdat
.Lfunc_end289:
	.size	_ZN12_GLOBAL__N_120geam_min_plus_kernelIDF16_Dv2_DF16_S1_Li8ELi32ELi64ELi128ELi4ELi4ELi64ELi4ELi64ELc84ELc78ELb1ELb0ELb0EDF16_KDF16_DF16_EEviiiT16_PT17_ilS5_ilS3_S5_ilPT18_ili26rocblas_geam_ex_operation_, .Lfunc_end289-_ZN12_GLOBAL__N_120geam_min_plus_kernelIDF16_Dv2_DF16_S1_Li8ELi32ELi64ELi128ELi4ELi4ELi64ELi4ELi64ELc84ELc78ELb1ELb0ELb0EDF16_KDF16_DF16_EEviiiT16_PT17_ilS5_ilS3_S5_ilPT18_ili26rocblas_geam_ex_operation_
                                        ; -- End function
	.set _ZN12_GLOBAL__N_120geam_min_plus_kernelIDF16_Dv2_DF16_S1_Li8ELi32ELi64ELi128ELi4ELi4ELi64ELi4ELi64ELc84ELc78ELb1ELb0ELb0EDF16_KDF16_DF16_EEviiiT16_PT17_ilS5_ilS3_S5_ilPT18_ili26rocblas_geam_ex_operation_.num_vgpr, 90
	.set _ZN12_GLOBAL__N_120geam_min_plus_kernelIDF16_Dv2_DF16_S1_Li8ELi32ELi64ELi128ELi4ELi4ELi64ELi4ELi64ELc84ELc78ELb1ELb0ELb0EDF16_KDF16_DF16_EEviiiT16_PT17_ilS5_ilS3_S5_ilPT18_ili26rocblas_geam_ex_operation_.num_agpr, 0
	.set _ZN12_GLOBAL__N_120geam_min_plus_kernelIDF16_Dv2_DF16_S1_Li8ELi32ELi64ELi128ELi4ELi4ELi64ELi4ELi64ELc84ELc78ELb1ELb0ELb0EDF16_KDF16_DF16_EEviiiT16_PT17_ilS5_ilS3_S5_ilPT18_ili26rocblas_geam_ex_operation_.numbered_sgpr, 21
	.set _ZN12_GLOBAL__N_120geam_min_plus_kernelIDF16_Dv2_DF16_S1_Li8ELi32ELi64ELi128ELi4ELi4ELi64ELi4ELi64ELc84ELc78ELb1ELb0ELb0EDF16_KDF16_DF16_EEviiiT16_PT17_ilS5_ilS3_S5_ilPT18_ili26rocblas_geam_ex_operation_.num_named_barrier, 0
	.set _ZN12_GLOBAL__N_120geam_min_plus_kernelIDF16_Dv2_DF16_S1_Li8ELi32ELi64ELi128ELi4ELi4ELi64ELi4ELi64ELc84ELc78ELb1ELb0ELb0EDF16_KDF16_DF16_EEviiiT16_PT17_ilS5_ilS3_S5_ilPT18_ili26rocblas_geam_ex_operation_.private_seg_size, 0
	.set _ZN12_GLOBAL__N_120geam_min_plus_kernelIDF16_Dv2_DF16_S1_Li8ELi32ELi64ELi128ELi4ELi4ELi64ELi4ELi64ELc84ELc78ELb1ELb0ELb0EDF16_KDF16_DF16_EEviiiT16_PT17_ilS5_ilS3_S5_ilPT18_ili26rocblas_geam_ex_operation_.uses_vcc, 1
	.set _ZN12_GLOBAL__N_120geam_min_plus_kernelIDF16_Dv2_DF16_S1_Li8ELi32ELi64ELi128ELi4ELi4ELi64ELi4ELi64ELc84ELc78ELb1ELb0ELb0EDF16_KDF16_DF16_EEviiiT16_PT17_ilS5_ilS3_S5_ilPT18_ili26rocblas_geam_ex_operation_.uses_flat_scratch, 0
	.set _ZN12_GLOBAL__N_120geam_min_plus_kernelIDF16_Dv2_DF16_S1_Li8ELi32ELi64ELi128ELi4ELi4ELi64ELi4ELi64ELc84ELc78ELb1ELb0ELb0EDF16_KDF16_DF16_EEviiiT16_PT17_ilS5_ilS3_S5_ilPT18_ili26rocblas_geam_ex_operation_.has_dyn_sized_stack, 0
	.set _ZN12_GLOBAL__N_120geam_min_plus_kernelIDF16_Dv2_DF16_S1_Li8ELi32ELi64ELi128ELi4ELi4ELi64ELi4ELi64ELc84ELc78ELb1ELb0ELb0EDF16_KDF16_DF16_EEviiiT16_PT17_ilS5_ilS3_S5_ilPT18_ili26rocblas_geam_ex_operation_.has_recursion, 0
	.set _ZN12_GLOBAL__N_120geam_min_plus_kernelIDF16_Dv2_DF16_S1_Li8ELi32ELi64ELi128ELi4ELi4ELi64ELi4ELi64ELc84ELc78ELb1ELb0ELb0EDF16_KDF16_DF16_EEviiiT16_PT17_ilS5_ilS3_S5_ilPT18_ili26rocblas_geam_ex_operation_.has_indirect_call, 0
	.section	.AMDGPU.csdata,"",@progbits
; Kernel info:
; codeLenInByte = 21352
; TotalNumSgprs: 23
; NumVgprs: 90
; ScratchSize: 0
; MemoryBound: 0
; FloatMode: 240
; IeeeMode: 1
; LDSByteSize: 3072 bytes/workgroup (compile time only)
; SGPRBlocks: 0
; VGPRBlocks: 11
; NumSGPRsForWavesPerEU: 23
; NumVGPRsForWavesPerEU: 90
; Occupancy: 10
; WaveLimiterHint : 0
; COMPUTE_PGM_RSRC2:SCRATCH_EN: 0
; COMPUTE_PGM_RSRC2:USER_SGPR: 6
; COMPUTE_PGM_RSRC2:TRAP_HANDLER: 0
; COMPUTE_PGM_RSRC2:TGID_X_EN: 1
; COMPUTE_PGM_RSRC2:TGID_Y_EN: 0
; COMPUTE_PGM_RSRC2:TGID_Z_EN: 1
; COMPUTE_PGM_RSRC2:TIDIG_COMP_CNT: 1
	.section	.text._ZN12_GLOBAL__N_120geam_min_plus_kernelIDF16_Dv2_DF16_S1_Li8ELi32ELi64ELi128ELi4ELi4ELi64ELi4ELi64ELc84ELc78ELb0ELb0ELb0EDF16_KDF16_DF16_EEviiiT16_PT17_ilS5_ilS3_S5_ilPT18_ili26rocblas_geam_ex_operation_,"axG",@progbits,_ZN12_GLOBAL__N_120geam_min_plus_kernelIDF16_Dv2_DF16_S1_Li8ELi32ELi64ELi128ELi4ELi4ELi64ELi4ELi64ELc84ELc78ELb0ELb0ELb0EDF16_KDF16_DF16_EEviiiT16_PT17_ilS5_ilS3_S5_ilPT18_ili26rocblas_geam_ex_operation_,comdat
	.globl	_ZN12_GLOBAL__N_120geam_min_plus_kernelIDF16_Dv2_DF16_S1_Li8ELi32ELi64ELi128ELi4ELi4ELi64ELi4ELi64ELc84ELc78ELb0ELb0ELb0EDF16_KDF16_DF16_EEviiiT16_PT17_ilS5_ilS3_S5_ilPT18_ili26rocblas_geam_ex_operation_ ; -- Begin function _ZN12_GLOBAL__N_120geam_min_plus_kernelIDF16_Dv2_DF16_S1_Li8ELi32ELi64ELi128ELi4ELi4ELi64ELi4ELi64ELc84ELc78ELb0ELb0ELb0EDF16_KDF16_DF16_EEviiiT16_PT17_ilS5_ilS3_S5_ilPT18_ili26rocblas_geam_ex_operation_
	.p2align	8
	.type	_ZN12_GLOBAL__N_120geam_min_plus_kernelIDF16_Dv2_DF16_S1_Li8ELi32ELi64ELi128ELi4ELi4ELi64ELi4ELi64ELc84ELc78ELb0ELb0ELb0EDF16_KDF16_DF16_EEviiiT16_PT17_ilS5_ilS3_S5_ilPT18_ili26rocblas_geam_ex_operation_,@function
_ZN12_GLOBAL__N_120geam_min_plus_kernelIDF16_Dv2_DF16_S1_Li8ELi32ELi64ELi128ELi4ELi4ELi64ELi4ELi64ELc84ELc78ELb0ELb0ELb0EDF16_KDF16_DF16_EEviiiT16_PT17_ilS5_ilS3_S5_ilPT18_ili26rocblas_geam_ex_operation_: ; @_ZN12_GLOBAL__N_120geam_min_plus_kernelIDF16_Dv2_DF16_S1_Li8ELi32ELi64ELi128ELi4ELi4ELi64ELi4ELi64ELc84ELc78ELb0ELb0ELb0EDF16_KDF16_DF16_EEviiiT16_PT17_ilS5_ilS3_S5_ilPT18_ili26rocblas_geam_ex_operation_
; %bb.0:
	s_clause 0x1
	s_load_dwordx2 s[12:13], s[4:5], 0x8
	s_load_dwordx4 s[8:11], s[4:5], 0x20
	s_waitcnt lgkmcnt(0)
	v_cmp_eq_f16_e64 s1, s13, 0
	s_and_b32 s0, exec_lo, s1
	s_mov_b32 vcc_lo, s0
	s_cbranch_vccnz .LBB290_10
; %bb.1:
	s_load_dwordx2 s[2:3], s[4:5], 0x10
	s_mul_i32 s9, s9, s7
	s_mul_hi_u32 s14, s8, s7
	s_mul_i32 s8, s8, s7
	s_add_i32 s9, s14, s9
	s_lshl_b64 s[8:9], s[8:9], 1
	s_waitcnt lgkmcnt(0)
	s_add_u32 s14, s2, s8
	s_addc_u32 s15, s3, s9
	s_andn2_b32 vcc_lo, exec_lo, s1
	s_mov_b32 s1, -1
	s_cbranch_vccnz .LBB290_3
.LBB290_2:
	s_mov_b32 s1, 0
.LBB290_3:
	s_mov_b64 s[2:3], 0
	s_andn2_b32 vcc_lo, exec_lo, s1
	s_mov_b64 s[16:17], 0
	s_cbranch_vccnz .LBB290_5
; %bb.4:
	s_load_dwordx2 s[8:9], s[4:5], 0x38
	s_waitcnt lgkmcnt(0)
	s_mul_i32 s1, s9, s7
	s_mul_hi_u32 s9, s8, s7
	s_mul_i32 s8, s8, s7
	s_add_i32 s9, s9, s1
	s_lshl_b64 s[8:9], s[8:9], 1
	s_add_u32 s16, s10, s8
	s_addc_u32 s17, s11, s9
.LBB290_5:
	s_clause 0x1
	s_load_dword s18, s[4:5], 0x40
	s_load_dwordx4 s[8:11], s[4:5], 0x58
	v_cmp_neq_f16_e64 s21, s13, 0
	s_waitcnt lgkmcnt(0)
	v_cmp_eq_f16_e64 s1, s18, 0
	s_and_b32 vcc_lo, exec_lo, s1
	s_cbranch_vccnz .LBB290_7
; %bb.6:
	s_load_dwordx2 s[2:3], s[4:5], 0x48
	s_mul_i32 s1, s9, s7
	s_mul_hi_u32 s9, s8, s7
	s_mul_i32 s8, s8, s7
	s_add_i32 s9, s9, s1
	s_lshl_b64 s[8:9], s[8:9], 1
	s_waitcnt lgkmcnt(0)
	s_add_u32 s2, s2, s8
	s_addc_u32 s3, s3, s9
.LBB290_7:
	s_clause 0x2
	s_load_dword s1, s[4:5], 0x0
	s_load_dword s9, s[4:5], 0x18
	;; [unrolled: 1-line block ×3, first 2 shown]
	v_and_b32_e32 v10, 3, v0
	v_cndmask_b32_e64 v3, 0, 1, s21
	v_mov_b32_e32 v7, 0
	v_lshlrev_b32_e32 v26, 1, v10
	s_waitcnt lgkmcnt(0)
	s_add_i32 s1, s1, -1
	s_ashr_i32 s19, s1, 31
	s_lshr_b32 s19, s19, 26
	s_add_i32 s1, s1, s19
	s_ashr_i32 s1, s1, 6
	s_add_i32 s19, s1, 1
	s_not_b32 s1, s1
	v_cvt_f32_u32_e32 v2, s19
	v_rcp_iflag_f32_e32 v2, v2
	v_mul_f32_e32 v2, 0x4f7ffffe, v2
	v_cvt_u32_f32_e32 v2, v2
	v_readfirstlane_b32 s20, v2
	v_lshl_add_u32 v2, v1, 3, v0
	s_mul_i32 s1, s1, s20
	v_lshrrev_b32_e32 v11, 2, v2
	s_mul_hi_u32 s1, s20, s1
	s_add_i32 s20, s20, s1
	s_mul_hi_u32 s1, s6, s20
	s_mul_i32 s20, s1, s19
	s_add_i32 s22, s1, 1
	s_sub_i32 s20, s6, s20
	s_sub_i32 s23, s20, s19
	s_cmp_ge_u32 s20, s19
	s_cselect_b32 s1, s22, s1
	s_cselect_b32 s20, s23, s20
	s_add_i32 s22, s1, 1
	s_cmp_ge_u32 s20, s19
	s_cselect_b32 s1, s22, s1
	s_andn2_b32 vcc_lo, exec_lo, s21
	s_mul_i32 s20, s1, s19
	s_lshl_b32 s19, s1, 7
	s_sub_i32 s1, s6, s20
	v_add_nc_u32_e32 v2, s19, v11
	s_lshl_b32 s20, s1, 6
	v_cmp_ne_u32_e64 s1, 1, v3
	v_add_nc_u32_e32 v4, s20, v11
	v_add_nc_u32_e32 v3, 64, v2
	s_cbranch_vccnz .LBB290_11
; %bb.8:
	v_mad_i64_i32 v[5:6], null, v4, s9, 0
	v_mad_i64_i32 v[8:9], null, v2, s8, 0
	;; [unrolled: 1-line block ×3, first 2 shown]
	v_add_co_u32 v14, s6, s16, v26
	v_lshlrev_b64 v[5:6], 1, v[5:6]
	v_add_co_ci_u32_e64 v15, null, s17, 0, s6
	v_lshlrev_b64 v[8:9], 1, v[8:9]
	v_add_co_u32 v16, vcc_lo, s14, v5
	v_add_co_ci_u32_e64 v17, null, s15, v6, vcc_lo
	v_add_co_u32 v5, vcc_lo, v14, v8
	v_add_co_ci_u32_e64 v6, null, v15, v9, vcc_lo
	v_lshlrev_b64 v[8:9], 1, v[12:13]
	v_add_co_u32 v12, vcc_lo, v16, v26
	v_add_co_ci_u32_e64 v13, null, 0, v17, vcc_lo
	global_load_ushort v16, v[5:6], off
	v_add_co_u32 v5, vcc_lo, v14, v8
	v_add_co_ci_u32_e64 v6, null, v15, v9, vcc_lo
	global_load_ushort v8, v[12:13], off
	global_load_ushort v6, v[5:6], off
	s_waitcnt vmcnt(2)
	v_mul_f16_e32 v5, s13, v16
	v_pack_b32_f16 v5, v5, 0
	s_waitcnt vmcnt(1)
	v_mul_f16_e32 v12, s13, v8
	s_waitcnt vmcnt(0)
	v_mul_f16_e32 v6, s13, v6
	s_and_b32 vcc_lo, exec_lo, s1
	s_cbranch_vccnz .LBB290_12
.LBB290_9:
	v_mad_i64_i32 v[7:8], null, v4, s9, 0
	v_mad_i64_i32 v[13:14], null, v2, s8, 0
	v_mad_i64_i32 v[15:16], null, v3, s8, 0
	v_add_co_u32 v9, s1, s16, v26
	v_lshlrev_b64 v[7:8], 1, v[7:8]
	v_add_co_ci_u32_e64 v17, null, s17, 0, s1
	v_lshlrev_b64 v[13:14], 1, v[13:14]
	v_add_co_u32 v18, vcc_lo, s14, v7
	v_add_co_ci_u32_e64 v19, null, s15, v8, vcc_lo
	v_add_co_u32 v7, vcc_lo, v9, v13
	v_add_co_ci_u32_e64 v8, null, v17, v14, vcc_lo
	v_lshlrev_b64 v[13:14], 1, v[15:16]
	v_add_co_u32 v15, vcc_lo, v18, v26
	v_add_co_ci_u32_e64 v16, null, 0, v19, vcc_lo
	global_load_ushort v18, v[7:8], off offset:8
	v_add_co_u32 v7, vcc_lo, v9, v13
	v_add_co_ci_u32_e64 v8, null, v17, v14, vcc_lo
	global_load_ushort v9, v[15:16], off offset:8
	global_load_ushort v13, v[7:8], off offset:8
	s_waitcnt vmcnt(2)
	v_mul_f16_e32 v8, s13, v18
	v_pack_b32_f16 v8, v8, 0
	s_waitcnt vmcnt(1)
	v_mul_f16_e32 v7, s13, v9
	s_waitcnt vmcnt(0)
	v_mul_f16_e32 v9, s13, v13
	s_branch .LBB290_13
.LBB290_10:
	s_mov_b64 s[14:15], 0
	s_andn2_b32 vcc_lo, exec_lo, s1
	s_mov_b32 s1, -1
	s_cbranch_vccz .LBB290_2
	s_branch .LBB290_3
.LBB290_11:
	v_mov_b32_e32 v5, 0
	v_mov_b32_e32 v12, 0
	;; [unrolled: 1-line block ×3, first 2 shown]
	s_and_b32 vcc_lo, exec_lo, s1
	s_cbranch_vccz .LBB290_9
.LBB290_12:
	v_mov_b32_e32 v8, 0
	v_mov_b32_e32 v9, 0
.LBB290_13:
	v_lshlrev_b32_e32 v11, 3, v11
	v_lshlrev_b32_e32 v28, 3, v0
	;; [unrolled: 1-line block ×3, first 2 shown]
	s_cmp_lt_i32 s12, 9
	v_lshl_or_b32 v29, v10, 1, v11
	v_add_nc_u32_e32 v30, 0x800, v28
	ds_write_b16 v29, v12 offset:2048
	ds_write_b16 v29, v5
	ds_write_b16 v29, v6 offset:512
	s_waitcnt lgkmcnt(0)
	s_barrier
	buffer_gl0_inv
	ds_read2_b64 v[10:13], v27 offset1:32
	ds_read2_b64 v[14:17], v30 offset0:48 offset1:56
	ds_read2_b64 v[18:21], v27 offset0:64 offset1:96
	ds_read2_b64 v[22:25], v30 offset1:8
	ds_read2_b64 v[40:43], v30 offset0:16 offset1:24
	ds_read2_b64 v[46:49], v30 offset0:32 offset1:40
	ds_write_b16 v29, v7 offset:2560
	ds_write_b16 v29, v8 offset:1024
	;; [unrolled: 1-line block ×3, first 2 shown]
	s_waitcnt lgkmcnt(0)
	s_barrier
	buffer_gl0_inv
	v_pk_max_f16 v10, v10, v10
	v_pk_max_f16 v16, v16, v16
	;; [unrolled: 1-line block ×9, first 2 shown]
	v_pk_min_f16 v31, v16, v10
	v_pk_min_f16 v32, v16, v12
	;; [unrolled: 1-line block ×7, first 2 shown]
	v_pk_max_f16 v30, v46, v46
	v_pk_min_f16 v46, v36, v10
	v_pk_min_f16 v51, v36, v12
	;; [unrolled: 1-line block ×4, first 2 shown]
	v_pk_max_f16 v11, v11, v11
	v_pk_max_f16 v13, v13, v13
	;; [unrolled: 1-line block ×6, first 2 shown]
	v_pk_min_f16 v34, v22, v12
	v_pk_min_f16 v35, v22, v18
	;; [unrolled: 1-line block ×10, first 2 shown]
	v_pk_max_f16 v19, v19, v19
	v_pk_min_f16 v48, v30, v20
	v_pk_min_f16 v57, v36, v10
	;; [unrolled: 1-line block ×11, first 2 shown]
	v_pk_add_f16 v20, v31, 0
	v_pk_min_f16 v31, v17, v11
	v_pk_add_f16 v32, v32, 0
	v_pk_min_f16 v36, v17, v13
	;; [unrolled: 2-line block ×3, first 2 shown]
	v_pk_max_f16 v21, v21, v21
	v_pk_max_f16 v25, v25, v25
	v_pk_add_f16 v37, v30, 0
	v_pk_min_f16 v61, v17, v19
	v_pk_add_f16 v34, v34, 0
	v_pk_min_f16 v63, v23, v13
	v_pk_add_f16 v30, v20, v31
	v_pk_add_f16 v31, v32, v36
	v_pk_add_f16 v36, v33, v62
	v_pk_add_f16 v20, v35, 0
	v_pk_min_f16 v33, v23, v19
	v_pk_add_f16 v32, v37, v61
	v_pk_add_f16 v37, v34, v63
	;; [unrolled: 1-line block ×3, first 2 shown]
	v_pk_min_f16 v35, v25, v11
	v_pk_min_f16 v62, v25, v13
	v_pk_add_f16 v40, v40, 0
	v_pk_min_f16 v63, v25, v19
	v_pk_add_f16 v38, v20, v33
	v_pk_add_f16 v20, v24, 0
	v_pk_min_f16 v25, v25, v21
	v_pk_add_f16 v22, v22, 0
	v_pk_min_f16 v23, v23, v21
	v_pk_add_f16 v33, v34, v35
	v_pk_add_f16 v35, v40, v63
	;; [unrolled: 1-line block ×3, first 2 shown]
	v_pk_max_f16 v20, v41, v41
	v_pk_add_f16 v61, v39, 0
	v_pk_add_f16 v39, v22, v23
	;; [unrolled: 1-line block ×6, first 2 shown]
	v_pk_max_f16 v25, v43, v43
	v_pk_min_f16 v41, v20, v11
	v_pk_min_f16 v42, v20, v13
	;; [unrolled: 1-line block ×4, first 2 shown]
	v_pk_add_f16 v45, v46, 0
	v_pk_add_f16 v46, v51, 0
	v_pk_add_f16 v50, v52, 0
	v_pk_add_f16 v51, v53, 0
	v_pk_add_f16 v41, v22, v41
	v_pk_add_f16 v42, v23, v42
	v_pk_add_f16 v43, v24, v43
	v_pk_add_f16 v44, v44, v20
	v_pk_min_f16 v20, v25, v11
	v_pk_min_f16 v22, v25, v13
	v_pk_min_f16 v23, v25, v19
	v_pk_min_f16 v24, v25, v21
	v_pk_max_f16 v25, v47, v47
	v_pk_add_f16 v52, v54, 0
	v_pk_add_f16 v53, v55, 0
	;; [unrolled: 1-line block ×8, first 2 shown]
	v_pk_min_f16 v20, v25, v11
	v_pk_min_f16 v22, v25, v13
	;; [unrolled: 1-line block ×4, first 2 shown]
	v_pk_max_f16 v25, v49, v49
	v_pk_max_f16 v15, v15, v15
	v_pk_add_f16 v34, v61, v62
	v_pk_add_f16 v57, v57, 0
	;; [unrolled: 1-line block ×14, first 2 shown]
	v_pk_min_f16 v20, v25, v11
	v_pk_min_f16 v22, v25, v13
	;; [unrolled: 1-line block ×9, first 2 shown]
	v_pk_add_f16 v59, v57, v20
	v_pk_add_f16 v60, v58, v22
	;; [unrolled: 1-line block ×9, first 2 shown]
	s_cbranch_scc1 .LBB290_24
; %bb.14:
	v_mad_i64_i32 v[10:11], null, v4, s9, 0
	v_mad_i64_i32 v[12:13], null, s8, v3, 0
	v_perm_b32 v3, v6, v5, 0x5040100
	v_mad_i64_i32 v[6:7], null, s8, v2, 0
	v_perm_b32 v79, v9, v8, 0x5040100
	v_lshlrev_b64 v[4:5], 1, v[10:11]
	v_add_nc_u32_e32 v51, 0x800, v29
	v_lshlrev_b64 v[8:9], 1, v[12:13]
	v_or_b32_e32 v53, 0x800, v28
	v_add_nc_u32_e32 v61, 0xa00, v29
	v_add_nc_u32_e32 v62, 0x400, v29
	v_add_co_u32 v66, vcc_lo, s14, v4
	v_add_co_ci_u32_e64 v67, null, s15, v5, vcc_lo
	v_lshlrev_b64 v[4:5], 1, v[6:7]
	v_add_co_u32 v70, vcc_lo, s16, v8
	v_add_co_ci_u32_e64 v71, null, s17, v9, vcc_lo
	v_lshl_add_u32 v68, v0, 3, 0xa00
	v_add_co_u32 v72, vcc_lo, s16, v4
	v_lshl_add_u32 v69, v1, 3, 0x400
	v_add_co_ci_u32_e64 v73, null, s17, v5, vcc_lo
	s_add_i32 s1, s12, -8
	s_mov_b32 s6, 0
	s_branch .LBB290_16
.LBB290_15:                             ;   in Loop: Header=BB290_16 Depth=1
	v_pk_max_f16 v4, v4, v4
	v_pk_max_f16 v22, v22, v22
	;; [unrolled: 1-line block ×7, first 2 shown]
	v_pk_min_f16 v79, v4, v22
	v_pk_min_f16 v80, v4, v24
	;; [unrolled: 1-line block ×3, first 2 shown]
	v_pk_max_f16 v20, v20, v20
	v_pk_min_f16 v88, v10, v22
	v_pk_min_f16 v89, v10, v24
	v_pk_max_f16 v12, v12, v12
	v_pk_max_f16 v23, v23, v23
	;; [unrolled: 1-line block ×3, first 2 shown]
	v_pk_min_f16 v90, v10, v14
	v_pk_min_f16 v10, v10, v16
	v_pk_max_f16 v15, v15, v15
	v_pk_max_f16 v17, v17, v17
	;; [unrolled: 1-line block ×13, first 2 shown]
	v_pk_min_f16 v82, v18, v22
	v_pk_min_f16 v83, v18, v24
	;; [unrolled: 1-line block ×57, first 2 shown]
	v_pk_add_f16 v5, v30, v79
	v_pk_add_f16 v15, v31, v80
	;; [unrolled: 1-line block ×28, first 2 shown]
	ds_read2_b64 v[4:7], v53 offset0:48 offset1:56
	ds_read2_b64 v[8:11], v27 offset1:32
	ds_read2_b64 v[12:15], v27 offset0:64 offset1:96
	v_pk_add_f16 v2, v58, v2
	v_pk_add_f16 v30, v30, v16
	;; [unrolled: 1-line block ×3, first 2 shown]
	ds_read2_b64 v[16:19], v53 offset1:8
	v_pk_add_f16 v39, v47, v91
	v_pk_add_f16 v47, v59, v97
	v_pk_add_f16 v22, v63, v22
	v_pk_add_f16 v24, v64, v24
	v_pk_add_f16 v59, v20, v21
	v_pk_add_f16 v63, v46, v115
	v_pk_add_f16 v64, v47, v116
	v_pk_add_f16 v65, v48, v117
	v_pk_add_f16 v80, v22, v23
	ds_read2_b64 v[20:23], v53 offset0:16 offset1:24
	v_pk_add_f16 v31, v31, v100
	v_pk_add_f16 v32, v32, v101
	v_pk_add_f16 v24, v24, v25
	s_waitcnt lgkmcnt(4)
	v_pk_max_f16 v6, v6, v6
	s_waitcnt lgkmcnt(3)
	v_pk_max_f16 v8, v8, v8
	v_pk_max_f16 v10, v10, v10
	s_waitcnt lgkmcnt(2)
	v_pk_max_f16 v12, v12, v12
	v_pk_add_f16 v25, v52, v120
	v_pk_add_f16 v52, v54, v121
	v_pk_min_f16 v46, v6, v8
	v_pk_min_f16 v47, v6, v10
	;; [unrolled: 1-line block ×3, first 2 shown]
	s_waitcnt lgkmcnt(1)
	v_pk_max_f16 v16, v16, v16
	v_pk_add_f16 v79, v49, v118
	v_pk_add_f16 v54, v55, v46
	;; [unrolled: 1-line block ×4, first 2 shown]
	v_pk_min_f16 v46, v16, v8
	v_pk_min_f16 v47, v16, v10
	;; [unrolled: 1-line block ×3, first 2 shown]
	v_pk_add_f16 v2, v2, v3
	v_perm_b32 v3, v78, v77, 0x5040100
	v_pk_add_f16 v57, v30, v46
	v_pk_add_f16 v77, v31, v47
	;; [unrolled: 1-line block ×3, first 2 shown]
	ds_read2_b64 v[46:49], v53 offset0:32 offset1:40
	v_pk_add_f16 v33, v33, v85
	v_pk_add_f16 v35, v35, v87
	v_pk_max_f16 v18, v18, v18
	v_pk_add_f16 v34, v34, v86
	v_pk_max_f16 v14, v14, v14
	v_pk_add_f16 v33, v33, v102
	v_pk_add_f16 v35, v35, v104
	v_pk_min_f16 v30, v18, v8
	v_pk_min_f16 v32, v18, v12
	s_waitcnt lgkmcnt(1)
	v_pk_max_f16 v20, v20, v20
	v_pk_add_f16 v34, v34, v103
	v_pk_add_f16 v36, v36, v105
	;; [unrolled: 1-line block ×3, first 2 shown]
	v_pk_min_f16 v16, v16, v14
	v_pk_min_f16 v31, v18, v10
	v_pk_add_f16 v33, v33, v30
	v_pk_add_f16 v35, v35, v32
	v_pk_min_f16 v30, v20, v8
	v_pk_min_f16 v32, v20, v12
	v_pk_max_f16 v22, v22, v22
	v_pk_add_f16 v37, v37, v106
	v_pk_add_f16 v39, v39, v108
	;; [unrolled: 1-line block ×3, first 2 shown]
	v_pk_min_f16 v18, v18, v14
	v_pk_add_f16 v34, v34, v31
	v_pk_min_f16 v31, v20, v10
	v_pk_add_f16 v58, v36, v30
	v_pk_add_f16 v81, v38, v32
	v_pk_min_f16 v30, v22, v8
	s_waitcnt lgkmcnt(0)
	v_pk_max_f16 v32, v46, v46
	v_pk_add_f16 v40, v40, v109
	v_pk_add_f16 v41, v41, v110
	;; [unrolled: 1-line block ×4, first 2 shown]
	v_pk_min_f16 v20, v20, v14
	v_pk_add_f16 v59, v37, v31
	v_pk_min_f16 v31, v22, v10
	v_pk_min_f16 v36, v22, v12
	v_pk_add_f16 v46, v39, v30
	v_pk_min_f16 v30, v32, v8
	v_pk_add_f16 v44, v44, v113
	v_pk_add_f16 v45, v45, v114
	;; [unrolled: 1-line block ×5, first 2 shown]
	v_pk_min_f16 v31, v32, v10
	v_pk_max_f16 v36, v48, v48
	v_pk_add_f16 v83, v43, v30
	v_pk_min_f16 v30, v32, v12
	v_pk_max_f16 v4, v4, v4
	v_pk_add_f16 v84, v44, v31
	v_pk_min_f16 v31, v36, v8
	v_pk_min_f16 v37, v36, v10
	v_pk_add_f16 v85, v45, v30
	v_pk_min_f16 v30, v36, v12
	v_pk_min_f16 v8, v4, v8
	;; [unrolled: 1-line block ×5, first 2 shown]
	v_pk_max_f16 v7, v7, v7
	v_pk_max_f16 v9, v9, v9
	;; [unrolled: 1-line block ×4, first 2 shown]
	v_pk_add_f16 v2, v2, v4
	v_pk_add_f16 v50, v50, v119
	v_pk_min_f16 v4, v7, v9
	v_pk_min_f16 v22, v22, v14
	v_pk_min_f16 v32, v32, v14
	v_pk_add_f16 v64, v64, v31
	v_pk_min_f16 v31, v36, v14
	v_pk_add_f16 v79, v79, v30
	v_pk_add_f16 v10, v24, v10
	v_pk_min_f16 v6, v6, v14
	v_pk_min_f16 v14, v7, v11
	;; [unrolled: 1-line block ×3, first 2 shown]
	v_pk_max_f16 v17, v17, v17
	v_pk_add_f16 v30, v54, v4
	v_pk_max_f16 v4, v15, v15
	v_pk_add_f16 v63, v63, v32
	v_pk_add_f16 v86, v50, v31
	;; [unrolled: 1-line block ×4, first 2 shown]
	v_pk_min_f16 v14, v17, v9
	v_pk_min_f16 v15, v17, v11
	;; [unrolled: 1-line block ×4, first 2 shown]
	v_pk_max_f16 v19, v19, v19
	v_pk_add_f16 v65, v65, v37
	v_pk_add_f16 v36, v57, v14
	v_pk_add_f16 v37, v77, v15
	v_pk_add_f16 v39, v16, v17
	v_pk_min_f16 v14, v19, v9
	v_pk_min_f16 v15, v19, v11
	v_pk_min_f16 v16, v19, v13
	v_pk_min_f16 v17, v19, v4
	v_pk_max_f16 v19, v21, v21
	v_pk_add_f16 v42, v42, v111
	v_pk_add_f16 v33, v33, v14
	v_pk_add_f16 v34, v34, v15
	v_pk_add_f16 v35, v35, v16
	v_pk_add_f16 v40, v18, v17
	v_pk_min_f16 v14, v19, v9
	v_pk_min_f16 v15, v19, v11
	v_pk_min_f16 v16, v19, v13
	v_pk_min_f16 v17, v19, v4
	v_pk_max_f16 v18, v23, v23
	v_pk_add_f16 v22, v42, v22
	;; [unrolled: 10-line block ×3, first 2 shown]
	v_pk_add_f16 v48, v60, v15
	v_pk_add_f16 v45, v82, v16
	;; [unrolled: 1-line block ×3, first 2 shown]
	v_pk_min_f16 v14, v18, v9
	v_pk_min_f16 v15, v18, v11
	;; [unrolled: 1-line block ×4, first 2 shown]
	v_pk_max_f16 v18, v49, v49
	v_pk_max_f16 v5, v5, v5
	v_add_co_u32 v70, vcc_lo, v70, 16
	v_pk_add_f16 v8, v80, v8
	v_pk_add_f16 v12, v25, v12
	;; [unrolled: 1-line block ×7, first 2 shown]
	v_pk_min_f16 v14, v18, v9
	v_pk_min_f16 v15, v18, v11
	;; [unrolled: 1-line block ×9, first 2 shown]
	v_add_co_ci_u32_e64 v71, null, 0, v71, vcc_lo
	v_add_co_u32 v72, vcc_lo, v72, 16
	v_add_co_ci_u32_e64 v73, null, 0, v73, vcc_lo
	v_add_co_u32 v66, vcc_lo, v66, 16
	v_pk_add_f16 v38, v78, v24
	v_pk_add_f16 v59, v64, v14
	;; [unrolled: 1-line block ×10, first 2 shown]
	v_perm_b32 v79, v76, v74, 0x5040100
	v_add_co_ci_u32_e64 v67, null, 0, v67, vcc_lo
	s_add_i32 s6, s6, 8
	ds_write_b16 v61, v75
	ds_write_b16 v62, v74
	ds_write_b16 v62, v76 offset:512
	s_cmp_ge_i32 s6, s1
	s_waitcnt lgkmcnt(0)
	s_barrier
	buffer_gl0_inv
	s_cbranch_scc1 .LBB290_24
.LBB290_16:                             ; =>This Inner Loop Header: Depth=1
	s_mov_b32 s8, -1
	s_mov_b32 vcc_lo, s0
                                        ; implicit-def: $vgpr77
	s_cbranch_vccz .LBB290_18
; %bb.17:                               ;   in Loop: Header=BB290_16 Depth=1
	v_and_b32_e32 v77, 0xffff0000, v3
	s_mov_b32 s8, 0
.LBB290_18:                             ;   in Loop: Header=BB290_16 Depth=1
	v_mov_b32_e32 v74, 0
	v_mov_b32_e32 v78, 0
	s_andn2_b32 vcc_lo, exec_lo, s8
	s_cbranch_vccnz .LBB290_20
; %bb.19:                               ;   in Loop: Header=BB290_16 Depth=1
	v_add_co_u32 v4, vcc_lo, v72, v26
	v_add_co_ci_u32_e64 v5, null, 0, v73, vcc_lo
	v_add_co_u32 v6, vcc_lo, v66, v26
	v_add_co_ci_u32_e64 v7, null, 0, v67, vcc_lo
	global_load_ushort v2, v[4:5], off offset:16
	v_add_co_u32 v4, vcc_lo, v70, v26
	v_add_co_ci_u32_e64 v5, null, 0, v71, vcc_lo
	global_load_ushort v6, v[6:7], off offset:16
	global_load_ushort v4, v[4:5], off offset:16
	s_waitcnt vmcnt(2)
	v_mul_f16_e32 v2, s13, v2
	v_bfi_b32 v77, 0xffff, v2, v3
	s_waitcnt vmcnt(1)
	v_mul_f16_e32 v74, s13, v6
	s_waitcnt vmcnt(0)
	v_mul_f16_e32 v78, s13, v4
.LBB290_20:                             ;   in Loop: Header=BB290_16 Depth=1
	ds_read2_b64 v[2:5], v68 offset0:48 offset1:56
	ds_read2_b64 v[14:17], v69 offset0:64 offset1:96
	ds_read2_b64 v[22:25], v69 offset1:32
	ds_read2_b64 v[18:21], v68 offset1:8
	ds_read2_b64 v[10:13], v68 offset0:16 offset1:24
	ds_read2_b64 v[6:9], v68 offset0:32 offset1:40
	s_mov_b32 s8, -1
	s_mov_b32 vcc_lo, s0
	ds_write_b16 v51, v74
	ds_write_b16 v29, v77
	ds_write_b16 v29, v78 offset:512
	s_waitcnt lgkmcnt(0)
	s_barrier
	buffer_gl0_inv
                                        ; implicit-def: $vgpr74
	s_cbranch_vccz .LBB290_22
; %bb.21:                               ;   in Loop: Header=BB290_16 Depth=1
	v_and_b32_e32 v74, 0xffff0000, v79
	s_mov_b32 s8, 0
.LBB290_22:                             ;   in Loop: Header=BB290_16 Depth=1
	v_mov_b32_e32 v75, 0
	v_mov_b32_e32 v76, 0
	s_andn2_b32 vcc_lo, exec_lo, s8
	s_cbranch_vccnz .LBB290_15
; %bb.23:                               ;   in Loop: Header=BB290_16 Depth=1
	v_add_co_u32 v74, vcc_lo, v72, v26
	v_add_co_ci_u32_e64 v75, null, 0, v73, vcc_lo
	v_add_co_u32 v80, vcc_lo, v66, v26
	v_add_co_ci_u32_e64 v81, null, 0, v67, vcc_lo
	global_load_ushort v76, v[74:75], off offset:24
	v_add_co_u32 v74, vcc_lo, v70, v26
	v_add_co_ci_u32_e64 v75, null, 0, v71, vcc_lo
	global_load_ushort v80, v[80:81], off offset:24
	global_load_ushort v81, v[74:75], off offset:24
	s_waitcnt vmcnt(2)
	v_mul_f16_e32 v74, s13, v76
	v_bfi_b32 v74, 0xffff, v74, v79
	s_waitcnt vmcnt(1)
	v_mul_f16_e32 v75, s13, v80
	s_waitcnt vmcnt(0)
	v_mul_f16_e32 v76, s13, v81
	s_branch .LBB290_15
.LBB290_24:
	v_add_nc_u32_e32 v18, 0x800, v28
	s_load_dwordx2 s[0:1], s[4:5], 0x70
	v_cmp_neq_f16_e64 s6, s18, 0
	ds_read2_b64 v[2:5], v27 offset0:128 offset1:160
	ds_read2_b64 v[6:9], v27 offset0:192 offset1:224
	;; [unrolled: 1-line block ×4, first 2 shown]
	s_clause 0x1
	s_load_dword s8, s[4:5], 0x50
	s_load_dword s9, s[4:5], 0x68
	ds_read2_b64 v[26:29], v18 offset0:80 offset1:88
	v_add_nc_u32_e32 v1, s19, v1
	s_waitcnt lgkmcnt(0)
	v_pk_max_f16 v2, v2, v2
	v_pk_max_f16 v4, v4, v4
	;; [unrolled: 1-line block ×9, first 2 shown]
	v_pk_min_f16 v22, v14, v2
	v_pk_min_f16 v23, v14, v4
	;; [unrolled: 1-line block ×5, first 2 shown]
	v_pk_add_f16 v22, v36, v22
	v_pk_add_f16 v23, v37, v23
	;; [unrolled: 1-line block ×4, first 2 shown]
	ds_read2_b64 v[36:39], v18 offset0:96 offset1:104
	v_pk_min_f16 v20, v12, v4
	v_pk_min_f16 v21, v12, v6
	;; [unrolled: 1-line block ×4, first 2 shown]
	v_pk_add_f16 v19, v30, v19
	v_pk_add_f16 v20, v31, v20
	;; [unrolled: 1-line block ×3, first 2 shown]
	v_pk_min_f16 v30, v16, v6
	v_pk_min_f16 v16, v16, v8
	v_pk_add_f16 v25, v33, v25
	v_pk_add_f16 v31, v34, v18
	v_pk_min_f16 v18, v26, v2
	v_pk_min_f16 v32, v26, v4
	;; [unrolled: 1-line block ×4, first 2 shown]
	v_pk_add_f16 v30, v35, v30
	v_pk_add_f16 v16, v40, v16
	;; [unrolled: 1-line block ×3, first 2 shown]
	v_pk_min_f16 v18, v28, v2
	v_pk_add_f16 v35, v44, v26
	v_pk_min_f16 v26, v28, v4
	s_waitcnt lgkmcnt(0)
	v_pk_max_f16 v36, v36, v36
	v_pk_min_f16 v40, v28, v6
	v_pk_min_f16 v28, v28, v8
	v_pk_add_f16 v32, v42, v32
	v_pk_add_f16 v33, v43, v33
	;; [unrolled: 1-line block ×3, first 2 shown]
	v_pk_min_f16 v26, v36, v4
	v_pk_add_f16 v43, v46, v28
	v_pk_max_f16 v28, v38, v38
	v_pk_add_f16 v41, v47, v18
	v_pk_min_f16 v18, v36, v2
	v_pk_add_f16 v44, v52, v26
	v_pk_max_f16 v10, v10, v10
	v_pk_min_f16 v26, v28, v2
	v_pk_max_f16 v3, v3, v3
	v_pk_add_f16 v38, v54, v18
	v_pk_min_f16 v18, v36, v6
	v_pk_min_f16 v36, v36, v8
	v_pk_add_f16 v48, v59, v26
	v_pk_min_f16 v26, v28, v8
	v_pk_max_f16 v13, v13, v13
	v_pk_max_f16 v5, v5, v5
	;; [unrolled: 1-line block ×3, first 2 shown]
	v_pk_add_f16 v40, v45, v40
	v_pk_min_f16 v45, v28, v4
	v_pk_add_f16 v46, v49, v18
	v_pk_add_f16 v47, v50, v36
	v_pk_min_f16 v18, v28, v6
	v_pk_min_f16 v2, v10, v2
	;; [unrolled: 1-line block ×4, first 2 shown]
	v_pk_add_f16 v50, v56, v26
	v_pk_min_f16 v10, v10, v8
	v_pk_min_f16 v8, v12, v8
	;; [unrolled: 1-line block ×5, first 2 shown]
	v_pk_max_f16 v15, v15, v15
	v_pk_max_f16 v9, v9, v9
	v_pk_add_f16 v49, v55, v18
	v_pk_add_f16 v18, v19, v12
	v_pk_add_f16 v19, v20, v26
	v_pk_add_f16 v20, v21, v28
	v_pk_min_f16 v12, v15, v3
	v_pk_min_f16 v26, v15, v5
	v_pk_min_f16 v28, v15, v7
	v_pk_min_f16 v15, v15, v9
	v_pk_max_f16 v17, v17, v17
	v_pk_add_f16 v21, v22, v12
	v_pk_add_f16 v22, v23, v26
	v_pk_add_f16 v23, v24, v28
	v_pk_add_f16 v24, v14, v15
	v_pk_min_f16 v12, v17, v3
	v_pk_min_f16 v14, v17, v5
	v_pk_min_f16 v15, v17, v7
	v_pk_min_f16 v17, v17, v9
	;; [unrolled: 9-line block ×4, first 2 shown]
	v_pk_max_f16 v17, v37, v37
	v_pk_add_f16 v33, v41, v12
	v_pk_add_f16 v34, v42, v14
	v_pk_max_f16 v11, v11, v11
	v_pk_add_f16 v36, v43, v16
	v_pk_min_f16 v12, v17, v3
	v_pk_min_f16 v14, v17, v5
	v_pk_max_f16 v16, v39, v39
	v_pk_add_f16 v45, v60, v45
	v_pk_add_f16 v2, v63, v2
	v_pk_add_f16 v4, v64, v4
	v_pk_add_f16 v35, v40, v15
	v_pk_min_f16 v15, v17, v7
	v_pk_add_f16 v37, v38, v12
	v_pk_add_f16 v38, v44, v14
	v_pk_min_f16 v12, v16, v3
	v_pk_min_f16 v14, v16, v5
	;; [unrolled: 1-line block ×4, first 2 shown]
	v_pk_add_f16 v6, v65, v6
	v_pk_add_f16 v10, v58, v10
	;; [unrolled: 1-line block ×3, first 2 shown]
	v_pk_min_f16 v17, v17, v9
	v_pk_add_f16 v39, v46, v15
	v_pk_min_f16 v15, v16, v7
	v_pk_add_f16 v41, v48, v12
	;; [unrolled: 2-line block ×3, first 2 shown]
	v_pk_add_f16 v45, v2, v3
	v_pk_min_f16 v3, v11, v7
	v_add_nc_u32_e32 v2, s20, v0
	v_pk_add_f16 v0, v4, v5
	v_pk_min_f16 v5, v11, v9
	v_pk_min_f16 v7, v13, v9
	v_pk_add_f16 v40, v47, v17
	v_pk_add_f16 v44, v50, v12
	;; [unrolled: 1-line block ×3, first 2 shown]
	v_add_nc_u32_e32 v4, 8, v2
	v_add_nc_u32_e32 v6, 16, v2
	v_pk_add_f16 v47, v10, v5
	v_pk_add_f16 v48, v8, v7
	v_add_nc_u32_e32 v8, 24, v2
	v_add_nc_u32_e32 v10, 32, v2
	v_add_nc_u32_e32 v12, 40, v2
	v_add_nc_u32_e32 v14, 48, v2
	v_add_nc_u32_e32 v16, 56, v2
	v_pk_add_f16 v43, v49, v15
	v_ashrrev_i32_e32 v3, 31, v2
	v_ashrrev_i32_e32 v5, 31, v4
	;; [unrolled: 1-line block ×8, first 2 shown]
	s_mul_i32 s1, s1, s7
	s_mul_hi_u32 s4, s0, s7
	s_mul_i32 s0, s0, s7
	s_add_i32 s1, s4, s1
	v_lshlrev_b64 v[2:3], 1, v[2:3]
	v_lshlrev_b64 v[4:5], 1, v[4:5]
	v_lshlrev_b64 v[6:7], 1, v[6:7]
	v_lshlrev_b64 v[8:9], 1, v[8:9]
	v_lshlrev_b64 v[10:11], 1, v[10:11]
	v_lshlrev_b64 v[12:13], 1, v[12:13]
	v_lshlrev_b64 v[14:15], 1, v[14:15]
	v_lshlrev_b64 v[16:17], 1, v[16:17]
	s_lshl_b64 s[0:1], s[0:1], 1
	s_mov_b64 s[4:5], 15
	s_add_u32 s7, s10, s0
	s_addc_u32 s10, s11, s1
	s_branch .LBB290_26
.LBB290_25:                             ;   in Loop: Header=BB290_26 Depth=1
	s_add_i32 s0, s4, -1
	v_add_nc_u32_e32 v1, 32, v1
	s_cmp_eq_u32 s0, 1
	s_cselect_b32 vcc_lo, -1, 0
	s_cmp_eq_u32 s0, 2
	v_cndmask_b32_e32 v81, v21, v49, vcc_lo
	s_cselect_b32 vcc_lo, -1, 0
	s_cmp_eq_u32 s0, 3
	v_cndmask_b32_e32 v81, v81, v25, vcc_lo
	;; [unrolled: 3-line block ×62, first 2 shown]
	s_cselect_b32 vcc_lo, -1, 0
	s_cmp_eq_u32 s4, 1
	s_cselect_b32 s0, -1, 0
	s_cmp_eq_u32 s4, 2
	v_cndmask_b32_e64 v49, v21, v49, s0
	s_cselect_b32 s0, -1, 0
	s_cmp_eq_u32 s4, 3
	v_cndmask_b32_e64 v49, v49, v25, s0
	;; [unrolled: 3-line block ×3, first 2 shown]
	s_cselect_b32 s0, -1, 0
	s_cmp_eq_u32 s4, 5
	v_cndmask_b32_e32 v50, v81, v80, vcc_lo
	v_cndmask_b32_e64 v49, v49, v29, s0
	s_cselect_b32 s0, -1, 0
	s_cmp_eq_u32 s4, 6
	v_cndmask_b32_e64 v49, v49, v51, s0
	s_cselect_b32 s0, -1, 0
	s_cmp_eq_u32 s4, 7
	;; [unrolled: 3-line block ×58, first 2 shown]
	s_cselect_b32 vcc_lo, -1, 0
	v_cndmask_b32_e64 v49, v49, v48, s0
	s_add_u32 s4, s4, 16
	s_addc_u32 s5, s5, 0
	s_cmpk_lg_i32 s4, 0x4f
	v_cndmask_b32_e32 v49, v49, v80, vcc_lo
	v_add_f16_e32 v51, v50, v49
	v_add_co_u32 v49, vcc_lo, v83, v16
	v_add_co_ci_u32_e64 v50, null, v84, v17, vcc_lo
	v_add_f16_e32 v51, v51, v85
	global_store_short v[49:50], v51, off
	s_cbranch_scc0 .LBB290_42
.LBB290_26:                             ; =>This Inner Loop Header: Depth=1
	v_mad_i64_i32 v[49:50], null, v1, s8, 0
	v_cndmask_b32_e64 v51, 0, 1, s6
	v_mov_b32_e32 v85, 0
	v_mov_b32_e32 v86, 0
	v_cmp_ne_u32_e64 s0, 1, v51
	v_lshlrev_b64 v[49:50], 1, v[49:50]
	v_add_co_u32 v81, vcc_lo, s2, v49
	v_add_co_ci_u32_e64 v82, null, s3, v50, vcc_lo
	s_andn2_b32 vcc_lo, exec_lo, s6
	s_cbranch_vccnz .LBB290_28
; %bb.27:                               ;   in Loop: Header=BB290_26 Depth=1
	v_add_co_u32 v49, vcc_lo, v81, v2
	v_add_co_ci_u32_e64 v50, null, v82, v3, vcc_lo
	global_load_ushort v49, v[49:50], off
	s_waitcnt vmcnt(0)
	v_mul_f16_e32 v86, s18, v49
.LBB290_28:                             ;   in Loop: Header=BB290_26 Depth=1
	s_add_i32 s1, s4, -15
	v_lshrrev_b32_e32 v49, 16, v21
	s_cmp_eq_u32 s1, 1
	v_lshrrev_b32_e32 v50, 16, v25
	s_cselect_b32 vcc_lo, -1, 0
	s_cmp_eq_u32 s1, 2
	v_cndmask_b32_e32 v51, v21, v49, vcc_lo
	s_cselect_b32 vcc_lo, -1, 0
	s_cmp_eq_u32 s1, 3
	v_cndmask_b32_e32 v51, v51, v25, vcc_lo
	;; [unrolled: 3-line block ×3, first 2 shown]
	s_cselect_b32 vcc_lo, -1, 0
	v_lshrrev_b32_e32 v51, 16, v29
	s_cmp_eq_u32 s1, 5
	v_cndmask_b32_e32 v52, v52, v29, vcc_lo
	s_cselect_b32 vcc_lo, -1, 0
	s_cmp_eq_u32 s1, 6
	v_cndmask_b32_e32 v53, v52, v51, vcc_lo
	s_cselect_b32 vcc_lo, -1, 0
	v_lshrrev_b32_e32 v52, 16, v33
	s_cmp_eq_u32 s1, 7
	v_cndmask_b32_e32 v53, v53, v33, vcc_lo
	s_cselect_b32 vcc_lo, -1, 0
	s_cmp_eq_u32 s1, 8
	v_cndmask_b32_e32 v54, v53, v52, vcc_lo
	;; [unrolled: 7-line block ×29, first 2 shown]
	s_cselect_b32 vcc_lo, -1, 0
	s_cmp_eq_u32 s1, 63
	v_lshrrev_b32_e32 v80, 16, v48
	v_cndmask_b32_e32 v87, v83, v48, vcc_lo
	s_cselect_b32 vcc_lo, -1, 0
	s_add_i32 s11, s4, -14
	s_cmp_eq_u32 s11, 1
	v_cndmask_b32_e32 v87, v87, v80, vcc_lo
	s_cselect_b32 s1, -1, 0
	s_cmp_eq_u32 s11, 2
	v_cndmask_b32_e64 v83, v21, v49, s1
	s_cselect_b32 s1, -1, 0
	s_cmp_eq_u32 s11, 3
	v_cndmask_b32_e64 v83, v83, v25, s1
	;; [unrolled: 3-line block ×61, first 2 shown]
	v_mad_i64_i32 v[83:84], null, v1, s9, 0
	s_cselect_b32 s1, -1, 0
	s_cmp_eq_u32 s11, 63
	v_cndmask_b32_e64 v88, v88, v48, s1
	s_cselect_b32 vcc_lo, -1, 0
	v_lshlrev_b64 v[83:84], 1, v[83:84]
	v_cndmask_b32_e32 v88, v88, v80, vcc_lo
	v_add_co_u32 v83, vcc_lo, s7, v83
	v_add_f16_e32 v87, v87, v88
	v_add_co_ci_u32_e64 v84, null, s10, v84, vcc_lo
	v_add_f16_e32 v88, v87, v86
	v_add_co_u32 v86, vcc_lo, v83, v2
	v_add_co_ci_u32_e64 v87, null, v84, v3, vcc_lo
	s_and_b32 vcc_lo, exec_lo, s0
	global_store_short v[86:87], v88, off
	s_cbranch_vccnz .LBB290_30
; %bb.29:                               ;   in Loop: Header=BB290_26 Depth=1
	v_add_co_u32 v85, vcc_lo, v81, v4
	v_add_co_ci_u32_e64 v86, null, v82, v5, vcc_lo
	global_load_ushort v85, v[85:86], off
	s_waitcnt vmcnt(0)
	v_mul_f16_e32 v85, s18, v85
.LBB290_30:                             ;   in Loop: Header=BB290_26 Depth=1
	s_add_i32 s1, s4, -13
	s_cmp_eq_u32 s1, 1
	s_cselect_b32 vcc_lo, -1, 0
	s_cmp_eq_u32 s1, 2
	v_cndmask_b32_e32 v86, v21, v49, vcc_lo
	s_cselect_b32 vcc_lo, -1, 0
	s_cmp_eq_u32 s1, 3
	v_cndmask_b32_e32 v86, v86, v25, vcc_lo
	;; [unrolled: 3-line block ×62, first 2 shown]
	s_cselect_b32 vcc_lo, -1, 0
	s_add_i32 s11, s4, -12
	s_cmp_eq_u32 s11, 1
	v_cndmask_b32_e32 v86, v86, v80, vcc_lo
	s_cselect_b32 s1, -1, 0
	s_cmp_eq_u32 s11, 2
	v_cndmask_b32_e64 v87, v21, v49, s1
	s_cselect_b32 s1, -1, 0
	s_cmp_eq_u32 s11, 3
	v_cndmask_b32_e64 v87, v87, v25, s1
	;; [unrolled: 3-line block ×61, first 2 shown]
	s_cselect_b32 s1, -1, 0
	s_cmp_eq_u32 s11, 63
	s_cselect_b32 vcc_lo, -1, 0
	v_cndmask_b32_e64 v87, v87, v48, s1
	v_cndmask_b32_e32 v87, v87, v80, vcc_lo
	v_add_f16_e32 v86, v86, v87
	v_add_co_u32 v87, vcc_lo, v83, v4
	v_add_co_ci_u32_e64 v88, null, v84, v5, vcc_lo
	v_add_f16_e32 v89, v86, v85
	v_mov_b32_e32 v85, 0
	v_mov_b32_e32 v86, 0
	s_and_b32 vcc_lo, exec_lo, s0
	global_store_short v[87:88], v89, off
	s_cbranch_vccnz .LBB290_32
; %bb.31:                               ;   in Loop: Header=BB290_26 Depth=1
	v_add_co_u32 v86, vcc_lo, v81, v6
	v_add_co_ci_u32_e64 v87, null, v82, v7, vcc_lo
	global_load_ushort v86, v[86:87], off
	s_waitcnt vmcnt(0)
	v_mul_f16_e32 v86, s18, v86
.LBB290_32:                             ;   in Loop: Header=BB290_26 Depth=1
	s_add_i32 s1, s4, -11
	s_cmp_eq_u32 s1, 1
	s_cselect_b32 vcc_lo, -1, 0
	s_cmp_eq_u32 s1, 2
	v_cndmask_b32_e32 v87, v21, v49, vcc_lo
	s_cselect_b32 vcc_lo, -1, 0
	s_cmp_eq_u32 s1, 3
	v_cndmask_b32_e32 v87, v87, v25, vcc_lo
	;; [unrolled: 3-line block ×62, first 2 shown]
	s_cselect_b32 vcc_lo, -1, 0
	s_add_i32 s11, s4, -10
	s_cmp_eq_u32 s11, 1
	v_cndmask_b32_e32 v87, v87, v80, vcc_lo
	s_cselect_b32 s1, -1, 0
	s_cmp_eq_u32 s11, 2
	v_cndmask_b32_e64 v88, v21, v49, s1
	s_cselect_b32 s1, -1, 0
	s_cmp_eq_u32 s11, 3
	v_cndmask_b32_e64 v88, v88, v25, s1
	;; [unrolled: 3-line block ×61, first 2 shown]
	s_cselect_b32 s1, -1, 0
	s_cmp_eq_u32 s11, 63
	s_cselect_b32 vcc_lo, -1, 0
	v_cndmask_b32_e64 v88, v88, v48, s1
	v_cndmask_b32_e32 v88, v88, v80, vcc_lo
	v_add_f16_e32 v87, v87, v88
	v_add_f16_e32 v88, v87, v86
	v_add_co_u32 v86, vcc_lo, v83, v6
	v_add_co_ci_u32_e64 v87, null, v84, v7, vcc_lo
	s_and_b32 vcc_lo, exec_lo, s0
	global_store_short v[86:87], v88, off
	s_cbranch_vccnz .LBB290_34
; %bb.33:                               ;   in Loop: Header=BB290_26 Depth=1
	v_add_co_u32 v85, vcc_lo, v81, v8
	v_add_co_ci_u32_e64 v86, null, v82, v9, vcc_lo
	global_load_ushort v85, v[85:86], off
	s_waitcnt vmcnt(0)
	v_mul_f16_e32 v85, s18, v85
.LBB290_34:                             ;   in Loop: Header=BB290_26 Depth=1
	s_add_i32 s1, s4, -9
	s_cmp_eq_u32 s1, 1
	s_cselect_b32 vcc_lo, -1, 0
	s_cmp_eq_u32 s1, 2
	v_cndmask_b32_e32 v86, v21, v49, vcc_lo
	s_cselect_b32 vcc_lo, -1, 0
	s_cmp_eq_u32 s1, 3
	v_cndmask_b32_e32 v86, v86, v25, vcc_lo
	s_cselect_b32 vcc_lo, -1, 0
	s_cmp_eq_u32 s1, 4
	v_cndmask_b32_e32 v86, v86, v50, vcc_lo
	s_cselect_b32 vcc_lo, -1, 0
	s_cmp_eq_u32 s1, 5
	v_cndmask_b32_e32 v86, v86, v29, vcc_lo
	s_cselect_b32 vcc_lo, -1, 0
	s_cmp_eq_u32 s1, 6
	v_cndmask_b32_e32 v86, v86, v51, vcc_lo
	s_cselect_b32 vcc_lo, -1, 0
	s_cmp_eq_u32 s1, 7
	v_cndmask_b32_e32 v86, v86, v33, vcc_lo
	s_cselect_b32 vcc_lo, -1, 0
	s_cmp_eq_u32 s1, 8
	v_cndmask_b32_e32 v86, v86, v52, vcc_lo
	s_cselect_b32 vcc_lo, -1, 0
	s_cmp_eq_u32 s1, 9
	v_cndmask_b32_e32 v86, v86, v37, vcc_lo
	s_cselect_b32 vcc_lo, -1, 0
	s_cmp_eq_u32 s1, 10
	v_cndmask_b32_e32 v86, v86, v53, vcc_lo
	s_cselect_b32 vcc_lo, -1, 0
	s_cmp_eq_u32 s1, 11
	v_cndmask_b32_e32 v86, v86, v41, vcc_lo
	s_cselect_b32 vcc_lo, -1, 0
	s_cmp_eq_u32 s1, 12
	v_cndmask_b32_e32 v86, v86, v54, vcc_lo
	s_cselect_b32 vcc_lo, -1, 0
	s_cmp_eq_u32 s1, 13
	v_cndmask_b32_e32 v86, v86, v45, vcc_lo
	s_cselect_b32 vcc_lo, -1, 0
	s_cmp_eq_u32 s1, 14
	v_cndmask_b32_e32 v86, v86, v55, vcc_lo
	s_cselect_b32 vcc_lo, -1, 0
	s_cmp_eq_u32 s1, 15
	v_cndmask_b32_e32 v86, v86, v18, vcc_lo
	s_cselect_b32 vcc_lo, -1, 0
	s_cmp_eq_u32 s1, 16
	v_cndmask_b32_e32 v86, v86, v56, vcc_lo
	s_cselect_b32 vcc_lo, -1, 0
	s_cmp_eq_u32 s1, 17
	v_cndmask_b32_e32 v86, v86, v22, vcc_lo
	s_cselect_b32 vcc_lo, -1, 0
	s_cmp_eq_u32 s1, 18
	v_cndmask_b32_e32 v86, v86, v57, vcc_lo
	s_cselect_b32 vcc_lo, -1, 0
	s_cmp_eq_u32 s1, 19
	v_cndmask_b32_e32 v86, v86, v26, vcc_lo
	s_cselect_b32 vcc_lo, -1, 0
	s_cmp_eq_u32 s1, 20
	v_cndmask_b32_e32 v86, v86, v58, vcc_lo
	s_cselect_b32 vcc_lo, -1, 0
	s_cmp_eq_u32 s1, 21
	v_cndmask_b32_e32 v86, v86, v30, vcc_lo
	s_cselect_b32 vcc_lo, -1, 0
	s_cmp_eq_u32 s1, 22
	v_cndmask_b32_e32 v86, v86, v59, vcc_lo
	s_cselect_b32 vcc_lo, -1, 0
	s_cmp_eq_u32 s1, 23
	v_cndmask_b32_e32 v86, v86, v34, vcc_lo
	s_cselect_b32 vcc_lo, -1, 0
	s_cmp_eq_u32 s1, 24
	v_cndmask_b32_e32 v86, v86, v60, vcc_lo
	s_cselect_b32 vcc_lo, -1, 0
	s_cmp_eq_u32 s1, 25
	v_cndmask_b32_e32 v86, v86, v38, vcc_lo
	s_cselect_b32 vcc_lo, -1, 0
	s_cmp_eq_u32 s1, 26
	v_cndmask_b32_e32 v86, v86, v61, vcc_lo
	s_cselect_b32 vcc_lo, -1, 0
	s_cmp_eq_u32 s1, 27
	v_cndmask_b32_e32 v86, v86, v42, vcc_lo
	s_cselect_b32 vcc_lo, -1, 0
	s_cmp_eq_u32 s1, 28
	v_cndmask_b32_e32 v86, v86, v62, vcc_lo
	s_cselect_b32 vcc_lo, -1, 0
	s_cmp_eq_u32 s1, 29
	v_cndmask_b32_e32 v86, v86, v0, vcc_lo
	s_cselect_b32 vcc_lo, -1, 0
	s_cmp_eq_u32 s1, 30
	v_cndmask_b32_e32 v86, v86, v63, vcc_lo
	s_cselect_b32 vcc_lo, -1, 0
	s_cmp_eq_u32 s1, 31
	v_cndmask_b32_e32 v86, v86, v19, vcc_lo
	s_cselect_b32 vcc_lo, -1, 0
	s_cmp_eq_u32 s1, 32
	v_cndmask_b32_e32 v86, v86, v64, vcc_lo
	s_cselect_b32 vcc_lo, -1, 0
	s_cmp_eq_u32 s1, 33
	v_cndmask_b32_e32 v86, v86, v23, vcc_lo
	s_cselect_b32 vcc_lo, -1, 0
	s_cmp_eq_u32 s1, 34
	v_cndmask_b32_e32 v86, v86, v65, vcc_lo
	s_cselect_b32 vcc_lo, -1, 0
	s_cmp_eq_u32 s1, 35
	v_cndmask_b32_e32 v86, v86, v27, vcc_lo
	s_cselect_b32 vcc_lo, -1, 0
	s_cmp_eq_u32 s1, 36
	v_cndmask_b32_e32 v86, v86, v66, vcc_lo
	s_cselect_b32 vcc_lo, -1, 0
	s_cmp_eq_u32 s1, 37
	v_cndmask_b32_e32 v86, v86, v31, vcc_lo
	s_cselect_b32 vcc_lo, -1, 0
	s_cmp_eq_u32 s1, 38
	v_cndmask_b32_e32 v86, v86, v67, vcc_lo
	s_cselect_b32 vcc_lo, -1, 0
	s_cmp_eq_u32 s1, 39
	v_cndmask_b32_e32 v86, v86, v35, vcc_lo
	s_cselect_b32 vcc_lo, -1, 0
	s_cmp_eq_u32 s1, 40
	v_cndmask_b32_e32 v86, v86, v68, vcc_lo
	s_cselect_b32 vcc_lo, -1, 0
	s_cmp_eq_u32 s1, 41
	v_cndmask_b32_e32 v86, v86, v39, vcc_lo
	s_cselect_b32 vcc_lo, -1, 0
	s_cmp_eq_u32 s1, 42
	v_cndmask_b32_e32 v86, v86, v69, vcc_lo
	s_cselect_b32 vcc_lo, -1, 0
	s_cmp_eq_u32 s1, 43
	v_cndmask_b32_e32 v86, v86, v43, vcc_lo
	s_cselect_b32 vcc_lo, -1, 0
	s_cmp_eq_u32 s1, 44
	v_cndmask_b32_e32 v86, v86, v70, vcc_lo
	s_cselect_b32 vcc_lo, -1, 0
	s_cmp_eq_u32 s1, 45
	v_cndmask_b32_e32 v86, v86, v46, vcc_lo
	s_cselect_b32 vcc_lo, -1, 0
	s_cmp_eq_u32 s1, 46
	v_cndmask_b32_e32 v86, v86, v71, vcc_lo
	s_cselect_b32 vcc_lo, -1, 0
	s_cmp_eq_u32 s1, 47
	v_cndmask_b32_e32 v86, v86, v20, vcc_lo
	s_cselect_b32 vcc_lo, -1, 0
	s_cmp_eq_u32 s1, 48
	v_cndmask_b32_e32 v86, v86, v72, vcc_lo
	s_cselect_b32 vcc_lo, -1, 0
	s_cmp_eq_u32 s1, 49
	v_cndmask_b32_e32 v86, v86, v24, vcc_lo
	s_cselect_b32 vcc_lo, -1, 0
	s_cmp_eq_u32 s1, 50
	v_cndmask_b32_e32 v86, v86, v73, vcc_lo
	s_cselect_b32 vcc_lo, -1, 0
	s_cmp_eq_u32 s1, 51
	v_cndmask_b32_e32 v86, v86, v28, vcc_lo
	s_cselect_b32 vcc_lo, -1, 0
	s_cmp_eq_u32 s1, 52
	v_cndmask_b32_e32 v86, v86, v74, vcc_lo
	s_cselect_b32 vcc_lo, -1, 0
	s_cmp_eq_u32 s1, 53
	v_cndmask_b32_e32 v86, v86, v32, vcc_lo
	s_cselect_b32 vcc_lo, -1, 0
	s_cmp_eq_u32 s1, 54
	v_cndmask_b32_e32 v86, v86, v75, vcc_lo
	s_cselect_b32 vcc_lo, -1, 0
	s_cmp_eq_u32 s1, 55
	v_cndmask_b32_e32 v86, v86, v36, vcc_lo
	s_cselect_b32 vcc_lo, -1, 0
	s_cmp_eq_u32 s1, 56
	v_cndmask_b32_e32 v86, v86, v76, vcc_lo
	s_cselect_b32 vcc_lo, -1, 0
	s_cmp_eq_u32 s1, 57
	v_cndmask_b32_e32 v86, v86, v40, vcc_lo
	s_cselect_b32 vcc_lo, -1, 0
	s_cmp_eq_u32 s1, 58
	v_cndmask_b32_e32 v86, v86, v77, vcc_lo
	s_cselect_b32 vcc_lo, -1, 0
	s_cmp_eq_u32 s1, 59
	v_cndmask_b32_e32 v86, v86, v44, vcc_lo
	s_cselect_b32 vcc_lo, -1, 0
	s_cmp_eq_u32 s1, 60
	v_cndmask_b32_e32 v86, v86, v78, vcc_lo
	s_cselect_b32 vcc_lo, -1, 0
	s_cmp_eq_u32 s1, 61
	v_cndmask_b32_e32 v86, v86, v47, vcc_lo
	s_cselect_b32 vcc_lo, -1, 0
	s_cmp_eq_u32 s1, 62
	v_cndmask_b32_e32 v86, v86, v79, vcc_lo
	s_cselect_b32 vcc_lo, -1, 0
	s_cmp_eq_u32 s1, 63
	v_cndmask_b32_e32 v86, v86, v48, vcc_lo
	s_cselect_b32 vcc_lo, -1, 0
	s_add_i32 s11, s4, -8
	s_cmp_eq_u32 s11, 1
	v_cndmask_b32_e32 v86, v86, v80, vcc_lo
	s_cselect_b32 s1, -1, 0
	s_cmp_eq_u32 s11, 2
	v_cndmask_b32_e64 v87, v21, v49, s1
	s_cselect_b32 s1, -1, 0
	s_cmp_eq_u32 s11, 3
	v_cndmask_b32_e64 v87, v87, v25, s1
	s_cselect_b32 s1, -1, 0
	s_cmp_eq_u32 s11, 4
	v_cndmask_b32_e64 v87, v87, v50, s1
	s_cselect_b32 s1, -1, 0
	s_cmp_eq_u32 s11, 5
	v_cndmask_b32_e64 v87, v87, v29, s1
	s_cselect_b32 s1, -1, 0
	s_cmp_eq_u32 s11, 6
	v_cndmask_b32_e64 v87, v87, v51, s1
	s_cselect_b32 s1, -1, 0
	s_cmp_eq_u32 s11, 7
	v_cndmask_b32_e64 v87, v87, v33, s1
	s_cselect_b32 s1, -1, 0
	s_cmp_eq_u32 s11, 8
	v_cndmask_b32_e64 v87, v87, v52, s1
	s_cselect_b32 s1, -1, 0
	s_cmp_eq_u32 s11, 9
	v_cndmask_b32_e64 v87, v87, v37, s1
	s_cselect_b32 s1, -1, 0
	s_cmp_eq_u32 s11, 10
	v_cndmask_b32_e64 v87, v87, v53, s1
	s_cselect_b32 s1, -1, 0
	s_cmp_eq_u32 s11, 11
	v_cndmask_b32_e64 v87, v87, v41, s1
	s_cselect_b32 s1, -1, 0
	s_cmp_eq_u32 s11, 12
	v_cndmask_b32_e64 v87, v87, v54, s1
	s_cselect_b32 s1, -1, 0
	s_cmp_eq_u32 s11, 13
	v_cndmask_b32_e64 v87, v87, v45, s1
	s_cselect_b32 s1, -1, 0
	s_cmp_eq_u32 s11, 14
	v_cndmask_b32_e64 v87, v87, v55, s1
	s_cselect_b32 s1, -1, 0
	s_cmp_eq_u32 s11, 15
	v_cndmask_b32_e64 v87, v87, v18, s1
	s_cselect_b32 s1, -1, 0
	s_cmp_eq_u32 s11, 16
	v_cndmask_b32_e64 v87, v87, v56, s1
	s_cselect_b32 s1, -1, 0
	s_cmp_eq_u32 s11, 17
	v_cndmask_b32_e64 v87, v87, v22, s1
	s_cselect_b32 s1, -1, 0
	s_cmp_eq_u32 s11, 18
	v_cndmask_b32_e64 v87, v87, v57, s1
	s_cselect_b32 s1, -1, 0
	s_cmp_eq_u32 s11, 19
	v_cndmask_b32_e64 v87, v87, v26, s1
	s_cselect_b32 s1, -1, 0
	s_cmp_eq_u32 s11, 20
	v_cndmask_b32_e64 v87, v87, v58, s1
	s_cselect_b32 s1, -1, 0
	s_cmp_eq_u32 s11, 21
	v_cndmask_b32_e64 v87, v87, v30, s1
	s_cselect_b32 s1, -1, 0
	s_cmp_eq_u32 s11, 22
	v_cndmask_b32_e64 v87, v87, v59, s1
	s_cselect_b32 s1, -1, 0
	s_cmp_eq_u32 s11, 23
	v_cndmask_b32_e64 v87, v87, v34, s1
	s_cselect_b32 s1, -1, 0
	s_cmp_eq_u32 s11, 24
	v_cndmask_b32_e64 v87, v87, v60, s1
	s_cselect_b32 s1, -1, 0
	s_cmp_eq_u32 s11, 25
	v_cndmask_b32_e64 v87, v87, v38, s1
	s_cselect_b32 s1, -1, 0
	s_cmp_eq_u32 s11, 26
	v_cndmask_b32_e64 v87, v87, v61, s1
	s_cselect_b32 s1, -1, 0
	s_cmp_eq_u32 s11, 27
	v_cndmask_b32_e64 v87, v87, v42, s1
	s_cselect_b32 s1, -1, 0
	s_cmp_eq_u32 s11, 28
	v_cndmask_b32_e64 v87, v87, v62, s1
	s_cselect_b32 s1, -1, 0
	s_cmp_eq_u32 s11, 29
	v_cndmask_b32_e64 v87, v87, v0, s1
	s_cselect_b32 s1, -1, 0
	s_cmp_eq_u32 s11, 30
	v_cndmask_b32_e64 v87, v87, v63, s1
	s_cselect_b32 s1, -1, 0
	s_cmp_eq_u32 s11, 31
	v_cndmask_b32_e64 v87, v87, v19, s1
	s_cselect_b32 s1, -1, 0
	s_cmp_eq_u32 s11, 32
	v_cndmask_b32_e64 v87, v87, v64, s1
	s_cselect_b32 s1, -1, 0
	s_cmp_eq_u32 s11, 33
	v_cndmask_b32_e64 v87, v87, v23, s1
	s_cselect_b32 s1, -1, 0
	s_cmp_eq_u32 s11, 34
	v_cndmask_b32_e64 v87, v87, v65, s1
	s_cselect_b32 s1, -1, 0
	s_cmp_eq_u32 s11, 35
	v_cndmask_b32_e64 v87, v87, v27, s1
	s_cselect_b32 s1, -1, 0
	s_cmp_eq_u32 s11, 36
	v_cndmask_b32_e64 v87, v87, v66, s1
	s_cselect_b32 s1, -1, 0
	s_cmp_eq_u32 s11, 37
	v_cndmask_b32_e64 v87, v87, v31, s1
	s_cselect_b32 s1, -1, 0
	s_cmp_eq_u32 s11, 38
	v_cndmask_b32_e64 v87, v87, v67, s1
	s_cselect_b32 s1, -1, 0
	s_cmp_eq_u32 s11, 39
	v_cndmask_b32_e64 v87, v87, v35, s1
	s_cselect_b32 s1, -1, 0
	s_cmp_eq_u32 s11, 40
	v_cndmask_b32_e64 v87, v87, v68, s1
	s_cselect_b32 s1, -1, 0
	s_cmp_eq_u32 s11, 41
	v_cndmask_b32_e64 v87, v87, v39, s1
	s_cselect_b32 s1, -1, 0
	s_cmp_eq_u32 s11, 42
	v_cndmask_b32_e64 v87, v87, v69, s1
	s_cselect_b32 s1, -1, 0
	s_cmp_eq_u32 s11, 43
	v_cndmask_b32_e64 v87, v87, v43, s1
	s_cselect_b32 s1, -1, 0
	s_cmp_eq_u32 s11, 44
	v_cndmask_b32_e64 v87, v87, v70, s1
	s_cselect_b32 s1, -1, 0
	s_cmp_eq_u32 s11, 45
	v_cndmask_b32_e64 v87, v87, v46, s1
	s_cselect_b32 s1, -1, 0
	s_cmp_eq_u32 s11, 46
	v_cndmask_b32_e64 v87, v87, v71, s1
	s_cselect_b32 s1, -1, 0
	s_cmp_eq_u32 s11, 47
	v_cndmask_b32_e64 v87, v87, v20, s1
	s_cselect_b32 s1, -1, 0
	s_cmp_eq_u32 s11, 48
	v_cndmask_b32_e64 v87, v87, v72, s1
	s_cselect_b32 s1, -1, 0
	s_cmp_eq_u32 s11, 49
	v_cndmask_b32_e64 v87, v87, v24, s1
	s_cselect_b32 s1, -1, 0
	s_cmp_eq_u32 s11, 50
	v_cndmask_b32_e64 v87, v87, v73, s1
	s_cselect_b32 s1, -1, 0
	s_cmp_eq_u32 s11, 51
	v_cndmask_b32_e64 v87, v87, v28, s1
	s_cselect_b32 s1, -1, 0
	s_cmp_eq_u32 s11, 52
	v_cndmask_b32_e64 v87, v87, v74, s1
	s_cselect_b32 s1, -1, 0
	s_cmp_eq_u32 s11, 53
	v_cndmask_b32_e64 v87, v87, v32, s1
	s_cselect_b32 s1, -1, 0
	s_cmp_eq_u32 s11, 54
	v_cndmask_b32_e64 v87, v87, v75, s1
	s_cselect_b32 s1, -1, 0
	s_cmp_eq_u32 s11, 55
	v_cndmask_b32_e64 v87, v87, v36, s1
	s_cselect_b32 s1, -1, 0
	s_cmp_eq_u32 s11, 56
	v_cndmask_b32_e64 v87, v87, v76, s1
	s_cselect_b32 s1, -1, 0
	s_cmp_eq_u32 s11, 57
	v_cndmask_b32_e64 v87, v87, v40, s1
	s_cselect_b32 s1, -1, 0
	s_cmp_eq_u32 s11, 58
	v_cndmask_b32_e64 v87, v87, v77, s1
	s_cselect_b32 s1, -1, 0
	s_cmp_eq_u32 s11, 59
	v_cndmask_b32_e64 v87, v87, v44, s1
	s_cselect_b32 s1, -1, 0
	s_cmp_eq_u32 s11, 60
	v_cndmask_b32_e64 v87, v87, v78, s1
	s_cselect_b32 s1, -1, 0
	s_cmp_eq_u32 s11, 61
	v_cndmask_b32_e64 v87, v87, v47, s1
	s_cselect_b32 s1, -1, 0
	s_cmp_eq_u32 s11, 62
	v_cndmask_b32_e64 v87, v87, v79, s1
	s_cselect_b32 s1, -1, 0
	s_cmp_eq_u32 s11, 63
	s_cselect_b32 vcc_lo, -1, 0
	v_cndmask_b32_e64 v87, v87, v48, s1
	v_cndmask_b32_e32 v87, v87, v80, vcc_lo
	v_add_f16_e32 v86, v86, v87
	v_add_co_u32 v87, vcc_lo, v83, v8
	v_add_co_ci_u32_e64 v88, null, v84, v9, vcc_lo
	v_add_f16_e32 v89, v86, v85
	v_mov_b32_e32 v85, 0
	v_mov_b32_e32 v86, 0
	s_and_b32 vcc_lo, exec_lo, s0
	global_store_short v[87:88], v89, off
	s_cbranch_vccnz .LBB290_36
; %bb.35:                               ;   in Loop: Header=BB290_26 Depth=1
	v_add_co_u32 v86, vcc_lo, v81, v10
	v_add_co_ci_u32_e64 v87, null, v82, v11, vcc_lo
	global_load_ushort v86, v[86:87], off
	s_waitcnt vmcnt(0)
	v_mul_f16_e32 v86, s18, v86
.LBB290_36:                             ;   in Loop: Header=BB290_26 Depth=1
	s_add_i32 s1, s4, -7
	s_cmp_eq_u32 s1, 1
	s_cselect_b32 vcc_lo, -1, 0
	s_cmp_eq_u32 s1, 2
	v_cndmask_b32_e32 v87, v21, v49, vcc_lo
	s_cselect_b32 vcc_lo, -1, 0
	s_cmp_eq_u32 s1, 3
	v_cndmask_b32_e32 v87, v87, v25, vcc_lo
	;; [unrolled: 3-line block ×62, first 2 shown]
	s_cselect_b32 vcc_lo, -1, 0
	s_add_i32 s11, s4, -6
	s_cmp_eq_u32 s11, 1
	v_cndmask_b32_e32 v87, v87, v80, vcc_lo
	s_cselect_b32 s1, -1, 0
	s_cmp_eq_u32 s11, 2
	v_cndmask_b32_e64 v88, v21, v49, s1
	s_cselect_b32 s1, -1, 0
	s_cmp_eq_u32 s11, 3
	v_cndmask_b32_e64 v88, v88, v25, s1
	;; [unrolled: 3-line block ×61, first 2 shown]
	s_cselect_b32 s1, -1, 0
	s_cmp_eq_u32 s11, 63
	s_cselect_b32 vcc_lo, -1, 0
	v_cndmask_b32_e64 v88, v88, v48, s1
	v_cndmask_b32_e32 v88, v88, v80, vcc_lo
	v_add_f16_e32 v87, v87, v88
	v_add_f16_e32 v88, v87, v86
	v_add_co_u32 v86, vcc_lo, v83, v10
	v_add_co_ci_u32_e64 v87, null, v84, v11, vcc_lo
	s_and_b32 vcc_lo, exec_lo, s0
	global_store_short v[86:87], v88, off
	s_cbranch_vccnz .LBB290_38
; %bb.37:                               ;   in Loop: Header=BB290_26 Depth=1
	v_add_co_u32 v85, vcc_lo, v81, v12
	v_add_co_ci_u32_e64 v86, null, v82, v13, vcc_lo
	global_load_ushort v85, v[85:86], off
	s_waitcnt vmcnt(0)
	v_mul_f16_e32 v85, s18, v85
.LBB290_38:                             ;   in Loop: Header=BB290_26 Depth=1
	s_add_i32 s1, s4, -5
	s_cmp_eq_u32 s1, 1
	s_cselect_b32 vcc_lo, -1, 0
	s_cmp_eq_u32 s1, 2
	v_cndmask_b32_e32 v86, v21, v49, vcc_lo
	s_cselect_b32 vcc_lo, -1, 0
	s_cmp_eq_u32 s1, 3
	v_cndmask_b32_e32 v86, v86, v25, vcc_lo
	;; [unrolled: 3-line block ×62, first 2 shown]
	s_cselect_b32 vcc_lo, -1, 0
	s_add_i32 s11, s4, -4
	s_cmp_eq_u32 s11, 1
	v_cndmask_b32_e32 v86, v86, v80, vcc_lo
	s_cselect_b32 s1, -1, 0
	s_cmp_eq_u32 s11, 2
	v_cndmask_b32_e64 v87, v21, v49, s1
	s_cselect_b32 s1, -1, 0
	s_cmp_eq_u32 s11, 3
	v_cndmask_b32_e64 v87, v87, v25, s1
	;; [unrolled: 3-line block ×61, first 2 shown]
	s_cselect_b32 s1, -1, 0
	s_cmp_eq_u32 s11, 63
	s_cselect_b32 vcc_lo, -1, 0
	v_cndmask_b32_e64 v87, v87, v48, s1
	v_cndmask_b32_e32 v87, v87, v80, vcc_lo
	v_add_f16_e32 v86, v86, v87
	v_add_co_u32 v87, vcc_lo, v83, v12
	v_add_co_ci_u32_e64 v88, null, v84, v13, vcc_lo
	v_add_f16_e32 v89, v86, v85
	v_mov_b32_e32 v85, 0
	v_mov_b32_e32 v86, 0
	s_and_b32 vcc_lo, exec_lo, s0
	global_store_short v[87:88], v89, off
	s_cbranch_vccnz .LBB290_40
; %bb.39:                               ;   in Loop: Header=BB290_26 Depth=1
	v_add_co_u32 v86, vcc_lo, v81, v14
	v_add_co_ci_u32_e64 v87, null, v82, v15, vcc_lo
	global_load_ushort v86, v[86:87], off
	s_waitcnt vmcnt(0)
	v_mul_f16_e32 v86, s18, v86
.LBB290_40:                             ;   in Loop: Header=BB290_26 Depth=1
	s_add_i32 s1, s4, -3
	s_cmp_eq_u32 s1, 1
	s_cselect_b32 vcc_lo, -1, 0
	s_cmp_eq_u32 s1, 2
	v_cndmask_b32_e32 v87, v21, v49, vcc_lo
	s_cselect_b32 vcc_lo, -1, 0
	s_cmp_eq_u32 s1, 3
	v_cndmask_b32_e32 v87, v87, v25, vcc_lo
	;; [unrolled: 3-line block ×62, first 2 shown]
	s_cselect_b32 vcc_lo, -1, 0
	s_add_i32 s11, s4, -2
	s_cmp_eq_u32 s11, 1
	v_cndmask_b32_e32 v87, v87, v80, vcc_lo
	s_cselect_b32 s1, -1, 0
	s_cmp_eq_u32 s11, 2
	v_cndmask_b32_e64 v88, v21, v49, s1
	s_cselect_b32 s1, -1, 0
	s_cmp_eq_u32 s11, 3
	v_cndmask_b32_e64 v88, v88, v25, s1
	;; [unrolled: 3-line block ×61, first 2 shown]
	s_cselect_b32 s1, -1, 0
	s_cmp_eq_u32 s11, 63
	s_cselect_b32 vcc_lo, -1, 0
	v_cndmask_b32_e64 v88, v88, v48, s1
	v_cndmask_b32_e32 v88, v88, v80, vcc_lo
	v_add_f16_e32 v87, v87, v88
	v_add_f16_e32 v88, v87, v86
	v_add_co_u32 v86, vcc_lo, v83, v14
	v_add_co_ci_u32_e64 v87, null, v84, v15, vcc_lo
	s_and_b32 vcc_lo, exec_lo, s0
	global_store_short v[86:87], v88, off
	s_cbranch_vccnz .LBB290_25
; %bb.41:                               ;   in Loop: Header=BB290_26 Depth=1
	v_add_co_u32 v81, vcc_lo, v81, v16
	v_add_co_ci_u32_e64 v82, null, v82, v17, vcc_lo
	global_load_ushort v81, v[81:82], off
	s_waitcnt vmcnt(0)
	v_mul_f16_e32 v85, s18, v81
	s_branch .LBB290_25
.LBB290_42:
	s_endpgm
	.section	.rodata,"a",@progbits
	.p2align	6, 0x0
	.amdhsa_kernel _ZN12_GLOBAL__N_120geam_min_plus_kernelIDF16_Dv2_DF16_S1_Li8ELi32ELi64ELi128ELi4ELi4ELi64ELi4ELi64ELc84ELc78ELb0ELb0ELb0EDF16_KDF16_DF16_EEviiiT16_PT17_ilS5_ilS3_S5_ilPT18_ili26rocblas_geam_ex_operation_
		.amdhsa_group_segment_fixed_size 3072
		.amdhsa_private_segment_fixed_size 0
		.amdhsa_kernarg_size 128
		.amdhsa_user_sgpr_count 6
		.amdhsa_user_sgpr_private_segment_buffer 1
		.amdhsa_user_sgpr_dispatch_ptr 0
		.amdhsa_user_sgpr_queue_ptr 0
		.amdhsa_user_sgpr_kernarg_segment_ptr 1
		.amdhsa_user_sgpr_dispatch_id 0
		.amdhsa_user_sgpr_flat_scratch_init 0
		.amdhsa_user_sgpr_private_segment_size 0
		.amdhsa_wavefront_size32 1
		.amdhsa_uses_dynamic_stack 0
		.amdhsa_system_sgpr_private_segment_wavefront_offset 0
		.amdhsa_system_sgpr_workgroup_id_x 1
		.amdhsa_system_sgpr_workgroup_id_y 0
		.amdhsa_system_sgpr_workgroup_id_z 1
		.amdhsa_system_sgpr_workgroup_info 0
		.amdhsa_system_vgpr_workitem_id 1
		.amdhsa_next_free_vgpr 122
		.amdhsa_next_free_sgpr 24
		.amdhsa_reserve_vcc 1
		.amdhsa_reserve_flat_scratch 0
		.amdhsa_float_round_mode_32 0
		.amdhsa_float_round_mode_16_64 0
		.amdhsa_float_denorm_mode_32 3
		.amdhsa_float_denorm_mode_16_64 3
		.amdhsa_dx10_clamp 1
		.amdhsa_ieee_mode 1
		.amdhsa_fp16_overflow 0
		.amdhsa_workgroup_processor_mode 1
		.amdhsa_memory_ordered 1
		.amdhsa_forward_progress 1
		.amdhsa_shared_vgpr_count 0
		.amdhsa_exception_fp_ieee_invalid_op 0
		.amdhsa_exception_fp_denorm_src 0
		.amdhsa_exception_fp_ieee_div_zero 0
		.amdhsa_exception_fp_ieee_overflow 0
		.amdhsa_exception_fp_ieee_underflow 0
		.amdhsa_exception_fp_ieee_inexact 0
		.amdhsa_exception_int_div_zero 0
	.end_amdhsa_kernel
	.section	.text._ZN12_GLOBAL__N_120geam_min_plus_kernelIDF16_Dv2_DF16_S1_Li8ELi32ELi64ELi128ELi4ELi4ELi64ELi4ELi64ELc84ELc78ELb0ELb0ELb0EDF16_KDF16_DF16_EEviiiT16_PT17_ilS5_ilS3_S5_ilPT18_ili26rocblas_geam_ex_operation_,"axG",@progbits,_ZN12_GLOBAL__N_120geam_min_plus_kernelIDF16_Dv2_DF16_S1_Li8ELi32ELi64ELi128ELi4ELi4ELi64ELi4ELi64ELc84ELc78ELb0ELb0ELb0EDF16_KDF16_DF16_EEviiiT16_PT17_ilS5_ilS3_S5_ilPT18_ili26rocblas_geam_ex_operation_,comdat
.Lfunc_end290:
	.size	_ZN12_GLOBAL__N_120geam_min_plus_kernelIDF16_Dv2_DF16_S1_Li8ELi32ELi64ELi128ELi4ELi4ELi64ELi4ELi64ELc84ELc78ELb0ELb0ELb0EDF16_KDF16_DF16_EEviiiT16_PT17_ilS5_ilS3_S5_ilPT18_ili26rocblas_geam_ex_operation_, .Lfunc_end290-_ZN12_GLOBAL__N_120geam_min_plus_kernelIDF16_Dv2_DF16_S1_Li8ELi32ELi64ELi128ELi4ELi4ELi64ELi4ELi64ELc84ELc78ELb0ELb0ELb0EDF16_KDF16_DF16_EEviiiT16_PT17_ilS5_ilS3_S5_ilPT18_ili26rocblas_geam_ex_operation_
                                        ; -- End function
	.set _ZN12_GLOBAL__N_120geam_min_plus_kernelIDF16_Dv2_DF16_S1_Li8ELi32ELi64ELi128ELi4ELi4ELi64ELi4ELi64ELc84ELc78ELb0ELb0ELb0EDF16_KDF16_DF16_EEviiiT16_PT17_ilS5_ilS3_S5_ilPT18_ili26rocblas_geam_ex_operation_.num_vgpr, 122
	.set _ZN12_GLOBAL__N_120geam_min_plus_kernelIDF16_Dv2_DF16_S1_Li8ELi32ELi64ELi128ELi4ELi4ELi64ELi4ELi64ELc84ELc78ELb0ELb0ELb0EDF16_KDF16_DF16_EEviiiT16_PT17_ilS5_ilS3_S5_ilPT18_ili26rocblas_geam_ex_operation_.num_agpr, 0
	.set _ZN12_GLOBAL__N_120geam_min_plus_kernelIDF16_Dv2_DF16_S1_Li8ELi32ELi64ELi128ELi4ELi4ELi64ELi4ELi64ELc84ELc78ELb0ELb0ELb0EDF16_KDF16_DF16_EEviiiT16_PT17_ilS5_ilS3_S5_ilPT18_ili26rocblas_geam_ex_operation_.numbered_sgpr, 24
	.set _ZN12_GLOBAL__N_120geam_min_plus_kernelIDF16_Dv2_DF16_S1_Li8ELi32ELi64ELi128ELi4ELi4ELi64ELi4ELi64ELc84ELc78ELb0ELb0ELb0EDF16_KDF16_DF16_EEviiiT16_PT17_ilS5_ilS3_S5_ilPT18_ili26rocblas_geam_ex_operation_.num_named_barrier, 0
	.set _ZN12_GLOBAL__N_120geam_min_plus_kernelIDF16_Dv2_DF16_S1_Li8ELi32ELi64ELi128ELi4ELi4ELi64ELi4ELi64ELc84ELc78ELb0ELb0ELb0EDF16_KDF16_DF16_EEviiiT16_PT17_ilS5_ilS3_S5_ilPT18_ili26rocblas_geam_ex_operation_.private_seg_size, 0
	.set _ZN12_GLOBAL__N_120geam_min_plus_kernelIDF16_Dv2_DF16_S1_Li8ELi32ELi64ELi128ELi4ELi4ELi64ELi4ELi64ELc84ELc78ELb0ELb0ELb0EDF16_KDF16_DF16_EEviiiT16_PT17_ilS5_ilS3_S5_ilPT18_ili26rocblas_geam_ex_operation_.uses_vcc, 1
	.set _ZN12_GLOBAL__N_120geam_min_plus_kernelIDF16_Dv2_DF16_S1_Li8ELi32ELi64ELi128ELi4ELi4ELi64ELi4ELi64ELc84ELc78ELb0ELb0ELb0EDF16_KDF16_DF16_EEviiiT16_PT17_ilS5_ilS3_S5_ilPT18_ili26rocblas_geam_ex_operation_.uses_flat_scratch, 0
	.set _ZN12_GLOBAL__N_120geam_min_plus_kernelIDF16_Dv2_DF16_S1_Li8ELi32ELi64ELi128ELi4ELi4ELi64ELi4ELi64ELc84ELc78ELb0ELb0ELb0EDF16_KDF16_DF16_EEviiiT16_PT17_ilS5_ilS3_S5_ilPT18_ili26rocblas_geam_ex_operation_.has_dyn_sized_stack, 0
	.set _ZN12_GLOBAL__N_120geam_min_plus_kernelIDF16_Dv2_DF16_S1_Li8ELi32ELi64ELi128ELi4ELi4ELi64ELi4ELi64ELc84ELc78ELb0ELb0ELb0EDF16_KDF16_DF16_EEviiiT16_PT17_ilS5_ilS3_S5_ilPT18_ili26rocblas_geam_ex_operation_.has_recursion, 0
	.set _ZN12_GLOBAL__N_120geam_min_plus_kernelIDF16_Dv2_DF16_S1_Li8ELi32ELi64ELi128ELi4ELi4ELi64ELi4ELi64ELc84ELc78ELb0ELb0ELb0EDF16_KDF16_DF16_EEviiiT16_PT17_ilS5_ilS3_S5_ilPT18_ili26rocblas_geam_ex_operation_.has_indirect_call, 0
	.section	.AMDGPU.csdata,"",@progbits
; Kernel info:
; codeLenInByte = 21940
; TotalNumSgprs: 26
; NumVgprs: 122
; ScratchSize: 0
; MemoryBound: 0
; FloatMode: 240
; IeeeMode: 1
; LDSByteSize: 3072 bytes/workgroup (compile time only)
; SGPRBlocks: 0
; VGPRBlocks: 15
; NumSGPRsForWavesPerEU: 26
; NumVGPRsForWavesPerEU: 122
; Occupancy: 8
; WaveLimiterHint : 0
; COMPUTE_PGM_RSRC2:SCRATCH_EN: 0
; COMPUTE_PGM_RSRC2:USER_SGPR: 6
; COMPUTE_PGM_RSRC2:TRAP_HANDLER: 0
; COMPUTE_PGM_RSRC2:TGID_X_EN: 1
; COMPUTE_PGM_RSRC2:TGID_Y_EN: 0
; COMPUTE_PGM_RSRC2:TGID_Z_EN: 1
; COMPUTE_PGM_RSRC2:TIDIG_COMP_CNT: 1
	.section	.text._ZN12_GLOBAL__N_120geam_min_plus_kernelIDF16_Dv2_DF16_S1_Li8ELi32ELi64ELi128ELi4ELi4ELi64ELi4ELi64ELc84ELc78ELb0ELb1ELb0EPKDF16_S2_DF16_EEviiiT16_PT17_ilS6_ilS4_S6_ilPT18_ili26rocblas_geam_ex_operation_,"axG",@progbits,_ZN12_GLOBAL__N_120geam_min_plus_kernelIDF16_Dv2_DF16_S1_Li8ELi32ELi64ELi128ELi4ELi4ELi64ELi4ELi64ELc84ELc78ELb0ELb1ELb0EPKDF16_S2_DF16_EEviiiT16_PT17_ilS6_ilS4_S6_ilPT18_ili26rocblas_geam_ex_operation_,comdat
	.globl	_ZN12_GLOBAL__N_120geam_min_plus_kernelIDF16_Dv2_DF16_S1_Li8ELi32ELi64ELi128ELi4ELi4ELi64ELi4ELi64ELc84ELc78ELb0ELb1ELb0EPKDF16_S2_DF16_EEviiiT16_PT17_ilS6_ilS4_S6_ilPT18_ili26rocblas_geam_ex_operation_ ; -- Begin function _ZN12_GLOBAL__N_120geam_min_plus_kernelIDF16_Dv2_DF16_S1_Li8ELi32ELi64ELi128ELi4ELi4ELi64ELi4ELi64ELc84ELc78ELb0ELb1ELb0EPKDF16_S2_DF16_EEviiiT16_PT17_ilS6_ilS4_S6_ilPT18_ili26rocblas_geam_ex_operation_
	.p2align	8
	.type	_ZN12_GLOBAL__N_120geam_min_plus_kernelIDF16_Dv2_DF16_S1_Li8ELi32ELi64ELi128ELi4ELi4ELi64ELi4ELi64ELc84ELc78ELb0ELb1ELb0EPKDF16_S2_DF16_EEviiiT16_PT17_ilS6_ilS4_S6_ilPT18_ili26rocblas_geam_ex_operation_,@function
_ZN12_GLOBAL__N_120geam_min_plus_kernelIDF16_Dv2_DF16_S1_Li8ELi32ELi64ELi128ELi4ELi4ELi64ELi4ELi64ELc84ELc78ELb0ELb1ELb0EPKDF16_S2_DF16_EEviiiT16_PT17_ilS6_ilS4_S6_ilPT18_ili26rocblas_geam_ex_operation_: ; @_ZN12_GLOBAL__N_120geam_min_plus_kernelIDF16_Dv2_DF16_S1_Li8ELi32ELi64ELi128ELi4ELi4ELi64ELi4ELi64ELc84ELc78ELb0ELb1ELb0EPKDF16_S2_DF16_EEviiiT16_PT17_ilS6_ilS4_S6_ilPT18_ili26rocblas_geam_ex_operation_
; %bb.0:
	s_clause 0x1
	s_load_dwordx4 s[0:3], s[4:5], 0x10
	s_load_dwordx4 s[8:11], s[4:5], 0x40
	s_mov_b32 s18, s7
	s_mov_b32 s19, 0
	v_mov_b32_e32 v2, 0
	s_lshl_b64 s[20:21], s[18:19], 1
	s_clause 0x1
	s_load_dwordx4 s[12:15], s[4:5], 0x28
	s_load_dwordx2 s[16:17], s[4:5], 0x50
	s_mov_b64 s[22:23], 0
	s_waitcnt lgkmcnt(0)
	s_add_u32 s0, s0, s20
	s_addc_u32 s1, s1, s21
	global_load_ushort v32, v2, s[0:1]
	s_add_u32 s0, s10, s20
	s_addc_u32 s1, s11, s21
	s_mov_b64 s[20:21], 0
	global_load_ushort v42, v2, s[0:1]
	s_waitcnt vmcnt(1)
	v_cmp_eq_f16_e32 vcc_lo, 0, v32
	v_cmp_neq_f16_e64 s1, 0, v32
	s_cbranch_vccnz .LBB291_2
; %bb.1:
	s_mul_i32 s0, s13, s18
	s_mul_hi_u32 s7, s12, s18
	s_mul_i32 s10, s12, s18
	s_add_i32 s11, s7, s0
	s_lshl_b64 s[10:11], s[10:11], 1
	s_add_u32 s22, s2, s10
	s_addc_u32 s23, s3, s11
.LBB291_2:
	s_andn2_b32 vcc_lo, exec_lo, s1
	s_cbranch_vccnz .LBB291_4
; %bb.3:
	s_mul_i32 s0, s9, s18
	s_mul_hi_u32 s2, s8, s18
	s_add_i32 s3, s2, s0
	s_mul_i32 s2, s8, s18
	s_lshl_b64 s[2:3], s[2:3], 1
	s_add_u32 s20, s14, s2
	s_addc_u32 s21, s15, s3
.LBB291_4:
	s_load_dwordx4 s[8:11], s[4:5], 0x60
	s_waitcnt vmcnt(0)
	v_cmp_eq_f16_e32 vcc_lo, 0, v42
	v_cmp_neq_f16_e64 s0, 0, v42
	s_cbranch_vccnz .LBB291_6
; %bb.5:
	s_waitcnt lgkmcnt(0)
	s_mul_i32 s2, s9, s18
	s_mul_hi_u32 s3, s8, s18
	s_add_i32 s3, s3, s2
	s_mul_i32 s2, s8, s18
	s_lshl_b64 s[2:3], s[2:3], 1
	s_add_u32 s16, s16, s2
	s_addc_u32 s17, s17, s3
	s_branch .LBB291_7
.LBB291_6:
	s_mov_b64 s[16:17], 0
.LBB291_7:
	s_clause 0x1
	s_load_dwordx4 s[12:15], s[4:5], 0x0
	s_load_dword s25, s[4:5], 0x20
	v_and_b32_e32 v33, 3, v0
	v_mov_b32_e32 v9, 0
	v_mov_b32_e32 v10, 0
	s_waitcnt lgkmcnt(0)
	s_add_i32 s2, s12, -1
	s_ashr_i32 s3, s2, 31
	s_lshr_b32 s3, s3, 26
	s_add_i32 s2, s2, s3
	s_ashr_i32 s2, s2, 6
	s_add_i32 s7, s2, 1
	s_not_b32 s2, s2
	v_cvt_f32_u32_e32 v2, s7
	v_rcp_iflag_f32_e32 v2, v2
	v_mul_f32_e32 v2, 0x4f7ffffe, v2
	v_cvt_u32_f32_e32 v2, v2
	v_readfirstlane_b32 s3, v2
	v_lshl_add_u32 v2, v1, 3, v0
	s_mul_i32 s2, s2, s3
	v_lshrrev_b32_e32 v3, 2, v2
	s_mul_hi_u32 s2, s3, s2
	v_lshlrev_b32_e32 v2, 1, v33
	s_add_i32 s3, s3, s2
	s_mul_hi_u32 s2, s6, s3
	s_mul_i32 s3, s2, s7
	s_add_i32 s8, s2, 1
	s_sub_i32 s3, s6, s3
	s_sub_i32 s9, s3, s7
	s_cmp_ge_u32 s3, s7
	s_cselect_b32 s2, s8, s2
	s_cselect_b32 s3, s9, s3
	s_add_i32 s8, s2, 1
	s_cmp_ge_u32 s3, s7
	s_cselect_b32 s3, s8, s2
	s_mul_i32 s26, s3, s7
	s_sub_i32 s2, s6, s26
	s_lshl_b32 s8, s2, 6
	v_cmp_gt_i32_e64 s2, s14, v33
	v_add_nc_u32_e32 v7, s8, v3
	v_cmp_gt_i32_e32 vcc_lo, s12, v7
	s_and_b32 s2, s2, vcc_lo
	s_and_b32 s2, s1, s2
	s_and_saveexec_b32 s7, s2
	s_cbranch_execz .LBB291_9
; %bb.8:
	v_mad_i64_i32 v[4:5], null, v7, s25, 0
	v_lshlrev_b64 v[4:5], 1, v[4:5]
	v_add_co_u32 v4, s2, s22, v4
	v_add_co_ci_u32_e64 v5, null, s23, v5, s2
	v_add_co_u32 v4, s2, v4, v2
	v_add_co_ci_u32_e64 v5, null, 0, v5, s2
	global_load_ushort v4, v[4:5], off
	s_waitcnt vmcnt(0)
	v_mul_f16_e32 v10, v32, v4
.LBB291_9:
	s_or_b32 exec_lo, exec_lo, s7
	s_add_i32 s15, s14, -1
	s_load_dword s27, s[4:5], 0x38
	v_min_i32_e32 v5, s15, v33
	s_lshl_b32 s9, s3, 7
	v_cmp_le_i32_e64 s2, s14, v33
	v_add_nc_u32_e32 v4, s9, v3
	s_xor_b32 s19, s1, -1
	v_ashrrev_i32_e32 v6, 31, v5
	v_cmp_le_i32_e64 s3, s13, v4
	v_lshlrev_b64 v[5:6], 1, v[5:6]
	v_add_co_u32 v8, s7, s20, v5
	v_add_co_ci_u32_e64 v12, null, s21, v6, s7
	s_or_b32 s7, s3, s19
	s_nor_b32 s3, s2, s7
	s_and_saveexec_b32 s24, s3
	s_cbranch_execz .LBB291_11
; %bb.10:
	s_waitcnt lgkmcnt(0)
	v_mad_i64_i32 v[5:6], null, v4, s27, 0
	v_lshlrev_b64 v[5:6], 1, v[5:6]
	v_add_co_u32 v5, s3, v8, v5
	v_add_co_ci_u32_e64 v6, null, v12, v6, s3
	global_load_ushort v5, v[5:6], off
	s_waitcnt vmcnt(0)
	v_mul_f16_e32 v9, v32, v5
.LBB291_11:
	s_or_b32 exec_lo, exec_lo, s24
	v_add_nc_u32_e32 v5, 64, v4
	v_mov_b32_e32 v6, 0
	v_mov_b32_e32 v11, 0
	v_cmp_le_i32_e64 s3, s13, v5
	s_or_b32 s19, s3, s19
	s_nor_b32 s2, s2, s19
	s_and_saveexec_b32 s3, s2
	s_cbranch_execz .LBB291_13
; %bb.12:
	s_waitcnt lgkmcnt(0)
	v_mad_i64_i32 v[13:14], null, v5, s27, 0
	v_lshlrev_b64 v[13:14], 1, v[13:14]
	v_add_co_u32 v11, s2, v8, v13
	v_add_co_ci_u32_e64 v12, null, v12, v14, s2
	global_load_ushort v8, v[11:12], off
	s_waitcnt vmcnt(0)
	v_mul_f16_e32 v11, v32, v8
.LBB291_13:
	s_or_b32 exec_lo, exec_lo, s3
	v_or_b32_e32 v8, 4, v33
	v_cmp_gt_i32_e64 s2, s14, v8
	s_and_b32 s2, s2, vcc_lo
	s_and_b32 s2, s1, s2
	s_and_saveexec_b32 s3, s2
	s_cbranch_execz .LBB291_15
; %bb.14:
	v_mad_i64_i32 v[6:7], null, v7, s25, 0
	v_lshlrev_b64 v[6:7], 1, v[6:7]
	v_add_co_u32 v6, s2, s22, v6
	v_add_co_ci_u32_e64 v7, null, s23, v7, s2
	v_add_co_u32 v6, s2, v6, v2
	v_add_co_ci_u32_e64 v7, null, 0, v7, s2
	global_load_ushort v6, v[6:7], off offset:8
	s_waitcnt vmcnt(0)
	v_mul_f16_e32 v6, v32, v6
.LBB291_15:
	s_or_b32 exec_lo, exec_lo, s3
	v_min_i32_e32 v12, s15, v8
	v_cmp_le_i32_e64 s2, s14, v8
	v_mov_b32_e32 v7, 0
	v_mov_b32_e32 v8, 0
	v_ashrrev_i32_e32 v13, 31, v12
	v_lshlrev_b64 v[12:13], 1, v[12:13]
	v_add_co_u32 v12, s3, s20, v12
	v_add_co_ci_u32_e64 v13, null, s21, v13, s3
	s_nor_b32 s3, s2, s7
	s_and_saveexec_b32 s24, s3
	s_cbranch_execz .LBB291_17
; %bb.16:
	s_waitcnt lgkmcnt(0)
	v_mad_i64_i32 v[14:15], null, v4, s27, 0
	v_lshlrev_b64 v[14:15], 1, v[14:15]
	v_add_co_u32 v14, s3, v12, v14
	v_add_co_ci_u32_e64 v15, null, v13, v15, s3
	global_load_ushort v8, v[14:15], off
	s_waitcnt vmcnt(0)
	v_mul_f16_e32 v8, v32, v8
.LBB291_17:
	s_or_b32 exec_lo, exec_lo, s24
	s_nor_b32 s2, s2, s19
	s_and_saveexec_b32 s3, s2
	s_cbranch_execz .LBB291_19
; %bb.18:
	s_waitcnt lgkmcnt(0)
	v_mad_i64_i32 v[14:15], null, v5, s27, 0
	v_lshlrev_b64 v[14:15], 1, v[14:15]
	v_add_co_u32 v12, s2, v12, v14
	v_add_co_ci_u32_e64 v13, null, v13, v15, s2
	global_load_ushort v7, v[12:13], off
	s_waitcnt vmcnt(0)
	v_mul_f16_e32 v7, v32, v7
.LBB291_19:
	s_or_b32 exec_lo, exec_lo, s3
	v_lshlrev_b32_e32 v12, 3, v3
	v_lshlrev_b32_e32 v35, 3, v0
	;; [unrolled: 1-line block ×3, first 2 shown]
	s_mov_b32 s24, 0
	s_cmp_lt_i32 s14, 9
	v_lshl_or_b32 v36, v33, 1, v12
	v_add_nc_u32_e32 v29, 0x800, v35
	ds_write_b16 v36, v10 offset:2048
	ds_write_b16 v36, v9
	ds_write_b16 v36, v11 offset:512
	s_waitcnt lgkmcnt(0)
	s_barrier
	buffer_gl0_inv
	ds_read2_b64 v[9:12], v34 offset1:32
	ds_read2_b64 v[13:16], v29 offset0:48 offset1:56
	ds_read2_b64 v[17:20], v34 offset0:64 offset1:96
	ds_read2_b64 v[21:24], v29 offset1:8
	ds_read2_b64 v[25:28], v29 offset0:16 offset1:24
	ds_read2_b64 v[37:40], v29 offset0:32 offset1:40
	ds_write_b16 v36, v6 offset:2560
	ds_write_b16 v36, v8 offset:1024
	;; [unrolled: 1-line block ×3, first 2 shown]
	s_waitcnt lgkmcnt(0)
	s_barrier
	buffer_gl0_inv
	v_pk_max_f16 v9, v9, v9
	v_pk_max_f16 v15, v15, v15
	;; [unrolled: 1-line block ×8, first 2 shown]
	v_pk_min_f16 v29, v15, v9
	v_pk_max_f16 v27, v27, v27
	v_pk_max_f16 v37, v37, v37
	;; [unrolled: 1-line block ×6, first 2 shown]
	v_pk_min_f16 v30, v15, v11
	v_pk_min_f16 v31, v21, v9
	;; [unrolled: 1-line block ×18, first 2 shown]
	v_pk_max_f16 v12, v12, v12
	v_pk_min_f16 v56, v37, v11
	v_pk_min_f16 v60, v37, v17
	v_pk_max_f16 v18, v18, v18
	v_pk_min_f16 v37, v37, v19
	v_pk_max_f16 v22, v22, v22
	v_pk_min_f16 v61, v39, v9
	v_pk_min_f16 v62, v39, v11
	;; [unrolled: 1-line block ×10, first 2 shown]
	v_pk_add_f16 v19, v29, 0
	v_pk_min_f16 v29, v16, v10
	v_pk_max_f16 v20, v20, v20
	v_pk_max_f16 v24, v24, v24
	v_pk_add_f16 v31, v31, 0
	v_pk_min_f16 v58, v22, v10
	v_pk_add_f16 v41, v41, 0
	v_pk_min_f16 v64, v22, v12
	v_pk_add_f16 v69, v19, v29
	v_pk_add_f16 v19, v43, 0
	v_pk_min_f16 v29, v22, v18
	v_pk_add_f16 v71, v31, v58
	;; [unrolled: 3-line block ×3, first 2 shown]
	v_pk_min_f16 v43, v24, v12
	v_pk_min_f16 v45, v24, v18
	v_pk_add_f16 v58, v19, v29
	v_pk_add_f16 v19, v23, 0
	v_pk_min_f16 v24, v24, v20
	v_pk_add_f16 v30, v30, 0
	v_pk_min_f16 v51, v16, v12
	;; [unrolled: 2-line block ×4, first 2 shown]
	v_pk_add_f16 v23, v49, 0
	v_pk_add_f16 v49, v19, v24
	v_pk_max_f16 v19, v26, v26
	v_pk_add_f16 v59, v30, v51
	v_pk_add_f16 v51, v50, v57
	;; [unrolled: 1-line block ×9, first 2 shown]
	v_pk_max_f16 v24, v28, v28
	v_pk_min_f16 v26, v19, v10
	v_pk_min_f16 v28, v19, v12
	;; [unrolled: 1-line block ×4, first 2 shown]
	v_pk_add_f16 v70, v30, v31
	v_pk_add_f16 v66, v41, v43
	;; [unrolled: 1-line block ×12, first 2 shown]
	v_pk_min_f16 v19, v24, v10
	v_pk_min_f16 v21, v24, v12
	;; [unrolled: 1-line block ×4, first 2 shown]
	v_pk_max_f16 v24, v38, v38
	v_pk_add_f16 v43, v55, 0
	v_pk_add_f16 v45, v60, 0
	;; [unrolled: 1-line block ×8, first 2 shown]
	v_pk_min_f16 v19, v24, v10
	v_pk_min_f16 v21, v24, v12
	;; [unrolled: 1-line block ×4, first 2 shown]
	v_pk_max_f16 v24, v40, v40
	v_pk_max_f16 v14, v14, v14
	v_pk_add_f16 v53, v62, 0
	v_pk_add_f16 v60, v63, 0
	;; [unrolled: 1-line block ×11, first 2 shown]
	v_pk_min_f16 v19, v24, v10
	v_pk_min_f16 v21, v24, v12
	;; [unrolled: 1-line block ×9, first 2 shown]
	v_pk_add_f16 v38, v52, v19
	v_pk_add_f16 v62, v53, v21
	;; [unrolled: 1-line block ×9, first 2 shown]
	s_cbranch_scc1 .LBB291_34
; %bb.20:
	v_lshl_add_u32 v3, s6, 6, v3
	s_lshl_b32 s2, s26, 6
	v_mad_i64_i32 v[8:9], null, v5, s27, 0
	v_add_nc_u32_e32 v60, 0x800, v36
	v_subrev_nc_u32_e32 v3, s2, v3
	v_or_b32_e32 v68, 0x800, v35
	v_add_nc_u32_e32 v72, 0xa00, v36
	v_add_nc_u32_e32 v73, 0x400, v36
	v_lshl_add_u32 v74, v0, 3, 0xa00
	v_mad_i64_i32 v[6:7], null, s25, v3, 0
	v_mad_i64_i32 v[3:4], null, v4, s27, 0
	v_lshlrev_b64 v[28:29], 1, v[8:9]
	v_lshl_add_u32 v75, v1, 3, 0x400
	s_add_i32 s6, s14, -8
	v_lshlrev_b64 v[6:7], 1, v[6:7]
	v_lshlrev_b64 v[26:27], 1, v[3:4]
	v_add_co_u32 v2, s2, v6, v2
	v_add_co_ci_u32_e64 v5, null, 0, v7, s2
	v_add_co_u32 v2, s2, s22, v2
	v_add_co_ci_u32_e64 v3, null, s23, v5, s2
	;; [unrolled: 2-line block ×3, first 2 shown]
	s_branch .LBB291_22
.LBB291_21:                             ;   in Loop: Header=BB291_22 Depth=1
	s_or_b32 exec_lo, exec_lo, s3
	v_pk_max_f16 v4, v4, v4
	v_pk_max_f16 v22, v22, v22
	;; [unrolled: 1-line block ×7, first 2 shown]
	v_pk_min_f16 v79, v4, v22
	v_pk_min_f16 v80, v4, v24
	;; [unrolled: 1-line block ×3, first 2 shown]
	v_pk_max_f16 v16, v16, v16
	v_pk_min_f16 v83, v14, v24
	v_pk_min_f16 v88, v10, v22
	v_pk_max_f16 v12, v12, v12
	v_pk_min_f16 v89, v10, v24
	v_pk_min_f16 v90, v10, v18
	;; [unrolled: 1-line block ×3, first 2 shown]
	v_pk_max_f16 v6, v6, v6
	v_pk_max_f16 v23, v23, v23
	v_pk_max_f16 v25, v25, v25
	v_pk_max_f16 v19, v19, v19
	v_pk_max_f16 v21, v21, v21
	v_pk_max_f16 v8, v8, v8
	v_pk_max_f16 v2, v2, v2
	v_pk_max_f16 v15, v15, v15
	v_pk_max_f16 v17, v17, v17
	v_pk_max_f16 v11, v11, v11
	v_pk_max_f16 v13, v13, v13
	v_pk_max_f16 v5, v5, v5
	v_pk_max_f16 v7, v7, v7
	v_pk_max_f16 v9, v9, v9
	v_pk_max_f16 v3, v3, v3
	v_pk_min_f16 v82, v14, v22
	v_pk_min_f16 v84, v14, v18
	;; [unrolled: 1-line block ×56, first 2 shown]
	v_pk_add_f16 v3, v69, v79
	v_pk_add_f16 v5, v59, v80
	;; [unrolled: 1-line block ×20, first 2 shown]
	ds_read2_b64 v[2:5], v68 offset0:48 offset1:56
	ds_read2_b64 v[6:9], v34 offset1:32
	v_pk_add_f16 v67, v10, v11
	ds_read2_b64 v[10:13], v34 offset0:64 offset1:96
	v_pk_add_f16 v49, v65, v89
	v_pk_add_f16 v48, v64, v92
	;; [unrolled: 1-line block ×5, first 2 shown]
	ds_read2_b64 v[14:17], v68 offset1:8
	v_pk_add_f16 v59, v71, v82
	v_pk_add_f16 v58, v58, v84
	;; [unrolled: 1-line block ×8, first 2 shown]
	ds_read2_b64 v[18:21], v68 offset0:16 offset1:24
	v_pk_add_f16 v58, v58, v101
	s_waitcnt lgkmcnt(4)
	v_pk_max_f16 v4, v4, v4
	s_waitcnt lgkmcnt(3)
	v_pk_max_f16 v6, v6, v6
	v_pk_max_f16 v8, v8, v8
	s_waitcnt lgkmcnt(2)
	v_pk_max_f16 v10, v10, v10
	v_pk_add_f16 v41, v41, v88
	v_pk_add_f16 v50, v50, v102
	v_pk_min_f16 v22, v4, v6
	v_pk_min_f16 v23, v4, v8
	;; [unrolled: 1-line block ×3, first 2 shown]
	s_waitcnt lgkmcnt(1)
	v_pk_max_f16 v14, v14, v14
	v_pk_max_f16 v16, v16, v16
	v_pk_add_f16 v44, v44, v22
	v_pk_add_f16 v52, v52, v23
	;; [unrolled: 1-line block ×3, first 2 shown]
	v_pk_min_f16 v22, v14, v6
	v_pk_min_f16 v23, v14, v8
	v_pk_min_f16 v24, v14, v10
	v_pk_add_f16 v57, v57, v87
	s_waitcnt lgkmcnt(0)
	v_pk_max_f16 v18, v18, v18
	v_pk_add_f16 v79, v59, v22
	v_pk_add_f16 v61, v61, v23
	;; [unrolled: 1-line block ×3, first 2 shown]
	ds_read2_b64 v[22:25], v68 offset0:32 offset1:40
	v_pk_min_f16 v59, v16, v6
	v_pk_add_f16 v41, v41, v105
	v_pk_max_f16 v20, v20, v20
	v_pk_add_f16 v37, v37, v94
	v_pk_add_f16 v57, v57, v104
	v_pk_add_f16 v81, v50, v59
	v_pk_min_f16 v50, v18, v6
	v_pk_add_f16 v49, v49, v106
	v_pk_add_f16 v48, v48, v109
	v_pk_max_f16 v12, v12, v12
	v_pk_min_f16 v80, v16, v10
	v_pk_min_f16 v59, v18, v8
	v_pk_add_f16 v41, v41, v50
	v_pk_min_f16 v50, v20, v8
	v_pk_add_f16 v39, v39, v91
	v_pk_add_f16 v63, v63, v95
	;; [unrolled: 1-line block ×4, first 2 shown]
	v_pk_min_f16 v14, v14, v12
	s_waitcnt lgkmcnt(0)
	v_pk_max_f16 v22, v22, v22
	v_pk_add_f16 v57, v57, v80
	v_pk_add_f16 v80, v49, v59
	v_pk_min_f16 v49, v20, v6
	v_pk_min_f16 v59, v20, v10
	;; [unrolled: 1-line block ×3, first 2 shown]
	v_pk_add_f16 v82, v48, v50
	v_pk_min_f16 v48, v22, v6
	v_pk_add_f16 v39, v39, v108
	v_pk_add_f16 v63, v63, v113
	;; [unrolled: 1-line block ×4, first 2 shown]
	v_pk_min_f16 v64, v16, v8
	v_pk_add_f16 v20, v47, v20
	v_pk_min_f16 v47, v22, v8
	v_pk_max_f16 v24, v24, v24
	v_pk_add_f16 v37, v37, v48
	v_pk_min_f16 v48, v22, v10
	v_pk_min_f16 v22, v22, v12
	v_pk_max_f16 v2, v2, v2
	v_pk_max_f16 v5, v5, v5
	;; [unrolled: 1-line block ×3, first 2 shown]
	v_pk_add_f16 v55, v55, v93
	v_pk_add_f16 v40, v40, v120
	v_pk_min_f16 v16, v16, v12
	v_pk_add_f16 v64, v65, v64
	v_pk_min_f16 v65, v18, v10
	v_pk_min_f16 v18, v18, v12
	v_pk_add_f16 v39, v39, v49
	v_pk_add_f16 v63, v63, v47
	v_pk_min_f16 v47, v24, v6
	v_pk_min_f16 v49, v24, v8
	v_pk_add_f16 v22, v46, v22
	v_pk_min_f16 v46, v24, v10
	v_pk_min_f16 v24, v24, v12
	v_pk_min_f16 v6, v2, v6
	v_pk_min_f16 v8, v2, v8
	v_pk_min_f16 v10, v2, v10
	v_pk_min_f16 v2, v2, v12
	v_pk_max_f16 v9, v9, v9
	v_pk_min_f16 v4, v4, v12
	v_pk_max_f16 v11, v11, v11
	v_pk_min_f16 v12, v5, v7
	v_pk_add_f16 v55, v55, v110
	v_pk_add_f16 v6, v69, v6
	;; [unrolled: 1-line block ×3, first 2 shown]
	v_pk_min_f16 v40, v5, v9
	v_pk_add_f16 v4, v43, v4
	v_pk_min_f16 v43, v5, v11
	v_pk_max_f16 v15, v15, v15
	v_pk_add_f16 v69, v44, v12
	v_pk_max_f16 v12, v13, v13
	v_pk_add_f16 v56, v56, v90
	v_pk_add_f16 v62, v62, v98
	;; [unrolled: 1-line block ×5, first 2 shown]
	v_pk_min_f16 v13, v15, v7
	v_pk_min_f16 v40, v15, v9
	;; [unrolled: 1-line block ×4, first 2 shown]
	v_pk_max_f16 v17, v17, v17
	v_pk_add_f16 v54, v54, v96
	v_pk_add_f16 v56, v56, v107
	;; [unrolled: 1-line block ×7, first 2 shown]
	v_pk_min_f16 v13, v17, v7
	v_pk_min_f16 v14, v17, v9
	v_pk_min_f16 v15, v17, v11
	v_pk_min_f16 v17, v17, v12
	v_pk_max_f16 v19, v19, v19
	v_pk_add_f16 v38, v38, v97
	v_pk_add_f16 v54, v54, v114
	;; [unrolled: 1-line block ×10, first 2 shown]
	v_pk_min_f16 v13, v19, v7
	v_pk_min_f16 v14, v19, v9
	;; [unrolled: 1-line block ×4, first 2 shown]
	v_pk_max_f16 v17, v21, v21
	v_pk_add_f16 v53, v53, v99
	v_pk_add_f16 v38, v38, v116
	;; [unrolled: 1-line block ×7, first 2 shown]
	v_pk_min_f16 v13, v17, v7
	v_pk_min_f16 v14, v17, v9
	;; [unrolled: 1-line block ×4, first 2 shown]
	v_pk_max_f16 v17, v23, v23
	v_pk_add_f16 v53, v53, v118
	v_pk_add_f16 v45, v45, v119
	;; [unrolled: 1-line block ×7, first 2 shown]
	v_pk_min_f16 v13, v17, v7
	v_pk_min_f16 v14, v17, v9
	v_pk_min_f16 v15, v17, v11
	v_pk_min_f16 v16, v17, v12
	v_pk_max_f16 v17, v25, v25
	v_pk_max_f16 v3, v3, v3
	v_pk_add_f16 v53, v53, v46
	v_pk_add_f16 v24, v45, v24
	;; [unrolled: 1-line block ×6, first 2 shown]
	v_pk_min_f16 v13, v17, v7
	v_pk_min_f16 v14, v17, v9
	;; [unrolled: 1-line block ×9, first 2 shown]
	v_add_co_u32 v30, s2, v30, 16
	v_pk_add_f16 v67, v61, v40
	v_pk_add_f16 v58, v58, v43
	;; [unrolled: 1-line block ×11, first 2 shown]
	v_add_co_ci_u32_e64 v31, null, 0, v31, s2
	s_add_i32 s24, s24, 8
	ds_write_b16 v72, v76
	ds_write_b16 v73, v77
	ds_write_b16 v73, v78 offset:512
	s_cmp_ge_i32 s24, s6
	s_waitcnt lgkmcnt(0)
	s_barrier
	buffer_gl0_inv
	s_cbranch_scc1 .LBB291_34
.LBB291_22:                             ; =>This Inner Loop Header: Depth=1
	v_add_nc_u32_e32 v76, s24, v33
	v_mov_b32_e32 v77, 0
	v_add_nc_u32_e32 v2, 8, v76
	v_cmp_gt_i32_e64 s2, s14, v2
	s_and_b32 s2, s2, vcc_lo
	s_and_b32 s3, s1, s2
	s_and_saveexec_b32 s2, s3
	s_cbranch_execz .LBB291_24
; %bb.23:                               ;   in Loop: Header=BB291_22 Depth=1
	global_load_ushort v3, v[30:31], off
	s_waitcnt vmcnt(0)
	v_mul_f16_e32 v77, v32, v3
.LBB291_24:                             ;   in Loop: Header=BB291_22 Depth=1
	s_or_b32 exec_lo, exec_lo, s2
	v_min_i32_e32 v3, s15, v2
	v_cmp_le_i32_e64 s2, s14, v2
	v_mov_b32_e32 v78, 0
	v_mov_b32_e32 v79, 0
	v_ashrrev_i32_e32 v4, 31, v3
	v_lshlrev_b64 v[3:4], 1, v[3:4]
	v_add_co_u32 v2, s3, s20, v3
	v_add_co_ci_u32_e64 v3, null, s21, v4, s3
	s_nor_b32 s3, s7, s2
	s_and_saveexec_b32 s22, s3
	s_cbranch_execz .LBB291_26
; %bb.25:                               ;   in Loop: Header=BB291_22 Depth=1
	v_add_co_u32 v4, s3, v2, v26
	v_add_co_ci_u32_e64 v5, null, v3, v27, s3
	global_load_ushort v4, v[4:5], off
	s_waitcnt vmcnt(0)
	v_mul_f16_e32 v79, v32, v4
.LBB291_26:                             ;   in Loop: Header=BB291_22 Depth=1
	s_or_b32 exec_lo, exec_lo, s22
	s_nor_b32 s2, s19, s2
	s_and_saveexec_b32 s3, s2
	s_cbranch_execz .LBB291_28
; %bb.27:                               ;   in Loop: Header=BB291_22 Depth=1
	v_add_co_u32 v2, s2, v2, v28
	v_add_co_ci_u32_e64 v3, null, v3, v29, s2
	global_load_ushort v2, v[2:3], off
	s_waitcnt vmcnt(0)
	v_mul_f16_e32 v78, v32, v2
.LBB291_28:                             ;   in Loop: Header=BB291_22 Depth=1
	s_or_b32 exec_lo, exec_lo, s3
	ds_read2_b64 v[2:5], v74 offset0:48 offset1:56
	ds_read2_b64 v[18:21], v75 offset0:64 offset1:96
	ds_read2_b64 v[22:25], v75 offset1:32
	ds_read2_b64 v[14:17], v74 offset1:8
	ds_read2_b64 v[10:13], v74 offset0:16 offset1:24
	ds_read2_b64 v[6:9], v74 offset0:32 offset1:40
	v_add_nc_u32_e32 v80, 12, v76
	ds_write_b16 v60, v77
	ds_write_b16 v36, v79
	v_mov_b32_e32 v77, 0
	v_mov_b32_e32 v76, 0
	ds_write_b16 v36, v78 offset:512
	v_cmp_gt_i32_e64 s2, s14, v80
	s_waitcnt lgkmcnt(0)
	s_barrier
	buffer_gl0_inv
	s_and_b32 s2, s2, vcc_lo
	s_and_b32 s2, s1, s2
	s_and_saveexec_b32 s3, s2
	s_xor_b32 s2, exec_lo, s3
	s_cbranch_execz .LBB291_30
; %bb.29:                               ;   in Loop: Header=BB291_22 Depth=1
	global_load_ushort v76, v[30:31], off offset:8
	s_waitcnt vmcnt(0)
	v_mul_f16_e32 v76, v32, v76
.LBB291_30:                             ;   in Loop: Header=BB291_22 Depth=1
	s_or_b32 exec_lo, exec_lo, s2
	v_min_i32_e32 v78, s15, v80
	v_cmp_le_i32_e64 s2, s14, v80
	v_ashrrev_i32_e32 v79, 31, v78
	v_lshlrev_b64 v[81:82], 1, v[78:79]
	v_add_co_u32 v79, s3, s20, v81
	v_add_co_ci_u32_e64 v80, null, s21, v82, s3
	s_nor_b32 s3, s7, s2
	s_and_saveexec_b32 s22, s3
	s_cbranch_execz .LBB291_32
; %bb.31:                               ;   in Loop: Header=BB291_22 Depth=1
	v_add_co_u32 v77, s3, v79, v26
	v_add_co_ci_u32_e64 v78, null, v80, v27, s3
	global_load_ushort v77, v[77:78], off
	s_waitcnt vmcnt(0)
	v_mul_f16_e32 v77, v32, v77
.LBB291_32:                             ;   in Loop: Header=BB291_22 Depth=1
	s_or_b32 exec_lo, exec_lo, s22
	v_mov_b32_e32 v78, 0
	s_nor_b32 s2, s19, s2
	s_and_saveexec_b32 s3, s2
	s_cbranch_execz .LBB291_21
; %bb.33:                               ;   in Loop: Header=BB291_22 Depth=1
	v_add_co_u32 v78, s2, v79, v28
	v_add_co_ci_u32_e64 v79, null, v80, v29, s2
	global_load_ushort v78, v[78:79], off
	s_waitcnt vmcnt(0)
	v_mul_f16_e32 v78, v32, v78
	s_branch .LBB291_21
.LBB291_34:
	s_clause 0x2
	s_load_dwordx2 s[2:3], s[4:5], 0x78
	s_load_dword s15, s[4:5], 0x58
	s_load_dword s14, s[4:5], 0x70
	v_add_nc_u32_e32 v68, s9, v1
	v_add_nc_u32_e32 v10, 0x800, v35
	ds_read2_b64 v[2:5], v34 offset0:192 offset1:224
	ds_read2_b64 v[22:25], v34 offset0:128 offset1:160
	v_add_nc_u32_e32 v0, s8, v0
	ds_read2_b64 v[6:9], v10 offset0:112 offset1:120
	ds_read2_b64 v[18:21], v10 offset0:64 offset1:72
	;; [unrolled: 1-line block ×4, first 2 shown]
	v_cmp_gt_i32_e64 s8, s13, v68
	v_ashrrev_i32_e32 v1, 31, v0
	v_cndmask_b32_e64 v60, 0, 1, s0
	s_waitcnt lgkmcnt(0)
	s_mul_i32 s1, s3, s18
	v_mad_i64_i32 v[26:27], null, v68, s15, 0
	v_mad_i64_i32 v[28:29], null, v68, s14, 0
	s_mul_hi_u32 s3, s2, s18
	s_mul_i32 s2, s2, s18
	s_add_i32 s3, s3, s1
	v_cmp_gt_i32_e64 s1, s12, v0
	v_lshlrev_b64 v[26:27], 1, v[26:27]
	s_lshl_b64 s[2:3], s[2:3], 1
	v_lshlrev_b64 v[28:29], 1, v[28:29]
	s_add_u32 s9, s10, s2
	s_addc_u32 s10, s11, s3
	s_and_b32 s2, s1, s8
	v_add_co_u32 v74, vcc_lo, s16, v26
	v_add_co_ci_u32_e64 v75, null, s17, v27, vcc_lo
	v_add_co_u32 v72, vcc_lo, s9, v28
	v_add_co_ci_u32_e64 v73, null, s10, v29, vcc_lo
	s_and_saveexec_b32 s3, s2
	s_xor_b32 s2, exec_lo, s3
	s_cbranch_execz .LBB291_39
; %bb.35:
	v_lshlrev_b64 v[26:27], 1, v[0:1]
	s_andn2_b32 vcc_lo, exec_lo, s0
	s_cbranch_vccnz .LBB291_37
; %bb.36:
	v_add_co_u32 v28, vcc_lo, v74, v26
	v_add_co_ci_u32_e64 v29, null, v75, v27, vcc_lo
	global_load_ushort v28, v[28:29], off
	s_waitcnt vmcnt(0)
	v_mul_f16_e32 v28, v42, v28
	s_branch .LBB291_38
.LBB291_37:
	v_mov_b32_e32 v28, 0
.LBB291_38:
	v_pk_max_f16 v29, v22, v22
	v_pk_max_f16 v30, v18, v18
	;; [unrolled: 1-line block ×4, first 2 shown]
	v_add_co_u32 v26, vcc_lo, v72, v26
	v_pk_min_f16 v29, v30, v29
	v_add_co_ci_u32_e64 v27, null, v73, v27, vcc_lo
	v_pk_min_f16 v30, v32, v31
	v_pk_add_f16 v29, v71, v29
	v_pk_add_f16 v29, v29, v30
	v_add_f16_sdwa v29, v29, v29 dst_sel:DWORD dst_unused:UNUSED_PAD src0_sel:DWORD src1_sel:WORD_1
	v_add_f16_e32 v28, v29, v28
	global_store_short v[26:27], v28, off
.LBB291_39:
	s_or_b32 exec_lo, exec_lo, s2
	v_add_nc_u32_e32 v26, 8, v0
	v_cmp_gt_i32_e64 s0, s12, v26
	v_ashrrev_i32_e32 v27, 31, v26
	s_and_b32 s3, s0, s8
	s_and_saveexec_b32 s2, s3
	s_cbranch_execz .LBB291_44
; %bb.40:
	v_cmp_ne_u32_e32 vcc_lo, 1, v60
	v_lshlrev_b64 v[28:29], 1, v[26:27]
	s_cbranch_vccnz .LBB291_42
; %bb.41:
	v_add_co_u32 v30, vcc_lo, v74, v28
	v_add_co_ci_u32_e64 v31, null, v75, v29, vcc_lo
	global_load_ushort v30, v[30:31], off
	s_waitcnt vmcnt(0)
	v_mul_f16_e32 v30, v42, v30
	s_branch .LBB291_43
.LBB291_42:
	v_mov_b32_e32 v30, 0
.LBB291_43:
	v_pk_max_f16 v31, v22, v22
	v_pk_max_f16 v32, v20, v20
	v_pk_max_f16 v33, v23, v23
	v_pk_max_f16 v34, v21, v21
	v_add_co_u32 v28, vcc_lo, v72, v28
	v_pk_min_f16 v31, v32, v31
	v_add_co_ci_u32_e64 v29, null, v73, v29, vcc_lo
	v_pk_min_f16 v32, v34, v33
	v_pk_add_f16 v31, v70, v31
	v_pk_add_f16 v31, v31, v32
	v_add_f16_sdwa v31, v31, v31 dst_sel:DWORD dst_unused:UNUSED_PAD src0_sel:DWORD src1_sel:WORD_1
	v_add_f16_e32 v30, v31, v30
	global_store_short v[28:29], v30, off
.LBB291_44:
	s_or_b32 exec_lo, exec_lo, s2
	v_add_nc_u32_e32 v28, 16, v0
	v_cmp_gt_i32_e64 s2, s12, v28
	v_ashrrev_i32_e32 v29, 31, v28
	s_and_b32 s4, s2, s8
	s_and_saveexec_b32 s3, s4
	s_cbranch_execz .LBB291_49
; %bb.45:
	v_cmp_ne_u32_e32 vcc_lo, 1, v60
	v_lshlrev_b64 v[30:31], 1, v[28:29]
	s_cbranch_vccnz .LBB291_47
; %bb.46:
	v_add_co_u32 v32, vcc_lo, v74, v30
	v_add_co_ci_u32_e64 v33, null, v75, v31, vcc_lo
	global_load_ushort v32, v[32:33], off
	s_waitcnt vmcnt(0)
	v_mul_f16_e32 v32, v42, v32
	s_branch .LBB291_48
.LBB291_47:
	v_mov_b32_e32 v32, 0
.LBB291_48:
	v_pk_max_f16 v33, v22, v22
	v_pk_max_f16 v34, v14, v14
	v_pk_max_f16 v35, v23, v23
	v_pk_max_f16 v36, v15, v15
	v_add_co_u32 v30, vcc_lo, v72, v30
	v_pk_min_f16 v33, v34, v33
	v_add_co_ci_u32_e64 v31, null, v73, v31, vcc_lo
	v_pk_min_f16 v34, v36, v35
	v_pk_add_f16 v33, v41, v33
	v_pk_add_f16 v33, v33, v34
	v_add_f16_sdwa v33, v33, v33 dst_sel:DWORD dst_unused:UNUSED_PAD src0_sel:DWORD src1_sel:WORD_1
	v_add_f16_e32 v32, v33, v32
	global_store_short v[30:31], v32, off
.LBB291_49:
	;; [unrolled: 35-line block ×6, first 2 shown]
	s_or_b32 exec_lo, exec_lo, s7
	v_add_nc_u32_e32 v38, 56, v0
	v_cmp_gt_i32_e64 s7, s12, v38
	v_ashrrev_i32_e32 v39, 31, v38
	s_and_b32 s11, s7, s8
	s_and_saveexec_b32 s8, s11
	s_cbranch_execz .LBB291_74
; %bb.70:
	v_cmp_ne_u32_e32 vcc_lo, 1, v60
	v_lshlrev_b64 v[40:41], 1, v[38:39]
	s_cbranch_vccnz .LBB291_72
; %bb.71:
	v_add_co_u32 v70, vcc_lo, v74, v40
	v_add_co_ci_u32_e64 v71, null, v75, v41, vcc_lo
	global_load_ushort v70, v[70:71], off
	s_waitcnt vmcnt(0)
	v_mul_f16_e32 v70, v42, v70
	s_branch .LBB291_73
.LBB291_72:
	v_mov_b32_e32 v70, 0
.LBB291_73:
	v_pk_max_f16 v22, v22, v22
	v_pk_max_f16 v71, v8, v8
	;; [unrolled: 1-line block ×4, first 2 shown]
	v_pk_min_f16 v22, v71, v22
	v_pk_min_f16 v23, v74, v23
	v_pk_add_f16 v22, v69, v22
	v_pk_add_f16 v22, v22, v23
	v_add_f16_sdwa v22, v22, v22 dst_sel:DWORD dst_unused:UNUSED_PAD src0_sel:DWORD src1_sel:WORD_1
	v_add_f16_e32 v69, v22, v70
	v_add_co_u32 v22, vcc_lo, v72, v40
	v_add_co_ci_u32_e64 v23, null, v73, v41, vcc_lo
	global_store_short v[22:23], v69, off
.LBB291_74:
	s_or_b32 exec_lo, exec_lo, s8
	v_add_nc_u32_e32 v69, 32, v68
	v_mad_i64_i32 v[22:23], null, v69, s15, 0
	v_mad_i64_i32 v[40:41], null, v69, s14, 0
	v_cmp_gt_i32_e64 s8, s13, v69
	v_lshlrev_b64 v[22:23], 1, v[22:23]
	s_and_b32 s12, s1, s8
	v_lshlrev_b64 v[40:41], 1, v[40:41]
	v_add_co_u32 v69, vcc_lo, s16, v22
	v_add_co_ci_u32_e64 v70, null, s17, v23, vcc_lo
	v_add_co_u32 v40, vcc_lo, s9, v40
	v_add_co_ci_u32_e64 v41, null, s10, v41, vcc_lo
	s_and_saveexec_b32 s11, s12
	s_cbranch_execnz .LBB291_82
; %bb.75:
	s_or_b32 exec_lo, exec_lo, s11
	s_and_b32 s12, s0, s8
	s_and_saveexec_b32 s11, s12
	s_cbranch_execnz .LBB291_86
.LBB291_76:
	s_or_b32 exec_lo, exec_lo, s11
	s_and_b32 s12, s2, s8
	s_and_saveexec_b32 s11, s12
	s_cbranch_execnz .LBB291_90
.LBB291_77:
	s_or_b32 exec_lo, exec_lo, s11
	s_and_b32 s12, s3, s8
	s_and_saveexec_b32 s11, s12
	s_cbranch_execnz .LBB291_94
.LBB291_78:
	s_or_b32 exec_lo, exec_lo, s11
	s_and_b32 s12, s4, s8
	s_and_saveexec_b32 s11, s12
	s_cbranch_execnz .LBB291_98
.LBB291_79:
	s_or_b32 exec_lo, exec_lo, s11
	s_and_b32 s12, s5, s8
	s_and_saveexec_b32 s11, s12
	s_cbranch_execnz .LBB291_102
.LBB291_80:
	s_or_b32 exec_lo, exec_lo, s11
	s_and_b32 s12, s6, s8
	s_and_saveexec_b32 s11, s12
	s_cbranch_execnz .LBB291_106
.LBB291_81:
	s_or_b32 exec_lo, exec_lo, s11
	s_and_b32 s11, s7, s8
	s_and_saveexec_b32 s8, s11
	s_cbranch_execnz .LBB291_110
	s_branch .LBB291_114
.LBB291_82:
	v_cmp_ne_u32_e32 vcc_lo, 1, v60
	v_lshlrev_b64 v[22:23], 1, v[0:1]
	s_cbranch_vccnz .LBB291_84
; %bb.83:
	v_add_co_u32 v71, vcc_lo, v69, v22
	v_add_co_ci_u32_e64 v72, null, v70, v23, vcc_lo
	global_load_ushort v71, v[71:72], off
	s_waitcnt vmcnt(0)
	v_mul_f16_e32 v71, v42, v71
	s_branch .LBB291_85
.LBB291_84:
	v_mov_b32_e32 v71, 0
.LBB291_85:
	v_pk_max_f16 v72, v24, v24
	v_pk_max_f16 v73, v18, v18
	;; [unrolled: 1-line block ×4, first 2 shown]
	v_add_co_u32 v22, vcc_lo, v40, v22
	v_pk_min_f16 v72, v73, v72
	v_add_co_ci_u32_e64 v23, null, v41, v23, vcc_lo
	v_pk_min_f16 v73, v75, v74
	v_pk_add_f16 v67, v67, v72
	v_pk_add_f16 v67, v67, v73
	v_add_f16_sdwa v67, v67, v67 dst_sel:DWORD dst_unused:UNUSED_PAD src0_sel:DWORD src1_sel:WORD_1
	v_add_f16_e32 v67, v67, v71
	global_store_short v[22:23], v67, off
	s_or_b32 exec_lo, exec_lo, s11
	s_and_b32 s12, s0, s8
	s_and_saveexec_b32 s11, s12
	s_cbranch_execz .LBB291_76
.LBB291_86:
	v_cmp_ne_u32_e32 vcc_lo, 1, v60
	v_lshlrev_b64 v[22:23], 1, v[26:27]
	s_cbranch_vccnz .LBB291_88
; %bb.87:
	v_add_co_u32 v71, vcc_lo, v69, v22
	v_add_co_ci_u32_e64 v72, null, v70, v23, vcc_lo
	global_load_ushort v67, v[71:72], off
	s_waitcnt vmcnt(0)
	v_mul_f16_e32 v67, v42, v67
	s_branch .LBB291_89
.LBB291_88:
	v_mov_b32_e32 v67, 0
.LBB291_89:
	v_pk_max_f16 v71, v24, v24
	v_pk_max_f16 v72, v20, v20
	;; [unrolled: 1-line block ×4, first 2 shown]
	v_add_co_u32 v22, vcc_lo, v40, v22
	v_pk_min_f16 v71, v72, v71
	v_add_co_ci_u32_e64 v23, null, v41, v23, vcc_lo
	v_pk_min_f16 v72, v74, v73
	v_pk_add_f16 v66, v66, v71
	v_pk_add_f16 v66, v66, v72
	v_add_f16_sdwa v66, v66, v66 dst_sel:DWORD dst_unused:UNUSED_PAD src0_sel:DWORD src1_sel:WORD_1
	v_add_f16_e32 v66, v66, v67
	global_store_short v[22:23], v66, off
	s_or_b32 exec_lo, exec_lo, s11
	s_and_b32 s12, s2, s8
	s_and_saveexec_b32 s11, s12
	s_cbranch_execz .LBB291_77
.LBB291_90:
	v_cmp_ne_u32_e32 vcc_lo, 1, v60
	v_lshlrev_b64 v[22:23], 1, v[28:29]
	s_cbranch_vccnz .LBB291_92
; %bb.91:
	v_add_co_u32 v66, vcc_lo, v69, v22
	v_add_co_ci_u32_e64 v67, null, v70, v23, vcc_lo
	global_load_ushort v66, v[66:67], off
	s_waitcnt vmcnt(0)
	v_mul_f16_e32 v66, v42, v66
	s_branch .LBB291_93
.LBB291_92:
	v_mov_b32_e32 v66, 0
.LBB291_93:
	v_pk_max_f16 v67, v24, v24
	v_pk_max_f16 v71, v14, v14
	;; [unrolled: 1-line block ×4, first 2 shown]
	v_add_co_u32 v22, vcc_lo, v40, v22
	v_pk_min_f16 v67, v71, v67
	v_add_co_ci_u32_e64 v23, null, v41, v23, vcc_lo
	v_pk_min_f16 v71, v73, v72
	v_pk_add_f16 v65, v65, v67
	v_pk_add_f16 v65, v65, v71
	v_add_f16_sdwa v65, v65, v65 dst_sel:DWORD dst_unused:UNUSED_PAD src0_sel:DWORD src1_sel:WORD_1
	v_add_f16_e32 v65, v65, v66
	global_store_short v[22:23], v65, off
	s_or_b32 exec_lo, exec_lo, s11
	s_and_b32 s12, s3, s8
	s_and_saveexec_b32 s11, s12
	s_cbranch_execz .LBB291_78
.LBB291_94:
	v_cmp_ne_u32_e32 vcc_lo, 1, v60
	v_lshlrev_b64 v[22:23], 1, v[30:31]
	s_cbranch_vccnz .LBB291_96
; %bb.95:
	v_add_co_u32 v65, vcc_lo, v69, v22
	v_add_co_ci_u32_e64 v66, null, v70, v23, vcc_lo
	global_load_ushort v65, v[65:66], off
	s_waitcnt vmcnt(0)
	v_mul_f16_e32 v65, v42, v65
	s_branch .LBB291_97
.LBB291_96:
	v_mov_b32_e32 v65, 0
.LBB291_97:
	v_pk_max_f16 v66, v24, v24
	v_pk_max_f16 v67, v16, v16
	;; [unrolled: 1-line block ×4, first 2 shown]
	v_add_co_u32 v22, vcc_lo, v40, v22
	v_pk_min_f16 v66, v67, v66
	v_add_co_ci_u32_e64 v23, null, v41, v23, vcc_lo
	v_pk_min_f16 v67, v72, v71
	v_pk_add_f16 v64, v64, v66
	v_pk_add_f16 v64, v64, v67
	v_add_f16_sdwa v64, v64, v64 dst_sel:DWORD dst_unused:UNUSED_PAD src0_sel:DWORD src1_sel:WORD_1
	v_add_f16_e32 v64, v64, v65
	global_store_short v[22:23], v64, off
	s_or_b32 exec_lo, exec_lo, s11
	s_and_b32 s12, s4, s8
	s_and_saveexec_b32 s11, s12
	s_cbranch_execz .LBB291_79
.LBB291_98:
	v_cmp_ne_u32_e32 vcc_lo, 1, v60
	v_lshlrev_b64 v[22:23], 1, v[32:33]
	s_cbranch_vccnz .LBB291_100
; %bb.99:
	v_add_co_u32 v64, vcc_lo, v69, v22
	v_add_co_ci_u32_e64 v65, null, v70, v23, vcc_lo
	global_load_ushort v64, v[64:65], off
	s_waitcnt vmcnt(0)
	v_mul_f16_e32 v64, v42, v64
	s_branch .LBB291_101
.LBB291_100:
	v_mov_b32_e32 v64, 0
.LBB291_101:
	v_pk_max_f16 v65, v24, v24
	v_pk_max_f16 v66, v10, v10
	;; [unrolled: 1-line block ×4, first 2 shown]
	v_add_co_u32 v22, vcc_lo, v40, v22
	v_pk_min_f16 v65, v66, v65
	v_add_co_ci_u32_e64 v23, null, v41, v23, vcc_lo
	v_pk_min_f16 v66, v71, v67
	v_pk_add_f16 v63, v63, v65
	v_pk_add_f16 v63, v63, v66
	v_add_f16_sdwa v63, v63, v63 dst_sel:DWORD dst_unused:UNUSED_PAD src0_sel:DWORD src1_sel:WORD_1
	v_add_f16_e32 v63, v63, v64
	global_store_short v[22:23], v63, off
	s_or_b32 exec_lo, exec_lo, s11
	s_and_b32 s12, s5, s8
	s_and_saveexec_b32 s11, s12
	s_cbranch_execz .LBB291_80
.LBB291_102:
	v_cmp_ne_u32_e32 vcc_lo, 1, v60
	v_lshlrev_b64 v[22:23], 1, v[34:35]
	s_cbranch_vccnz .LBB291_104
; %bb.103:
	v_add_co_u32 v63, vcc_lo, v69, v22
	v_add_co_ci_u32_e64 v64, null, v70, v23, vcc_lo
	global_load_ushort v63, v[63:64], off
	s_waitcnt vmcnt(0)
	v_mul_f16_e32 v63, v42, v63
	s_branch .LBB291_105
.LBB291_104:
	v_mov_b32_e32 v63, 0
.LBB291_105:
	v_pk_max_f16 v64, v24, v24
	v_pk_max_f16 v65, v12, v12
	;; [unrolled: 1-line block ×4, first 2 shown]
	v_add_co_u32 v22, vcc_lo, v40, v22
	v_pk_min_f16 v64, v65, v64
	v_add_co_ci_u32_e64 v23, null, v41, v23, vcc_lo
	v_pk_min_f16 v65, v67, v66
	v_pk_add_f16 v62, v62, v64
	v_pk_add_f16 v62, v62, v65
	v_add_f16_sdwa v62, v62, v62 dst_sel:DWORD dst_unused:UNUSED_PAD src0_sel:DWORD src1_sel:WORD_1
	v_add_f16_e32 v62, v62, v63
	global_store_short v[22:23], v62, off
	s_or_b32 exec_lo, exec_lo, s11
	s_and_b32 s12, s6, s8
	s_and_saveexec_b32 s11, s12
	s_cbranch_execz .LBB291_81
.LBB291_106:
	v_cmp_ne_u32_e32 vcc_lo, 1, v60
	v_lshlrev_b64 v[22:23], 1, v[36:37]
	s_cbranch_vccnz .LBB291_108
; %bb.107:
	v_add_co_u32 v62, vcc_lo, v69, v22
	v_add_co_ci_u32_e64 v63, null, v70, v23, vcc_lo
	global_load_ushort v62, v[62:63], off
	s_waitcnt vmcnt(0)
	v_mul_f16_e32 v62, v42, v62
	s_branch .LBB291_109
.LBB291_108:
	v_mov_b32_e32 v62, 0
.LBB291_109:
	v_pk_max_f16 v63, v24, v24
	v_pk_max_f16 v64, v6, v6
	;; [unrolled: 1-line block ×4, first 2 shown]
	v_add_co_u32 v22, vcc_lo, v40, v22
	v_pk_min_f16 v63, v64, v63
	v_add_co_ci_u32_e64 v23, null, v41, v23, vcc_lo
	v_pk_min_f16 v64, v66, v65
	v_pk_add_f16 v61, v61, v63
	v_pk_add_f16 v61, v61, v64
	v_add_f16_sdwa v61, v61, v61 dst_sel:DWORD dst_unused:UNUSED_PAD src0_sel:DWORD src1_sel:WORD_1
	v_add_f16_e32 v61, v61, v62
	global_store_short v[22:23], v61, off
	s_or_b32 exec_lo, exec_lo, s11
	s_and_b32 s11, s7, s8
	s_and_saveexec_b32 s8, s11
	s_cbranch_execz .LBB291_114
.LBB291_110:
	v_cmp_ne_u32_e32 vcc_lo, 1, v60
	v_lshlrev_b64 v[22:23], 1, v[38:39]
	s_cbranch_vccnz .LBB291_112
; %bb.111:
	v_add_co_u32 v61, vcc_lo, v69, v22
	v_add_co_ci_u32_e64 v62, null, v70, v23, vcc_lo
	global_load_ushort v61, v[61:62], off
	s_waitcnt vmcnt(0)
	v_mul_f16_e32 v61, v42, v61
	s_branch .LBB291_113
.LBB291_112:
	v_mov_b32_e32 v61, 0
.LBB291_113:
	v_pk_max_f16 v24, v24, v24
	v_pk_max_f16 v62, v8, v8
	;; [unrolled: 1-line block ×4, first 2 shown]
	v_add_co_u32 v22, vcc_lo, v40, v22
	v_pk_min_f16 v24, v62, v24
	v_add_co_ci_u32_e64 v23, null, v41, v23, vcc_lo
	v_pk_min_f16 v25, v63, v25
	v_pk_add_f16 v24, v59, v24
	v_pk_add_f16 v24, v24, v25
	v_add_f16_sdwa v24, v24, v24 dst_sel:DWORD dst_unused:UNUSED_PAD src0_sel:DWORD src1_sel:WORD_1
	v_add_f16_e32 v24, v24, v61
	global_store_short v[22:23], v24, off
.LBB291_114:
	s_or_b32 exec_lo, exec_lo, s8
	v_add_nc_u32_e32 v40, 64, v68
	v_mad_i64_i32 v[22:23], null, v40, s15, 0
	v_mad_i64_i32 v[24:25], null, v40, s14, 0
	v_cmp_gt_i32_e64 s8, s13, v40
	v_lshlrev_b64 v[22:23], 1, v[22:23]
	s_and_b32 s12, s1, s8
	v_lshlrev_b64 v[24:25], 1, v[24:25]
	v_add_co_u32 v40, vcc_lo, s16, v22
	v_add_co_ci_u32_e64 v41, null, s17, v23, vcc_lo
	v_add_co_u32 v24, vcc_lo, s9, v24
	v_add_co_ci_u32_e64 v25, null, s10, v25, vcc_lo
	s_and_saveexec_b32 s11, s12
	s_cbranch_execnz .LBB291_122
; %bb.115:
	s_or_b32 exec_lo, exec_lo, s11
	s_and_b32 s12, s0, s8
	s_and_saveexec_b32 s11, s12
	s_cbranch_execnz .LBB291_126
.LBB291_116:
	s_or_b32 exec_lo, exec_lo, s11
	s_and_b32 s12, s2, s8
	s_and_saveexec_b32 s11, s12
	s_cbranch_execnz .LBB291_130
.LBB291_117:
	s_or_b32 exec_lo, exec_lo, s11
	s_and_b32 s12, s3, s8
	s_and_saveexec_b32 s11, s12
	s_cbranch_execnz .LBB291_134
.LBB291_118:
	s_or_b32 exec_lo, exec_lo, s11
	s_and_b32 s12, s4, s8
	s_and_saveexec_b32 s11, s12
	s_cbranch_execnz .LBB291_138
.LBB291_119:
	s_or_b32 exec_lo, exec_lo, s11
	s_and_b32 s12, s5, s8
	s_and_saveexec_b32 s11, s12
	s_cbranch_execnz .LBB291_142
.LBB291_120:
	s_or_b32 exec_lo, exec_lo, s11
	s_and_b32 s12, s6, s8
	s_and_saveexec_b32 s11, s12
	s_cbranch_execnz .LBB291_146
.LBB291_121:
	s_or_b32 exec_lo, exec_lo, s11
	s_and_b32 s11, s7, s8
	s_and_saveexec_b32 s8, s11
	s_cbranch_execnz .LBB291_150
	s_branch .LBB291_154
.LBB291_122:
	v_cmp_ne_u32_e32 vcc_lo, 1, v60
	v_lshlrev_b64 v[22:23], 1, v[0:1]
	s_cbranch_vccnz .LBB291_124
; %bb.123:
	v_add_co_u32 v61, vcc_lo, v40, v22
	v_add_co_ci_u32_e64 v62, null, v41, v23, vcc_lo
	global_load_ushort v59, v[61:62], off
	s_waitcnt vmcnt(0)
	v_mul_f16_e32 v59, v42, v59
	s_branch .LBB291_125
.LBB291_124:
	v_mov_b32_e32 v59, 0
.LBB291_125:
	v_pk_max_f16 v61, v2, v2
	v_pk_max_f16 v62, v18, v18
	;; [unrolled: 1-line block ×4, first 2 shown]
	v_add_co_u32 v22, vcc_lo, v24, v22
	v_pk_min_f16 v61, v62, v61
	v_add_co_ci_u32_e64 v23, null, v25, v23, vcc_lo
	v_pk_min_f16 v62, v64, v63
	v_pk_add_f16 v58, v58, v61
	v_pk_add_f16 v58, v58, v62
	v_add_f16_sdwa v58, v58, v58 dst_sel:DWORD dst_unused:UNUSED_PAD src0_sel:DWORD src1_sel:WORD_1
	v_add_f16_e32 v58, v58, v59
	global_store_short v[22:23], v58, off
	s_or_b32 exec_lo, exec_lo, s11
	s_and_b32 s12, s0, s8
	s_and_saveexec_b32 s11, s12
	s_cbranch_execz .LBB291_116
.LBB291_126:
	v_cmp_ne_u32_e32 vcc_lo, 1, v60
	v_lshlrev_b64 v[22:23], 1, v[26:27]
	s_cbranch_vccnz .LBB291_128
; %bb.127:
	v_add_co_u32 v58, vcc_lo, v40, v22
	v_add_co_ci_u32_e64 v59, null, v41, v23, vcc_lo
	global_load_ushort v58, v[58:59], off
	s_waitcnt vmcnt(0)
	v_mul_f16_e32 v58, v42, v58
	s_branch .LBB291_129
.LBB291_128:
	v_mov_b32_e32 v58, 0
.LBB291_129:
	v_pk_max_f16 v59, v2, v2
	v_pk_max_f16 v61, v20, v20
	;; [unrolled: 1-line block ×4, first 2 shown]
	v_add_co_u32 v22, vcc_lo, v24, v22
	v_pk_min_f16 v59, v61, v59
	v_add_co_ci_u32_e64 v23, null, v25, v23, vcc_lo
	v_pk_min_f16 v61, v63, v62
	v_pk_add_f16 v57, v57, v59
	v_pk_add_f16 v57, v57, v61
	v_add_f16_sdwa v57, v57, v57 dst_sel:DWORD dst_unused:UNUSED_PAD src0_sel:DWORD src1_sel:WORD_1
	v_add_f16_e32 v57, v57, v58
	global_store_short v[22:23], v57, off
	s_or_b32 exec_lo, exec_lo, s11
	s_and_b32 s12, s2, s8
	s_and_saveexec_b32 s11, s12
	s_cbranch_execz .LBB291_117
.LBB291_130:
	v_cmp_ne_u32_e32 vcc_lo, 1, v60
	v_lshlrev_b64 v[22:23], 1, v[28:29]
	s_cbranch_vccnz .LBB291_132
; %bb.131:
	v_add_co_u32 v57, vcc_lo, v40, v22
	v_add_co_ci_u32_e64 v58, null, v41, v23, vcc_lo
	global_load_ushort v57, v[57:58], off
	s_waitcnt vmcnt(0)
	v_mul_f16_e32 v57, v42, v57
	s_branch .LBB291_133
.LBB291_132:
	v_mov_b32_e32 v57, 0
.LBB291_133:
	v_pk_max_f16 v58, v2, v2
	v_pk_max_f16 v59, v14, v14
	;; [unrolled: 1-line block ×4, first 2 shown]
	v_add_co_u32 v22, vcc_lo, v24, v22
	v_pk_min_f16 v58, v59, v58
	v_add_co_ci_u32_e64 v23, null, v25, v23, vcc_lo
	v_pk_min_f16 v59, v62, v61
	v_pk_add_f16 v56, v56, v58
	v_pk_add_f16 v56, v56, v59
	v_add_f16_sdwa v56, v56, v56 dst_sel:DWORD dst_unused:UNUSED_PAD src0_sel:DWORD src1_sel:WORD_1
	v_add_f16_e32 v56, v56, v57
	global_store_short v[22:23], v56, off
	s_or_b32 exec_lo, exec_lo, s11
	s_and_b32 s12, s3, s8
	s_and_saveexec_b32 s11, s12
	s_cbranch_execz .LBB291_118
.LBB291_134:
	v_cmp_ne_u32_e32 vcc_lo, 1, v60
	v_lshlrev_b64 v[22:23], 1, v[30:31]
	s_cbranch_vccnz .LBB291_136
; %bb.135:
	v_add_co_u32 v56, vcc_lo, v40, v22
	v_add_co_ci_u32_e64 v57, null, v41, v23, vcc_lo
	global_load_ushort v56, v[56:57], off
	s_waitcnt vmcnt(0)
	v_mul_f16_e32 v56, v42, v56
	s_branch .LBB291_137
.LBB291_136:
	v_mov_b32_e32 v56, 0
.LBB291_137:
	v_pk_max_f16 v57, v2, v2
	v_pk_max_f16 v58, v16, v16
	;; [unrolled: 1-line block ×4, first 2 shown]
	v_add_co_u32 v22, vcc_lo, v24, v22
	v_pk_min_f16 v57, v58, v57
	v_add_co_ci_u32_e64 v23, null, v25, v23, vcc_lo
	v_pk_min_f16 v58, v61, v59
	v_pk_add_f16 v55, v55, v57
	v_pk_add_f16 v55, v55, v58
	v_add_f16_sdwa v55, v55, v55 dst_sel:DWORD dst_unused:UNUSED_PAD src0_sel:DWORD src1_sel:WORD_1
	v_add_f16_e32 v55, v55, v56
	global_store_short v[22:23], v55, off
	s_or_b32 exec_lo, exec_lo, s11
	s_and_b32 s12, s4, s8
	s_and_saveexec_b32 s11, s12
	s_cbranch_execz .LBB291_119
.LBB291_138:
	v_cmp_ne_u32_e32 vcc_lo, 1, v60
	v_lshlrev_b64 v[22:23], 1, v[32:33]
	s_cbranch_vccnz .LBB291_140
; %bb.139:
	v_add_co_u32 v55, vcc_lo, v40, v22
	v_add_co_ci_u32_e64 v56, null, v41, v23, vcc_lo
	global_load_ushort v55, v[55:56], off
	s_waitcnt vmcnt(0)
	v_mul_f16_e32 v55, v42, v55
	s_branch .LBB291_141
.LBB291_140:
	v_mov_b32_e32 v55, 0
.LBB291_141:
	v_pk_max_f16 v56, v2, v2
	v_pk_max_f16 v57, v10, v10
	;; [unrolled: 1-line block ×4, first 2 shown]
	v_add_co_u32 v22, vcc_lo, v24, v22
	v_pk_min_f16 v56, v57, v56
	v_add_co_ci_u32_e64 v23, null, v25, v23, vcc_lo
	v_pk_min_f16 v57, v59, v58
	v_pk_add_f16 v54, v54, v56
	v_pk_add_f16 v54, v54, v57
	v_add_f16_sdwa v54, v54, v54 dst_sel:DWORD dst_unused:UNUSED_PAD src0_sel:DWORD src1_sel:WORD_1
	v_add_f16_e32 v54, v54, v55
	global_store_short v[22:23], v54, off
	s_or_b32 exec_lo, exec_lo, s11
	s_and_b32 s12, s5, s8
	s_and_saveexec_b32 s11, s12
	s_cbranch_execz .LBB291_120
.LBB291_142:
	v_cmp_ne_u32_e32 vcc_lo, 1, v60
	v_lshlrev_b64 v[22:23], 1, v[34:35]
	s_cbranch_vccnz .LBB291_144
; %bb.143:
	v_add_co_u32 v54, vcc_lo, v40, v22
	v_add_co_ci_u32_e64 v55, null, v41, v23, vcc_lo
	global_load_ushort v54, v[54:55], off
	s_waitcnt vmcnt(0)
	v_mul_f16_e32 v54, v42, v54
	s_branch .LBB291_145
.LBB291_144:
	v_mov_b32_e32 v54, 0
.LBB291_145:
	v_pk_max_f16 v55, v2, v2
	v_pk_max_f16 v56, v12, v12
	;; [unrolled: 1-line block ×4, first 2 shown]
	v_add_co_u32 v22, vcc_lo, v24, v22
	v_pk_min_f16 v55, v56, v55
	v_add_co_ci_u32_e64 v23, null, v25, v23, vcc_lo
	v_pk_min_f16 v56, v58, v57
	v_pk_add_f16 v53, v53, v55
	v_pk_add_f16 v53, v53, v56
	v_add_f16_sdwa v53, v53, v53 dst_sel:DWORD dst_unused:UNUSED_PAD src0_sel:DWORD src1_sel:WORD_1
	v_add_f16_e32 v53, v53, v54
	global_store_short v[22:23], v53, off
	s_or_b32 exec_lo, exec_lo, s11
	s_and_b32 s12, s6, s8
	s_and_saveexec_b32 s11, s12
	s_cbranch_execz .LBB291_121
.LBB291_146:
	v_cmp_ne_u32_e32 vcc_lo, 1, v60
	v_lshlrev_b64 v[22:23], 1, v[36:37]
	s_cbranch_vccnz .LBB291_148
; %bb.147:
	v_add_co_u32 v53, vcc_lo, v40, v22
	v_add_co_ci_u32_e64 v54, null, v41, v23, vcc_lo
	global_load_ushort v53, v[53:54], off
	s_waitcnt vmcnt(0)
	v_mul_f16_e32 v53, v42, v53
	s_branch .LBB291_149
.LBB291_148:
	v_mov_b32_e32 v53, 0
.LBB291_149:
	v_pk_max_f16 v54, v2, v2
	v_pk_max_f16 v55, v6, v6
	;; [unrolled: 1-line block ×4, first 2 shown]
	v_add_co_u32 v22, vcc_lo, v24, v22
	v_pk_min_f16 v54, v55, v54
	v_add_co_ci_u32_e64 v23, null, v25, v23, vcc_lo
	v_pk_min_f16 v55, v57, v56
	v_pk_add_f16 v52, v52, v54
	v_pk_add_f16 v52, v52, v55
	v_add_f16_sdwa v52, v52, v52 dst_sel:DWORD dst_unused:UNUSED_PAD src0_sel:DWORD src1_sel:WORD_1
	v_add_f16_e32 v52, v52, v53
	global_store_short v[22:23], v52, off
	s_or_b32 exec_lo, exec_lo, s11
	s_and_b32 s11, s7, s8
	s_and_saveexec_b32 s8, s11
	s_cbranch_execz .LBB291_154
.LBB291_150:
	v_cmp_ne_u32_e32 vcc_lo, 1, v60
	v_lshlrev_b64 v[22:23], 1, v[38:39]
	s_cbranch_vccnz .LBB291_152
; %bb.151:
	v_add_co_u32 v40, vcc_lo, v40, v22
	v_add_co_ci_u32_e64 v41, null, v41, v23, vcc_lo
	global_load_ushort v40, v[40:41], off
	s_waitcnt vmcnt(0)
	v_mul_f16_e32 v40, v42, v40
	s_branch .LBB291_153
.LBB291_152:
	v_mov_b32_e32 v40, 0
.LBB291_153:
	v_pk_max_f16 v2, v2, v2
	v_pk_max_f16 v41, v8, v8
	;; [unrolled: 1-line block ×4, first 2 shown]
	v_pk_min_f16 v2, v41, v2
	v_pk_min_f16 v3, v52, v3
	v_pk_add_f16 v2, v51, v2
	v_pk_add_f16 v2, v2, v3
	v_add_f16_sdwa v2, v2, v2 dst_sel:DWORD dst_unused:UNUSED_PAD src0_sel:DWORD src1_sel:WORD_1
	v_add_f16_e32 v40, v2, v40
	v_add_co_u32 v2, vcc_lo, v24, v22
	v_add_co_ci_u32_e64 v3, null, v25, v23, vcc_lo
	global_store_short v[2:3], v40, off
.LBB291_154:
	s_or_b32 exec_lo, exec_lo, s8
	v_add_nc_u32_e32 v24, 0x60, v68
	v_mad_i64_i32 v[2:3], null, v24, s15, 0
	v_mad_i64_i32 v[22:23], null, v24, s14, 0
	v_cmp_gt_i32_e64 s8, s13, v24
	v_lshlrev_b64 v[2:3], 1, v[2:3]
	v_lshlrev_b64 v[24:25], 1, v[22:23]
	v_add_co_u32 v22, vcc_lo, s16, v2
	v_add_co_ci_u32_e64 v23, null, s17, v3, vcc_lo
	v_add_co_u32 v2, vcc_lo, s9, v24
	v_add_co_ci_u32_e64 v3, null, s10, v25, vcc_lo
	s_and_b32 s9, s1, s8
	s_and_saveexec_b32 s1, s9
	s_cbranch_execnz .LBB291_163
; %bb.155:
	s_or_b32 exec_lo, exec_lo, s1
	s_and_b32 s1, s0, s8
	s_and_saveexec_b32 s0, s1
	s_cbranch_execnz .LBB291_167
.LBB291_156:
	s_or_b32 exec_lo, exec_lo, s0
	s_and_b32 s1, s2, s8
	s_and_saveexec_b32 s0, s1
	s_cbranch_execnz .LBB291_171
.LBB291_157:
	s_or_b32 exec_lo, exec_lo, s0
	s_and_b32 s1, s3, s8
	s_and_saveexec_b32 s0, s1
	s_cbranch_execnz .LBB291_175
.LBB291_158:
	s_or_b32 exec_lo, exec_lo, s0
	s_and_b32 s1, s4, s8
	s_and_saveexec_b32 s0, s1
	s_cbranch_execnz .LBB291_179
.LBB291_159:
	s_or_b32 exec_lo, exec_lo, s0
	s_and_b32 s1, s5, s8
	s_and_saveexec_b32 s0, s1
	s_cbranch_execnz .LBB291_183
.LBB291_160:
	s_or_b32 exec_lo, exec_lo, s0
	s_and_b32 s1, s6, s8
	s_and_saveexec_b32 s0, s1
	s_cbranch_execnz .LBB291_187
.LBB291_161:
	s_or_b32 exec_lo, exec_lo, s0
	s_and_b32 s0, s7, s8
	s_and_saveexec_b32 s1, s0
	s_cbranch_execnz .LBB291_191
.LBB291_162:
	s_endpgm
.LBB291_163:
	v_cmp_ne_u32_e32 vcc_lo, 1, v60
	v_lshlrev_b64 v[0:1], 1, v[0:1]
	s_cbranch_vccnz .LBB291_165
; %bb.164:
	v_add_co_u32 v24, vcc_lo, v22, v0
	v_add_co_ci_u32_e64 v25, null, v23, v1, vcc_lo
	global_load_ushort v24, v[24:25], off
	s_waitcnt vmcnt(0)
	v_mul_f16_e32 v24, v42, v24
	s_branch .LBB291_166
.LBB291_165:
	v_mov_b32_e32 v24, 0
.LBB291_166:
	v_pk_max_f16 v25, v4, v4
	v_pk_max_f16 v18, v18, v18
	;; [unrolled: 1-line block ×4, first 2 shown]
	v_add_co_u32 v0, vcc_lo, v2, v0
	v_pk_min_f16 v18, v18, v25
	v_add_co_ci_u32_e64 v1, null, v3, v1, vcc_lo
	v_pk_min_f16 v19, v19, v40
	v_pk_add_f16 v18, v50, v18
	v_pk_add_f16 v18, v18, v19
	v_add_f16_sdwa v18, v18, v18 dst_sel:DWORD dst_unused:UNUSED_PAD src0_sel:DWORD src1_sel:WORD_1
	v_add_f16_e32 v18, v18, v24
	global_store_short v[0:1], v18, off
	s_or_b32 exec_lo, exec_lo, s1
	s_and_b32 s1, s0, s8
	s_and_saveexec_b32 s0, s1
	s_cbranch_execz .LBB291_156
.LBB291_167:
	v_cmp_ne_u32_e32 vcc_lo, 1, v60
	v_lshlrev_b64 v[0:1], 1, v[26:27]
	s_cbranch_vccnz .LBB291_169
; %bb.168:
	v_add_co_u32 v18, vcc_lo, v22, v0
	v_add_co_ci_u32_e64 v19, null, v23, v1, vcc_lo
	global_load_ushort v18, v[18:19], off
	s_waitcnt vmcnt(0)
	v_mul_f16_e32 v18, v42, v18
	s_branch .LBB291_170
.LBB291_169:
	v_mov_b32_e32 v18, 0
.LBB291_170:
	v_pk_max_f16 v19, v4, v4
	v_pk_max_f16 v20, v20, v20
	;; [unrolled: 1-line block ×4, first 2 shown]
	v_add_co_u32 v0, vcc_lo, v2, v0
	v_pk_min_f16 v19, v20, v19
	v_add_co_ci_u32_e64 v1, null, v3, v1, vcc_lo
	v_pk_min_f16 v20, v21, v24
	v_pk_add_f16 v19, v49, v19
	v_pk_add_f16 v19, v19, v20
	v_add_f16_sdwa v19, v19, v19 dst_sel:DWORD dst_unused:UNUSED_PAD src0_sel:DWORD src1_sel:WORD_1
	v_add_f16_e32 v18, v19, v18
	global_store_short v[0:1], v18, off
	s_or_b32 exec_lo, exec_lo, s0
	s_and_b32 s1, s2, s8
	s_and_saveexec_b32 s0, s1
	s_cbranch_execz .LBB291_157
.LBB291_171:
	v_cmp_ne_u32_e32 vcc_lo, 1, v60
	v_lshlrev_b64 v[0:1], 1, v[28:29]
	s_cbranch_vccnz .LBB291_173
; %bb.172:
	v_add_co_u32 v18, vcc_lo, v22, v0
	v_add_co_ci_u32_e64 v19, null, v23, v1, vcc_lo
	global_load_ushort v18, v[18:19], off
	s_waitcnt vmcnt(0)
	v_mul_f16_e32 v18, v42, v18
	s_branch .LBB291_174
.LBB291_173:
	v_mov_b32_e32 v18, 0
.LBB291_174:
	v_pk_max_f16 v19, v4, v4
	v_pk_max_f16 v14, v14, v14
	;; [unrolled: 1-line block ×4, first 2 shown]
	v_add_co_u32 v0, vcc_lo, v2, v0
	v_pk_min_f16 v14, v14, v19
	v_add_co_ci_u32_e64 v1, null, v3, v1, vcc_lo
	v_pk_min_f16 v15, v15, v20
	v_pk_add_f16 v14, v48, v14
	v_pk_add_f16 v14, v14, v15
	v_add_f16_sdwa v14, v14, v14 dst_sel:DWORD dst_unused:UNUSED_PAD src0_sel:DWORD src1_sel:WORD_1
	v_add_f16_e32 v14, v14, v18
	global_store_short v[0:1], v14, off
	s_or_b32 exec_lo, exec_lo, s0
	s_and_b32 s1, s3, s8
	s_and_saveexec_b32 s0, s1
	s_cbranch_execz .LBB291_158
.LBB291_175:
	v_cmp_ne_u32_e32 vcc_lo, 1, v60
	v_lshlrev_b64 v[0:1], 1, v[30:31]
	s_cbranch_vccnz .LBB291_177
; %bb.176:
	v_add_co_u32 v14, vcc_lo, v22, v0
	v_add_co_ci_u32_e64 v15, null, v23, v1, vcc_lo
	global_load_ushort v14, v[14:15], off
	s_waitcnt vmcnt(0)
	v_mul_f16_e32 v14, v42, v14
	s_branch .LBB291_178
.LBB291_177:
	v_mov_b32_e32 v14, 0
.LBB291_178:
	v_pk_max_f16 v15, v4, v4
	v_pk_max_f16 v16, v16, v16
	;; [unrolled: 1-line block ×4, first 2 shown]
	v_add_co_u32 v0, vcc_lo, v2, v0
	v_pk_min_f16 v15, v16, v15
	v_add_co_ci_u32_e64 v1, null, v3, v1, vcc_lo
	v_pk_min_f16 v16, v17, v18
	v_pk_add_f16 v15, v47, v15
	v_pk_add_f16 v15, v15, v16
	v_add_f16_sdwa v15, v15, v15 dst_sel:DWORD dst_unused:UNUSED_PAD src0_sel:DWORD src1_sel:WORD_1
	v_add_f16_e32 v14, v15, v14
	global_store_short v[0:1], v14, off
	s_or_b32 exec_lo, exec_lo, s0
	s_and_b32 s1, s4, s8
	s_and_saveexec_b32 s0, s1
	s_cbranch_execz .LBB291_159
.LBB291_179:
	v_cmp_ne_u32_e32 vcc_lo, 1, v60
	v_lshlrev_b64 v[0:1], 1, v[32:33]
	s_cbranch_vccnz .LBB291_181
; %bb.180:
	v_add_co_u32 v14, vcc_lo, v22, v0
	v_add_co_ci_u32_e64 v15, null, v23, v1, vcc_lo
	global_load_ushort v14, v[14:15], off
	s_waitcnt vmcnt(0)
	v_mul_f16_e32 v14, v42, v14
	s_branch .LBB291_182
.LBB291_181:
	v_mov_b32_e32 v14, 0
.LBB291_182:
	v_pk_max_f16 v15, v4, v4
	v_pk_max_f16 v10, v10, v10
	;; [unrolled: 1-line block ×4, first 2 shown]
	v_add_co_u32 v0, vcc_lo, v2, v0
	v_pk_min_f16 v10, v10, v15
	v_add_co_ci_u32_e64 v1, null, v3, v1, vcc_lo
	v_pk_min_f16 v11, v11, v16
	v_pk_add_f16 v10, v46, v10
	v_pk_add_f16 v10, v10, v11
	v_add_f16_sdwa v10, v10, v10 dst_sel:DWORD dst_unused:UNUSED_PAD src0_sel:DWORD src1_sel:WORD_1
	v_add_f16_e32 v10, v10, v14
	global_store_short v[0:1], v10, off
	s_or_b32 exec_lo, exec_lo, s0
	s_and_b32 s1, s5, s8
	s_and_saveexec_b32 s0, s1
	s_cbranch_execz .LBB291_160
.LBB291_183:
	v_cmp_ne_u32_e32 vcc_lo, 1, v60
	v_lshlrev_b64 v[0:1], 1, v[34:35]
	s_cbranch_vccnz .LBB291_185
; %bb.184:
	v_add_co_u32 v10, vcc_lo, v22, v0
	v_add_co_ci_u32_e64 v11, null, v23, v1, vcc_lo
	global_load_ushort v10, v[10:11], off
	s_waitcnt vmcnt(0)
	v_mul_f16_e32 v10, v42, v10
	s_branch .LBB291_186
.LBB291_185:
	v_mov_b32_e32 v10, 0
.LBB291_186:
	v_pk_max_f16 v11, v4, v4
	v_pk_max_f16 v12, v12, v12
	;; [unrolled: 1-line block ×4, first 2 shown]
	v_add_co_u32 v0, vcc_lo, v2, v0
	v_pk_min_f16 v11, v12, v11
	v_add_co_ci_u32_e64 v1, null, v3, v1, vcc_lo
	v_pk_min_f16 v12, v13, v14
	v_pk_add_f16 v11, v45, v11
	v_pk_add_f16 v11, v11, v12
	v_add_f16_sdwa v11, v11, v11 dst_sel:DWORD dst_unused:UNUSED_PAD src0_sel:DWORD src1_sel:WORD_1
	v_add_f16_e32 v10, v11, v10
	global_store_short v[0:1], v10, off
	s_or_b32 exec_lo, exec_lo, s0
	s_and_b32 s1, s6, s8
	s_and_saveexec_b32 s0, s1
	s_cbranch_execz .LBB291_161
.LBB291_187:
	v_cmp_ne_u32_e32 vcc_lo, 1, v60
	v_lshlrev_b64 v[0:1], 1, v[36:37]
	s_cbranch_vccnz .LBB291_189
; %bb.188:
	v_add_co_u32 v10, vcc_lo, v22, v0
	v_add_co_ci_u32_e64 v11, null, v23, v1, vcc_lo
	global_load_ushort v10, v[10:11], off
	s_waitcnt vmcnt(0)
	v_mul_f16_e32 v10, v42, v10
	s_branch .LBB291_190
.LBB291_189:
	v_mov_b32_e32 v10, 0
.LBB291_190:
	v_pk_max_f16 v11, v4, v4
	v_pk_max_f16 v6, v6, v6
	v_pk_max_f16 v12, v5, v5
	v_pk_max_f16 v7, v7, v7
	v_add_co_u32 v0, vcc_lo, v2, v0
	v_pk_min_f16 v6, v6, v11
	v_add_co_ci_u32_e64 v1, null, v3, v1, vcc_lo
	v_pk_min_f16 v7, v7, v12
	v_pk_add_f16 v6, v44, v6
	v_pk_add_f16 v6, v6, v7
	v_add_f16_sdwa v6, v6, v6 dst_sel:DWORD dst_unused:UNUSED_PAD src0_sel:DWORD src1_sel:WORD_1
	v_add_f16_e32 v6, v6, v10
	global_store_short v[0:1], v6, off
	s_or_b32 exec_lo, exec_lo, s0
	s_and_b32 s0, s7, s8
	s_and_saveexec_b32 s1, s0
	s_cbranch_execz .LBB291_162
.LBB291_191:
	v_cmp_ne_u32_e32 vcc_lo, 1, v60
	v_lshlrev_b64 v[0:1], 1, v[38:39]
	s_cbranch_vccnz .LBB291_193
; %bb.192:
	v_add_co_u32 v6, vcc_lo, v22, v0
	v_add_co_ci_u32_e64 v7, null, v23, v1, vcc_lo
	global_load_ushort v6, v[6:7], off
	s_waitcnt vmcnt(0)
	v_mul_f16_e32 v6, v42, v6
	s_branch .LBB291_194
.LBB291_193:
	v_mov_b32_e32 v6, 0
.LBB291_194:
	v_pk_max_f16 v4, v4, v4
	v_pk_max_f16 v7, v8, v8
	;; [unrolled: 1-line block ×4, first 2 shown]
	v_add_co_u32 v0, vcc_lo, v2, v0
	v_pk_min_f16 v4, v7, v4
	v_add_co_ci_u32_e64 v1, null, v3, v1, vcc_lo
	v_pk_min_f16 v5, v8, v5
	v_pk_add_f16 v4, v43, v4
	v_pk_add_f16 v4, v4, v5
	v_add_f16_sdwa v4, v4, v4 dst_sel:DWORD dst_unused:UNUSED_PAD src0_sel:DWORD src1_sel:WORD_1
	v_add_f16_e32 v4, v4, v6
	global_store_short v[0:1], v4, off
	s_endpgm
	.section	.rodata,"a",@progbits
	.p2align	6, 0x0
	.amdhsa_kernel _ZN12_GLOBAL__N_120geam_min_plus_kernelIDF16_Dv2_DF16_S1_Li8ELi32ELi64ELi128ELi4ELi4ELi64ELi4ELi64ELc84ELc78ELb0ELb1ELb0EPKDF16_S2_DF16_EEviiiT16_PT17_ilS6_ilS4_S6_ilPT18_ili26rocblas_geam_ex_operation_
		.amdhsa_group_segment_fixed_size 3072
		.amdhsa_private_segment_fixed_size 0
		.amdhsa_kernarg_size 136
		.amdhsa_user_sgpr_count 6
		.amdhsa_user_sgpr_private_segment_buffer 1
		.amdhsa_user_sgpr_dispatch_ptr 0
		.amdhsa_user_sgpr_queue_ptr 0
		.amdhsa_user_sgpr_kernarg_segment_ptr 1
		.amdhsa_user_sgpr_dispatch_id 0
		.amdhsa_user_sgpr_flat_scratch_init 0
		.amdhsa_user_sgpr_private_segment_size 0
		.amdhsa_wavefront_size32 1
		.amdhsa_uses_dynamic_stack 0
		.amdhsa_system_sgpr_private_segment_wavefront_offset 0
		.amdhsa_system_sgpr_workgroup_id_x 1
		.amdhsa_system_sgpr_workgroup_id_y 0
		.amdhsa_system_sgpr_workgroup_id_z 1
		.amdhsa_system_sgpr_workgroup_info 0
		.amdhsa_system_vgpr_workitem_id 1
		.amdhsa_next_free_vgpr 121
		.amdhsa_next_free_sgpr 28
		.amdhsa_reserve_vcc 1
		.amdhsa_reserve_flat_scratch 0
		.amdhsa_float_round_mode_32 0
		.amdhsa_float_round_mode_16_64 0
		.amdhsa_float_denorm_mode_32 3
		.amdhsa_float_denorm_mode_16_64 3
		.amdhsa_dx10_clamp 1
		.amdhsa_ieee_mode 1
		.amdhsa_fp16_overflow 0
		.amdhsa_workgroup_processor_mode 1
		.amdhsa_memory_ordered 1
		.amdhsa_forward_progress 1
		.amdhsa_shared_vgpr_count 0
		.amdhsa_exception_fp_ieee_invalid_op 0
		.amdhsa_exception_fp_denorm_src 0
		.amdhsa_exception_fp_ieee_div_zero 0
		.amdhsa_exception_fp_ieee_overflow 0
		.amdhsa_exception_fp_ieee_underflow 0
		.amdhsa_exception_fp_ieee_inexact 0
		.amdhsa_exception_int_div_zero 0
	.end_amdhsa_kernel
	.section	.text._ZN12_GLOBAL__N_120geam_min_plus_kernelIDF16_Dv2_DF16_S1_Li8ELi32ELi64ELi128ELi4ELi4ELi64ELi4ELi64ELc84ELc78ELb0ELb1ELb0EPKDF16_S2_DF16_EEviiiT16_PT17_ilS6_ilS4_S6_ilPT18_ili26rocblas_geam_ex_operation_,"axG",@progbits,_ZN12_GLOBAL__N_120geam_min_plus_kernelIDF16_Dv2_DF16_S1_Li8ELi32ELi64ELi128ELi4ELi4ELi64ELi4ELi64ELc84ELc78ELb0ELb1ELb0EPKDF16_S2_DF16_EEviiiT16_PT17_ilS6_ilS4_S6_ilPT18_ili26rocblas_geam_ex_operation_,comdat
.Lfunc_end291:
	.size	_ZN12_GLOBAL__N_120geam_min_plus_kernelIDF16_Dv2_DF16_S1_Li8ELi32ELi64ELi128ELi4ELi4ELi64ELi4ELi64ELc84ELc78ELb0ELb1ELb0EPKDF16_S2_DF16_EEviiiT16_PT17_ilS6_ilS4_S6_ilPT18_ili26rocblas_geam_ex_operation_, .Lfunc_end291-_ZN12_GLOBAL__N_120geam_min_plus_kernelIDF16_Dv2_DF16_S1_Li8ELi32ELi64ELi128ELi4ELi4ELi64ELi4ELi64ELc84ELc78ELb0ELb1ELb0EPKDF16_S2_DF16_EEviiiT16_PT17_ilS6_ilS4_S6_ilPT18_ili26rocblas_geam_ex_operation_
                                        ; -- End function
	.set _ZN12_GLOBAL__N_120geam_min_plus_kernelIDF16_Dv2_DF16_S1_Li8ELi32ELi64ELi128ELi4ELi4ELi64ELi4ELi64ELc84ELc78ELb0ELb1ELb0EPKDF16_S2_DF16_EEviiiT16_PT17_ilS6_ilS4_S6_ilPT18_ili26rocblas_geam_ex_operation_.num_vgpr, 121
	.set _ZN12_GLOBAL__N_120geam_min_plus_kernelIDF16_Dv2_DF16_S1_Li8ELi32ELi64ELi128ELi4ELi4ELi64ELi4ELi64ELc84ELc78ELb0ELb1ELb0EPKDF16_S2_DF16_EEviiiT16_PT17_ilS6_ilS4_S6_ilPT18_ili26rocblas_geam_ex_operation_.num_agpr, 0
	.set _ZN12_GLOBAL__N_120geam_min_plus_kernelIDF16_Dv2_DF16_S1_Li8ELi32ELi64ELi128ELi4ELi4ELi64ELi4ELi64ELc84ELc78ELb0ELb1ELb0EPKDF16_S2_DF16_EEviiiT16_PT17_ilS6_ilS4_S6_ilPT18_ili26rocblas_geam_ex_operation_.numbered_sgpr, 28
	.set _ZN12_GLOBAL__N_120geam_min_plus_kernelIDF16_Dv2_DF16_S1_Li8ELi32ELi64ELi128ELi4ELi4ELi64ELi4ELi64ELc84ELc78ELb0ELb1ELb0EPKDF16_S2_DF16_EEviiiT16_PT17_ilS6_ilS4_S6_ilPT18_ili26rocblas_geam_ex_operation_.num_named_barrier, 0
	.set _ZN12_GLOBAL__N_120geam_min_plus_kernelIDF16_Dv2_DF16_S1_Li8ELi32ELi64ELi128ELi4ELi4ELi64ELi4ELi64ELc84ELc78ELb0ELb1ELb0EPKDF16_S2_DF16_EEviiiT16_PT17_ilS6_ilS4_S6_ilPT18_ili26rocblas_geam_ex_operation_.private_seg_size, 0
	.set _ZN12_GLOBAL__N_120geam_min_plus_kernelIDF16_Dv2_DF16_S1_Li8ELi32ELi64ELi128ELi4ELi4ELi64ELi4ELi64ELc84ELc78ELb0ELb1ELb0EPKDF16_S2_DF16_EEviiiT16_PT17_ilS6_ilS4_S6_ilPT18_ili26rocblas_geam_ex_operation_.uses_vcc, 1
	.set _ZN12_GLOBAL__N_120geam_min_plus_kernelIDF16_Dv2_DF16_S1_Li8ELi32ELi64ELi128ELi4ELi4ELi64ELi4ELi64ELc84ELc78ELb0ELb1ELb0EPKDF16_S2_DF16_EEviiiT16_PT17_ilS6_ilS4_S6_ilPT18_ili26rocblas_geam_ex_operation_.uses_flat_scratch, 0
	.set _ZN12_GLOBAL__N_120geam_min_plus_kernelIDF16_Dv2_DF16_S1_Li8ELi32ELi64ELi128ELi4ELi4ELi64ELi4ELi64ELc84ELc78ELb0ELb1ELb0EPKDF16_S2_DF16_EEviiiT16_PT17_ilS6_ilS4_S6_ilPT18_ili26rocblas_geam_ex_operation_.has_dyn_sized_stack, 0
	.set _ZN12_GLOBAL__N_120geam_min_plus_kernelIDF16_Dv2_DF16_S1_Li8ELi32ELi64ELi128ELi4ELi4ELi64ELi4ELi64ELc84ELc78ELb0ELb1ELb0EPKDF16_S2_DF16_EEviiiT16_PT17_ilS6_ilS4_S6_ilPT18_ili26rocblas_geam_ex_operation_.has_recursion, 0
	.set _ZN12_GLOBAL__N_120geam_min_plus_kernelIDF16_Dv2_DF16_S1_Li8ELi32ELi64ELi128ELi4ELi4ELi64ELi4ELi64ELc84ELc78ELb0ELb1ELb0EPKDF16_S2_DF16_EEviiiT16_PT17_ilS6_ilS4_S6_ilPT18_ili26rocblas_geam_ex_operation_.has_indirect_call, 0
	.section	.AMDGPU.csdata,"",@progbits
; Kernel info:
; codeLenInByte = 12080
; TotalNumSgprs: 30
; NumVgprs: 121
; ScratchSize: 0
; MemoryBound: 0
; FloatMode: 240
; IeeeMode: 1
; LDSByteSize: 3072 bytes/workgroup (compile time only)
; SGPRBlocks: 0
; VGPRBlocks: 15
; NumSGPRsForWavesPerEU: 30
; NumVGPRsForWavesPerEU: 121
; Occupancy: 8
; WaveLimiterHint : 0
; COMPUTE_PGM_RSRC2:SCRATCH_EN: 0
; COMPUTE_PGM_RSRC2:USER_SGPR: 6
; COMPUTE_PGM_RSRC2:TRAP_HANDLER: 0
; COMPUTE_PGM_RSRC2:TGID_X_EN: 1
; COMPUTE_PGM_RSRC2:TGID_Y_EN: 0
; COMPUTE_PGM_RSRC2:TGID_Z_EN: 1
; COMPUTE_PGM_RSRC2:TIDIG_COMP_CNT: 1
	.section	.text._ZN12_GLOBAL__N_120geam_min_plus_kernelIDF16_Dv2_DF16_S1_Li8ELi32ELi64ELi128ELi4ELi4ELi64ELi4ELi64ELc84ELc78ELb1ELb1ELb0EDF16_KDF16_DF16_EEviiiT16_PT17_ilS5_ilS3_S5_ilPT18_ili26rocblas_geam_ex_operation_,"axG",@progbits,_ZN12_GLOBAL__N_120geam_min_plus_kernelIDF16_Dv2_DF16_S1_Li8ELi32ELi64ELi128ELi4ELi4ELi64ELi4ELi64ELc84ELc78ELb1ELb1ELb0EDF16_KDF16_DF16_EEviiiT16_PT17_ilS5_ilS3_S5_ilPT18_ili26rocblas_geam_ex_operation_,comdat
	.globl	_ZN12_GLOBAL__N_120geam_min_plus_kernelIDF16_Dv2_DF16_S1_Li8ELi32ELi64ELi128ELi4ELi4ELi64ELi4ELi64ELc84ELc78ELb1ELb1ELb0EDF16_KDF16_DF16_EEviiiT16_PT17_ilS5_ilS3_S5_ilPT18_ili26rocblas_geam_ex_operation_ ; -- Begin function _ZN12_GLOBAL__N_120geam_min_plus_kernelIDF16_Dv2_DF16_S1_Li8ELi32ELi64ELi128ELi4ELi4ELi64ELi4ELi64ELc84ELc78ELb1ELb1ELb0EDF16_KDF16_DF16_EEviiiT16_PT17_ilS5_ilS3_S5_ilPT18_ili26rocblas_geam_ex_operation_
	.p2align	8
	.type	_ZN12_GLOBAL__N_120geam_min_plus_kernelIDF16_Dv2_DF16_S1_Li8ELi32ELi64ELi128ELi4ELi4ELi64ELi4ELi64ELc84ELc78ELb1ELb1ELb0EDF16_KDF16_DF16_EEviiiT16_PT17_ilS5_ilS3_S5_ilPT18_ili26rocblas_geam_ex_operation_,@function
_ZN12_GLOBAL__N_120geam_min_plus_kernelIDF16_Dv2_DF16_S1_Li8ELi32ELi64ELi128ELi4ELi4ELi64ELi4ELi64ELc84ELc78ELb1ELb1ELb0EDF16_KDF16_DF16_EEviiiT16_PT17_ilS5_ilS3_S5_ilPT18_ili26rocblas_geam_ex_operation_: ; @_ZN12_GLOBAL__N_120geam_min_plus_kernelIDF16_Dv2_DF16_S1_Li8ELi32ELi64ELi128ELi4ELi4ELi64ELi4ELi64ELc84ELc78ELb1ELb1ELb0EDF16_KDF16_DF16_EEviiiT16_PT17_ilS5_ilS3_S5_ilPT18_ili26rocblas_geam_ex_operation_
; %bb.0:
	s_clause 0x1
	s_load_dwordx4 s[12:15], s[4:5], 0x0
	s_load_dwordx4 s[0:3], s[4:5], 0x20
	s_waitcnt lgkmcnt(0)
	v_cmp_eq_f16_e64 s8, s15, 0
	s_and_b32 vcc_lo, exec_lo, s8
	s_cbranch_vccnz .LBB292_41
; %bb.1:
	s_load_dwordx2 s[10:11], s[4:5], 0x10
	s_mul_i32 s1, s1, s7
	s_mul_hi_u32 s9, s0, s7
	s_mul_i32 s0, s0, s7
	s_add_i32 s1, s9, s1
	s_lshl_b64 s[0:1], s[0:1], 1
	s_waitcnt lgkmcnt(0)
	s_add_u32 s18, s10, s0
	s_addc_u32 s19, s11, s1
	s_andn2_b32 vcc_lo, exec_lo, s8
	s_mov_b32 s0, -1
	s_cbranch_vccnz .LBB292_3
.LBB292_2:
	s_mov_b32 s0, 0
.LBB292_3:
	s_mov_b64 s[16:17], 0
	s_andn2_b32 vcc_lo, exec_lo, s0
	s_mov_b64 s[20:21], 0
	s_cbranch_vccnz .LBB292_5
; %bb.4:
	s_load_dwordx2 s[0:1], s[4:5], 0x38
	s_waitcnt lgkmcnt(0)
	s_mul_i32 s1, s1, s7
	s_mul_hi_u32 s8, s0, s7
	s_mul_i32 s0, s0, s7
	s_add_i32 s1, s8, s1
	s_lshl_b64 s[0:1], s[0:1], 1
	s_add_u32 s20, s2, s0
	s_addc_u32 s21, s3, s1
.LBB292_5:
	s_clause 0x1
	s_load_dword s15, s[4:5], 0x40
	s_load_dwordx4 s[8:11], s[4:5], 0x58
	s_waitcnt lgkmcnt(0)
	v_cmp_eq_f16_e64 s0, s15, 0
	v_cmp_neq_f16_e64 s22, s15, 0
	s_and_b32 vcc_lo, exec_lo, s0
	s_cbranch_vccnz .LBB292_7
; %bb.6:
	s_load_dwordx2 s[0:1], s[4:5], 0x48
	s_mul_i32 s2, s9, s7
	s_mul_hi_u32 s3, s8, s7
	s_add_i32 s3, s3, s2
	s_mul_i32 s2, s8, s7
	s_lshl_b64 s[2:3], s[2:3], 1
	s_waitcnt lgkmcnt(0)
	s_add_u32 s16, s0, s2
	s_addc_u32 s17, s1, s3
.LBB292_7:
	s_add_i32 s0, s12, -1
	s_load_dword s24, s[4:5], 0x18
	s_ashr_i32 s1, s0, 31
	v_and_b32_e32 v26, 3, v0
	s_lshr_b32 s1, s1, 26
                                        ; implicit-def: $vgpr8
	s_add_i32 s0, s0, s1
	v_lshlrev_b32_e32 v27, 1, v26
	s_ashr_i32 s0, s0, 6
	s_add_i32 s2, s0, 1
	s_not_b32 s0, s0
	v_cvt_f32_u32_e32 v2, s2
	v_rcp_iflag_f32_e32 v2, v2
	v_mul_f32_e32 v2, 0x4f7ffffe, v2
	v_cvt_u32_f32_e32 v2, v2
	v_readfirstlane_b32 s1, v2
	v_lshl_add_u32 v2, v1, 3, v0
	s_mul_i32 s0, s0, s1
	v_lshrrev_b32_e32 v2, 2, v2
	s_mul_hi_u32 s0, s1, s0
	s_add_i32 s1, s1, s0
	s_mul_hi_u32 s0, s6, s1
	s_mul_i32 s1, s0, s2
	s_add_i32 s3, s0, 1
	s_sub_i32 s1, s6, s1
	s_sub_i32 s8, s1, s2
	s_cmp_ge_u32 s1, s2
	s_cselect_b32 s0, s3, s0
	s_cselect_b32 s1, s8, s1
	s_add_i32 s3, s0, 1
	s_cmp_ge_u32 s1, s2
	s_cselect_b32 s1, s3, s0
	s_mul_i32 s25, s1, s2
	v_cmp_le_i32_e64 s2, s14, v26
	s_sub_i32 s0, s6, s25
	s_lshl_b32 s8, s0, 6
	v_add_nc_u32_e32 v6, s8, v2
	v_cmp_le_i32_e32 vcc_lo, s12, v6
	s_nor_b32 s0, s2, vcc_lo
	s_and_saveexec_b32 s3, s0
	s_xor_b32 s3, exec_lo, s3
	s_cbranch_execz .LBB292_9
; %bb.8:
	s_waitcnt lgkmcnt(0)
	v_mad_i64_i32 v[3:4], null, v6, s24, 0
	v_lshlrev_b64 v[3:4], 1, v[3:4]
	v_add_co_u32 v3, s0, s18, v3
	v_add_co_ci_u32_e64 v4, null, s19, v4, s0
	v_add_co_u32 v3, s0, v3, v27
	v_add_co_ci_u32_e64 v4, null, 0, v4, s0
	global_load_ushort v8, v[3:4], off
.LBB292_9:
	s_andn2_saveexec_b32 s0, s3
	s_cbranch_execz .LBB292_11
; %bb.10:
	s_waitcnt vmcnt(0)
	v_mov_b32_e32 v8, 0
.LBB292_11:
	s_or_b32 exec_lo, exec_lo, s0
	s_load_dword s26, s[4:5], 0x30
	s_lshl_b32 s9, s1, 7
	v_lshlrev_b32_e32 v4, 1, v26
	v_add_nc_u32_e32 v3, s9, v2
	v_mov_b32_e32 v9, 0
	v_mov_b32_e32 v10, 0
	v_add_co_u32 v5, s1, s20, v4
	v_cmp_le_i32_e64 s0, s13, v3
	v_add_co_ci_u32_e64 v7, null, s21, 0, s1
	s_nor_b32 s1, s2, s0
	s_and_saveexec_b32 s3, s1
	s_cbranch_execz .LBB292_13
; %bb.12:
	s_waitcnt lgkmcnt(0)
	v_mad_i64_i32 v[10:11], null, v3, s26, 0
	v_lshlrev_b64 v[10:11], 1, v[10:11]
	v_add_co_u32 v10, s1, v5, v10
	v_add_co_ci_u32_e64 v11, null, v7, v11, s1
	global_load_ushort v10, v[10:11], off
.LBB292_13:
	s_or_b32 exec_lo, exec_lo, s3
	v_add_nc_u32_e32 v4, 64, v3
	v_cmp_le_i32_e64 s1, s13, v4
	s_nor_b32 s2, s2, s1
	s_and_saveexec_b32 s3, s2
	s_cbranch_execz .LBB292_15
; %bb.14:
	s_waitcnt lgkmcnt(0)
	v_mad_i64_i32 v[11:12], null, v4, s26, 0
	v_lshlrev_b64 v[11:12], 1, v[11:12]
	v_add_co_u32 v11, s2, v5, v11
	v_add_co_ci_u32_e64 v12, null, v7, v12, s2
	global_load_ushort v9, v[11:12], off
.LBB292_15:
	s_or_b32 exec_lo, exec_lo, s3
	v_or_b32_e32 v7, 4, v26
                                        ; implicit-def: $vgpr5
	v_cmp_le_i32_e64 s2, s14, v7
	s_nor_b32 s3, s2, vcc_lo
	s_and_saveexec_b32 s23, s3
	s_xor_b32 s23, exec_lo, s23
	s_cbranch_execz .LBB292_17
; %bb.16:
	s_waitcnt lgkmcnt(0)
	v_mad_i64_i32 v[5:6], null, v6, s24, 0
	v_lshlrev_b64 v[5:6], 1, v[5:6]
	v_add_co_u32 v5, s3, s18, v5
	v_add_co_ci_u32_e64 v6, null, s19, v6, s3
	v_add_co_u32 v5, s3, v5, v27
	v_add_co_ci_u32_e64 v6, null, 0, v6, s3
	global_load_ushort v5, v[5:6], off offset:8
.LBB292_17:
	s_andn2_saveexec_b32 s3, s23
	s_cbranch_execz .LBB292_19
; %bb.18:
	s_waitcnt vmcnt(0)
	v_mov_b32_e32 v5, 0
.LBB292_19:
	s_or_b32 exec_lo, exec_lo, s3
	v_lshlrev_b32_e32 v7, 1, v7
	v_mov_b32_e32 v6, 0
	v_add_co_u32 v11, s3, s20, v7
	v_add_co_ci_u32_e64 v12, null, s21, 0, s3
	v_mov_b32_e32 v7, 0
	s_nor_b32 s3, s2, s0
	s_and_saveexec_b32 s23, s3
	s_cbranch_execz .LBB292_21
; %bb.20:
	s_waitcnt lgkmcnt(0)
	v_mad_i64_i32 v[13:14], null, v3, s26, 0
	v_lshlrev_b64 v[13:14], 1, v[13:14]
	v_add_co_u32 v13, s3, v11, v13
	v_add_co_ci_u32_e64 v14, null, v12, v14, s3
	global_load_ushort v7, v[13:14], off
.LBB292_21:
	s_or_b32 exec_lo, exec_lo, s23
	s_nor_b32 s2, s2, s1
	s_and_saveexec_b32 s3, s2
	s_cbranch_execz .LBB292_23
; %bb.22:
	s_waitcnt lgkmcnt(0)
	v_mad_i64_i32 v[13:14], null, v4, s26, 0
	v_lshlrev_b64 v[13:14], 1, v[13:14]
	v_add_co_u32 v11, s2, v11, v13
	v_add_co_ci_u32_e64 v12, null, v12, v14, s2
	global_load_ushort v6, v[11:12], off
.LBB292_23:
	s_or_b32 exec_lo, exec_lo, s3
	v_lshlrev_b32_e32 v11, 3, v2
	v_lshlrev_b32_e32 v29, 3, v0
	;; [unrolled: 1-line block ×3, first 2 shown]
	s_mov_b32 s23, 0
	s_cmp_lt_i32 s14, 9
	v_lshl_or_b32 v30, v26, 1, v11
	v_add_nc_u32_e32 v24, 0x800, v29
	s_waitcnt vmcnt(0)
	ds_write_b16 v30, v8 offset:2048
	ds_write_b16 v30, v10
	ds_write_b16 v30, v9 offset:512
	s_waitcnt lgkmcnt(0)
	s_barrier
	buffer_gl0_inv
	ds_read2_b64 v[8:11], v28 offset1:32
	ds_read2_b64 v[12:15], v24 offset0:48 offset1:56
	ds_read2_b64 v[16:19], v28 offset0:64 offset1:96
	ds_read2_b64 v[20:23], v24 offset1:8
	ds_read2_b64 v[31:34], v24 offset0:16 offset1:24
	ds_read2_b64 v[35:38], v24 offset0:32 offset1:40
	ds_write_b16 v30, v5 offset:2560
	ds_write_b16 v30, v7 offset:1024
	;; [unrolled: 1-line block ×3, first 2 shown]
	s_waitcnt lgkmcnt(0)
	s_barrier
	buffer_gl0_inv
	v_pk_max_f16 v8, v8, v8
	v_pk_max_f16 v14, v14, v14
	;; [unrolled: 1-line block ×9, first 2 shown]
	v_pk_min_f16 v25, v14, v8
	v_pk_max_f16 v35, v35, v35
	v_pk_min_f16 v48, v33, v8
	v_pk_min_f16 v51, v33, v10
	;; [unrolled: 1-line block ×4, first 2 shown]
	v_pk_max_f16 v9, v9, v9
	v_pk_max_f16 v33, v37, v37
	;; [unrolled: 1-line block ×4, first 2 shown]
	v_pk_min_f16 v31, v14, v10
	v_pk_min_f16 v39, v20, v8
	;; [unrolled: 1-line block ×14, first 2 shown]
	v_pk_max_f16 v11, v11, v11
	v_pk_min_f16 v55, v35, v10
	v_pk_min_f16 v59, v35, v16
	v_pk_max_f16 v17, v17, v17
	v_pk_min_f16 v35, v35, v18
	v_pk_max_f16 v21, v21, v21
	v_pk_min_f16 v37, v33, v8
	v_pk_min_f16 v60, v33, v10
	v_pk_min_f16 v61, v33, v16
	v_pk_min_f16 v62, v33, v18
	v_pk_min_f16 v8, v12, v8
	v_pk_min_f16 v10, v12, v10
	v_pk_min_f16 v33, v14, v16
	v_pk_min_f16 v16, v12, v16
	v_pk_min_f16 v12, v12, v18
	v_pk_min_f16 v14, v14, v18
	v_pk_add_f16 v18, v25, 0
	v_pk_min_f16 v25, v15, v9
	v_pk_max_f16 v19, v19, v19
	v_pk_max_f16 v23, v23, v23
	v_pk_add_f16 v33, v33, 0
	v_pk_min_f16 v50, v15, v17
	v_pk_add_f16 v39, v39, 0
	v_pk_min_f16 v56, v21, v9
	;; [unrolled: 2-line block ×3, first 2 shown]
	v_pk_add_f16 v68, v18, v25
	v_pk_add_f16 v18, v41, 0
	v_pk_min_f16 v25, v21, v17
	v_pk_add_f16 v50, v33, v50
	v_pk_add_f16 v33, v39, v56
	;; [unrolled: 1-line block ×3, first 2 shown]
	v_pk_min_f16 v39, v23, v9
	v_pk_add_f16 v40, v43, 0
	v_pk_min_f16 v41, v23, v11
	v_pk_min_f16 v43, v23, v17
	v_pk_add_f16 v57, v18, v25
	v_pk_add_f16 v18, v22, 0
	v_pk_min_f16 v23, v23, v19
	v_pk_add_f16 v31, v31, 0
	v_pk_min_f16 v49, v15, v11
	;; [unrolled: 2-line block ×3, first 2 shown]
	v_pk_add_f16 v25, v48, 0
	v_pk_add_f16 v48, v18, v23
	v_pk_max_f16 v18, v32, v32
	v_pk_add_f16 v58, v31, v49
	v_pk_add_f16 v31, v42, 0
	;; [unrolled: 1-line block ×8, first 2 shown]
	v_pk_max_f16 v23, v34, v34
	v_pk_min_f16 v32, v18, v9
	v_pk_min_f16 v34, v18, v11
	;; [unrolled: 1-line block ×4, first 2 shown]
	v_pk_add_f16 v31, v31, v39
	v_pk_add_f16 v65, v40, v41
	;; [unrolled: 1-line block ×11, first 2 shown]
	v_pk_min_f16 v18, v23, v9
	v_pk_min_f16 v20, v23, v11
	;; [unrolled: 1-line block ×4, first 2 shown]
	v_pk_max_f16 v23, v36, v36
	v_pk_add_f16 v42, v54, 0
	v_pk_add_f16 v44, v59, 0
	;; [unrolled: 1-line block ×7, first 2 shown]
	v_pk_min_f16 v18, v23, v9
	v_pk_min_f16 v20, v23, v11
	;; [unrolled: 1-line block ×4, first 2 shown]
	v_pk_max_f16 v23, v38, v38
	v_pk_max_f16 v13, v13, v13
	v_pk_add_f16 v37, v37, 0
	v_pk_add_f16 v51, v60, 0
	;; [unrolled: 1-line block ×13, first 2 shown]
	v_pk_min_f16 v18, v23, v9
	v_pk_min_f16 v20, v23, v11
	;; [unrolled: 1-line block ×9, first 2 shown]
	v_pk_add_f16 v38, v37, v18
	v_pk_add_f16 v61, v51, v20
	v_pk_add_f16 v52, v52, v21
	v_pk_add_f16 v44, v59, v22
	v_pk_add_f16 v40, v8, v9
	v_pk_add_f16 v60, v10, v11
	v_pk_add_f16 v51, v16, v17
	v_pk_add_f16 v43, v12, v13
	v_pk_add_f16 v42, v14, v15
	s_cbranch_scc1 .LBB292_38
; %bb.24:
	v_lshl_add_u32 v2, s6, 6, v2
	s_lshl_b32 s2, s25, 6
	v_mad_i64_i32 v[7:8], null, s26, v4, 0
	v_add_nc_u32_e32 v35, 0x800, v30
	v_subrev_nc_u32_e32 v2, s2, v2
	v_or_b32_e32 v37, 0x800, v29
	v_add_nc_u32_e32 v39, 0xa00, v30
	v_add_nc_u32_e32 v41, 0x400, v30
	v_lshl_add_u32 v59, v0, 3, 0xa00
	v_mad_i64_i32 v[5:6], null, s24, v2, 0
	v_mad_i64_i32 v[2:3], null, s26, v3, 0
	v_lshl_add_u32 v67, v1, 3, 0x400
	s_add_i32 s6, s14, -8
	v_lshlrev_b64 v[4:5], 1, v[5:6]
	v_lshlrev_b64 v[6:7], 1, v[7:8]
	;; [unrolled: 1-line block ×3, first 2 shown]
	v_add_co_u32 v69, s2, s18, v4
	v_add_co_ci_u32_e64 v70, null, s19, v5, s2
	v_add_co_u32 v71, s2, s20, v2
	v_add_co_ci_u32_e64 v72, null, s21, v3, s2
	;; [unrolled: 2-line block ×3, first 2 shown]
	s_branch .LBB292_26
.LBB292_25:                             ;   in Loop: Header=BB292_26 Depth=1
	s_or_b32 exec_lo, exec_lo, s3
	v_pk_max_f16 v22, v22, v22
	v_pk_max_f16 v4, v4, v4
	;; [unrolled: 1-line block ×24, first 2 shown]
	v_pk_min_f16 v84, v10, v22
	v_pk_min_f16 v85, v10, v24
	;; [unrolled: 1-line block ×64, first 2 shown]
	v_pk_add_f16 v3, v68, v96
	v_pk_add_f16 v5, v58, v97
	;; [unrolled: 1-line block ×18, first 2 shown]
	ds_read2_b64 v[2:5], v37 offset0:48 offset1:56
	ds_read2_b64 v[6:9], v28 offset1:32
	v_pk_add_f16 v64, v10, v11
	ds_read2_b64 v[10:13], v28 offset0:64 offset1:96
	v_pk_add_f16 v47, v63, v88
	v_pk_add_f16 v58, v62, v91
	;; [unrolled: 1-line block ×4, first 2 shown]
	ds_read2_b64 v[14:17], v37 offset1:8
	v_pk_add_f16 v33, v33, v78
	v_pk_add_f16 v50, v66, v79
	;; [unrolled: 1-line block ×8, first 2 shown]
	ds_read2_b64 v[18:21], v37 offset0:16 offset1:24
	v_pk_add_f16 v50, v50, v99
	v_pk_add_f16 v57, v57, v100
	s_waitcnt lgkmcnt(4)
	v_pk_max_f16 v4, v4, v4
	s_waitcnt lgkmcnt(3)
	v_pk_max_f16 v6, v6, v6
	v_pk_max_f16 v8, v8, v8
	s_waitcnt lgkmcnt(2)
	v_pk_max_f16 v10, v10, v10
	v_pk_max_f16 v12, v12, v12
	v_pk_add_f16 v31, v31, v81
	v_pk_min_f16 v22, v4, v6
	v_pk_min_f16 v23, v4, v8
	;; [unrolled: 1-line block ×3, first 2 shown]
	s_waitcnt lgkmcnt(1)
	v_pk_max_f16 v14, v14, v14
	v_pk_max_f16 v16, v16, v16
	v_pk_add_f16 v43, v43, v22
	v_pk_add_f16 v51, v51, v23
	;; [unrolled: 1-line block ×3, first 2 shown]
	v_pk_min_f16 v22, v14, v6
	v_pk_min_f16 v23, v14, v8
	;; [unrolled: 1-line block ×4, first 2 shown]
	v_pk_add_f16 v32, v32, v84
	v_pk_add_f16 v33, v33, v22
	;; [unrolled: 1-line block ×4, first 2 shown]
	ds_read2_b64 v[22:25], v37 offset0:32 offset1:40
	v_pk_add_f16 v49, v49, v102
	v_pk_add_f16 v14, v62, v14
	v_pk_min_f16 v62, v16, v8
	s_waitcnt lgkmcnt(1)
	v_pk_max_f16 v18, v18, v18
	v_pk_add_f16 v56, v56, v83
	v_pk_add_f16 v55, v55, v86
	;; [unrolled: 1-line block ×4, first 2 shown]
	v_pk_min_f16 v50, v16, v6
	v_pk_min_f16 v79, v16, v10
	;; [unrolled: 1-line block ×3, first 2 shown]
	v_pk_add_f16 v62, v49, v62
	v_pk_min_f16 v49, v18, v6
	v_pk_max_f16 v20, v20, v20
	v_pk_add_f16 v36, v36, v90
	v_pk_add_f16 v56, v56, v103
	;; [unrolled: 1-line block ×7, first 2 shown]
	v_pk_min_f16 v50, v18, v8
	v_pk_min_f16 v63, v18, v10
	v_pk_add_f16 v32, v32, v49
	v_pk_min_f16 v49, v20, v8
	s_waitcnt lgkmcnt(0)
	v_pk_max_f16 v22, v22, v22
	v_pk_add_f16 v34, v34, v87
	v_pk_add_f16 v46, v46, v110
	;; [unrolled: 1-line block ×6, first 2 shown]
	v_pk_min_f16 v48, v20, v6
	v_pk_min_f16 v50, v20, v10
	;; [unrolled: 1-line block ×3, first 2 shown]
	v_pk_add_f16 v63, v47, v49
	v_pk_min_f16 v47, v22, v6
	v_pk_add_f16 v34, v34, v107
	v_pk_add_f16 v58, v58, v112
	;; [unrolled: 1-line block ×4, first 2 shown]
	v_pk_min_f16 v46, v22, v8
	v_pk_max_f16 v24, v24, v24
	v_pk_add_f16 v36, v36, v47
	v_pk_min_f16 v47, v22, v10
	v_pk_min_f16 v22, v22, v12
	v_pk_max_f16 v2, v2, v2
	v_pk_max_f16 v5, v5, v5
	v_pk_max_f16 v7, v7, v7
	v_pk_add_f16 v54, v54, v89
	v_pk_add_f16 v40, v40, v119
	v_pk_add_f16 v42, v42, v120
	v_pk_min_f16 v18, v18, v12
	v_pk_add_f16 v34, v34, v48
	v_pk_add_f16 v80, v58, v46
	v_pk_min_f16 v46, v24, v6
	v_pk_min_f16 v48, v24, v8
	v_pk_add_f16 v22, v45, v22
	v_pk_min_f16 v45, v24, v10
	v_pk_min_f16 v24, v24, v12
	;; [unrolled: 1-line block ×6, first 2 shown]
	v_pk_max_f16 v9, v9, v9
	v_pk_min_f16 v4, v4, v12
	v_pk_max_f16 v11, v11, v11
	v_pk_min_f16 v12, v5, v7
	v_pk_add_f16 v54, v54, v109
	v_pk_add_f16 v10, v68, v10
	;; [unrolled: 1-line block ×3, first 2 shown]
	v_pk_min_f16 v40, v5, v9
	v_pk_add_f16 v4, v42, v4
	v_pk_min_f16 v42, v5, v11
	v_pk_max_f16 v15, v15, v15
	v_pk_add_f16 v68, v43, v12
	v_pk_max_f16 v12, v13, v13
	v_pk_add_f16 v61, v61, v94
	v_pk_add_f16 v54, v54, v50
	v_pk_add_f16 v58, v51, v40
	v_pk_add_f16 v50, v60, v42
	v_pk_min_f16 v13, v15, v7
	v_pk_min_f16 v40, v15, v9
	;; [unrolled: 1-line block ×4, first 2 shown]
	v_pk_max_f16 v17, v17, v17
	v_pk_add_f16 v53, v53, v92
	v_pk_add_f16 v61, v61, v116
	;; [unrolled: 1-line block ×4, first 2 shown]
	v_pk_min_f16 v13, v17, v7
	v_pk_min_f16 v14, v17, v9
	;; [unrolled: 1-line block ×4, first 2 shown]
	v_pk_max_f16 v19, v19, v19
	v_pk_add_f16 v38, v38, v93
	v_pk_add_f16 v53, v53, v113
	;; [unrolled: 1-line block ×9, first 2 shown]
	v_pk_min_f16 v13, v19, v7
	v_pk_min_f16 v14, v19, v9
	;; [unrolled: 1-line block ×4, first 2 shown]
	v_pk_max_f16 v17, v21, v21
	v_pk_add_f16 v52, v52, v95
	v_pk_add_f16 v38, v38, v115
	;; [unrolled: 1-line block ×7, first 2 shown]
	v_pk_min_f16 v13, v17, v7
	v_pk_min_f16 v14, v17, v9
	;; [unrolled: 1-line block ×4, first 2 shown]
	v_pk_max_f16 v17, v23, v23
	v_pk_add_f16 v52, v52, v117
	v_pk_add_f16 v44, v44, v118
	;; [unrolled: 1-line block ×7, first 2 shown]
	v_pk_min_f16 v13, v17, v7
	v_pk_min_f16 v14, v17, v9
	;; [unrolled: 1-line block ×4, first 2 shown]
	v_pk_max_f16 v17, v25, v25
	v_pk_max_f16 v3, v3, v3
	v_add_co_u32 v69, s2, v69, 16
	v_pk_add_f16 v52, v52, v45
	v_pk_add_f16 v24, v44, v24
	;; [unrolled: 1-line block ×7, first 2 shown]
	v_pk_min_f16 v13, v17, v7
	v_pk_min_f16 v14, v17, v9
	;; [unrolled: 1-line block ×9, first 2 shown]
	v_add_co_ci_u32_e64 v70, null, 0, v70, s2
	v_add_co_u32 v71, s2, v71, 16
	v_add_co_ci_u32_e64 v72, null, 0, v72, s2
	v_add_co_u32 v73, s2, v73, 16
	v_pk_add_f16 v66, v78, v40
	v_pk_add_f16 v57, v57, v42
	;; [unrolled: 1-line block ×11, first 2 shown]
	v_add_co_ci_u32_e64 v74, null, 0, v74, s2
	s_add_i32 s23, s23, 8
	s_waitcnt vmcnt(0)
	ds_write_b16 v39, v76
	ds_write_b16 v41, v75
	ds_write_b16 v41, v77 offset:512
	s_cmp_ge_i32 s23, s6
	s_waitcnt lgkmcnt(0)
	s_barrier
	buffer_gl0_inv
	s_cbranch_scc1 .LBB292_38
.LBB292_26:                             ; =>This Inner Loop Header: Depth=1
	v_add_nc_u32_e32 v75, s23, v26
	v_mov_b32_e32 v76, 0
	v_add_nc_u32_e32 v2, 8, v75
	v_cmp_le_i32_e64 s2, s14, v2
	s_nor_b32 s3, s2, vcc_lo
	s_and_saveexec_b32 s18, s3
	s_cbranch_execz .LBB292_28
; %bb.27:                               ;   in Loop: Header=BB292_26 Depth=1
	v_add_co_u32 v2, s3, v69, v27
	v_add_co_ci_u32_e64 v3, null, 0, v70, s3
	global_load_ushort v76, v[2:3], off offset:16
.LBB292_28:                             ;   in Loop: Header=BB292_26 Depth=1
	s_or_b32 exec_lo, exec_lo, s18
	v_mov_b32_e32 v77, 0
	v_mov_b32_e32 v78, 0
	s_nor_b32 s3, s0, s2
	s_and_saveexec_b32 s18, s3
	s_cbranch_execz .LBB292_30
; %bb.29:                               ;   in Loop: Header=BB292_26 Depth=1
	v_add_co_u32 v2, s3, v71, v27
	v_add_co_ci_u32_e64 v3, null, 0, v72, s3
	global_load_ushort v78, v[2:3], off offset:16
.LBB292_30:                             ;   in Loop: Header=BB292_26 Depth=1
	s_or_b32 exec_lo, exec_lo, s18
	s_nor_b32 s2, s1, s2
	s_and_saveexec_b32 s3, s2
	s_cbranch_execz .LBB292_32
; %bb.31:                               ;   in Loop: Header=BB292_26 Depth=1
	v_add_co_u32 v2, s2, v73, v27
	v_add_co_ci_u32_e64 v3, null, 0, v74, s2
	global_load_ushort v77, v[2:3], off offset:16
.LBB292_32:                             ;   in Loop: Header=BB292_26 Depth=1
	s_or_b32 exec_lo, exec_lo, s3
	ds_read2_b64 v[2:5], v59 offset0:48 offset1:56
	ds_read2_b64 v[18:21], v67 offset0:64 offset1:96
	ds_read2_b64 v[22:25], v67 offset1:32
	ds_read2_b64 v[14:17], v59 offset1:8
	ds_read2_b64 v[10:13], v59 offset0:16 offset1:24
	ds_read2_b64 v[6:9], v59 offset0:32 offset1:40
	v_add_nc_u32_e32 v75, 12, v75
	s_waitcnt vmcnt(0)
	ds_write_b16 v35, v76
	ds_write_b16 v30, v78
	ds_write_b16 v30, v77 offset:512
	v_mov_b32_e32 v76, 0
	s_waitcnt lgkmcnt(0)
	s_barrier
	v_cmp_le_i32_e64 s2, s14, v75
	v_mov_b32_e32 v75, 0
	buffer_gl0_inv
	s_nor_b32 s3, s2, vcc_lo
	s_and_saveexec_b32 s18, s3
	s_xor_b32 s18, exec_lo, s18
	s_cbranch_execz .LBB292_34
; %bb.33:                               ;   in Loop: Header=BB292_26 Depth=1
	v_add_co_u32 v76, s3, v69, v27
	v_add_co_ci_u32_e64 v77, null, 0, v70, s3
	global_load_ushort v76, v[76:77], off offset:24
.LBB292_34:                             ;   in Loop: Header=BB292_26 Depth=1
	s_or_b32 exec_lo, exec_lo, s18
	s_nor_b32 s3, s0, s2
	s_and_saveexec_b32 s18, s3
	s_cbranch_execz .LBB292_36
; %bb.35:                               ;   in Loop: Header=BB292_26 Depth=1
	v_add_co_u32 v77, s3, v71, v27
	v_add_co_ci_u32_e64 v78, null, 0, v72, s3
	global_load_ushort v75, v[77:78], off offset:24
.LBB292_36:                             ;   in Loop: Header=BB292_26 Depth=1
	s_or_b32 exec_lo, exec_lo, s18
	v_mov_b32_e32 v77, 0
	s_nor_b32 s2, s1, s2
	s_and_saveexec_b32 s3, s2
	s_cbranch_execz .LBB292_25
; %bb.37:                               ;   in Loop: Header=BB292_26 Depth=1
	v_add_co_u32 v77, s2, v73, v27
	v_add_co_ci_u32_e64 v78, null, 0, v74, s2
	global_load_ushort v77, v[77:78], off offset:24
	s_branch .LBB292_25
.LBB292_38:
	s_clause 0x2
	s_load_dwordx2 s[0:1], s[4:5], 0x70
	s_load_dword s18, s[4:5], 0x50
	s_load_dword s14, s[4:5], 0x68
	v_add_nc_u32_e32 v67, s9, v1
	v_add_nc_u32_e32 v10, 0x800, v29
	ds_read2_b64 v[2:5], v28 offset0:192 offset1:224
	ds_read2_b64 v[22:25], v28 offset0:128 offset1:160
	v_add_nc_u32_e32 v0, s8, v0
	ds_read2_b64 v[6:9], v10 offset0:112 offset1:120
	ds_read2_b64 v[18:21], v10 offset0:64 offset1:72
	;; [unrolled: 1-line block ×4, first 2 shown]
	v_cmp_gt_i32_e64 s8, s13, v67
	v_ashrrev_i32_e32 v1, 31, v0
	v_cndmask_b32_e64 v59, 0, 1, s22
	s_waitcnt lgkmcnt(0)
	s_mul_i32 s1, s1, s7
	v_mad_i64_i32 v[26:27], null, v67, s18, 0
	v_mad_i64_i32 v[28:29], null, v67, s14, 0
	s_mul_hi_u32 s2, s0, s7
	s_mul_i32 s0, s0, s7
	s_add_i32 s1, s2, s1
	s_lshl_b64 s[2:3], s[0:1], 1
	v_lshlrev_b64 v[26:27], 1, v[26:27]
	v_lshlrev_b64 v[28:29], 1, v[28:29]
	s_add_u32 s9, s10, s2
	v_cmp_gt_i32_e64 s0, s12, v0
	s_addc_u32 s10, s11, s3
	v_add_co_u32 v71, vcc_lo, s16, v26
	v_add_co_ci_u32_e64 v72, null, s17, v27, vcc_lo
	v_add_co_u32 v69, vcc_lo, s9, v28
	v_add_co_ci_u32_e64 v70, null, s10, v29, vcc_lo
	s_and_b32 s1, s0, s8
	s_and_saveexec_b32 s2, s1
	s_xor_b32 s1, exec_lo, s2
	s_cbranch_execz .LBB292_44
; %bb.39:
	v_lshlrev_b64 v[26:27], 1, v[0:1]
	s_andn2_b32 vcc_lo, exec_lo, s22
	s_cbranch_vccnz .LBB292_42
; %bb.40:
	v_add_co_u32 v28, vcc_lo, v71, v26
	v_add_co_ci_u32_e64 v29, null, v72, v27, vcc_lo
	global_load_ushort v28, v[28:29], off
	s_waitcnt vmcnt(0)
	v_mul_f16_e32 v28, s15, v28
	s_branch .LBB292_43
.LBB292_41:
	s_mov_b64 s[18:19], 0
	s_andn2_b32 vcc_lo, exec_lo, s8
	s_mov_b32 s0, -1
	s_cbranch_vccz .LBB292_2
	s_branch .LBB292_3
.LBB292_42:
	v_mov_b32_e32 v28, 0
.LBB292_43:
	v_pk_max_f16 v29, v22, v22
	v_pk_max_f16 v30, v18, v18
	;; [unrolled: 1-line block ×4, first 2 shown]
	v_add_co_u32 v26, vcc_lo, v69, v26
	v_pk_min_f16 v29, v30, v29
	v_add_co_ci_u32_e64 v27, null, v70, v27, vcc_lo
	v_pk_min_f16 v30, v37, v35
	v_pk_add_f16 v29, v33, v29
	v_pk_add_f16 v29, v29, v30
	v_add_f16_sdwa v29, v29, v29 dst_sel:DWORD dst_unused:UNUSED_PAD src0_sel:DWORD src1_sel:WORD_1
	v_add_f16_e32 v28, v29, v28
	global_store_short v[26:27], v28, off
.LBB292_44:
	s_or_b32 exec_lo, exec_lo, s1
	v_add_nc_u32_e32 v26, 8, v0
	v_cmp_gt_i32_e64 s1, s12, v26
	v_ashrrev_i32_e32 v27, 31, v26
	s_and_b32 s3, s1, s8
	s_and_saveexec_b32 s2, s3
	s_cbranch_execz .LBB292_49
; %bb.45:
	v_cmp_ne_u32_e32 vcc_lo, 1, v59
	v_lshlrev_b64 v[28:29], 1, v[26:27]
	s_cbranch_vccnz .LBB292_47
; %bb.46:
	v_add_co_u32 v73, vcc_lo, v71, v28
	v_add_co_ci_u32_e64 v74, null, v72, v29, vcc_lo
	global_load_ushort v30, v[73:74], off
	s_waitcnt vmcnt(0)
	v_mul_f16_e32 v30, s15, v30
	s_branch .LBB292_48
.LBB292_47:
	v_mov_b32_e32 v30, 0
.LBB292_48:
	v_pk_max_f16 v33, v22, v22
	v_pk_max_f16 v35, v20, v20
	v_pk_max_f16 v37, v23, v23
	v_pk_max_f16 v39, v21, v21
	v_add_co_u32 v28, vcc_lo, v69, v28
	v_pk_min_f16 v33, v35, v33
	v_add_co_ci_u32_e64 v29, null, v70, v29, vcc_lo
	v_pk_min_f16 v35, v39, v37
	v_pk_add_f16 v31, v31, v33
	v_pk_add_f16 v31, v31, v35
	v_add_f16_sdwa v31, v31, v31 dst_sel:DWORD dst_unused:UNUSED_PAD src0_sel:DWORD src1_sel:WORD_1
	v_add_f16_e32 v30, v31, v30
	global_store_short v[28:29], v30, off
.LBB292_49:
	s_or_b32 exec_lo, exec_lo, s2
	v_add_nc_u32_e32 v28, 16, v0
	v_cmp_gt_i32_e64 s2, s12, v28
	v_ashrrev_i32_e32 v29, 31, v28
	s_and_b32 s4, s2, s8
	s_and_saveexec_b32 s3, s4
	s_cbranch_execz .LBB292_54
; %bb.50:
	v_cmp_ne_u32_e32 vcc_lo, 1, v59
	v_lshlrev_b64 v[30:31], 1, v[28:29]
	s_cbranch_vccnz .LBB292_52
; %bb.51:
	v_add_co_u32 v73, vcc_lo, v71, v30
	v_add_co_ci_u32_e64 v74, null, v72, v31, vcc_lo
	global_load_ushort v33, v[73:74], off
	s_waitcnt vmcnt(0)
	v_mul_f16_e32 v33, s15, v33
	s_branch .LBB292_53
.LBB292_52:
	v_mov_b32_e32 v33, 0
.LBB292_53:
	v_pk_max_f16 v35, v22, v22
	v_pk_max_f16 v37, v14, v14
	v_pk_max_f16 v39, v23, v23
	v_pk_max_f16 v41, v15, v15
	v_add_co_u32 v30, vcc_lo, v69, v30
	v_pk_min_f16 v35, v37, v35
	v_add_co_ci_u32_e64 v31, null, v70, v31, vcc_lo
	v_pk_min_f16 v37, v41, v39
	v_pk_add_f16 v32, v32, v35
	v_pk_add_f16 v32, v32, v37
	v_add_f16_sdwa v32, v32, v32 dst_sel:DWORD dst_unused:UNUSED_PAD src0_sel:DWORD src1_sel:WORD_1
	v_add_f16_e32 v32, v32, v33
	global_store_short v[30:31], v32, off
.LBB292_54:
	;; [unrolled: 35-line block ×6, first 2 shown]
	s_or_b32 exec_lo, exec_lo, s7
	v_add_nc_u32_e32 v38, 56, v0
	v_cmp_gt_i32_e64 s7, s12, v38
	v_ashrrev_i32_e32 v39, 31, v38
	s_and_b32 s11, s7, s8
	s_and_saveexec_b32 s8, s11
	s_cbranch_execz .LBB292_79
; %bb.75:
	v_cmp_ne_u32_e32 vcc_lo, 1, v59
	v_lshlrev_b64 v[40:41], 1, v[38:39]
	s_cbranch_vccnz .LBB292_77
; %bb.76:
	v_add_co_u32 v71, vcc_lo, v71, v40
	v_add_co_ci_u32_e64 v72, null, v72, v41, vcc_lo
	global_load_ushort v71, v[71:72], off
	s_waitcnt vmcnt(0)
	v_mul_f16_e32 v71, s15, v71
	s_branch .LBB292_78
.LBB292_77:
	v_mov_b32_e32 v71, 0
.LBB292_78:
	v_pk_max_f16 v22, v22, v22
	v_pk_max_f16 v72, v8, v8
	;; [unrolled: 1-line block ×4, first 2 shown]
	v_pk_min_f16 v22, v72, v22
	v_pk_min_f16 v23, v73, v23
	v_pk_add_f16 v22, v68, v22
	v_pk_add_f16 v22, v22, v23
	v_add_f16_sdwa v22, v22, v22 dst_sel:DWORD dst_unused:UNUSED_PAD src0_sel:DWORD src1_sel:WORD_1
	v_add_f16_e32 v68, v22, v71
	v_add_co_u32 v22, vcc_lo, v69, v40
	v_add_co_ci_u32_e64 v23, null, v70, v41, vcc_lo
	global_store_short v[22:23], v68, off
.LBB292_79:
	s_or_b32 exec_lo, exec_lo, s8
	v_add_nc_u32_e32 v68, 32, v67
	v_mad_i64_i32 v[22:23], null, v68, s18, 0
	v_mad_i64_i32 v[40:41], null, v68, s14, 0
	v_cmp_gt_i32_e64 s8, s13, v68
	v_lshlrev_b64 v[22:23], 1, v[22:23]
	s_and_b32 s12, s0, s8
	v_lshlrev_b64 v[40:41], 1, v[40:41]
	v_add_co_u32 v68, vcc_lo, s16, v22
	v_add_co_ci_u32_e64 v69, null, s17, v23, vcc_lo
	v_add_co_u32 v40, vcc_lo, s9, v40
	v_add_co_ci_u32_e64 v41, null, s10, v41, vcc_lo
	s_and_saveexec_b32 s11, s12
	s_cbranch_execnz .LBB292_87
; %bb.80:
	s_or_b32 exec_lo, exec_lo, s11
	s_and_b32 s12, s1, s8
	s_and_saveexec_b32 s11, s12
	s_cbranch_execnz .LBB292_91
.LBB292_81:
	s_or_b32 exec_lo, exec_lo, s11
	s_and_b32 s12, s2, s8
	s_and_saveexec_b32 s11, s12
	s_cbranch_execnz .LBB292_95
.LBB292_82:
	s_or_b32 exec_lo, exec_lo, s11
	s_and_b32 s12, s3, s8
	s_and_saveexec_b32 s11, s12
	s_cbranch_execnz .LBB292_99
.LBB292_83:
	s_or_b32 exec_lo, exec_lo, s11
	s_and_b32 s12, s4, s8
	s_and_saveexec_b32 s11, s12
	s_cbranch_execnz .LBB292_103
.LBB292_84:
	s_or_b32 exec_lo, exec_lo, s11
	s_and_b32 s12, s5, s8
	s_and_saveexec_b32 s11, s12
	s_cbranch_execnz .LBB292_107
.LBB292_85:
	s_or_b32 exec_lo, exec_lo, s11
	s_and_b32 s12, s6, s8
	s_and_saveexec_b32 s11, s12
	s_cbranch_execnz .LBB292_111
.LBB292_86:
	s_or_b32 exec_lo, exec_lo, s11
	s_and_b32 s11, s7, s8
	s_and_saveexec_b32 s8, s11
	s_cbranch_execnz .LBB292_115
	s_branch .LBB292_119
.LBB292_87:
	v_cmp_ne_u32_e32 vcc_lo, 1, v59
	v_lshlrev_b64 v[22:23], 1, v[0:1]
	s_cbranch_vccnz .LBB292_89
; %bb.88:
	v_add_co_u32 v70, vcc_lo, v68, v22
	v_add_co_ci_u32_e64 v71, null, v69, v23, vcc_lo
	global_load_ushort v70, v[70:71], off
	s_waitcnt vmcnt(0)
	v_mul_f16_e32 v70, s15, v70
	s_branch .LBB292_90
.LBB292_89:
	v_mov_b32_e32 v70, 0
.LBB292_90:
	v_pk_max_f16 v71, v24, v24
	v_pk_max_f16 v72, v18, v18
	;; [unrolled: 1-line block ×4, first 2 shown]
	v_add_co_u32 v22, vcc_lo, v40, v22
	v_pk_min_f16 v71, v72, v71
	v_add_co_ci_u32_e64 v23, null, v41, v23, vcc_lo
	v_pk_min_f16 v72, v74, v73
	v_pk_add_f16 v66, v66, v71
	v_pk_add_f16 v66, v66, v72
	v_add_f16_sdwa v66, v66, v66 dst_sel:DWORD dst_unused:UNUSED_PAD src0_sel:DWORD src1_sel:WORD_1
	v_add_f16_e32 v66, v66, v70
	global_store_short v[22:23], v66, off
	s_or_b32 exec_lo, exec_lo, s11
	s_and_b32 s12, s1, s8
	s_and_saveexec_b32 s11, s12
	s_cbranch_execz .LBB292_81
.LBB292_91:
	v_cmp_ne_u32_e32 vcc_lo, 1, v59
	v_lshlrev_b64 v[22:23], 1, v[26:27]
	s_cbranch_vccnz .LBB292_93
; %bb.92:
	v_add_co_u32 v70, vcc_lo, v68, v22
	v_add_co_ci_u32_e64 v71, null, v69, v23, vcc_lo
	global_load_ushort v66, v[70:71], off
	s_waitcnt vmcnt(0)
	v_mul_f16_e32 v66, s15, v66
	s_branch .LBB292_94
.LBB292_93:
	v_mov_b32_e32 v66, 0
.LBB292_94:
	v_pk_max_f16 v70, v24, v24
	v_pk_max_f16 v71, v20, v20
	;; [unrolled: 1-line block ×4, first 2 shown]
	v_add_co_u32 v22, vcc_lo, v40, v22
	v_pk_min_f16 v70, v71, v70
	v_add_co_ci_u32_e64 v23, null, v41, v23, vcc_lo
	v_pk_min_f16 v71, v73, v72
	v_pk_add_f16 v65, v65, v70
	v_pk_add_f16 v65, v65, v71
	v_add_f16_sdwa v65, v65, v65 dst_sel:DWORD dst_unused:UNUSED_PAD src0_sel:DWORD src1_sel:WORD_1
	v_add_f16_e32 v65, v65, v66
	global_store_short v[22:23], v65, off
	s_or_b32 exec_lo, exec_lo, s11
	s_and_b32 s12, s2, s8
	s_and_saveexec_b32 s11, s12
	s_cbranch_execz .LBB292_82
.LBB292_95:
	v_cmp_ne_u32_e32 vcc_lo, 1, v59
	v_lshlrev_b64 v[22:23], 1, v[28:29]
	s_cbranch_vccnz .LBB292_97
; %bb.96:
	v_add_co_u32 v65, vcc_lo, v68, v22
	v_add_co_ci_u32_e64 v66, null, v69, v23, vcc_lo
	global_load_ushort v65, v[65:66], off
	s_waitcnt vmcnt(0)
	v_mul_f16_e32 v65, s15, v65
	s_branch .LBB292_98
.LBB292_97:
	v_mov_b32_e32 v65, 0
.LBB292_98:
	v_pk_max_f16 v66, v24, v24
	v_pk_max_f16 v70, v14, v14
	;; [unrolled: 1-line block ×4, first 2 shown]
	v_add_co_u32 v22, vcc_lo, v40, v22
	v_pk_min_f16 v66, v70, v66
	v_add_co_ci_u32_e64 v23, null, v41, v23, vcc_lo
	v_pk_min_f16 v70, v72, v71
	v_pk_add_f16 v64, v64, v66
	v_pk_add_f16 v64, v64, v70
	v_add_f16_sdwa v64, v64, v64 dst_sel:DWORD dst_unused:UNUSED_PAD src0_sel:DWORD src1_sel:WORD_1
	v_add_f16_e32 v64, v64, v65
	global_store_short v[22:23], v64, off
	s_or_b32 exec_lo, exec_lo, s11
	s_and_b32 s12, s3, s8
	s_and_saveexec_b32 s11, s12
	s_cbranch_execz .LBB292_83
.LBB292_99:
	v_cmp_ne_u32_e32 vcc_lo, 1, v59
	v_lshlrev_b64 v[22:23], 1, v[30:31]
	s_cbranch_vccnz .LBB292_101
; %bb.100:
	v_add_co_u32 v64, vcc_lo, v68, v22
	v_add_co_ci_u32_e64 v65, null, v69, v23, vcc_lo
	global_load_ushort v64, v[64:65], off
	s_waitcnt vmcnt(0)
	v_mul_f16_e32 v64, s15, v64
	s_branch .LBB292_102
.LBB292_101:
	v_mov_b32_e32 v64, 0
.LBB292_102:
	v_pk_max_f16 v65, v24, v24
	v_pk_max_f16 v66, v16, v16
	v_pk_max_f16 v70, v25, v25
	v_pk_max_f16 v71, v17, v17
	v_add_co_u32 v22, vcc_lo, v40, v22
	v_pk_min_f16 v65, v66, v65
	v_add_co_ci_u32_e64 v23, null, v41, v23, vcc_lo
	v_pk_min_f16 v66, v71, v70
	v_pk_add_f16 v63, v63, v65
	v_pk_add_f16 v63, v63, v66
	v_add_f16_sdwa v63, v63, v63 dst_sel:DWORD dst_unused:UNUSED_PAD src0_sel:DWORD src1_sel:WORD_1
	v_add_f16_e32 v63, v63, v64
	global_store_short v[22:23], v63, off
	s_or_b32 exec_lo, exec_lo, s11
	s_and_b32 s12, s4, s8
	s_and_saveexec_b32 s11, s12
	s_cbranch_execz .LBB292_84
.LBB292_103:
	v_cmp_ne_u32_e32 vcc_lo, 1, v59
	v_lshlrev_b64 v[22:23], 1, v[32:33]
	s_cbranch_vccnz .LBB292_105
; %bb.104:
	v_add_co_u32 v63, vcc_lo, v68, v22
	v_add_co_ci_u32_e64 v64, null, v69, v23, vcc_lo
	global_load_ushort v63, v[63:64], off
	s_waitcnt vmcnt(0)
	v_mul_f16_e32 v63, s15, v63
	s_branch .LBB292_106
.LBB292_105:
	v_mov_b32_e32 v63, 0
.LBB292_106:
	v_pk_max_f16 v64, v24, v24
	v_pk_max_f16 v65, v10, v10
	;; [unrolled: 1-line block ×4, first 2 shown]
	v_add_co_u32 v22, vcc_lo, v40, v22
	v_pk_min_f16 v64, v65, v64
	v_add_co_ci_u32_e64 v23, null, v41, v23, vcc_lo
	v_pk_min_f16 v65, v70, v66
	v_pk_add_f16 v62, v62, v64
	v_pk_add_f16 v62, v62, v65
	v_add_f16_sdwa v62, v62, v62 dst_sel:DWORD dst_unused:UNUSED_PAD src0_sel:DWORD src1_sel:WORD_1
	v_add_f16_e32 v62, v62, v63
	global_store_short v[22:23], v62, off
	s_or_b32 exec_lo, exec_lo, s11
	s_and_b32 s12, s5, s8
	s_and_saveexec_b32 s11, s12
	s_cbranch_execz .LBB292_85
.LBB292_107:
	v_cmp_ne_u32_e32 vcc_lo, 1, v59
	v_lshlrev_b64 v[22:23], 1, v[34:35]
	s_cbranch_vccnz .LBB292_109
; %bb.108:
	v_add_co_u32 v62, vcc_lo, v68, v22
	v_add_co_ci_u32_e64 v63, null, v69, v23, vcc_lo
	global_load_ushort v62, v[62:63], off
	s_waitcnt vmcnt(0)
	v_mul_f16_e32 v62, s15, v62
	s_branch .LBB292_110
.LBB292_109:
	v_mov_b32_e32 v62, 0
.LBB292_110:
	v_pk_max_f16 v63, v24, v24
	v_pk_max_f16 v64, v12, v12
	;; [unrolled: 1-line block ×4, first 2 shown]
	v_add_co_u32 v22, vcc_lo, v40, v22
	v_pk_min_f16 v63, v64, v63
	v_add_co_ci_u32_e64 v23, null, v41, v23, vcc_lo
	v_pk_min_f16 v64, v66, v65
	v_pk_add_f16 v61, v61, v63
	v_pk_add_f16 v61, v61, v64
	v_add_f16_sdwa v61, v61, v61 dst_sel:DWORD dst_unused:UNUSED_PAD src0_sel:DWORD src1_sel:WORD_1
	v_add_f16_e32 v61, v61, v62
	global_store_short v[22:23], v61, off
	s_or_b32 exec_lo, exec_lo, s11
	s_and_b32 s12, s6, s8
	s_and_saveexec_b32 s11, s12
	s_cbranch_execz .LBB292_86
.LBB292_111:
	v_cmp_ne_u32_e32 vcc_lo, 1, v59
	v_lshlrev_b64 v[22:23], 1, v[36:37]
	s_cbranch_vccnz .LBB292_113
; %bb.112:
	v_add_co_u32 v61, vcc_lo, v68, v22
	v_add_co_ci_u32_e64 v62, null, v69, v23, vcc_lo
	global_load_ushort v61, v[61:62], off
	s_waitcnt vmcnt(0)
	v_mul_f16_e32 v61, s15, v61
	s_branch .LBB292_114
.LBB292_113:
	v_mov_b32_e32 v61, 0
.LBB292_114:
	v_pk_max_f16 v62, v24, v24
	v_pk_max_f16 v63, v6, v6
	;; [unrolled: 1-line block ×4, first 2 shown]
	v_add_co_u32 v22, vcc_lo, v40, v22
	v_pk_min_f16 v62, v63, v62
	v_add_co_ci_u32_e64 v23, null, v41, v23, vcc_lo
	v_pk_min_f16 v63, v65, v64
	v_pk_add_f16 v60, v60, v62
	v_pk_add_f16 v60, v60, v63
	v_add_f16_sdwa v60, v60, v60 dst_sel:DWORD dst_unused:UNUSED_PAD src0_sel:DWORD src1_sel:WORD_1
	v_add_f16_e32 v60, v60, v61
	global_store_short v[22:23], v60, off
	s_or_b32 exec_lo, exec_lo, s11
	s_and_b32 s11, s7, s8
	s_and_saveexec_b32 s8, s11
	s_cbranch_execz .LBB292_119
.LBB292_115:
	v_cmp_ne_u32_e32 vcc_lo, 1, v59
	v_lshlrev_b64 v[22:23], 1, v[38:39]
	s_cbranch_vccnz .LBB292_117
; %bb.116:
	v_add_co_u32 v60, vcc_lo, v68, v22
	v_add_co_ci_u32_e64 v61, null, v69, v23, vcc_lo
	global_load_ushort v60, v[60:61], off
	s_waitcnt vmcnt(0)
	v_mul_f16_e32 v60, s15, v60
	s_branch .LBB292_118
.LBB292_117:
	v_mov_b32_e32 v60, 0
.LBB292_118:
	v_pk_max_f16 v24, v24, v24
	v_pk_max_f16 v61, v8, v8
	v_pk_max_f16 v25, v25, v25
	v_pk_max_f16 v62, v9, v9
	v_add_co_u32 v22, vcc_lo, v40, v22
	v_pk_min_f16 v24, v61, v24
	v_add_co_ci_u32_e64 v23, null, v41, v23, vcc_lo
	v_pk_min_f16 v25, v62, v25
	v_pk_add_f16 v24, v58, v24
	v_pk_add_f16 v24, v24, v25
	v_add_f16_sdwa v24, v24, v24 dst_sel:DWORD dst_unused:UNUSED_PAD src0_sel:DWORD src1_sel:WORD_1
	v_add_f16_e32 v24, v24, v60
	global_store_short v[22:23], v24, off
.LBB292_119:
	s_or_b32 exec_lo, exec_lo, s8
	v_add_nc_u32_e32 v40, 64, v67
	v_mad_i64_i32 v[22:23], null, v40, s18, 0
	v_mad_i64_i32 v[24:25], null, v40, s14, 0
	v_cmp_gt_i32_e64 s8, s13, v40
	v_lshlrev_b64 v[22:23], 1, v[22:23]
	s_and_b32 s12, s0, s8
	v_lshlrev_b64 v[24:25], 1, v[24:25]
	v_add_co_u32 v40, vcc_lo, s16, v22
	v_add_co_ci_u32_e64 v41, null, s17, v23, vcc_lo
	v_add_co_u32 v24, vcc_lo, s9, v24
	v_add_co_ci_u32_e64 v25, null, s10, v25, vcc_lo
	s_and_saveexec_b32 s11, s12
	s_cbranch_execnz .LBB292_127
; %bb.120:
	s_or_b32 exec_lo, exec_lo, s11
	s_and_b32 s12, s1, s8
	s_and_saveexec_b32 s11, s12
	s_cbranch_execnz .LBB292_131
.LBB292_121:
	s_or_b32 exec_lo, exec_lo, s11
	s_and_b32 s12, s2, s8
	s_and_saveexec_b32 s11, s12
	s_cbranch_execnz .LBB292_135
.LBB292_122:
	s_or_b32 exec_lo, exec_lo, s11
	s_and_b32 s12, s3, s8
	s_and_saveexec_b32 s11, s12
	s_cbranch_execnz .LBB292_139
.LBB292_123:
	s_or_b32 exec_lo, exec_lo, s11
	s_and_b32 s12, s4, s8
	s_and_saveexec_b32 s11, s12
	s_cbranch_execnz .LBB292_143
.LBB292_124:
	s_or_b32 exec_lo, exec_lo, s11
	s_and_b32 s12, s5, s8
	s_and_saveexec_b32 s11, s12
	s_cbranch_execnz .LBB292_147
.LBB292_125:
	s_or_b32 exec_lo, exec_lo, s11
	s_and_b32 s12, s6, s8
	s_and_saveexec_b32 s11, s12
	s_cbranch_execnz .LBB292_151
.LBB292_126:
	s_or_b32 exec_lo, exec_lo, s11
	s_and_b32 s11, s7, s8
	s_and_saveexec_b32 s8, s11
	s_cbranch_execnz .LBB292_155
	s_branch .LBB292_159
.LBB292_127:
	v_cmp_ne_u32_e32 vcc_lo, 1, v59
	v_lshlrev_b64 v[22:23], 1, v[0:1]
	s_cbranch_vccnz .LBB292_129
; %bb.128:
	v_add_co_u32 v60, vcc_lo, v40, v22
	v_add_co_ci_u32_e64 v61, null, v41, v23, vcc_lo
	global_load_ushort v58, v[60:61], off
	s_waitcnt vmcnt(0)
	v_mul_f16_e32 v58, s15, v58
	s_branch .LBB292_130
.LBB292_129:
	v_mov_b32_e32 v58, 0
.LBB292_130:
	v_pk_max_f16 v60, v2, v2
	v_pk_max_f16 v61, v18, v18
	;; [unrolled: 1-line block ×4, first 2 shown]
	v_add_co_u32 v22, vcc_lo, v24, v22
	v_pk_min_f16 v60, v61, v60
	v_add_co_ci_u32_e64 v23, null, v25, v23, vcc_lo
	v_pk_min_f16 v61, v63, v62
	v_pk_add_f16 v57, v57, v60
	v_pk_add_f16 v57, v57, v61
	v_add_f16_sdwa v57, v57, v57 dst_sel:DWORD dst_unused:UNUSED_PAD src0_sel:DWORD src1_sel:WORD_1
	v_add_f16_e32 v57, v57, v58
	global_store_short v[22:23], v57, off
	s_or_b32 exec_lo, exec_lo, s11
	s_and_b32 s12, s1, s8
	s_and_saveexec_b32 s11, s12
	s_cbranch_execz .LBB292_121
.LBB292_131:
	v_cmp_ne_u32_e32 vcc_lo, 1, v59
	v_lshlrev_b64 v[22:23], 1, v[26:27]
	s_cbranch_vccnz .LBB292_133
; %bb.132:
	v_add_co_u32 v57, vcc_lo, v40, v22
	v_add_co_ci_u32_e64 v58, null, v41, v23, vcc_lo
	global_load_ushort v57, v[57:58], off
	s_waitcnt vmcnt(0)
	v_mul_f16_e32 v57, s15, v57
	s_branch .LBB292_134
.LBB292_133:
	v_mov_b32_e32 v57, 0
.LBB292_134:
	v_pk_max_f16 v58, v2, v2
	v_pk_max_f16 v60, v20, v20
	;; [unrolled: 1-line block ×4, first 2 shown]
	v_add_co_u32 v22, vcc_lo, v24, v22
	v_pk_min_f16 v58, v60, v58
	v_add_co_ci_u32_e64 v23, null, v25, v23, vcc_lo
	v_pk_min_f16 v60, v62, v61
	v_pk_add_f16 v56, v56, v58
	v_pk_add_f16 v56, v56, v60
	v_add_f16_sdwa v56, v56, v56 dst_sel:DWORD dst_unused:UNUSED_PAD src0_sel:DWORD src1_sel:WORD_1
	v_add_f16_e32 v56, v56, v57
	global_store_short v[22:23], v56, off
	s_or_b32 exec_lo, exec_lo, s11
	s_and_b32 s12, s2, s8
	s_and_saveexec_b32 s11, s12
	s_cbranch_execz .LBB292_122
.LBB292_135:
	v_cmp_ne_u32_e32 vcc_lo, 1, v59
	v_lshlrev_b64 v[22:23], 1, v[28:29]
	s_cbranch_vccnz .LBB292_137
; %bb.136:
	v_add_co_u32 v56, vcc_lo, v40, v22
	v_add_co_ci_u32_e64 v57, null, v41, v23, vcc_lo
	global_load_ushort v56, v[56:57], off
	s_waitcnt vmcnt(0)
	v_mul_f16_e32 v56, s15, v56
	s_branch .LBB292_138
.LBB292_137:
	v_mov_b32_e32 v56, 0
.LBB292_138:
	v_pk_max_f16 v57, v2, v2
	v_pk_max_f16 v58, v14, v14
	;; [unrolled: 1-line block ×4, first 2 shown]
	v_add_co_u32 v22, vcc_lo, v24, v22
	v_pk_min_f16 v57, v58, v57
	v_add_co_ci_u32_e64 v23, null, v25, v23, vcc_lo
	v_pk_min_f16 v58, v61, v60
	v_pk_add_f16 v55, v55, v57
	v_pk_add_f16 v55, v55, v58
	v_add_f16_sdwa v55, v55, v55 dst_sel:DWORD dst_unused:UNUSED_PAD src0_sel:DWORD src1_sel:WORD_1
	v_add_f16_e32 v55, v55, v56
	global_store_short v[22:23], v55, off
	s_or_b32 exec_lo, exec_lo, s11
	s_and_b32 s12, s3, s8
	s_and_saveexec_b32 s11, s12
	s_cbranch_execz .LBB292_123
.LBB292_139:
	v_cmp_ne_u32_e32 vcc_lo, 1, v59
	v_lshlrev_b64 v[22:23], 1, v[30:31]
	s_cbranch_vccnz .LBB292_141
; %bb.140:
	v_add_co_u32 v55, vcc_lo, v40, v22
	v_add_co_ci_u32_e64 v56, null, v41, v23, vcc_lo
	global_load_ushort v55, v[55:56], off
	s_waitcnt vmcnt(0)
	v_mul_f16_e32 v55, s15, v55
	s_branch .LBB292_142
.LBB292_141:
	v_mov_b32_e32 v55, 0
.LBB292_142:
	v_pk_max_f16 v56, v2, v2
	v_pk_max_f16 v57, v16, v16
	;; [unrolled: 1-line block ×4, first 2 shown]
	v_add_co_u32 v22, vcc_lo, v24, v22
	v_pk_min_f16 v56, v57, v56
	v_add_co_ci_u32_e64 v23, null, v25, v23, vcc_lo
	v_pk_min_f16 v57, v60, v58
	v_pk_add_f16 v54, v54, v56
	v_pk_add_f16 v54, v54, v57
	v_add_f16_sdwa v54, v54, v54 dst_sel:DWORD dst_unused:UNUSED_PAD src0_sel:DWORD src1_sel:WORD_1
	v_add_f16_e32 v54, v54, v55
	global_store_short v[22:23], v54, off
	s_or_b32 exec_lo, exec_lo, s11
	s_and_b32 s12, s4, s8
	s_and_saveexec_b32 s11, s12
	s_cbranch_execz .LBB292_124
.LBB292_143:
	v_cmp_ne_u32_e32 vcc_lo, 1, v59
	v_lshlrev_b64 v[22:23], 1, v[32:33]
	s_cbranch_vccnz .LBB292_145
; %bb.144:
	v_add_co_u32 v54, vcc_lo, v40, v22
	v_add_co_ci_u32_e64 v55, null, v41, v23, vcc_lo
	global_load_ushort v54, v[54:55], off
	s_waitcnt vmcnt(0)
	v_mul_f16_e32 v54, s15, v54
	s_branch .LBB292_146
.LBB292_145:
	v_mov_b32_e32 v54, 0
.LBB292_146:
	v_pk_max_f16 v55, v2, v2
	v_pk_max_f16 v56, v10, v10
	;; [unrolled: 1-line block ×4, first 2 shown]
	v_add_co_u32 v22, vcc_lo, v24, v22
	v_pk_min_f16 v55, v56, v55
	v_add_co_ci_u32_e64 v23, null, v25, v23, vcc_lo
	v_pk_min_f16 v56, v58, v57
	v_pk_add_f16 v53, v53, v55
	v_pk_add_f16 v53, v53, v56
	v_add_f16_sdwa v53, v53, v53 dst_sel:DWORD dst_unused:UNUSED_PAD src0_sel:DWORD src1_sel:WORD_1
	v_add_f16_e32 v53, v53, v54
	global_store_short v[22:23], v53, off
	s_or_b32 exec_lo, exec_lo, s11
	s_and_b32 s12, s5, s8
	s_and_saveexec_b32 s11, s12
	s_cbranch_execz .LBB292_125
.LBB292_147:
	v_cmp_ne_u32_e32 vcc_lo, 1, v59
	v_lshlrev_b64 v[22:23], 1, v[34:35]
	s_cbranch_vccnz .LBB292_149
; %bb.148:
	v_add_co_u32 v53, vcc_lo, v40, v22
	v_add_co_ci_u32_e64 v54, null, v41, v23, vcc_lo
	global_load_ushort v53, v[53:54], off
	s_waitcnt vmcnt(0)
	v_mul_f16_e32 v53, s15, v53
	s_branch .LBB292_150
.LBB292_149:
	v_mov_b32_e32 v53, 0
.LBB292_150:
	v_pk_max_f16 v54, v2, v2
	v_pk_max_f16 v55, v12, v12
	;; [unrolled: 1-line block ×4, first 2 shown]
	v_add_co_u32 v22, vcc_lo, v24, v22
	v_pk_min_f16 v54, v55, v54
	v_add_co_ci_u32_e64 v23, null, v25, v23, vcc_lo
	v_pk_min_f16 v55, v57, v56
	v_pk_add_f16 v52, v52, v54
	v_pk_add_f16 v52, v52, v55
	v_add_f16_sdwa v52, v52, v52 dst_sel:DWORD dst_unused:UNUSED_PAD src0_sel:DWORD src1_sel:WORD_1
	v_add_f16_e32 v52, v52, v53
	global_store_short v[22:23], v52, off
	s_or_b32 exec_lo, exec_lo, s11
	s_and_b32 s12, s6, s8
	s_and_saveexec_b32 s11, s12
	s_cbranch_execz .LBB292_126
.LBB292_151:
	v_cmp_ne_u32_e32 vcc_lo, 1, v59
	v_lshlrev_b64 v[22:23], 1, v[36:37]
	s_cbranch_vccnz .LBB292_153
; %bb.152:
	v_add_co_u32 v52, vcc_lo, v40, v22
	v_add_co_ci_u32_e64 v53, null, v41, v23, vcc_lo
	global_load_ushort v52, v[52:53], off
	s_waitcnt vmcnt(0)
	v_mul_f16_e32 v52, s15, v52
	s_branch .LBB292_154
.LBB292_153:
	v_mov_b32_e32 v52, 0
.LBB292_154:
	v_pk_max_f16 v53, v2, v2
	v_pk_max_f16 v54, v6, v6
	;; [unrolled: 1-line block ×4, first 2 shown]
	v_add_co_u32 v22, vcc_lo, v24, v22
	v_pk_min_f16 v53, v54, v53
	v_add_co_ci_u32_e64 v23, null, v25, v23, vcc_lo
	v_pk_min_f16 v54, v56, v55
	v_pk_add_f16 v51, v51, v53
	v_pk_add_f16 v51, v51, v54
	v_add_f16_sdwa v51, v51, v51 dst_sel:DWORD dst_unused:UNUSED_PAD src0_sel:DWORD src1_sel:WORD_1
	v_add_f16_e32 v51, v51, v52
	global_store_short v[22:23], v51, off
	s_or_b32 exec_lo, exec_lo, s11
	s_and_b32 s11, s7, s8
	s_and_saveexec_b32 s8, s11
	s_cbranch_execz .LBB292_159
.LBB292_155:
	v_cmp_ne_u32_e32 vcc_lo, 1, v59
	v_lshlrev_b64 v[22:23], 1, v[38:39]
	s_cbranch_vccnz .LBB292_157
; %bb.156:
	v_add_co_u32 v40, vcc_lo, v40, v22
	v_add_co_ci_u32_e64 v41, null, v41, v23, vcc_lo
	global_load_ushort v40, v[40:41], off
	s_waitcnt vmcnt(0)
	v_mul_f16_e32 v40, s15, v40
	s_branch .LBB292_158
.LBB292_157:
	v_mov_b32_e32 v40, 0
.LBB292_158:
	v_pk_max_f16 v2, v2, v2
	v_pk_max_f16 v41, v8, v8
	;; [unrolled: 1-line block ×4, first 2 shown]
	v_pk_min_f16 v2, v41, v2
	v_pk_min_f16 v3, v51, v3
	v_pk_add_f16 v2, v50, v2
	v_pk_add_f16 v2, v2, v3
	v_add_f16_sdwa v2, v2, v2 dst_sel:DWORD dst_unused:UNUSED_PAD src0_sel:DWORD src1_sel:WORD_1
	v_add_f16_e32 v40, v2, v40
	v_add_co_u32 v2, vcc_lo, v24, v22
	v_add_co_ci_u32_e64 v3, null, v25, v23, vcc_lo
	global_store_short v[2:3], v40, off
.LBB292_159:
	s_or_b32 exec_lo, exec_lo, s8
	v_add_nc_u32_e32 v24, 0x60, v67
	v_mad_i64_i32 v[2:3], null, v24, s18, 0
	v_mad_i64_i32 v[22:23], null, v24, s14, 0
	v_cmp_gt_i32_e64 s8, s13, v24
	v_lshlrev_b64 v[2:3], 1, v[2:3]
	v_lshlrev_b64 v[24:25], 1, v[22:23]
	v_add_co_u32 v22, vcc_lo, s16, v2
	v_add_co_ci_u32_e64 v23, null, s17, v3, vcc_lo
	v_add_co_u32 v2, vcc_lo, s9, v24
	v_add_co_ci_u32_e64 v3, null, s10, v25, vcc_lo
	s_and_b32 s9, s0, s8
	s_and_saveexec_b32 s0, s9
	s_cbranch_execnz .LBB292_168
; %bb.160:
	s_or_b32 exec_lo, exec_lo, s0
	s_and_b32 s1, s1, s8
	s_and_saveexec_b32 s0, s1
	s_cbranch_execnz .LBB292_172
.LBB292_161:
	s_or_b32 exec_lo, exec_lo, s0
	s_and_b32 s1, s2, s8
	s_and_saveexec_b32 s0, s1
	s_cbranch_execnz .LBB292_176
.LBB292_162:
	s_or_b32 exec_lo, exec_lo, s0
	s_and_b32 s1, s3, s8
	s_and_saveexec_b32 s0, s1
	s_cbranch_execnz .LBB292_180
.LBB292_163:
	s_or_b32 exec_lo, exec_lo, s0
	s_and_b32 s1, s4, s8
	s_and_saveexec_b32 s0, s1
	s_cbranch_execnz .LBB292_184
.LBB292_164:
	s_or_b32 exec_lo, exec_lo, s0
	s_and_b32 s1, s5, s8
	s_and_saveexec_b32 s0, s1
	s_cbranch_execnz .LBB292_188
.LBB292_165:
	s_or_b32 exec_lo, exec_lo, s0
	s_and_b32 s1, s6, s8
	s_and_saveexec_b32 s0, s1
	s_cbranch_execnz .LBB292_192
.LBB292_166:
	s_or_b32 exec_lo, exec_lo, s0
	s_and_b32 s0, s7, s8
	s_and_saveexec_b32 s1, s0
	s_cbranch_execnz .LBB292_196
.LBB292_167:
	s_endpgm
.LBB292_168:
	v_cmp_ne_u32_e32 vcc_lo, 1, v59
	v_lshlrev_b64 v[0:1], 1, v[0:1]
	s_cbranch_vccnz .LBB292_170
; %bb.169:
	v_add_co_u32 v24, vcc_lo, v22, v0
	v_add_co_ci_u32_e64 v25, null, v23, v1, vcc_lo
	global_load_ushort v24, v[24:25], off
	s_waitcnt vmcnt(0)
	v_mul_f16_e32 v24, s15, v24
	s_branch .LBB292_171
.LBB292_170:
	v_mov_b32_e32 v24, 0
.LBB292_171:
	v_pk_max_f16 v25, v4, v4
	v_pk_max_f16 v18, v18, v18
	;; [unrolled: 1-line block ×4, first 2 shown]
	v_add_co_u32 v0, vcc_lo, v2, v0
	v_pk_min_f16 v18, v18, v25
	v_add_co_ci_u32_e64 v1, null, v3, v1, vcc_lo
	v_pk_min_f16 v19, v19, v40
	v_pk_add_f16 v18, v49, v18
	v_pk_add_f16 v18, v18, v19
	v_add_f16_sdwa v18, v18, v18 dst_sel:DWORD dst_unused:UNUSED_PAD src0_sel:DWORD src1_sel:WORD_1
	v_add_f16_e32 v18, v18, v24
	global_store_short v[0:1], v18, off
	s_or_b32 exec_lo, exec_lo, s0
	s_and_b32 s1, s1, s8
	s_and_saveexec_b32 s0, s1
	s_cbranch_execz .LBB292_161
.LBB292_172:
	v_cmp_ne_u32_e32 vcc_lo, 1, v59
	v_lshlrev_b64 v[0:1], 1, v[26:27]
	s_cbranch_vccnz .LBB292_174
; %bb.173:
	v_add_co_u32 v18, vcc_lo, v22, v0
	v_add_co_ci_u32_e64 v19, null, v23, v1, vcc_lo
	global_load_ushort v18, v[18:19], off
	s_waitcnt vmcnt(0)
	v_mul_f16_e32 v18, s15, v18
	s_branch .LBB292_175
.LBB292_174:
	v_mov_b32_e32 v18, 0
.LBB292_175:
	v_pk_max_f16 v19, v4, v4
	v_pk_max_f16 v20, v20, v20
	;; [unrolled: 1-line block ×4, first 2 shown]
	v_add_co_u32 v0, vcc_lo, v2, v0
	v_pk_min_f16 v19, v20, v19
	v_add_co_ci_u32_e64 v1, null, v3, v1, vcc_lo
	v_pk_min_f16 v20, v21, v24
	v_pk_add_f16 v19, v48, v19
	v_pk_add_f16 v19, v19, v20
	v_add_f16_sdwa v19, v19, v19 dst_sel:DWORD dst_unused:UNUSED_PAD src0_sel:DWORD src1_sel:WORD_1
	v_add_f16_e32 v18, v19, v18
	global_store_short v[0:1], v18, off
	s_or_b32 exec_lo, exec_lo, s0
	s_and_b32 s1, s2, s8
	s_and_saveexec_b32 s0, s1
	s_cbranch_execz .LBB292_162
.LBB292_176:
	v_cmp_ne_u32_e32 vcc_lo, 1, v59
	v_lshlrev_b64 v[0:1], 1, v[28:29]
	s_cbranch_vccnz .LBB292_178
; %bb.177:
	v_add_co_u32 v18, vcc_lo, v22, v0
	v_add_co_ci_u32_e64 v19, null, v23, v1, vcc_lo
	global_load_ushort v18, v[18:19], off
	s_waitcnt vmcnt(0)
	v_mul_f16_e32 v18, s15, v18
	s_branch .LBB292_179
.LBB292_178:
	v_mov_b32_e32 v18, 0
.LBB292_179:
	v_pk_max_f16 v19, v4, v4
	v_pk_max_f16 v14, v14, v14
	v_pk_max_f16 v20, v5, v5
	v_pk_max_f16 v15, v15, v15
	v_add_co_u32 v0, vcc_lo, v2, v0
	v_pk_min_f16 v14, v14, v19
	v_add_co_ci_u32_e64 v1, null, v3, v1, vcc_lo
	v_pk_min_f16 v15, v15, v20
	v_pk_add_f16 v14, v47, v14
	v_pk_add_f16 v14, v14, v15
	v_add_f16_sdwa v14, v14, v14 dst_sel:DWORD dst_unused:UNUSED_PAD src0_sel:DWORD src1_sel:WORD_1
	v_add_f16_e32 v14, v14, v18
	global_store_short v[0:1], v14, off
	s_or_b32 exec_lo, exec_lo, s0
	s_and_b32 s1, s3, s8
	s_and_saveexec_b32 s0, s1
	s_cbranch_execz .LBB292_163
.LBB292_180:
	v_cmp_ne_u32_e32 vcc_lo, 1, v59
	v_lshlrev_b64 v[0:1], 1, v[30:31]
	s_cbranch_vccnz .LBB292_182
; %bb.181:
	v_add_co_u32 v14, vcc_lo, v22, v0
	v_add_co_ci_u32_e64 v15, null, v23, v1, vcc_lo
	global_load_ushort v14, v[14:15], off
	s_waitcnt vmcnt(0)
	v_mul_f16_e32 v14, s15, v14
	s_branch .LBB292_183
.LBB292_182:
	v_mov_b32_e32 v14, 0
.LBB292_183:
	v_pk_max_f16 v15, v4, v4
	v_pk_max_f16 v16, v16, v16
	;; [unrolled: 1-line block ×4, first 2 shown]
	v_add_co_u32 v0, vcc_lo, v2, v0
	v_pk_min_f16 v15, v16, v15
	v_add_co_ci_u32_e64 v1, null, v3, v1, vcc_lo
	v_pk_min_f16 v16, v17, v18
	v_pk_add_f16 v15, v46, v15
	v_pk_add_f16 v15, v15, v16
	v_add_f16_sdwa v15, v15, v15 dst_sel:DWORD dst_unused:UNUSED_PAD src0_sel:DWORD src1_sel:WORD_1
	v_add_f16_e32 v14, v15, v14
	global_store_short v[0:1], v14, off
	s_or_b32 exec_lo, exec_lo, s0
	s_and_b32 s1, s4, s8
	s_and_saveexec_b32 s0, s1
	s_cbranch_execz .LBB292_164
.LBB292_184:
	v_cmp_ne_u32_e32 vcc_lo, 1, v59
	v_lshlrev_b64 v[0:1], 1, v[32:33]
	s_cbranch_vccnz .LBB292_186
; %bb.185:
	v_add_co_u32 v14, vcc_lo, v22, v0
	v_add_co_ci_u32_e64 v15, null, v23, v1, vcc_lo
	global_load_ushort v14, v[14:15], off
	s_waitcnt vmcnt(0)
	v_mul_f16_e32 v14, s15, v14
	s_branch .LBB292_187
.LBB292_186:
	v_mov_b32_e32 v14, 0
.LBB292_187:
	v_pk_max_f16 v15, v4, v4
	v_pk_max_f16 v10, v10, v10
	;; [unrolled: 1-line block ×4, first 2 shown]
	v_add_co_u32 v0, vcc_lo, v2, v0
	v_pk_min_f16 v10, v10, v15
	v_add_co_ci_u32_e64 v1, null, v3, v1, vcc_lo
	v_pk_min_f16 v11, v11, v16
	v_pk_add_f16 v10, v45, v10
	v_pk_add_f16 v10, v10, v11
	v_add_f16_sdwa v10, v10, v10 dst_sel:DWORD dst_unused:UNUSED_PAD src0_sel:DWORD src1_sel:WORD_1
	v_add_f16_e32 v10, v10, v14
	global_store_short v[0:1], v10, off
	s_or_b32 exec_lo, exec_lo, s0
	s_and_b32 s1, s5, s8
	s_and_saveexec_b32 s0, s1
	s_cbranch_execz .LBB292_165
.LBB292_188:
	v_cmp_ne_u32_e32 vcc_lo, 1, v59
	v_lshlrev_b64 v[0:1], 1, v[34:35]
	s_cbranch_vccnz .LBB292_190
; %bb.189:
	v_add_co_u32 v10, vcc_lo, v22, v0
	v_add_co_ci_u32_e64 v11, null, v23, v1, vcc_lo
	global_load_ushort v10, v[10:11], off
	s_waitcnt vmcnt(0)
	v_mul_f16_e32 v10, s15, v10
	s_branch .LBB292_191
.LBB292_190:
	v_mov_b32_e32 v10, 0
.LBB292_191:
	v_pk_max_f16 v11, v4, v4
	v_pk_max_f16 v12, v12, v12
	;; [unrolled: 1-line block ×4, first 2 shown]
	v_add_co_u32 v0, vcc_lo, v2, v0
	v_pk_min_f16 v11, v12, v11
	v_add_co_ci_u32_e64 v1, null, v3, v1, vcc_lo
	v_pk_min_f16 v12, v13, v14
	v_pk_add_f16 v11, v44, v11
	v_pk_add_f16 v11, v11, v12
	v_add_f16_sdwa v11, v11, v11 dst_sel:DWORD dst_unused:UNUSED_PAD src0_sel:DWORD src1_sel:WORD_1
	v_add_f16_e32 v10, v11, v10
	global_store_short v[0:1], v10, off
	s_or_b32 exec_lo, exec_lo, s0
	s_and_b32 s1, s6, s8
	s_and_saveexec_b32 s0, s1
	s_cbranch_execz .LBB292_166
.LBB292_192:
	v_cmp_ne_u32_e32 vcc_lo, 1, v59
	v_lshlrev_b64 v[0:1], 1, v[36:37]
	s_cbranch_vccnz .LBB292_194
; %bb.193:
	v_add_co_u32 v10, vcc_lo, v22, v0
	v_add_co_ci_u32_e64 v11, null, v23, v1, vcc_lo
	global_load_ushort v10, v[10:11], off
	s_waitcnt vmcnt(0)
	v_mul_f16_e32 v10, s15, v10
	s_branch .LBB292_195
.LBB292_194:
	v_mov_b32_e32 v10, 0
.LBB292_195:
	v_pk_max_f16 v11, v4, v4
	v_pk_max_f16 v6, v6, v6
	;; [unrolled: 1-line block ×4, first 2 shown]
	v_add_co_u32 v0, vcc_lo, v2, v0
	v_pk_min_f16 v6, v6, v11
	v_add_co_ci_u32_e64 v1, null, v3, v1, vcc_lo
	v_pk_min_f16 v7, v7, v12
	v_pk_add_f16 v6, v43, v6
	v_pk_add_f16 v6, v6, v7
	v_add_f16_sdwa v6, v6, v6 dst_sel:DWORD dst_unused:UNUSED_PAD src0_sel:DWORD src1_sel:WORD_1
	v_add_f16_e32 v6, v6, v10
	global_store_short v[0:1], v6, off
	s_or_b32 exec_lo, exec_lo, s0
	s_and_b32 s0, s7, s8
	s_and_saveexec_b32 s1, s0
	s_cbranch_execz .LBB292_167
.LBB292_196:
	v_cmp_ne_u32_e32 vcc_lo, 1, v59
	v_lshlrev_b64 v[0:1], 1, v[38:39]
	s_cbranch_vccnz .LBB292_198
; %bb.197:
	v_add_co_u32 v6, vcc_lo, v22, v0
	v_add_co_ci_u32_e64 v7, null, v23, v1, vcc_lo
	global_load_ushort v6, v[6:7], off
	s_waitcnt vmcnt(0)
	v_mul_f16_e32 v6, s15, v6
	s_branch .LBB292_199
.LBB292_198:
	v_mov_b32_e32 v6, 0
.LBB292_199:
	v_pk_max_f16 v4, v4, v4
	v_pk_max_f16 v7, v8, v8
	;; [unrolled: 1-line block ×4, first 2 shown]
	v_add_co_u32 v0, vcc_lo, v2, v0
	v_pk_min_f16 v4, v7, v4
	v_add_co_ci_u32_e64 v1, null, v3, v1, vcc_lo
	v_pk_min_f16 v5, v8, v5
	v_pk_add_f16 v4, v42, v4
	v_pk_add_f16 v4, v4, v5
	v_add_f16_sdwa v4, v4, v4 dst_sel:DWORD dst_unused:UNUSED_PAD src0_sel:DWORD src1_sel:WORD_1
	v_add_f16_e32 v4, v4, v6
	global_store_short v[0:1], v4, off
	s_endpgm
	.section	.rodata,"a",@progbits
	.p2align	6, 0x0
	.amdhsa_kernel _ZN12_GLOBAL__N_120geam_min_plus_kernelIDF16_Dv2_DF16_S1_Li8ELi32ELi64ELi128ELi4ELi4ELi64ELi4ELi64ELc84ELc78ELb1ELb1ELb0EDF16_KDF16_DF16_EEviiiT16_PT17_ilS5_ilS3_S5_ilPT18_ili26rocblas_geam_ex_operation_
		.amdhsa_group_segment_fixed_size 3072
		.amdhsa_private_segment_fixed_size 0
		.amdhsa_kernarg_size 128
		.amdhsa_user_sgpr_count 6
		.amdhsa_user_sgpr_private_segment_buffer 1
		.amdhsa_user_sgpr_dispatch_ptr 0
		.amdhsa_user_sgpr_queue_ptr 0
		.amdhsa_user_sgpr_kernarg_segment_ptr 1
		.amdhsa_user_sgpr_dispatch_id 0
		.amdhsa_user_sgpr_flat_scratch_init 0
		.amdhsa_user_sgpr_private_segment_size 0
		.amdhsa_wavefront_size32 1
		.amdhsa_uses_dynamic_stack 0
		.amdhsa_system_sgpr_private_segment_wavefront_offset 0
		.amdhsa_system_sgpr_workgroup_id_x 1
		.amdhsa_system_sgpr_workgroup_id_y 0
		.amdhsa_system_sgpr_workgroup_id_z 1
		.amdhsa_system_sgpr_workgroup_info 0
		.amdhsa_system_vgpr_workitem_id 1
		.amdhsa_next_free_vgpr 121
		.amdhsa_next_free_sgpr 27
		.amdhsa_reserve_vcc 1
		.amdhsa_reserve_flat_scratch 0
		.amdhsa_float_round_mode_32 0
		.amdhsa_float_round_mode_16_64 0
		.amdhsa_float_denorm_mode_32 3
		.amdhsa_float_denorm_mode_16_64 3
		.amdhsa_dx10_clamp 1
		.amdhsa_ieee_mode 1
		.amdhsa_fp16_overflow 0
		.amdhsa_workgroup_processor_mode 1
		.amdhsa_memory_ordered 1
		.amdhsa_forward_progress 1
		.amdhsa_shared_vgpr_count 0
		.amdhsa_exception_fp_ieee_invalid_op 0
		.amdhsa_exception_fp_denorm_src 0
		.amdhsa_exception_fp_ieee_div_zero 0
		.amdhsa_exception_fp_ieee_overflow 0
		.amdhsa_exception_fp_ieee_underflow 0
		.amdhsa_exception_fp_ieee_inexact 0
		.amdhsa_exception_int_div_zero 0
	.end_amdhsa_kernel
	.section	.text._ZN12_GLOBAL__N_120geam_min_plus_kernelIDF16_Dv2_DF16_S1_Li8ELi32ELi64ELi128ELi4ELi4ELi64ELi4ELi64ELc84ELc78ELb1ELb1ELb0EDF16_KDF16_DF16_EEviiiT16_PT17_ilS5_ilS3_S5_ilPT18_ili26rocblas_geam_ex_operation_,"axG",@progbits,_ZN12_GLOBAL__N_120geam_min_plus_kernelIDF16_Dv2_DF16_S1_Li8ELi32ELi64ELi128ELi4ELi4ELi64ELi4ELi64ELc84ELc78ELb1ELb1ELb0EDF16_KDF16_DF16_EEviiiT16_PT17_ilS5_ilS3_S5_ilPT18_ili26rocblas_geam_ex_operation_,comdat
.Lfunc_end292:
	.size	_ZN12_GLOBAL__N_120geam_min_plus_kernelIDF16_Dv2_DF16_S1_Li8ELi32ELi64ELi128ELi4ELi4ELi64ELi4ELi64ELc84ELc78ELb1ELb1ELb0EDF16_KDF16_DF16_EEviiiT16_PT17_ilS5_ilS3_S5_ilPT18_ili26rocblas_geam_ex_operation_, .Lfunc_end292-_ZN12_GLOBAL__N_120geam_min_plus_kernelIDF16_Dv2_DF16_S1_Li8ELi32ELi64ELi128ELi4ELi4ELi64ELi4ELi64ELc84ELc78ELb1ELb1ELb0EDF16_KDF16_DF16_EEviiiT16_PT17_ilS5_ilS3_S5_ilPT18_ili26rocblas_geam_ex_operation_
                                        ; -- End function
	.set _ZN12_GLOBAL__N_120geam_min_plus_kernelIDF16_Dv2_DF16_S1_Li8ELi32ELi64ELi128ELi4ELi4ELi64ELi4ELi64ELc84ELc78ELb1ELb1ELb0EDF16_KDF16_DF16_EEviiiT16_PT17_ilS5_ilS3_S5_ilPT18_ili26rocblas_geam_ex_operation_.num_vgpr, 121
	.set _ZN12_GLOBAL__N_120geam_min_plus_kernelIDF16_Dv2_DF16_S1_Li8ELi32ELi64ELi128ELi4ELi4ELi64ELi4ELi64ELc84ELc78ELb1ELb1ELb0EDF16_KDF16_DF16_EEviiiT16_PT17_ilS5_ilS3_S5_ilPT18_ili26rocblas_geam_ex_operation_.num_agpr, 0
	.set _ZN12_GLOBAL__N_120geam_min_plus_kernelIDF16_Dv2_DF16_S1_Li8ELi32ELi64ELi128ELi4ELi4ELi64ELi4ELi64ELc84ELc78ELb1ELb1ELb0EDF16_KDF16_DF16_EEviiiT16_PT17_ilS5_ilS3_S5_ilPT18_ili26rocblas_geam_ex_operation_.numbered_sgpr, 27
	.set _ZN12_GLOBAL__N_120geam_min_plus_kernelIDF16_Dv2_DF16_S1_Li8ELi32ELi64ELi128ELi4ELi4ELi64ELi4ELi64ELc84ELc78ELb1ELb1ELb0EDF16_KDF16_DF16_EEviiiT16_PT17_ilS5_ilS3_S5_ilPT18_ili26rocblas_geam_ex_operation_.num_named_barrier, 0
	.set _ZN12_GLOBAL__N_120geam_min_plus_kernelIDF16_Dv2_DF16_S1_Li8ELi32ELi64ELi128ELi4ELi4ELi64ELi4ELi64ELc84ELc78ELb1ELb1ELb0EDF16_KDF16_DF16_EEviiiT16_PT17_ilS5_ilS3_S5_ilPT18_ili26rocblas_geam_ex_operation_.private_seg_size, 0
	.set _ZN12_GLOBAL__N_120geam_min_plus_kernelIDF16_Dv2_DF16_S1_Li8ELi32ELi64ELi128ELi4ELi4ELi64ELi4ELi64ELc84ELc78ELb1ELb1ELb0EDF16_KDF16_DF16_EEviiiT16_PT17_ilS5_ilS3_S5_ilPT18_ili26rocblas_geam_ex_operation_.uses_vcc, 1
	.set _ZN12_GLOBAL__N_120geam_min_plus_kernelIDF16_Dv2_DF16_S1_Li8ELi32ELi64ELi128ELi4ELi4ELi64ELi4ELi64ELc84ELc78ELb1ELb1ELb0EDF16_KDF16_DF16_EEviiiT16_PT17_ilS5_ilS3_S5_ilPT18_ili26rocblas_geam_ex_operation_.uses_flat_scratch, 0
	.set _ZN12_GLOBAL__N_120geam_min_plus_kernelIDF16_Dv2_DF16_S1_Li8ELi32ELi64ELi128ELi4ELi4ELi64ELi4ELi64ELc84ELc78ELb1ELb1ELb0EDF16_KDF16_DF16_EEviiiT16_PT17_ilS5_ilS3_S5_ilPT18_ili26rocblas_geam_ex_operation_.has_dyn_sized_stack, 0
	.set _ZN12_GLOBAL__N_120geam_min_plus_kernelIDF16_Dv2_DF16_S1_Li8ELi32ELi64ELi128ELi4ELi4ELi64ELi4ELi64ELc84ELc78ELb1ELb1ELb0EDF16_KDF16_DF16_EEviiiT16_PT17_ilS5_ilS3_S5_ilPT18_ili26rocblas_geam_ex_operation_.has_recursion, 0
	.set _ZN12_GLOBAL__N_120geam_min_plus_kernelIDF16_Dv2_DF16_S1_Li8ELi32ELi64ELi128ELi4ELi4ELi64ELi4ELi64ELc84ELc78ELb1ELb1ELb0EDF16_KDF16_DF16_EEviiiT16_PT17_ilS5_ilS3_S5_ilPT18_ili26rocblas_geam_ex_operation_.has_indirect_call, 0
	.section	.AMDGPU.csdata,"",@progbits
; Kernel info:
; codeLenInByte = 11940
; TotalNumSgprs: 29
; NumVgprs: 121
; ScratchSize: 0
; MemoryBound: 0
; FloatMode: 240
; IeeeMode: 1
; LDSByteSize: 3072 bytes/workgroup (compile time only)
; SGPRBlocks: 0
; VGPRBlocks: 15
; NumSGPRsForWavesPerEU: 29
; NumVGPRsForWavesPerEU: 121
; Occupancy: 8
; WaveLimiterHint : 0
; COMPUTE_PGM_RSRC2:SCRATCH_EN: 0
; COMPUTE_PGM_RSRC2:USER_SGPR: 6
; COMPUTE_PGM_RSRC2:TRAP_HANDLER: 0
; COMPUTE_PGM_RSRC2:TGID_X_EN: 1
; COMPUTE_PGM_RSRC2:TGID_Y_EN: 0
; COMPUTE_PGM_RSRC2:TGID_Z_EN: 1
; COMPUTE_PGM_RSRC2:TIDIG_COMP_CNT: 1
	.section	.text._ZN12_GLOBAL__N_120geam_min_plus_kernelIDF16_Dv2_DF16_S1_Li8ELi32ELi64ELi128ELi4ELi4ELi64ELi4ELi64ELc84ELc78ELb0ELb1ELb0EDF16_KDF16_DF16_EEviiiT16_PT17_ilS5_ilS3_S5_ilPT18_ili26rocblas_geam_ex_operation_,"axG",@progbits,_ZN12_GLOBAL__N_120geam_min_plus_kernelIDF16_Dv2_DF16_S1_Li8ELi32ELi64ELi128ELi4ELi4ELi64ELi4ELi64ELc84ELc78ELb0ELb1ELb0EDF16_KDF16_DF16_EEviiiT16_PT17_ilS5_ilS3_S5_ilPT18_ili26rocblas_geam_ex_operation_,comdat
	.globl	_ZN12_GLOBAL__N_120geam_min_plus_kernelIDF16_Dv2_DF16_S1_Li8ELi32ELi64ELi128ELi4ELi4ELi64ELi4ELi64ELc84ELc78ELb0ELb1ELb0EDF16_KDF16_DF16_EEviiiT16_PT17_ilS5_ilS3_S5_ilPT18_ili26rocblas_geam_ex_operation_ ; -- Begin function _ZN12_GLOBAL__N_120geam_min_plus_kernelIDF16_Dv2_DF16_S1_Li8ELi32ELi64ELi128ELi4ELi4ELi64ELi4ELi64ELc84ELc78ELb0ELb1ELb0EDF16_KDF16_DF16_EEviiiT16_PT17_ilS5_ilS3_S5_ilPT18_ili26rocblas_geam_ex_operation_
	.p2align	8
	.type	_ZN12_GLOBAL__N_120geam_min_plus_kernelIDF16_Dv2_DF16_S1_Li8ELi32ELi64ELi128ELi4ELi4ELi64ELi4ELi64ELc84ELc78ELb0ELb1ELb0EDF16_KDF16_DF16_EEviiiT16_PT17_ilS5_ilS3_S5_ilPT18_ili26rocblas_geam_ex_operation_,@function
_ZN12_GLOBAL__N_120geam_min_plus_kernelIDF16_Dv2_DF16_S1_Li8ELi32ELi64ELi128ELi4ELi4ELi64ELi4ELi64ELc84ELc78ELb0ELb1ELb0EDF16_KDF16_DF16_EEviiiT16_PT17_ilS5_ilS3_S5_ilPT18_ili26rocblas_geam_ex_operation_: ; @_ZN12_GLOBAL__N_120geam_min_plus_kernelIDF16_Dv2_DF16_S1_Li8ELi32ELi64ELi128ELi4ELi4ELi64ELi4ELi64ELc84ELc78ELb0ELb1ELb0EDF16_KDF16_DF16_EEviiiT16_PT17_ilS5_ilS3_S5_ilPT18_ili26rocblas_geam_ex_operation_
; %bb.0:
	s_clause 0x1
	s_load_dwordx4 s[12:15], s[4:5], 0x0
	s_load_dwordx4 s[0:3], s[4:5], 0x20
	s_waitcnt lgkmcnt(0)
	v_cmp_eq_f16_e64 s8, s15, 0
	v_cmp_neq_f16_e64 s23, s15, 0
	s_and_b32 vcc_lo, exec_lo, s8
	s_cbranch_vccnz .LBB293_37
; %bb.1:
	s_load_dwordx2 s[10:11], s[4:5], 0x10
	s_mul_i32 s1, s1, s7
	s_mul_hi_u32 s9, s0, s7
	s_mul_i32 s0, s0, s7
	s_add_i32 s1, s9, s1
	s_lshl_b64 s[0:1], s[0:1], 1
	s_waitcnt lgkmcnt(0)
	s_add_u32 s20, s10, s0
	s_addc_u32 s21, s11, s1
	s_andn2_b32 vcc_lo, exec_lo, s8
	s_mov_b32 s0, -1
	s_cbranch_vccnz .LBB293_3
.LBB293_2:
	s_mov_b32 s0, 0
.LBB293_3:
	s_mov_b64 s[16:17], 0
	s_andn2_b32 vcc_lo, exec_lo, s0
	s_mov_b64 s[18:19], 0
	s_cbranch_vccnz .LBB293_5
; %bb.4:
	s_load_dwordx2 s[0:1], s[4:5], 0x38
	s_waitcnt lgkmcnt(0)
	s_mul_i32 s1, s1, s7
	s_mul_hi_u32 s8, s0, s7
	s_mul_i32 s0, s0, s7
	s_add_i32 s1, s8, s1
	s_lshl_b64 s[0:1], s[0:1], 1
	s_add_u32 s18, s2, s0
	s_addc_u32 s19, s3, s1
.LBB293_5:
	s_clause 0x1
	s_load_dword s22, s[4:5], 0x40
	s_load_dwordx4 s[8:11], s[4:5], 0x58
	s_waitcnt lgkmcnt(0)
	v_cmp_eq_f16_e64 s0, s22, 0
	v_cmp_neq_f16_e64 s3, s22, 0
	s_and_b32 vcc_lo, exec_lo, s0
	s_cbranch_vccnz .LBB293_7
; %bb.6:
	s_load_dwordx2 s[0:1], s[4:5], 0x48
	s_mul_i32 s2, s9, s7
	s_mul_hi_u32 s9, s8, s7
	s_mul_i32 s8, s8, s7
	s_add_i32 s9, s9, s2
	s_lshl_b64 s[8:9], s[8:9], 1
	s_waitcnt lgkmcnt(0)
	s_add_u32 s16, s0, s8
	s_addc_u32 s17, s1, s9
.LBB293_7:
	s_add_i32 s0, s12, -1
	s_load_dword s27, s[4:5], 0x18
	s_ashr_i32 s1, s0, 31
	v_and_b32_e32 v32, 3, v0
	s_lshr_b32 s1, s1, 26
	v_mov_b32_e32 v9, 0
	s_add_i32 s0, s0, s1
	v_mov_b32_e32 v10, 0
	s_ashr_i32 s0, s0, 6
	s_add_i32 s2, s0, 1
	s_not_b32 s0, s0
	v_cvt_f32_u32_e32 v2, s2
	v_rcp_iflag_f32_e32 v2, v2
	v_mul_f32_e32 v2, 0x4f7ffffe, v2
	v_cvt_u32_f32_e32 v2, v2
	v_readfirstlane_b32 s1, v2
	v_lshl_add_u32 v2, v1, 3, v0
	s_mul_i32 s0, s0, s1
	v_lshrrev_b32_e32 v3, 2, v2
	s_mul_hi_u32 s0, s1, s0
	v_lshlrev_b32_e32 v2, 1, v32
	s_add_i32 s1, s1, s0
	s_mul_hi_u32 s0, s6, s1
	s_mul_i32 s1, s0, s2
	s_add_i32 s8, s0, 1
	s_sub_i32 s1, s6, s1
	s_sub_i32 s9, s1, s2
	s_cmp_ge_u32 s1, s2
	s_cselect_b32 s0, s8, s0
	s_cselect_b32 s1, s9, s1
	s_add_i32 s8, s0, 1
	s_cmp_ge_u32 s1, s2
	s_cselect_b32 s1, s8, s0
	s_mul_i32 s28, s1, s2
	s_sub_i32 s0, s6, s28
	s_lshl_b32 s8, s0, 6
	v_cmp_gt_i32_e64 s0, s14, v32
	v_add_nc_u32_e32 v7, s8, v3
	v_cmp_gt_i32_e32 vcc_lo, s12, v7
	s_and_b32 s0, s0, vcc_lo
	s_and_b32 s0, s23, s0
	s_and_saveexec_b32 s2, s0
	s_cbranch_execz .LBB293_9
; %bb.8:
	s_waitcnt lgkmcnt(0)
	v_mad_i64_i32 v[4:5], null, v7, s27, 0
	v_lshlrev_b64 v[4:5], 1, v[4:5]
	v_add_co_u32 v4, s0, s20, v4
	v_add_co_ci_u32_e64 v5, null, s21, v5, s0
	v_add_co_u32 v4, s0, v4, v2
	v_add_co_ci_u32_e64 v5, null, 0, v5, s0
	global_load_ushort v4, v[4:5], off
	s_waitcnt vmcnt(0)
	v_mul_f16_e32 v10, s15, v4
.LBB293_9:
	s_or_b32 exec_lo, exec_lo, s2
	s_add_i32 s24, s14, -1
	s_load_dword s29, s[4:5], 0x30
	v_min_i32_e32 v5, s24, v32
	s_lshl_b32 s9, s1, 7
	v_cmp_le_i32_e64 s0, s14, v32
	v_add_nc_u32_e32 v4, s9, v3
	s_xor_b32 s25, s23, -1
	v_ashrrev_i32_e32 v6, 31, v5
	v_cmp_le_i32_e64 s1, s13, v4
	v_lshlrev_b64 v[5:6], 1, v[5:6]
	v_add_co_u32 v8, s2, s18, v5
	v_add_co_ci_u32_e64 v12, null, s19, v6, s2
	s_or_b32 s2, s1, s25
	s_nor_b32 s1, s0, s2
	s_and_saveexec_b32 s26, s1
	s_cbranch_execz .LBB293_11
; %bb.10:
	s_waitcnt lgkmcnt(0)
	v_mad_i64_i32 v[5:6], null, v4, s29, 0
	v_lshlrev_b64 v[5:6], 1, v[5:6]
	v_add_co_u32 v5, s1, v8, v5
	v_add_co_ci_u32_e64 v6, null, v12, v6, s1
	global_load_ushort v5, v[5:6], off
	s_waitcnt vmcnt(0)
	v_mul_f16_e32 v9, s15, v5
.LBB293_11:
	s_or_b32 exec_lo, exec_lo, s26
	v_add_nc_u32_e32 v5, 64, v4
	v_mov_b32_e32 v6, 0
	v_mov_b32_e32 v11, 0
	v_cmp_le_i32_e64 s1, s13, v5
	s_or_b32 s25, s1, s25
	s_nor_b32 s0, s0, s25
	s_and_saveexec_b32 s1, s0
	s_cbranch_execz .LBB293_13
; %bb.12:
	s_waitcnt lgkmcnt(0)
	v_mad_i64_i32 v[13:14], null, v5, s29, 0
	v_lshlrev_b64 v[13:14], 1, v[13:14]
	v_add_co_u32 v11, s0, v8, v13
	v_add_co_ci_u32_e64 v12, null, v12, v14, s0
	global_load_ushort v8, v[11:12], off
	s_waitcnt vmcnt(0)
	v_mul_f16_e32 v11, s15, v8
.LBB293_13:
	s_or_b32 exec_lo, exec_lo, s1
	v_or_b32_e32 v8, 4, v32
	v_cmp_gt_i32_e64 s0, s14, v8
	s_and_b32 s0, s0, vcc_lo
	s_and_b32 s0, s23, s0
	s_and_saveexec_b32 s1, s0
	s_cbranch_execz .LBB293_15
; %bb.14:
	s_waitcnt lgkmcnt(0)
	v_mad_i64_i32 v[6:7], null, v7, s27, 0
	v_lshlrev_b64 v[6:7], 1, v[6:7]
	v_add_co_u32 v6, s0, s20, v6
	v_add_co_ci_u32_e64 v7, null, s21, v7, s0
	v_add_co_u32 v6, s0, v6, v2
	v_add_co_ci_u32_e64 v7, null, 0, v7, s0
	global_load_ushort v6, v[6:7], off offset:8
	s_waitcnt vmcnt(0)
	v_mul_f16_e32 v6, s15, v6
.LBB293_15:
	s_or_b32 exec_lo, exec_lo, s1
	v_min_i32_e32 v12, s24, v8
	v_cmp_le_i32_e64 s0, s14, v8
	v_mov_b32_e32 v7, 0
	v_mov_b32_e32 v8, 0
	v_ashrrev_i32_e32 v13, 31, v12
	v_lshlrev_b64 v[12:13], 1, v[12:13]
	v_add_co_u32 v12, s1, s18, v12
	v_add_co_ci_u32_e64 v13, null, s19, v13, s1
	s_nor_b32 s1, s0, s2
	s_and_saveexec_b32 s26, s1
	s_cbranch_execz .LBB293_17
; %bb.16:
	s_waitcnt lgkmcnt(0)
	v_mad_i64_i32 v[14:15], null, v4, s29, 0
	v_lshlrev_b64 v[14:15], 1, v[14:15]
	v_add_co_u32 v14, s1, v12, v14
	v_add_co_ci_u32_e64 v15, null, v13, v15, s1
	global_load_ushort v8, v[14:15], off
	s_waitcnt vmcnt(0)
	v_mul_f16_e32 v8, s15, v8
.LBB293_17:
	s_or_b32 exec_lo, exec_lo, s26
	s_nor_b32 s0, s0, s25
	s_and_saveexec_b32 s1, s0
	s_cbranch_execz .LBB293_19
; %bb.18:
	s_waitcnt lgkmcnt(0)
	v_mad_i64_i32 v[14:15], null, v5, s29, 0
	v_lshlrev_b64 v[14:15], 1, v[14:15]
	v_add_co_u32 v12, s0, v12, v14
	v_add_co_ci_u32_e64 v13, null, v13, v15, s0
	global_load_ushort v7, v[12:13], off
	s_waitcnt vmcnt(0)
	v_mul_f16_e32 v7, s15, v7
.LBB293_19:
	s_or_b32 exec_lo, exec_lo, s1
	v_lshlrev_b32_e32 v12, 3, v3
	v_lshlrev_b32_e32 v34, 3, v0
	v_lshlrev_b32_e32 v33, 3, v1
	s_mov_b32 s26, 0
	s_cmp_lt_i32 s14, 9
	v_lshl_or_b32 v35, v32, 1, v12
	v_add_nc_u32_e32 v29, 0x800, v34
	ds_write_b16 v35, v10 offset:2048
	ds_write_b16 v35, v9
	ds_write_b16 v35, v11 offset:512
	s_waitcnt lgkmcnt(0)
	s_barrier
	buffer_gl0_inv
	ds_read2_b64 v[9:12], v33 offset1:32
	ds_read2_b64 v[13:16], v29 offset0:48 offset1:56
	ds_read2_b64 v[17:20], v33 offset0:64 offset1:96
	ds_read2_b64 v[21:24], v29 offset1:8
	ds_read2_b64 v[25:28], v29 offset0:16 offset1:24
	ds_read2_b64 v[37:40], v29 offset0:32 offset1:40
	ds_write_b16 v35, v6 offset:2560
	ds_write_b16 v35, v8 offset:1024
	;; [unrolled: 1-line block ×3, first 2 shown]
	s_waitcnt lgkmcnt(0)
	s_barrier
	buffer_gl0_inv
	v_pk_max_f16 v9, v9, v9
	v_pk_max_f16 v15, v15, v15
	;; [unrolled: 1-line block ×8, first 2 shown]
	v_pk_min_f16 v29, v15, v9
	v_pk_max_f16 v27, v27, v27
	v_pk_max_f16 v37, v37, v37
	;; [unrolled: 1-line block ×6, first 2 shown]
	v_pk_min_f16 v30, v15, v11
	v_pk_min_f16 v31, v21, v9
	;; [unrolled: 1-line block ×18, first 2 shown]
	v_pk_max_f16 v12, v12, v12
	v_pk_min_f16 v54, v37, v11
	v_pk_min_f16 v55, v37, v17
	v_pk_max_f16 v18, v18, v18
	v_pk_min_f16 v37, v37, v19
	v_pk_max_f16 v22, v22, v22
	v_pk_min_f16 v59, v39, v9
	v_pk_min_f16 v60, v39, v11
	;; [unrolled: 1-line block ×10, first 2 shown]
	v_pk_add_f16 v19, v29, 0
	v_pk_min_f16 v29, v16, v10
	v_pk_max_f16 v20, v20, v20
	v_pk_max_f16 v24, v24, v24
	v_pk_add_f16 v30, v30, 0
	v_pk_min_f16 v50, v16, v12
	v_pk_add_f16 v31, v31, 0
	v_pk_min_f16 v57, v22, v10
	;; [unrolled: 2-line block ×3, first 2 shown]
	v_pk_add_f16 v68, v19, v29
	v_pk_add_f16 v19, v41, 0
	v_pk_min_f16 v29, v22, v18
	v_pk_add_f16 v58, v30, v50
	v_pk_add_f16 v69, v31, v57
	;; [unrolled: 1-line block ×4, first 2 shown]
	v_pk_min_f16 v31, v24, v10
	v_pk_add_f16 v36, v43, 0
	v_pk_min_f16 v42, v24, v12
	v_pk_add_f16 v43, v44, 0
	;; [unrolled: 2-line block ×3, first 2 shown]
	v_pk_add_f16 v19, v23, 0
	v_pk_min_f16 v24, v24, v20
	v_pk_add_f16 v49, v49, 0
	v_pk_min_f16 v56, v16, v18
	;; [unrolled: 2-line block ×3, first 2 shown]
	v_pk_add_f16 v29, v48, 0
	v_pk_add_f16 v48, v19, v24
	v_pk_max_f16 v19, v26, v26
	v_pk_add_f16 v50, v49, v56
	v_pk_add_f16 v49, v21, v22
	;; [unrolled: 1-line block ×8, first 2 shown]
	v_pk_max_f16 v24, v28, v28
	v_pk_min_f16 v26, v19, v10
	v_pk_min_f16 v28, v19, v12
	;; [unrolled: 1-line block ×4, first 2 shown]
	v_pk_add_f16 v41, v30, v31
	v_pk_add_f16 v30, v51, 0
	;; [unrolled: 1-line block ×11, first 2 shown]
	v_pk_min_f16 v19, v24, v10
	v_pk_min_f16 v21, v24, v12
	v_pk_min_f16 v22, v24, v18
	v_pk_min_f16 v23, v24, v20
	v_pk_max_f16 v24, v38, v38
	v_pk_add_f16 v65, v36, v42
	v_pk_add_f16 v36, v53, 0
	;; [unrolled: 1-line block ×7, first 2 shown]
	v_pk_min_f16 v19, v24, v10
	v_pk_min_f16 v21, v24, v12
	;; [unrolled: 1-line block ×4, first 2 shown]
	v_pk_max_f16 v24, v40, v40
	v_pk_max_f16 v14, v14, v14
	v_pk_add_f16 v51, v59, 0
	v_pk_add_f16 v59, v61, 0
	;; [unrolled: 1-line block ×11, first 2 shown]
	v_pk_min_f16 v19, v24, v10
	v_pk_min_f16 v21, v24, v12
	;; [unrolled: 1-line block ×9, first 2 shown]
	v_pk_add_f16 v38, v51, v19
	v_pk_add_f16 v61, v52, v21
	;; [unrolled: 1-line block ×9, first 2 shown]
	s_cbranch_scc1 .LBB293_34
; %bb.20:
	v_lshl_add_u32 v3, s6, 6, v3
	s_lshl_b32 s0, s28, 6
	v_mad_i64_i32 v[8:9], null, v5, s29, 0
	v_add_nc_u32_e32 v59, 0x800, v35
	v_subrev_nc_u32_e32 v3, s0, v3
	v_or_b32_e32 v67, 0x800, v34
	v_add_nc_u32_e32 v70, 0xa00, v35
	v_add_nc_u32_e32 v71, 0x400, v35
	v_lshl_add_u32 v72, v0, 3, 0xa00
	v_mad_i64_i32 v[6:7], null, s27, v3, 0
	v_mad_i64_i32 v[3:4], null, v4, s29, 0
	v_lshlrev_b64 v[28:29], 1, v[8:9]
	v_lshl_add_u32 v73, v1, 3, 0x400
	s_add_i32 s6, s14, -8
	v_lshlrev_b64 v[6:7], 1, v[6:7]
	v_lshlrev_b64 v[26:27], 1, v[3:4]
	v_add_co_u32 v2, s0, v6, v2
	v_add_co_ci_u32_e64 v5, null, 0, v7, s0
	v_add_co_u32 v2, s0, s20, v2
	v_add_co_ci_u32_e64 v3, null, s21, v5, s0
	;; [unrolled: 2-line block ×3, first 2 shown]
	s_branch .LBB293_22
.LBB293_21:                             ;   in Loop: Header=BB293_22 Depth=1
	s_or_b32 exec_lo, exec_lo, s1
	v_pk_max_f16 v22, v22, v22
	v_pk_max_f16 v24, v24, v24
	;; [unrolled: 1-line block ×14, first 2 shown]
	v_pk_min_f16 v83, v10, v22
	v_pk_max_f16 v12, v12, v12
	v_pk_max_f16 v11, v11, v11
	v_pk_max_f16 v13, v13, v13
	v_pk_max_f16 v6, v6, v6
	v_pk_max_f16 v8, v8, v8
	v_pk_max_f16 v7, v7, v7
	v_pk_max_f16 v9, v9, v9
	v_pk_min_f16 v84, v10, v24
	v_pk_max_f16 v2, v2, v2
	v_pk_max_f16 v5, v5, v5
	;; [unrolled: 1-line block ×3, first 2 shown]
	v_pk_min_f16 v85, v10, v18
	v_pk_min_f16 v10, v10, v20
	;; [unrolled: 1-line block ×62, first 2 shown]
	v_pk_add_f16 v3, v68, v95
	v_pk_add_f16 v5, v58, v96
	;; [unrolled: 1-line block ×17, first 2 shown]
	ds_read2_b64 v[2:5], v67 offset0:48 offset1:56
	ds_read2_b64 v[6:9], v33 offset1:32
	v_pk_add_f16 v65, v10, v11
	ds_read2_b64 v[10:13], v33 offset0:64 offset1:96
	v_pk_add_f16 v48, v64, v84
	v_pk_add_f16 v47, v63, v87
	;; [unrolled: 1-line block ×4, first 2 shown]
	ds_read2_b64 v[14:17], v67 offset1:8
	v_pk_add_f16 v58, v69, v77
	v_pk_add_f16 v66, v66, v78
	;; [unrolled: 1-line block ×10, first 2 shown]
	ds_read2_b64 v[18:21], v67 offset0:16 offset1:24
	s_waitcnt lgkmcnt(4)
	v_pk_max_f16 v4, v4, v4
	s_waitcnt lgkmcnt(3)
	v_pk_max_f16 v6, v6, v6
	v_pk_max_f16 v8, v8, v8
	s_waitcnt lgkmcnt(2)
	v_pk_max_f16 v10, v10, v10
	v_pk_add_f16 v57, v57, v99
	v_pk_max_f16 v12, v12, v12
	v_pk_min_f16 v22, v4, v6
	v_pk_min_f16 v23, v4, v8
	;; [unrolled: 1-line block ×3, first 2 shown]
	s_waitcnt lgkmcnt(1)
	v_pk_max_f16 v14, v14, v14
	v_pk_max_f16 v16, v16, v16
	v_pk_add_f16 v43, v43, v22
	v_pk_add_f16 v51, v51, v23
	v_pk_add_f16 v50, v50, v24
	v_pk_min_f16 v22, v14, v6
	v_pk_min_f16 v23, v14, v8
	;; [unrolled: 1-line block ×4, first 2 shown]
	v_pk_add_f16 v41, v41, v80
	v_pk_add_f16 v77, v58, v22
	;; [unrolled: 1-line block ×4, first 2 shown]
	ds_read2_b64 v[22:25], v67 offset0:32 offset1:40
	v_pk_add_f16 v39, v39, v83
	v_pk_add_f16 v49, v49, v101
	;; [unrolled: 1-line block ×3, first 2 shown]
	v_pk_min_f16 v63, v16, v8
	s_waitcnt lgkmcnt(1)
	v_pk_max_f16 v18, v18, v18
	v_pk_add_f16 v56, v56, v82
	v_pk_add_f16 v41, v41, v100
	;; [unrolled: 1-line block ×3, first 2 shown]
	v_pk_min_f16 v58, v16, v6
	v_pk_add_f16 v63, v49, v63
	v_pk_min_f16 v49, v18, v6
	v_pk_max_f16 v20, v20, v20
	v_pk_add_f16 v36, v36, v89
	v_pk_add_f16 v56, v56, v102
	;; [unrolled: 1-line block ×4, first 2 shown]
	v_pk_min_f16 v78, v16, v10
	v_pk_add_f16 v41, v41, v58
	v_pk_min_f16 v58, v18, v8
	v_pk_add_f16 v39, v39, v49
	v_pk_min_f16 v49, v20, v8
	s_waitcnt lgkmcnt(0)
	v_pk_max_f16 v22, v22, v22
	v_pk_add_f16 v37, v37, v86
	v_pk_add_f16 v62, v62, v90
	;; [unrolled: 1-line block ×6, first 2 shown]
	v_pk_min_f16 v48, v20, v6
	v_pk_min_f16 v58, v20, v10
	;; [unrolled: 1-line block ×3, first 2 shown]
	v_pk_add_f16 v79, v47, v49
	v_pk_min_f16 v47, v22, v6
	v_pk_add_f16 v37, v37, v106
	v_pk_add_f16 v62, v62, v111
	;; [unrolled: 1-line block ×3, first 2 shown]
	v_pk_min_f16 v16, v16, v12
	v_pk_add_f16 v20, v46, v20
	v_pk_min_f16 v46, v22, v8
	v_pk_max_f16 v24, v24, v24
	v_pk_add_f16 v36, v36, v47
	v_pk_min_f16 v47, v22, v10
	v_pk_min_f16 v22, v22, v12
	v_pk_max_f16 v2, v2, v2
	v_pk_max_f16 v5, v5, v5
	;; [unrolled: 1-line block ×3, first 2 shown]
	v_pk_add_f16 v54, v54, v88
	v_pk_add_f16 v40, v40, v118
	;; [unrolled: 1-line block ×3, first 2 shown]
	v_pk_min_f16 v64, v18, v10
	v_pk_min_f16 v18, v18, v12
	v_pk_add_f16 v37, v37, v48
	v_pk_add_f16 v62, v62, v46
	v_pk_min_f16 v46, v24, v6
	v_pk_min_f16 v48, v24, v8
	v_pk_add_f16 v22, v45, v22
	v_pk_min_f16 v45, v24, v10
	v_pk_min_f16 v24, v24, v12
	;; [unrolled: 1-line block ×6, first 2 shown]
	v_pk_max_f16 v9, v9, v9
	v_pk_min_f16 v4, v4, v12
	v_pk_max_f16 v11, v11, v11
	v_pk_min_f16 v12, v5, v7
	v_pk_add_f16 v54, v54, v108
	v_pk_add_f16 v8, v68, v8
	;; [unrolled: 1-line block ×3, first 2 shown]
	v_pk_min_f16 v40, v5, v9
	v_pk_add_f16 v4, v42, v4
	v_pk_min_f16 v42, v5, v11
	v_pk_max_f16 v15, v15, v15
	v_pk_add_f16 v68, v43, v12
	v_pk_max_f16 v12, v13, v13
	v_pk_add_f16 v55, v55, v85
	v_pk_add_f16 v61, v61, v93
	;; [unrolled: 1-line block ×5, first 2 shown]
	v_pk_min_f16 v13, v15, v7
	v_pk_min_f16 v40, v15, v9
	;; [unrolled: 1-line block ×4, first 2 shown]
	v_pk_max_f16 v17, v17, v17
	v_pk_add_f16 v53, v53, v91
	v_pk_add_f16 v55, v55, v105
	;; [unrolled: 1-line block ×6, first 2 shown]
	v_pk_min_f16 v13, v17, v7
	v_pk_min_f16 v14, v17, v9
	;; [unrolled: 1-line block ×4, first 2 shown]
	v_pk_max_f16 v19, v19, v19
	v_pk_add_f16 v38, v38, v92
	v_pk_add_f16 v53, v53, v112
	;; [unrolled: 1-line block ×9, first 2 shown]
	v_pk_min_f16 v13, v19, v7
	v_pk_min_f16 v14, v19, v9
	;; [unrolled: 1-line block ×4, first 2 shown]
	v_pk_max_f16 v17, v21, v21
	v_pk_add_f16 v52, v52, v94
	v_pk_add_f16 v38, v38, v114
	;; [unrolled: 1-line block ×7, first 2 shown]
	v_pk_min_f16 v13, v17, v7
	v_pk_min_f16 v14, v17, v9
	;; [unrolled: 1-line block ×4, first 2 shown]
	v_pk_max_f16 v17, v23, v23
	v_pk_add_f16 v52, v52, v116
	v_pk_add_f16 v44, v44, v117
	;; [unrolled: 1-line block ×7, first 2 shown]
	v_pk_min_f16 v13, v17, v7
	v_pk_min_f16 v14, v17, v9
	;; [unrolled: 1-line block ×4, first 2 shown]
	v_pk_max_f16 v17, v25, v25
	v_pk_max_f16 v3, v3, v3
	v_pk_add_f16 v52, v52, v45
	v_pk_add_f16 v24, v44, v24
	;; [unrolled: 1-line block ×7, first 2 shown]
	v_pk_min_f16 v13, v17, v7
	v_pk_min_f16 v14, v17, v9
	;; [unrolled: 1-line block ×9, first 2 shown]
	v_add_co_u32 v30, s0, v30, 16
	v_pk_add_f16 v66, v60, v40
	v_pk_add_f16 v57, v57, v42
	;; [unrolled: 1-line block ×11, first 2 shown]
	v_add_co_ci_u32_e64 v31, null, 0, v31, s0
	s_add_i32 s26, s26, 8
	ds_write_b16 v70, v74
	ds_write_b16 v71, v75
	ds_write_b16 v71, v76 offset:512
	s_cmp_ge_i32 s26, s6
	s_waitcnt lgkmcnt(0)
	s_barrier
	buffer_gl0_inv
	s_cbranch_scc1 .LBB293_34
.LBB293_22:                             ; =>This Inner Loop Header: Depth=1
	v_add_nc_u32_e32 v74, s26, v32
	v_mov_b32_e32 v75, 0
	v_add_nc_u32_e32 v2, 8, v74
	v_cmp_gt_i32_e64 s0, s14, v2
	s_and_b32 s0, s0, vcc_lo
	s_and_b32 s1, s23, s0
	s_and_saveexec_b32 s0, s1
	s_cbranch_execz .LBB293_24
; %bb.23:                               ;   in Loop: Header=BB293_22 Depth=1
	global_load_ushort v3, v[30:31], off
	s_waitcnt vmcnt(0)
	v_mul_f16_e32 v75, s15, v3
.LBB293_24:                             ;   in Loop: Header=BB293_22 Depth=1
	s_or_b32 exec_lo, exec_lo, s0
	v_min_i32_e32 v3, s24, v2
	v_cmp_le_i32_e64 s0, s14, v2
	v_mov_b32_e32 v76, 0
	v_mov_b32_e32 v77, 0
	v_ashrrev_i32_e32 v4, 31, v3
	v_lshlrev_b64 v[3:4], 1, v[3:4]
	v_add_co_u32 v2, s1, s18, v3
	v_add_co_ci_u32_e64 v3, null, s19, v4, s1
	s_nor_b32 s1, s2, s0
	s_and_saveexec_b32 s20, s1
	s_cbranch_execz .LBB293_26
; %bb.25:                               ;   in Loop: Header=BB293_22 Depth=1
	v_add_co_u32 v4, s1, v2, v26
	v_add_co_ci_u32_e64 v5, null, v3, v27, s1
	global_load_ushort v4, v[4:5], off
	s_waitcnt vmcnt(0)
	v_mul_f16_e32 v77, s15, v4
.LBB293_26:                             ;   in Loop: Header=BB293_22 Depth=1
	s_or_b32 exec_lo, exec_lo, s20
	s_nor_b32 s0, s25, s0
	s_and_saveexec_b32 s1, s0
	s_cbranch_execz .LBB293_28
; %bb.27:                               ;   in Loop: Header=BB293_22 Depth=1
	v_add_co_u32 v2, s0, v2, v28
	v_add_co_ci_u32_e64 v3, null, v3, v29, s0
	global_load_ushort v2, v[2:3], off
	s_waitcnt vmcnt(0)
	v_mul_f16_e32 v76, s15, v2
.LBB293_28:                             ;   in Loop: Header=BB293_22 Depth=1
	s_or_b32 exec_lo, exec_lo, s1
	ds_read2_b64 v[2:5], v72 offset0:48 offset1:56
	ds_read2_b64 v[18:21], v73 offset0:64 offset1:96
	ds_read2_b64 v[22:25], v73 offset1:32
	ds_read2_b64 v[14:17], v72 offset1:8
	ds_read2_b64 v[10:13], v72 offset0:16 offset1:24
	ds_read2_b64 v[6:9], v72 offset0:32 offset1:40
	v_add_nc_u32_e32 v78, 12, v74
	ds_write_b16 v59, v75
	ds_write_b16 v35, v77
	v_mov_b32_e32 v75, 0
	v_mov_b32_e32 v74, 0
	ds_write_b16 v35, v76 offset:512
	v_cmp_gt_i32_e64 s0, s14, v78
	s_waitcnt lgkmcnt(0)
	s_barrier
	buffer_gl0_inv
	s_and_b32 s0, s0, vcc_lo
	s_and_b32 s0, s23, s0
	s_and_saveexec_b32 s1, s0
	s_xor_b32 s0, exec_lo, s1
	s_cbranch_execz .LBB293_30
; %bb.29:                               ;   in Loop: Header=BB293_22 Depth=1
	global_load_ushort v74, v[30:31], off offset:8
	s_waitcnt vmcnt(0)
	v_mul_f16_e32 v74, s15, v74
.LBB293_30:                             ;   in Loop: Header=BB293_22 Depth=1
	s_or_b32 exec_lo, exec_lo, s0
	v_min_i32_e32 v76, s24, v78
	v_cmp_le_i32_e64 s0, s14, v78
	v_ashrrev_i32_e32 v77, 31, v76
	v_lshlrev_b64 v[77:78], 1, v[76:77]
	v_add_co_u32 v77, s1, s18, v77
	v_add_co_ci_u32_e64 v78, null, s19, v78, s1
	s_nor_b32 s1, s2, s0
	s_and_saveexec_b32 s20, s1
	s_cbranch_execz .LBB293_32
; %bb.31:                               ;   in Loop: Header=BB293_22 Depth=1
	v_add_co_u32 v75, s1, v77, v26
	v_add_co_ci_u32_e64 v76, null, v78, v27, s1
	global_load_ushort v75, v[75:76], off
	s_waitcnt vmcnt(0)
	v_mul_f16_e32 v75, s15, v75
.LBB293_32:                             ;   in Loop: Header=BB293_22 Depth=1
	s_or_b32 exec_lo, exec_lo, s20
	v_mov_b32_e32 v76, 0
	s_nor_b32 s0, s25, s0
	s_and_saveexec_b32 s1, s0
	s_cbranch_execz .LBB293_21
; %bb.33:                               ;   in Loop: Header=BB293_22 Depth=1
	v_add_co_u32 v76, s0, v77, v28
	v_add_co_ci_u32_e64 v77, null, v78, v29, s0
	global_load_ushort v76, v[76:77], off
	s_waitcnt vmcnt(0)
	v_mul_f16_e32 v76, s15, v76
	s_branch .LBB293_21
.LBB293_34:
	s_clause 0x2
	s_load_dwordx2 s[0:1], s[4:5], 0x70
	s_load_dword s15, s[4:5], 0x50
	s_load_dword s14, s[4:5], 0x68
	v_add_nc_u32_e32 v67, s9, v1
	v_add_nc_u32_e32 v10, 0x800, v34
	ds_read2_b64 v[2:5], v33 offset0:192 offset1:224
	ds_read2_b64 v[22:25], v33 offset0:128 offset1:160
	v_add_nc_u32_e32 v0, s8, v0
	ds_read2_b64 v[6:9], v10 offset0:112 offset1:120
	ds_read2_b64 v[18:21], v10 offset0:64 offset1:72
	;; [unrolled: 1-line block ×4, first 2 shown]
	v_cmp_gt_i32_e64 s8, s13, v67
	v_ashrrev_i32_e32 v1, 31, v0
	v_cndmask_b32_e64 v59, 0, 1, s3
	s_waitcnt lgkmcnt(0)
	s_mul_i32 s1, s1, s7
	v_mad_i64_i32 v[26:27], null, v67, s15, 0
	v_mad_i64_i32 v[28:29], null, v67, s14, 0
	s_mul_hi_u32 s2, s0, s7
	s_mul_i32 s0, s0, s7
	s_add_i32 s1, s2, s1
	s_lshl_b64 s[4:5], s[0:1], 1
	v_lshlrev_b64 v[26:27], 1, v[26:27]
	v_lshlrev_b64 v[28:29], 1, v[28:29]
	s_add_u32 s9, s10, s4
	v_cmp_gt_i32_e64 s0, s12, v0
	s_addc_u32 s10, s11, s5
	v_add_co_u32 v72, vcc_lo, s16, v26
	v_add_co_ci_u32_e64 v73, null, s17, v27, vcc_lo
	v_add_co_u32 v70, vcc_lo, s9, v28
	v_add_co_ci_u32_e64 v71, null, s10, v29, vcc_lo
	s_and_b32 s1, s0, s8
	s_and_saveexec_b32 s2, s1
	s_xor_b32 s1, exec_lo, s2
	s_cbranch_execz .LBB293_40
; %bb.35:
	v_lshlrev_b64 v[26:27], 1, v[0:1]
	s_andn2_b32 vcc_lo, exec_lo, s3
	s_cbranch_vccnz .LBB293_38
; %bb.36:
	v_add_co_u32 v28, vcc_lo, v72, v26
	v_add_co_ci_u32_e64 v29, null, v73, v27, vcc_lo
	global_load_ushort v28, v[28:29], off
	s_waitcnt vmcnt(0)
	v_mul_f16_e32 v28, s22, v28
	s_branch .LBB293_39
.LBB293_37:
	s_mov_b64 s[20:21], 0
	s_andn2_b32 vcc_lo, exec_lo, s8
	s_mov_b32 s0, -1
	s_cbranch_vccz .LBB293_2
	s_branch .LBB293_3
.LBB293_38:
	v_mov_b32_e32 v28, 0
.LBB293_39:
	v_pk_max_f16 v29, v22, v22
	v_pk_max_f16 v30, v18, v18
	;; [unrolled: 1-line block ×4, first 2 shown]
	v_add_co_u32 v26, vcc_lo, v70, v26
	v_pk_min_f16 v29, v30, v29
	v_add_co_ci_u32_e64 v27, null, v71, v27, vcc_lo
	v_pk_min_f16 v30, v32, v31
	v_pk_add_f16 v29, v69, v29
	v_pk_add_f16 v29, v29, v30
	v_add_f16_sdwa v29, v29, v29 dst_sel:DWORD dst_unused:UNUSED_PAD src0_sel:DWORD src1_sel:WORD_1
	v_add_f16_e32 v28, v29, v28
	global_store_short v[26:27], v28, off
.LBB293_40:
	s_or_b32 exec_lo, exec_lo, s1
	v_add_nc_u32_e32 v26, 8, v0
	v_cmp_gt_i32_e64 s1, s12, v26
	v_ashrrev_i32_e32 v27, 31, v26
	s_and_b32 s3, s1, s8
	s_and_saveexec_b32 s2, s3
	s_cbranch_execz .LBB293_45
; %bb.41:
	v_cmp_ne_u32_e32 vcc_lo, 1, v59
	v_lshlrev_b64 v[28:29], 1, v[26:27]
	s_cbranch_vccnz .LBB293_43
; %bb.42:
	v_add_co_u32 v30, vcc_lo, v72, v28
	v_add_co_ci_u32_e64 v31, null, v73, v29, vcc_lo
	global_load_ushort v30, v[30:31], off
	s_waitcnt vmcnt(0)
	v_mul_f16_e32 v30, s22, v30
	s_branch .LBB293_44
.LBB293_43:
	v_mov_b32_e32 v30, 0
.LBB293_44:
	v_pk_max_f16 v31, v22, v22
	v_pk_max_f16 v32, v20, v20
	v_pk_max_f16 v33, v23, v23
	v_pk_max_f16 v34, v21, v21
	v_add_co_u32 v28, vcc_lo, v70, v28
	v_pk_min_f16 v31, v32, v31
	v_add_co_ci_u32_e64 v29, null, v71, v29, vcc_lo
	v_pk_min_f16 v32, v34, v33
	v_pk_add_f16 v31, v41, v31
	v_pk_add_f16 v31, v31, v32
	v_add_f16_sdwa v31, v31, v31 dst_sel:DWORD dst_unused:UNUSED_PAD src0_sel:DWORD src1_sel:WORD_1
	v_add_f16_e32 v30, v31, v30
	global_store_short v[28:29], v30, off
.LBB293_45:
	s_or_b32 exec_lo, exec_lo, s2
	v_add_nc_u32_e32 v28, 16, v0
	v_cmp_gt_i32_e64 s2, s12, v28
	v_ashrrev_i32_e32 v29, 31, v28
	s_and_b32 s4, s2, s8
	s_and_saveexec_b32 s3, s4
	s_cbranch_execz .LBB293_50
; %bb.46:
	v_cmp_ne_u32_e32 vcc_lo, 1, v59
	v_lshlrev_b64 v[30:31], 1, v[28:29]
	s_cbranch_vccnz .LBB293_48
; %bb.47:
	v_add_co_u32 v32, vcc_lo, v72, v30
	v_add_co_ci_u32_e64 v33, null, v73, v31, vcc_lo
	global_load_ushort v32, v[32:33], off
	s_waitcnt vmcnt(0)
	v_mul_f16_e32 v32, s22, v32
	s_branch .LBB293_49
.LBB293_48:
	v_mov_b32_e32 v32, 0
.LBB293_49:
	v_pk_max_f16 v33, v22, v22
	v_pk_max_f16 v34, v14, v14
	v_pk_max_f16 v35, v23, v23
	v_pk_max_f16 v41, v15, v15
	v_add_co_u32 v30, vcc_lo, v70, v30
	v_pk_min_f16 v33, v34, v33
	v_add_co_ci_u32_e64 v31, null, v71, v31, vcc_lo
	v_pk_min_f16 v34, v41, v35
	v_pk_add_f16 v33, v39, v33
	v_pk_add_f16 v33, v33, v34
	v_add_f16_sdwa v33, v33, v33 dst_sel:DWORD dst_unused:UNUSED_PAD src0_sel:DWORD src1_sel:WORD_1
	v_add_f16_e32 v32, v33, v32
	global_store_short v[30:31], v32, off
.LBB293_50:
	;; [unrolled: 35-line block ×6, first 2 shown]
	s_or_b32 exec_lo, exec_lo, s7
	v_add_nc_u32_e32 v38, 56, v0
	v_cmp_gt_i32_e64 s7, s12, v38
	v_ashrrev_i32_e32 v39, 31, v38
	s_and_b32 s11, s7, s8
	s_and_saveexec_b32 s8, s11
	s_cbranch_execz .LBB293_75
; %bb.71:
	v_cmp_ne_u32_e32 vcc_lo, 1, v59
	v_lshlrev_b64 v[40:41], 1, v[38:39]
	s_cbranch_vccnz .LBB293_73
; %bb.72:
	v_add_co_u32 v72, vcc_lo, v72, v40
	v_add_co_ci_u32_e64 v73, null, v73, v41, vcc_lo
	global_load_ushort v69, v[72:73], off
	s_waitcnt vmcnt(0)
	v_mul_f16_e32 v69, s22, v69
	s_branch .LBB293_74
.LBB293_73:
	v_mov_b32_e32 v69, 0
.LBB293_74:
	v_pk_max_f16 v22, v22, v22
	v_pk_max_f16 v72, v8, v8
	;; [unrolled: 1-line block ×4, first 2 shown]
	v_pk_min_f16 v22, v72, v22
	v_pk_min_f16 v23, v73, v23
	v_pk_add_f16 v22, v68, v22
	v_pk_add_f16 v22, v22, v23
	v_add_f16_sdwa v22, v22, v22 dst_sel:DWORD dst_unused:UNUSED_PAD src0_sel:DWORD src1_sel:WORD_1
	v_add_f16_e32 v68, v22, v69
	v_add_co_u32 v22, vcc_lo, v70, v40
	v_add_co_ci_u32_e64 v23, null, v71, v41, vcc_lo
	global_store_short v[22:23], v68, off
.LBB293_75:
	s_or_b32 exec_lo, exec_lo, s8
	v_add_nc_u32_e32 v68, 32, v67
	v_mad_i64_i32 v[22:23], null, v68, s15, 0
	v_mad_i64_i32 v[40:41], null, v68, s14, 0
	v_cmp_gt_i32_e64 s8, s13, v68
	v_lshlrev_b64 v[22:23], 1, v[22:23]
	s_and_b32 s12, s0, s8
	v_lshlrev_b64 v[40:41], 1, v[40:41]
	v_add_co_u32 v68, vcc_lo, s16, v22
	v_add_co_ci_u32_e64 v69, null, s17, v23, vcc_lo
	v_add_co_u32 v40, vcc_lo, s9, v40
	v_add_co_ci_u32_e64 v41, null, s10, v41, vcc_lo
	s_and_saveexec_b32 s11, s12
	s_cbranch_execnz .LBB293_83
; %bb.76:
	s_or_b32 exec_lo, exec_lo, s11
	s_and_b32 s12, s1, s8
	s_and_saveexec_b32 s11, s12
	s_cbranch_execnz .LBB293_87
.LBB293_77:
	s_or_b32 exec_lo, exec_lo, s11
	s_and_b32 s12, s2, s8
	s_and_saveexec_b32 s11, s12
	s_cbranch_execnz .LBB293_91
.LBB293_78:
	s_or_b32 exec_lo, exec_lo, s11
	s_and_b32 s12, s3, s8
	s_and_saveexec_b32 s11, s12
	s_cbranch_execnz .LBB293_95
.LBB293_79:
	s_or_b32 exec_lo, exec_lo, s11
	s_and_b32 s12, s4, s8
	s_and_saveexec_b32 s11, s12
	s_cbranch_execnz .LBB293_99
.LBB293_80:
	s_or_b32 exec_lo, exec_lo, s11
	s_and_b32 s12, s5, s8
	s_and_saveexec_b32 s11, s12
	s_cbranch_execnz .LBB293_103
.LBB293_81:
	s_or_b32 exec_lo, exec_lo, s11
	s_and_b32 s12, s6, s8
	s_and_saveexec_b32 s11, s12
	s_cbranch_execnz .LBB293_107
.LBB293_82:
	s_or_b32 exec_lo, exec_lo, s11
	s_and_b32 s11, s7, s8
	s_and_saveexec_b32 s8, s11
	s_cbranch_execnz .LBB293_111
	s_branch .LBB293_115
.LBB293_83:
	v_cmp_ne_u32_e32 vcc_lo, 1, v59
	v_lshlrev_b64 v[22:23], 1, v[0:1]
	s_cbranch_vccnz .LBB293_85
; %bb.84:
	v_add_co_u32 v70, vcc_lo, v68, v22
	v_add_co_ci_u32_e64 v71, null, v69, v23, vcc_lo
	global_load_ushort v70, v[70:71], off
	s_waitcnt vmcnt(0)
	v_mul_f16_e32 v70, s22, v70
	s_branch .LBB293_86
.LBB293_85:
	v_mov_b32_e32 v70, 0
.LBB293_86:
	v_pk_max_f16 v71, v24, v24
	v_pk_max_f16 v72, v18, v18
	;; [unrolled: 1-line block ×4, first 2 shown]
	v_add_co_u32 v22, vcc_lo, v40, v22
	v_pk_min_f16 v71, v72, v71
	v_add_co_ci_u32_e64 v23, null, v41, v23, vcc_lo
	v_pk_min_f16 v72, v74, v73
	v_pk_add_f16 v66, v66, v71
	v_pk_add_f16 v66, v66, v72
	v_add_f16_sdwa v66, v66, v66 dst_sel:DWORD dst_unused:UNUSED_PAD src0_sel:DWORD src1_sel:WORD_1
	v_add_f16_e32 v66, v66, v70
	global_store_short v[22:23], v66, off
	s_or_b32 exec_lo, exec_lo, s11
	s_and_b32 s12, s1, s8
	s_and_saveexec_b32 s11, s12
	s_cbranch_execz .LBB293_77
.LBB293_87:
	v_cmp_ne_u32_e32 vcc_lo, 1, v59
	v_lshlrev_b64 v[22:23], 1, v[26:27]
	s_cbranch_vccnz .LBB293_89
; %bb.88:
	v_add_co_u32 v70, vcc_lo, v68, v22
	v_add_co_ci_u32_e64 v71, null, v69, v23, vcc_lo
	global_load_ushort v66, v[70:71], off
	s_waitcnt vmcnt(0)
	v_mul_f16_e32 v66, s22, v66
	s_branch .LBB293_90
.LBB293_89:
	v_mov_b32_e32 v66, 0
.LBB293_90:
	v_pk_max_f16 v70, v24, v24
	v_pk_max_f16 v71, v20, v20
	;; [unrolled: 1-line block ×4, first 2 shown]
	v_add_co_u32 v22, vcc_lo, v40, v22
	v_pk_min_f16 v70, v71, v70
	v_add_co_ci_u32_e64 v23, null, v41, v23, vcc_lo
	v_pk_min_f16 v71, v73, v72
	v_pk_add_f16 v65, v65, v70
	v_pk_add_f16 v65, v65, v71
	v_add_f16_sdwa v65, v65, v65 dst_sel:DWORD dst_unused:UNUSED_PAD src0_sel:DWORD src1_sel:WORD_1
	v_add_f16_e32 v65, v65, v66
	global_store_short v[22:23], v65, off
	s_or_b32 exec_lo, exec_lo, s11
	s_and_b32 s12, s2, s8
	s_and_saveexec_b32 s11, s12
	s_cbranch_execz .LBB293_78
.LBB293_91:
	v_cmp_ne_u32_e32 vcc_lo, 1, v59
	v_lshlrev_b64 v[22:23], 1, v[28:29]
	s_cbranch_vccnz .LBB293_93
; %bb.92:
	v_add_co_u32 v65, vcc_lo, v68, v22
	v_add_co_ci_u32_e64 v66, null, v69, v23, vcc_lo
	global_load_ushort v65, v[65:66], off
	s_waitcnt vmcnt(0)
	v_mul_f16_e32 v65, s22, v65
	s_branch .LBB293_94
.LBB293_93:
	v_mov_b32_e32 v65, 0
.LBB293_94:
	v_pk_max_f16 v66, v24, v24
	v_pk_max_f16 v70, v14, v14
	v_pk_max_f16 v71, v25, v25
	v_pk_max_f16 v72, v15, v15
	v_add_co_u32 v22, vcc_lo, v40, v22
	v_pk_min_f16 v66, v70, v66
	v_add_co_ci_u32_e64 v23, null, v41, v23, vcc_lo
	v_pk_min_f16 v70, v72, v71
	v_pk_add_f16 v64, v64, v66
	v_pk_add_f16 v64, v64, v70
	v_add_f16_sdwa v64, v64, v64 dst_sel:DWORD dst_unused:UNUSED_PAD src0_sel:DWORD src1_sel:WORD_1
	v_add_f16_e32 v64, v64, v65
	global_store_short v[22:23], v64, off
	s_or_b32 exec_lo, exec_lo, s11
	s_and_b32 s12, s3, s8
	s_and_saveexec_b32 s11, s12
	s_cbranch_execz .LBB293_79
.LBB293_95:
	v_cmp_ne_u32_e32 vcc_lo, 1, v59
	v_lshlrev_b64 v[22:23], 1, v[30:31]
	s_cbranch_vccnz .LBB293_97
; %bb.96:
	v_add_co_u32 v64, vcc_lo, v68, v22
	v_add_co_ci_u32_e64 v65, null, v69, v23, vcc_lo
	global_load_ushort v64, v[64:65], off
	s_waitcnt vmcnt(0)
	v_mul_f16_e32 v64, s22, v64
	s_branch .LBB293_98
.LBB293_97:
	v_mov_b32_e32 v64, 0
.LBB293_98:
	v_pk_max_f16 v65, v24, v24
	v_pk_max_f16 v66, v16, v16
	;; [unrolled: 1-line block ×4, first 2 shown]
	v_add_co_u32 v22, vcc_lo, v40, v22
	v_pk_min_f16 v65, v66, v65
	v_add_co_ci_u32_e64 v23, null, v41, v23, vcc_lo
	v_pk_min_f16 v66, v71, v70
	v_pk_add_f16 v63, v63, v65
	v_pk_add_f16 v63, v63, v66
	v_add_f16_sdwa v63, v63, v63 dst_sel:DWORD dst_unused:UNUSED_PAD src0_sel:DWORD src1_sel:WORD_1
	v_add_f16_e32 v63, v63, v64
	global_store_short v[22:23], v63, off
	s_or_b32 exec_lo, exec_lo, s11
	s_and_b32 s12, s4, s8
	s_and_saveexec_b32 s11, s12
	s_cbranch_execz .LBB293_80
.LBB293_99:
	v_cmp_ne_u32_e32 vcc_lo, 1, v59
	v_lshlrev_b64 v[22:23], 1, v[32:33]
	s_cbranch_vccnz .LBB293_101
; %bb.100:
	v_add_co_u32 v63, vcc_lo, v68, v22
	v_add_co_ci_u32_e64 v64, null, v69, v23, vcc_lo
	global_load_ushort v63, v[63:64], off
	s_waitcnt vmcnt(0)
	v_mul_f16_e32 v63, s22, v63
	s_branch .LBB293_102
.LBB293_101:
	v_mov_b32_e32 v63, 0
.LBB293_102:
	v_pk_max_f16 v64, v24, v24
	v_pk_max_f16 v65, v10, v10
	;; [unrolled: 1-line block ×4, first 2 shown]
	v_add_co_u32 v22, vcc_lo, v40, v22
	v_pk_min_f16 v64, v65, v64
	v_add_co_ci_u32_e64 v23, null, v41, v23, vcc_lo
	v_pk_min_f16 v65, v70, v66
	v_pk_add_f16 v62, v62, v64
	v_pk_add_f16 v62, v62, v65
	v_add_f16_sdwa v62, v62, v62 dst_sel:DWORD dst_unused:UNUSED_PAD src0_sel:DWORD src1_sel:WORD_1
	v_add_f16_e32 v62, v62, v63
	global_store_short v[22:23], v62, off
	s_or_b32 exec_lo, exec_lo, s11
	s_and_b32 s12, s5, s8
	s_and_saveexec_b32 s11, s12
	s_cbranch_execz .LBB293_81
.LBB293_103:
	v_cmp_ne_u32_e32 vcc_lo, 1, v59
	v_lshlrev_b64 v[22:23], 1, v[34:35]
	s_cbranch_vccnz .LBB293_105
; %bb.104:
	v_add_co_u32 v62, vcc_lo, v68, v22
	v_add_co_ci_u32_e64 v63, null, v69, v23, vcc_lo
	global_load_ushort v62, v[62:63], off
	s_waitcnt vmcnt(0)
	v_mul_f16_e32 v62, s22, v62
	s_branch .LBB293_106
.LBB293_105:
	v_mov_b32_e32 v62, 0
.LBB293_106:
	v_pk_max_f16 v63, v24, v24
	v_pk_max_f16 v64, v12, v12
	;; [unrolled: 1-line block ×4, first 2 shown]
	v_add_co_u32 v22, vcc_lo, v40, v22
	v_pk_min_f16 v63, v64, v63
	v_add_co_ci_u32_e64 v23, null, v41, v23, vcc_lo
	v_pk_min_f16 v64, v66, v65
	v_pk_add_f16 v61, v61, v63
	v_pk_add_f16 v61, v61, v64
	v_add_f16_sdwa v61, v61, v61 dst_sel:DWORD dst_unused:UNUSED_PAD src0_sel:DWORD src1_sel:WORD_1
	v_add_f16_e32 v61, v61, v62
	global_store_short v[22:23], v61, off
	s_or_b32 exec_lo, exec_lo, s11
	s_and_b32 s12, s6, s8
	s_and_saveexec_b32 s11, s12
	s_cbranch_execz .LBB293_82
.LBB293_107:
	v_cmp_ne_u32_e32 vcc_lo, 1, v59
	v_lshlrev_b64 v[22:23], 1, v[36:37]
	s_cbranch_vccnz .LBB293_109
; %bb.108:
	v_add_co_u32 v61, vcc_lo, v68, v22
	v_add_co_ci_u32_e64 v62, null, v69, v23, vcc_lo
	global_load_ushort v61, v[61:62], off
	s_waitcnt vmcnt(0)
	v_mul_f16_e32 v61, s22, v61
	s_branch .LBB293_110
.LBB293_109:
	v_mov_b32_e32 v61, 0
.LBB293_110:
	v_pk_max_f16 v62, v24, v24
	v_pk_max_f16 v63, v6, v6
	;; [unrolled: 1-line block ×4, first 2 shown]
	v_add_co_u32 v22, vcc_lo, v40, v22
	v_pk_min_f16 v62, v63, v62
	v_add_co_ci_u32_e64 v23, null, v41, v23, vcc_lo
	v_pk_min_f16 v63, v65, v64
	v_pk_add_f16 v60, v60, v62
	v_pk_add_f16 v60, v60, v63
	v_add_f16_sdwa v60, v60, v60 dst_sel:DWORD dst_unused:UNUSED_PAD src0_sel:DWORD src1_sel:WORD_1
	v_add_f16_e32 v60, v60, v61
	global_store_short v[22:23], v60, off
	s_or_b32 exec_lo, exec_lo, s11
	s_and_b32 s11, s7, s8
	s_and_saveexec_b32 s8, s11
	s_cbranch_execz .LBB293_115
.LBB293_111:
	v_cmp_ne_u32_e32 vcc_lo, 1, v59
	v_lshlrev_b64 v[22:23], 1, v[38:39]
	s_cbranch_vccnz .LBB293_113
; %bb.112:
	v_add_co_u32 v60, vcc_lo, v68, v22
	v_add_co_ci_u32_e64 v61, null, v69, v23, vcc_lo
	global_load_ushort v60, v[60:61], off
	s_waitcnt vmcnt(0)
	v_mul_f16_e32 v60, s22, v60
	s_branch .LBB293_114
.LBB293_113:
	v_mov_b32_e32 v60, 0
.LBB293_114:
	v_pk_max_f16 v24, v24, v24
	v_pk_max_f16 v61, v8, v8
	;; [unrolled: 1-line block ×4, first 2 shown]
	v_add_co_u32 v22, vcc_lo, v40, v22
	v_pk_min_f16 v24, v61, v24
	v_add_co_ci_u32_e64 v23, null, v41, v23, vcc_lo
	v_pk_min_f16 v25, v62, v25
	v_pk_add_f16 v24, v58, v24
	v_pk_add_f16 v24, v24, v25
	v_add_f16_sdwa v24, v24, v24 dst_sel:DWORD dst_unused:UNUSED_PAD src0_sel:DWORD src1_sel:WORD_1
	v_add_f16_e32 v24, v24, v60
	global_store_short v[22:23], v24, off
.LBB293_115:
	s_or_b32 exec_lo, exec_lo, s8
	v_add_nc_u32_e32 v40, 64, v67
	v_mad_i64_i32 v[22:23], null, v40, s15, 0
	v_mad_i64_i32 v[24:25], null, v40, s14, 0
	v_cmp_gt_i32_e64 s8, s13, v40
	v_lshlrev_b64 v[22:23], 1, v[22:23]
	s_and_b32 s12, s0, s8
	v_lshlrev_b64 v[24:25], 1, v[24:25]
	v_add_co_u32 v40, vcc_lo, s16, v22
	v_add_co_ci_u32_e64 v41, null, s17, v23, vcc_lo
	v_add_co_u32 v24, vcc_lo, s9, v24
	v_add_co_ci_u32_e64 v25, null, s10, v25, vcc_lo
	s_and_saveexec_b32 s11, s12
	s_cbranch_execnz .LBB293_123
; %bb.116:
	s_or_b32 exec_lo, exec_lo, s11
	s_and_b32 s12, s1, s8
	s_and_saveexec_b32 s11, s12
	s_cbranch_execnz .LBB293_127
.LBB293_117:
	s_or_b32 exec_lo, exec_lo, s11
	s_and_b32 s12, s2, s8
	s_and_saveexec_b32 s11, s12
	s_cbranch_execnz .LBB293_131
.LBB293_118:
	s_or_b32 exec_lo, exec_lo, s11
	s_and_b32 s12, s3, s8
	s_and_saveexec_b32 s11, s12
	s_cbranch_execnz .LBB293_135
.LBB293_119:
	s_or_b32 exec_lo, exec_lo, s11
	s_and_b32 s12, s4, s8
	s_and_saveexec_b32 s11, s12
	s_cbranch_execnz .LBB293_139
.LBB293_120:
	s_or_b32 exec_lo, exec_lo, s11
	s_and_b32 s12, s5, s8
	s_and_saveexec_b32 s11, s12
	s_cbranch_execnz .LBB293_143
.LBB293_121:
	s_or_b32 exec_lo, exec_lo, s11
	s_and_b32 s12, s6, s8
	s_and_saveexec_b32 s11, s12
	s_cbranch_execnz .LBB293_147
.LBB293_122:
	s_or_b32 exec_lo, exec_lo, s11
	s_and_b32 s11, s7, s8
	s_and_saveexec_b32 s8, s11
	s_cbranch_execnz .LBB293_151
	s_branch .LBB293_155
.LBB293_123:
	v_cmp_ne_u32_e32 vcc_lo, 1, v59
	v_lshlrev_b64 v[22:23], 1, v[0:1]
	s_cbranch_vccnz .LBB293_125
; %bb.124:
	v_add_co_u32 v60, vcc_lo, v40, v22
	v_add_co_ci_u32_e64 v61, null, v41, v23, vcc_lo
	global_load_ushort v58, v[60:61], off
	s_waitcnt vmcnt(0)
	v_mul_f16_e32 v58, s22, v58
	s_branch .LBB293_126
.LBB293_125:
	v_mov_b32_e32 v58, 0
.LBB293_126:
	v_pk_max_f16 v60, v2, v2
	v_pk_max_f16 v61, v18, v18
	v_pk_max_f16 v62, v3, v3
	v_pk_max_f16 v63, v19, v19
	v_add_co_u32 v22, vcc_lo, v24, v22
	v_pk_min_f16 v60, v61, v60
	v_add_co_ci_u32_e64 v23, null, v25, v23, vcc_lo
	v_pk_min_f16 v61, v63, v62
	v_pk_add_f16 v57, v57, v60
	v_pk_add_f16 v57, v57, v61
	v_add_f16_sdwa v57, v57, v57 dst_sel:DWORD dst_unused:UNUSED_PAD src0_sel:DWORD src1_sel:WORD_1
	v_add_f16_e32 v57, v57, v58
	global_store_short v[22:23], v57, off
	s_or_b32 exec_lo, exec_lo, s11
	s_and_b32 s12, s1, s8
	s_and_saveexec_b32 s11, s12
	s_cbranch_execz .LBB293_117
.LBB293_127:
	v_cmp_ne_u32_e32 vcc_lo, 1, v59
	v_lshlrev_b64 v[22:23], 1, v[26:27]
	s_cbranch_vccnz .LBB293_129
; %bb.128:
	v_add_co_u32 v57, vcc_lo, v40, v22
	v_add_co_ci_u32_e64 v58, null, v41, v23, vcc_lo
	global_load_ushort v57, v[57:58], off
	s_waitcnt vmcnt(0)
	v_mul_f16_e32 v57, s22, v57
	s_branch .LBB293_130
.LBB293_129:
	v_mov_b32_e32 v57, 0
.LBB293_130:
	v_pk_max_f16 v58, v2, v2
	v_pk_max_f16 v60, v20, v20
	;; [unrolled: 1-line block ×4, first 2 shown]
	v_add_co_u32 v22, vcc_lo, v24, v22
	v_pk_min_f16 v58, v60, v58
	v_add_co_ci_u32_e64 v23, null, v25, v23, vcc_lo
	v_pk_min_f16 v60, v62, v61
	v_pk_add_f16 v56, v56, v58
	v_pk_add_f16 v56, v56, v60
	v_add_f16_sdwa v56, v56, v56 dst_sel:DWORD dst_unused:UNUSED_PAD src0_sel:DWORD src1_sel:WORD_1
	v_add_f16_e32 v56, v56, v57
	global_store_short v[22:23], v56, off
	s_or_b32 exec_lo, exec_lo, s11
	s_and_b32 s12, s2, s8
	s_and_saveexec_b32 s11, s12
	s_cbranch_execz .LBB293_118
.LBB293_131:
	v_cmp_ne_u32_e32 vcc_lo, 1, v59
	v_lshlrev_b64 v[22:23], 1, v[28:29]
	s_cbranch_vccnz .LBB293_133
; %bb.132:
	v_add_co_u32 v56, vcc_lo, v40, v22
	v_add_co_ci_u32_e64 v57, null, v41, v23, vcc_lo
	global_load_ushort v56, v[56:57], off
	s_waitcnt vmcnt(0)
	v_mul_f16_e32 v56, s22, v56
	s_branch .LBB293_134
.LBB293_133:
	v_mov_b32_e32 v56, 0
.LBB293_134:
	v_pk_max_f16 v57, v2, v2
	v_pk_max_f16 v58, v14, v14
	;; [unrolled: 1-line block ×4, first 2 shown]
	v_add_co_u32 v22, vcc_lo, v24, v22
	v_pk_min_f16 v57, v58, v57
	v_add_co_ci_u32_e64 v23, null, v25, v23, vcc_lo
	v_pk_min_f16 v58, v61, v60
	v_pk_add_f16 v55, v55, v57
	v_pk_add_f16 v55, v55, v58
	v_add_f16_sdwa v55, v55, v55 dst_sel:DWORD dst_unused:UNUSED_PAD src0_sel:DWORD src1_sel:WORD_1
	v_add_f16_e32 v55, v55, v56
	global_store_short v[22:23], v55, off
	s_or_b32 exec_lo, exec_lo, s11
	s_and_b32 s12, s3, s8
	s_and_saveexec_b32 s11, s12
	s_cbranch_execz .LBB293_119
.LBB293_135:
	v_cmp_ne_u32_e32 vcc_lo, 1, v59
	v_lshlrev_b64 v[22:23], 1, v[30:31]
	s_cbranch_vccnz .LBB293_137
; %bb.136:
	v_add_co_u32 v55, vcc_lo, v40, v22
	v_add_co_ci_u32_e64 v56, null, v41, v23, vcc_lo
	global_load_ushort v55, v[55:56], off
	s_waitcnt vmcnt(0)
	v_mul_f16_e32 v55, s22, v55
	s_branch .LBB293_138
.LBB293_137:
	v_mov_b32_e32 v55, 0
.LBB293_138:
	v_pk_max_f16 v56, v2, v2
	v_pk_max_f16 v57, v16, v16
	;; [unrolled: 1-line block ×4, first 2 shown]
	v_add_co_u32 v22, vcc_lo, v24, v22
	v_pk_min_f16 v56, v57, v56
	v_add_co_ci_u32_e64 v23, null, v25, v23, vcc_lo
	v_pk_min_f16 v57, v60, v58
	v_pk_add_f16 v54, v54, v56
	v_pk_add_f16 v54, v54, v57
	v_add_f16_sdwa v54, v54, v54 dst_sel:DWORD dst_unused:UNUSED_PAD src0_sel:DWORD src1_sel:WORD_1
	v_add_f16_e32 v54, v54, v55
	global_store_short v[22:23], v54, off
	s_or_b32 exec_lo, exec_lo, s11
	s_and_b32 s12, s4, s8
	s_and_saveexec_b32 s11, s12
	s_cbranch_execz .LBB293_120
.LBB293_139:
	v_cmp_ne_u32_e32 vcc_lo, 1, v59
	v_lshlrev_b64 v[22:23], 1, v[32:33]
	s_cbranch_vccnz .LBB293_141
; %bb.140:
	v_add_co_u32 v54, vcc_lo, v40, v22
	v_add_co_ci_u32_e64 v55, null, v41, v23, vcc_lo
	global_load_ushort v54, v[54:55], off
	s_waitcnt vmcnt(0)
	v_mul_f16_e32 v54, s22, v54
	s_branch .LBB293_142
.LBB293_141:
	v_mov_b32_e32 v54, 0
.LBB293_142:
	v_pk_max_f16 v55, v2, v2
	v_pk_max_f16 v56, v10, v10
	;; [unrolled: 1-line block ×4, first 2 shown]
	v_add_co_u32 v22, vcc_lo, v24, v22
	v_pk_min_f16 v55, v56, v55
	v_add_co_ci_u32_e64 v23, null, v25, v23, vcc_lo
	v_pk_min_f16 v56, v58, v57
	v_pk_add_f16 v53, v53, v55
	v_pk_add_f16 v53, v53, v56
	v_add_f16_sdwa v53, v53, v53 dst_sel:DWORD dst_unused:UNUSED_PAD src0_sel:DWORD src1_sel:WORD_1
	v_add_f16_e32 v53, v53, v54
	global_store_short v[22:23], v53, off
	s_or_b32 exec_lo, exec_lo, s11
	s_and_b32 s12, s5, s8
	s_and_saveexec_b32 s11, s12
	s_cbranch_execz .LBB293_121
.LBB293_143:
	v_cmp_ne_u32_e32 vcc_lo, 1, v59
	v_lshlrev_b64 v[22:23], 1, v[34:35]
	s_cbranch_vccnz .LBB293_145
; %bb.144:
	v_add_co_u32 v53, vcc_lo, v40, v22
	v_add_co_ci_u32_e64 v54, null, v41, v23, vcc_lo
	global_load_ushort v53, v[53:54], off
	s_waitcnt vmcnt(0)
	v_mul_f16_e32 v53, s22, v53
	s_branch .LBB293_146
.LBB293_145:
	v_mov_b32_e32 v53, 0
.LBB293_146:
	v_pk_max_f16 v54, v2, v2
	v_pk_max_f16 v55, v12, v12
	;; [unrolled: 1-line block ×4, first 2 shown]
	v_add_co_u32 v22, vcc_lo, v24, v22
	v_pk_min_f16 v54, v55, v54
	v_add_co_ci_u32_e64 v23, null, v25, v23, vcc_lo
	v_pk_min_f16 v55, v57, v56
	v_pk_add_f16 v52, v52, v54
	v_pk_add_f16 v52, v52, v55
	v_add_f16_sdwa v52, v52, v52 dst_sel:DWORD dst_unused:UNUSED_PAD src0_sel:DWORD src1_sel:WORD_1
	v_add_f16_e32 v52, v52, v53
	global_store_short v[22:23], v52, off
	s_or_b32 exec_lo, exec_lo, s11
	s_and_b32 s12, s6, s8
	s_and_saveexec_b32 s11, s12
	s_cbranch_execz .LBB293_122
.LBB293_147:
	v_cmp_ne_u32_e32 vcc_lo, 1, v59
	v_lshlrev_b64 v[22:23], 1, v[36:37]
	s_cbranch_vccnz .LBB293_149
; %bb.148:
	v_add_co_u32 v52, vcc_lo, v40, v22
	v_add_co_ci_u32_e64 v53, null, v41, v23, vcc_lo
	global_load_ushort v52, v[52:53], off
	s_waitcnt vmcnt(0)
	v_mul_f16_e32 v52, s22, v52
	s_branch .LBB293_150
.LBB293_149:
	v_mov_b32_e32 v52, 0
.LBB293_150:
	v_pk_max_f16 v53, v2, v2
	v_pk_max_f16 v54, v6, v6
	;; [unrolled: 1-line block ×4, first 2 shown]
	v_add_co_u32 v22, vcc_lo, v24, v22
	v_pk_min_f16 v53, v54, v53
	v_add_co_ci_u32_e64 v23, null, v25, v23, vcc_lo
	v_pk_min_f16 v54, v56, v55
	v_pk_add_f16 v51, v51, v53
	v_pk_add_f16 v51, v51, v54
	v_add_f16_sdwa v51, v51, v51 dst_sel:DWORD dst_unused:UNUSED_PAD src0_sel:DWORD src1_sel:WORD_1
	v_add_f16_e32 v51, v51, v52
	global_store_short v[22:23], v51, off
	s_or_b32 exec_lo, exec_lo, s11
	s_and_b32 s11, s7, s8
	s_and_saveexec_b32 s8, s11
	s_cbranch_execz .LBB293_155
.LBB293_151:
	v_cmp_ne_u32_e32 vcc_lo, 1, v59
	v_lshlrev_b64 v[22:23], 1, v[38:39]
	s_cbranch_vccnz .LBB293_153
; %bb.152:
	v_add_co_u32 v40, vcc_lo, v40, v22
	v_add_co_ci_u32_e64 v41, null, v41, v23, vcc_lo
	global_load_ushort v40, v[40:41], off
	s_waitcnt vmcnt(0)
	v_mul_f16_e32 v40, s22, v40
	s_branch .LBB293_154
.LBB293_153:
	v_mov_b32_e32 v40, 0
.LBB293_154:
	v_pk_max_f16 v2, v2, v2
	v_pk_max_f16 v41, v8, v8
	;; [unrolled: 1-line block ×4, first 2 shown]
	v_pk_min_f16 v2, v41, v2
	v_pk_min_f16 v3, v51, v3
	v_pk_add_f16 v2, v50, v2
	v_pk_add_f16 v2, v2, v3
	v_add_f16_sdwa v2, v2, v2 dst_sel:DWORD dst_unused:UNUSED_PAD src0_sel:DWORD src1_sel:WORD_1
	v_add_f16_e32 v40, v2, v40
	v_add_co_u32 v2, vcc_lo, v24, v22
	v_add_co_ci_u32_e64 v3, null, v25, v23, vcc_lo
	global_store_short v[2:3], v40, off
.LBB293_155:
	s_or_b32 exec_lo, exec_lo, s8
	v_add_nc_u32_e32 v24, 0x60, v67
	v_mad_i64_i32 v[2:3], null, v24, s15, 0
	v_mad_i64_i32 v[22:23], null, v24, s14, 0
	v_cmp_gt_i32_e64 s8, s13, v24
	v_lshlrev_b64 v[2:3], 1, v[2:3]
	v_lshlrev_b64 v[24:25], 1, v[22:23]
	v_add_co_u32 v22, vcc_lo, s16, v2
	v_add_co_ci_u32_e64 v23, null, s17, v3, vcc_lo
	v_add_co_u32 v2, vcc_lo, s9, v24
	v_add_co_ci_u32_e64 v3, null, s10, v25, vcc_lo
	s_and_b32 s9, s0, s8
	s_and_saveexec_b32 s0, s9
	s_cbranch_execnz .LBB293_164
; %bb.156:
	s_or_b32 exec_lo, exec_lo, s0
	s_and_b32 s1, s1, s8
	s_and_saveexec_b32 s0, s1
	s_cbranch_execnz .LBB293_168
.LBB293_157:
	s_or_b32 exec_lo, exec_lo, s0
	s_and_b32 s1, s2, s8
	s_and_saveexec_b32 s0, s1
	s_cbranch_execnz .LBB293_172
.LBB293_158:
	s_or_b32 exec_lo, exec_lo, s0
	s_and_b32 s1, s3, s8
	s_and_saveexec_b32 s0, s1
	s_cbranch_execnz .LBB293_176
.LBB293_159:
	s_or_b32 exec_lo, exec_lo, s0
	s_and_b32 s1, s4, s8
	s_and_saveexec_b32 s0, s1
	s_cbranch_execnz .LBB293_180
.LBB293_160:
	s_or_b32 exec_lo, exec_lo, s0
	s_and_b32 s1, s5, s8
	s_and_saveexec_b32 s0, s1
	s_cbranch_execnz .LBB293_184
.LBB293_161:
	s_or_b32 exec_lo, exec_lo, s0
	s_and_b32 s1, s6, s8
	s_and_saveexec_b32 s0, s1
	s_cbranch_execnz .LBB293_188
.LBB293_162:
	s_or_b32 exec_lo, exec_lo, s0
	s_and_b32 s0, s7, s8
	s_and_saveexec_b32 s1, s0
	s_cbranch_execnz .LBB293_192
.LBB293_163:
	s_endpgm
.LBB293_164:
	v_cmp_ne_u32_e32 vcc_lo, 1, v59
	v_lshlrev_b64 v[0:1], 1, v[0:1]
	s_cbranch_vccnz .LBB293_166
; %bb.165:
	v_add_co_u32 v24, vcc_lo, v22, v0
	v_add_co_ci_u32_e64 v25, null, v23, v1, vcc_lo
	global_load_ushort v24, v[24:25], off
	s_waitcnt vmcnt(0)
	v_mul_f16_e32 v24, s22, v24
	s_branch .LBB293_167
.LBB293_166:
	v_mov_b32_e32 v24, 0
.LBB293_167:
	v_pk_max_f16 v25, v4, v4
	v_pk_max_f16 v18, v18, v18
	;; [unrolled: 1-line block ×4, first 2 shown]
	v_add_co_u32 v0, vcc_lo, v2, v0
	v_pk_min_f16 v18, v18, v25
	v_add_co_ci_u32_e64 v1, null, v3, v1, vcc_lo
	v_pk_min_f16 v19, v19, v40
	v_pk_add_f16 v18, v49, v18
	v_pk_add_f16 v18, v18, v19
	v_add_f16_sdwa v18, v18, v18 dst_sel:DWORD dst_unused:UNUSED_PAD src0_sel:DWORD src1_sel:WORD_1
	v_add_f16_e32 v18, v18, v24
	global_store_short v[0:1], v18, off
	s_or_b32 exec_lo, exec_lo, s0
	s_and_b32 s1, s1, s8
	s_and_saveexec_b32 s0, s1
	s_cbranch_execz .LBB293_157
.LBB293_168:
	v_cmp_ne_u32_e32 vcc_lo, 1, v59
	v_lshlrev_b64 v[0:1], 1, v[26:27]
	s_cbranch_vccnz .LBB293_170
; %bb.169:
	v_add_co_u32 v18, vcc_lo, v22, v0
	v_add_co_ci_u32_e64 v19, null, v23, v1, vcc_lo
	global_load_ushort v18, v[18:19], off
	s_waitcnt vmcnt(0)
	v_mul_f16_e32 v18, s22, v18
	s_branch .LBB293_171
.LBB293_170:
	v_mov_b32_e32 v18, 0
.LBB293_171:
	v_pk_max_f16 v19, v4, v4
	v_pk_max_f16 v20, v20, v20
	;; [unrolled: 1-line block ×4, first 2 shown]
	v_add_co_u32 v0, vcc_lo, v2, v0
	v_pk_min_f16 v19, v20, v19
	v_add_co_ci_u32_e64 v1, null, v3, v1, vcc_lo
	v_pk_min_f16 v20, v21, v24
	v_pk_add_f16 v19, v48, v19
	v_pk_add_f16 v19, v19, v20
	v_add_f16_sdwa v19, v19, v19 dst_sel:DWORD dst_unused:UNUSED_PAD src0_sel:DWORD src1_sel:WORD_1
	v_add_f16_e32 v18, v19, v18
	global_store_short v[0:1], v18, off
	s_or_b32 exec_lo, exec_lo, s0
	s_and_b32 s1, s2, s8
	s_and_saveexec_b32 s0, s1
	s_cbranch_execz .LBB293_158
.LBB293_172:
	v_cmp_ne_u32_e32 vcc_lo, 1, v59
	v_lshlrev_b64 v[0:1], 1, v[28:29]
	s_cbranch_vccnz .LBB293_174
; %bb.173:
	v_add_co_u32 v18, vcc_lo, v22, v0
	v_add_co_ci_u32_e64 v19, null, v23, v1, vcc_lo
	global_load_ushort v18, v[18:19], off
	s_waitcnt vmcnt(0)
	v_mul_f16_e32 v18, s22, v18
	s_branch .LBB293_175
.LBB293_174:
	v_mov_b32_e32 v18, 0
.LBB293_175:
	v_pk_max_f16 v19, v4, v4
	v_pk_max_f16 v14, v14, v14
	;; [unrolled: 1-line block ×4, first 2 shown]
	v_add_co_u32 v0, vcc_lo, v2, v0
	v_pk_min_f16 v14, v14, v19
	v_add_co_ci_u32_e64 v1, null, v3, v1, vcc_lo
	v_pk_min_f16 v15, v15, v20
	v_pk_add_f16 v14, v47, v14
	v_pk_add_f16 v14, v14, v15
	v_add_f16_sdwa v14, v14, v14 dst_sel:DWORD dst_unused:UNUSED_PAD src0_sel:DWORD src1_sel:WORD_1
	v_add_f16_e32 v14, v14, v18
	global_store_short v[0:1], v14, off
	s_or_b32 exec_lo, exec_lo, s0
	s_and_b32 s1, s3, s8
	s_and_saveexec_b32 s0, s1
	s_cbranch_execz .LBB293_159
.LBB293_176:
	v_cmp_ne_u32_e32 vcc_lo, 1, v59
	v_lshlrev_b64 v[0:1], 1, v[30:31]
	s_cbranch_vccnz .LBB293_178
; %bb.177:
	v_add_co_u32 v14, vcc_lo, v22, v0
	v_add_co_ci_u32_e64 v15, null, v23, v1, vcc_lo
	global_load_ushort v14, v[14:15], off
	s_waitcnt vmcnt(0)
	v_mul_f16_e32 v14, s22, v14
	s_branch .LBB293_179
.LBB293_178:
	v_mov_b32_e32 v14, 0
.LBB293_179:
	v_pk_max_f16 v15, v4, v4
	v_pk_max_f16 v16, v16, v16
	;; [unrolled: 1-line block ×4, first 2 shown]
	v_add_co_u32 v0, vcc_lo, v2, v0
	v_pk_min_f16 v15, v16, v15
	v_add_co_ci_u32_e64 v1, null, v3, v1, vcc_lo
	v_pk_min_f16 v16, v17, v18
	v_pk_add_f16 v15, v46, v15
	v_pk_add_f16 v15, v15, v16
	v_add_f16_sdwa v15, v15, v15 dst_sel:DWORD dst_unused:UNUSED_PAD src0_sel:DWORD src1_sel:WORD_1
	v_add_f16_e32 v14, v15, v14
	global_store_short v[0:1], v14, off
	s_or_b32 exec_lo, exec_lo, s0
	s_and_b32 s1, s4, s8
	s_and_saveexec_b32 s0, s1
	s_cbranch_execz .LBB293_160
.LBB293_180:
	v_cmp_ne_u32_e32 vcc_lo, 1, v59
	v_lshlrev_b64 v[0:1], 1, v[32:33]
	s_cbranch_vccnz .LBB293_182
; %bb.181:
	v_add_co_u32 v14, vcc_lo, v22, v0
	v_add_co_ci_u32_e64 v15, null, v23, v1, vcc_lo
	global_load_ushort v14, v[14:15], off
	s_waitcnt vmcnt(0)
	v_mul_f16_e32 v14, s22, v14
	s_branch .LBB293_183
.LBB293_182:
	v_mov_b32_e32 v14, 0
.LBB293_183:
	v_pk_max_f16 v15, v4, v4
	v_pk_max_f16 v10, v10, v10
	;; [unrolled: 1-line block ×4, first 2 shown]
	v_add_co_u32 v0, vcc_lo, v2, v0
	v_pk_min_f16 v10, v10, v15
	v_add_co_ci_u32_e64 v1, null, v3, v1, vcc_lo
	v_pk_min_f16 v11, v11, v16
	v_pk_add_f16 v10, v45, v10
	v_pk_add_f16 v10, v10, v11
	v_add_f16_sdwa v10, v10, v10 dst_sel:DWORD dst_unused:UNUSED_PAD src0_sel:DWORD src1_sel:WORD_1
	v_add_f16_e32 v10, v10, v14
	global_store_short v[0:1], v10, off
	s_or_b32 exec_lo, exec_lo, s0
	s_and_b32 s1, s5, s8
	s_and_saveexec_b32 s0, s1
	s_cbranch_execz .LBB293_161
.LBB293_184:
	v_cmp_ne_u32_e32 vcc_lo, 1, v59
	v_lshlrev_b64 v[0:1], 1, v[34:35]
	s_cbranch_vccnz .LBB293_186
; %bb.185:
	v_add_co_u32 v10, vcc_lo, v22, v0
	v_add_co_ci_u32_e64 v11, null, v23, v1, vcc_lo
	global_load_ushort v10, v[10:11], off
	s_waitcnt vmcnt(0)
	v_mul_f16_e32 v10, s22, v10
	s_branch .LBB293_187
.LBB293_186:
	v_mov_b32_e32 v10, 0
.LBB293_187:
	v_pk_max_f16 v11, v4, v4
	v_pk_max_f16 v12, v12, v12
	;; [unrolled: 1-line block ×4, first 2 shown]
	v_add_co_u32 v0, vcc_lo, v2, v0
	v_pk_min_f16 v11, v12, v11
	v_add_co_ci_u32_e64 v1, null, v3, v1, vcc_lo
	v_pk_min_f16 v12, v13, v14
	v_pk_add_f16 v11, v44, v11
	v_pk_add_f16 v11, v11, v12
	v_add_f16_sdwa v11, v11, v11 dst_sel:DWORD dst_unused:UNUSED_PAD src0_sel:DWORD src1_sel:WORD_1
	v_add_f16_e32 v10, v11, v10
	global_store_short v[0:1], v10, off
	s_or_b32 exec_lo, exec_lo, s0
	s_and_b32 s1, s6, s8
	s_and_saveexec_b32 s0, s1
	s_cbranch_execz .LBB293_162
.LBB293_188:
	v_cmp_ne_u32_e32 vcc_lo, 1, v59
	v_lshlrev_b64 v[0:1], 1, v[36:37]
	s_cbranch_vccnz .LBB293_190
; %bb.189:
	v_add_co_u32 v10, vcc_lo, v22, v0
	v_add_co_ci_u32_e64 v11, null, v23, v1, vcc_lo
	global_load_ushort v10, v[10:11], off
	s_waitcnt vmcnt(0)
	v_mul_f16_e32 v10, s22, v10
	s_branch .LBB293_191
.LBB293_190:
	v_mov_b32_e32 v10, 0
.LBB293_191:
	v_pk_max_f16 v11, v4, v4
	v_pk_max_f16 v6, v6, v6
	v_pk_max_f16 v12, v5, v5
	v_pk_max_f16 v7, v7, v7
	v_add_co_u32 v0, vcc_lo, v2, v0
	v_pk_min_f16 v6, v6, v11
	v_add_co_ci_u32_e64 v1, null, v3, v1, vcc_lo
	v_pk_min_f16 v7, v7, v12
	v_pk_add_f16 v6, v43, v6
	v_pk_add_f16 v6, v6, v7
	v_add_f16_sdwa v6, v6, v6 dst_sel:DWORD dst_unused:UNUSED_PAD src0_sel:DWORD src1_sel:WORD_1
	v_add_f16_e32 v6, v6, v10
	global_store_short v[0:1], v6, off
	s_or_b32 exec_lo, exec_lo, s0
	s_and_b32 s0, s7, s8
	s_and_saveexec_b32 s1, s0
	s_cbranch_execz .LBB293_163
.LBB293_192:
	v_cmp_ne_u32_e32 vcc_lo, 1, v59
	v_lshlrev_b64 v[0:1], 1, v[38:39]
	s_cbranch_vccnz .LBB293_194
; %bb.193:
	v_add_co_u32 v6, vcc_lo, v22, v0
	v_add_co_ci_u32_e64 v7, null, v23, v1, vcc_lo
	global_load_ushort v6, v[6:7], off
	s_waitcnt vmcnt(0)
	v_mul_f16_e32 v6, s22, v6
	s_branch .LBB293_195
.LBB293_194:
	v_mov_b32_e32 v6, 0
.LBB293_195:
	v_pk_max_f16 v4, v4, v4
	v_pk_max_f16 v7, v8, v8
	;; [unrolled: 1-line block ×4, first 2 shown]
	v_add_co_u32 v0, vcc_lo, v2, v0
	v_pk_min_f16 v4, v7, v4
	v_add_co_ci_u32_e64 v1, null, v3, v1, vcc_lo
	v_pk_min_f16 v5, v8, v5
	v_pk_add_f16 v4, v42, v4
	v_pk_add_f16 v4, v4, v5
	v_add_f16_sdwa v4, v4, v4 dst_sel:DWORD dst_unused:UNUSED_PAD src0_sel:DWORD src1_sel:WORD_1
	v_add_f16_e32 v4, v4, v6
	global_store_short v[0:1], v4, off
	s_endpgm
	.section	.rodata,"a",@progbits
	.p2align	6, 0x0
	.amdhsa_kernel _ZN12_GLOBAL__N_120geam_min_plus_kernelIDF16_Dv2_DF16_S1_Li8ELi32ELi64ELi128ELi4ELi4ELi64ELi4ELi64ELc84ELc78ELb0ELb1ELb0EDF16_KDF16_DF16_EEviiiT16_PT17_ilS5_ilS3_S5_ilPT18_ili26rocblas_geam_ex_operation_
		.amdhsa_group_segment_fixed_size 3072
		.amdhsa_private_segment_fixed_size 0
		.amdhsa_kernarg_size 128
		.amdhsa_user_sgpr_count 6
		.amdhsa_user_sgpr_private_segment_buffer 1
		.amdhsa_user_sgpr_dispatch_ptr 0
		.amdhsa_user_sgpr_queue_ptr 0
		.amdhsa_user_sgpr_kernarg_segment_ptr 1
		.amdhsa_user_sgpr_dispatch_id 0
		.amdhsa_user_sgpr_flat_scratch_init 0
		.amdhsa_user_sgpr_private_segment_size 0
		.amdhsa_wavefront_size32 1
		.amdhsa_uses_dynamic_stack 0
		.amdhsa_system_sgpr_private_segment_wavefront_offset 0
		.amdhsa_system_sgpr_workgroup_id_x 1
		.amdhsa_system_sgpr_workgroup_id_y 0
		.amdhsa_system_sgpr_workgroup_id_z 1
		.amdhsa_system_sgpr_workgroup_info 0
		.amdhsa_system_vgpr_workitem_id 1
		.amdhsa_next_free_vgpr 119
		.amdhsa_next_free_sgpr 30
		.amdhsa_reserve_vcc 1
		.amdhsa_reserve_flat_scratch 0
		.amdhsa_float_round_mode_32 0
		.amdhsa_float_round_mode_16_64 0
		.amdhsa_float_denorm_mode_32 3
		.amdhsa_float_denorm_mode_16_64 3
		.amdhsa_dx10_clamp 1
		.amdhsa_ieee_mode 1
		.amdhsa_fp16_overflow 0
		.amdhsa_workgroup_processor_mode 1
		.amdhsa_memory_ordered 1
		.amdhsa_forward_progress 1
		.amdhsa_shared_vgpr_count 0
		.amdhsa_exception_fp_ieee_invalid_op 0
		.amdhsa_exception_fp_denorm_src 0
		.amdhsa_exception_fp_ieee_div_zero 0
		.amdhsa_exception_fp_ieee_overflow 0
		.amdhsa_exception_fp_ieee_underflow 0
		.amdhsa_exception_fp_ieee_inexact 0
		.amdhsa_exception_int_div_zero 0
	.end_amdhsa_kernel
	.section	.text._ZN12_GLOBAL__N_120geam_min_plus_kernelIDF16_Dv2_DF16_S1_Li8ELi32ELi64ELi128ELi4ELi4ELi64ELi4ELi64ELc84ELc78ELb0ELb1ELb0EDF16_KDF16_DF16_EEviiiT16_PT17_ilS5_ilS3_S5_ilPT18_ili26rocblas_geam_ex_operation_,"axG",@progbits,_ZN12_GLOBAL__N_120geam_min_plus_kernelIDF16_Dv2_DF16_S1_Li8ELi32ELi64ELi128ELi4ELi4ELi64ELi4ELi64ELc84ELc78ELb0ELb1ELb0EDF16_KDF16_DF16_EEviiiT16_PT17_ilS5_ilS3_S5_ilPT18_ili26rocblas_geam_ex_operation_,comdat
.Lfunc_end293:
	.size	_ZN12_GLOBAL__N_120geam_min_plus_kernelIDF16_Dv2_DF16_S1_Li8ELi32ELi64ELi128ELi4ELi4ELi64ELi4ELi64ELc84ELc78ELb0ELb1ELb0EDF16_KDF16_DF16_EEviiiT16_PT17_ilS5_ilS3_S5_ilPT18_ili26rocblas_geam_ex_operation_, .Lfunc_end293-_ZN12_GLOBAL__N_120geam_min_plus_kernelIDF16_Dv2_DF16_S1_Li8ELi32ELi64ELi128ELi4ELi4ELi64ELi4ELi64ELc84ELc78ELb0ELb1ELb0EDF16_KDF16_DF16_EEviiiT16_PT17_ilS5_ilS3_S5_ilPT18_ili26rocblas_geam_ex_operation_
                                        ; -- End function
	.set _ZN12_GLOBAL__N_120geam_min_plus_kernelIDF16_Dv2_DF16_S1_Li8ELi32ELi64ELi128ELi4ELi4ELi64ELi4ELi64ELc84ELc78ELb0ELb1ELb0EDF16_KDF16_DF16_EEviiiT16_PT17_ilS5_ilS3_S5_ilPT18_ili26rocblas_geam_ex_operation_.num_vgpr, 119
	.set _ZN12_GLOBAL__N_120geam_min_plus_kernelIDF16_Dv2_DF16_S1_Li8ELi32ELi64ELi128ELi4ELi4ELi64ELi4ELi64ELc84ELc78ELb0ELb1ELb0EDF16_KDF16_DF16_EEviiiT16_PT17_ilS5_ilS3_S5_ilPT18_ili26rocblas_geam_ex_operation_.num_agpr, 0
	.set _ZN12_GLOBAL__N_120geam_min_plus_kernelIDF16_Dv2_DF16_S1_Li8ELi32ELi64ELi128ELi4ELi4ELi64ELi4ELi64ELc84ELc78ELb0ELb1ELb0EDF16_KDF16_DF16_EEviiiT16_PT17_ilS5_ilS3_S5_ilPT18_ili26rocblas_geam_ex_operation_.numbered_sgpr, 30
	.set _ZN12_GLOBAL__N_120geam_min_plus_kernelIDF16_Dv2_DF16_S1_Li8ELi32ELi64ELi128ELi4ELi4ELi64ELi4ELi64ELc84ELc78ELb0ELb1ELb0EDF16_KDF16_DF16_EEviiiT16_PT17_ilS5_ilS3_S5_ilPT18_ili26rocblas_geam_ex_operation_.num_named_barrier, 0
	.set _ZN12_GLOBAL__N_120geam_min_plus_kernelIDF16_Dv2_DF16_S1_Li8ELi32ELi64ELi128ELi4ELi4ELi64ELi4ELi64ELc84ELc78ELb0ELb1ELb0EDF16_KDF16_DF16_EEviiiT16_PT17_ilS5_ilS3_S5_ilPT18_ili26rocblas_geam_ex_operation_.private_seg_size, 0
	.set _ZN12_GLOBAL__N_120geam_min_plus_kernelIDF16_Dv2_DF16_S1_Li8ELi32ELi64ELi128ELi4ELi4ELi64ELi4ELi64ELc84ELc78ELb0ELb1ELb0EDF16_KDF16_DF16_EEviiiT16_PT17_ilS5_ilS3_S5_ilPT18_ili26rocblas_geam_ex_operation_.uses_vcc, 1
	.set _ZN12_GLOBAL__N_120geam_min_plus_kernelIDF16_Dv2_DF16_S1_Li8ELi32ELi64ELi128ELi4ELi4ELi64ELi4ELi64ELc84ELc78ELb0ELb1ELb0EDF16_KDF16_DF16_EEviiiT16_PT17_ilS5_ilS3_S5_ilPT18_ili26rocblas_geam_ex_operation_.uses_flat_scratch, 0
	.set _ZN12_GLOBAL__N_120geam_min_plus_kernelIDF16_Dv2_DF16_S1_Li8ELi32ELi64ELi128ELi4ELi4ELi64ELi4ELi64ELc84ELc78ELb0ELb1ELb0EDF16_KDF16_DF16_EEviiiT16_PT17_ilS5_ilS3_S5_ilPT18_ili26rocblas_geam_ex_operation_.has_dyn_sized_stack, 0
	.set _ZN12_GLOBAL__N_120geam_min_plus_kernelIDF16_Dv2_DF16_S1_Li8ELi32ELi64ELi128ELi4ELi4ELi64ELi4ELi64ELc84ELc78ELb0ELb1ELb0EDF16_KDF16_DF16_EEviiiT16_PT17_ilS5_ilS3_S5_ilPT18_ili26rocblas_geam_ex_operation_.has_recursion, 0
	.set _ZN12_GLOBAL__N_120geam_min_plus_kernelIDF16_Dv2_DF16_S1_Li8ELi32ELi64ELi128ELi4ELi4ELi64ELi4ELi64ELc84ELc78ELb0ELb1ELb0EDF16_KDF16_DF16_EEviiiT16_PT17_ilS5_ilS3_S5_ilPT18_ili26rocblas_geam_ex_operation_.has_indirect_call, 0
	.section	.AMDGPU.csdata,"",@progbits
; Kernel info:
; codeLenInByte = 12088
; TotalNumSgprs: 32
; NumVgprs: 119
; ScratchSize: 0
; MemoryBound: 0
; FloatMode: 240
; IeeeMode: 1
; LDSByteSize: 3072 bytes/workgroup (compile time only)
; SGPRBlocks: 0
; VGPRBlocks: 14
; NumSGPRsForWavesPerEU: 32
; NumVGPRsForWavesPerEU: 119
; Occupancy: 8
; WaveLimiterHint : 0
; COMPUTE_PGM_RSRC2:SCRATCH_EN: 0
; COMPUTE_PGM_RSRC2:USER_SGPR: 6
; COMPUTE_PGM_RSRC2:TRAP_HANDLER: 0
; COMPUTE_PGM_RSRC2:TGID_X_EN: 1
; COMPUTE_PGM_RSRC2:TGID_Y_EN: 0
; COMPUTE_PGM_RSRC2:TGID_Z_EN: 1
; COMPUTE_PGM_RSRC2:TIDIG_COMP_CNT: 1
	.section	.text._ZN12_GLOBAL__N_120geam_min_plus_kernelIDF16_Dv2_DF16_S1_Li8ELi32ELi64ELi128ELi4ELi64ELi4ELi64ELi4ELc78ELc84ELb0ELb0ELb0EPKDF16_S2_DF16_EEviiiT16_PT17_ilS6_ilS4_S6_ilPT18_ili26rocblas_geam_ex_operation_,"axG",@progbits,_ZN12_GLOBAL__N_120geam_min_plus_kernelIDF16_Dv2_DF16_S1_Li8ELi32ELi64ELi128ELi4ELi64ELi4ELi64ELi4ELc78ELc84ELb0ELb0ELb0EPKDF16_S2_DF16_EEviiiT16_PT17_ilS6_ilS4_S6_ilPT18_ili26rocblas_geam_ex_operation_,comdat
	.globl	_ZN12_GLOBAL__N_120geam_min_plus_kernelIDF16_Dv2_DF16_S1_Li8ELi32ELi64ELi128ELi4ELi64ELi4ELi64ELi4ELc78ELc84ELb0ELb0ELb0EPKDF16_S2_DF16_EEviiiT16_PT17_ilS6_ilS4_S6_ilPT18_ili26rocblas_geam_ex_operation_ ; -- Begin function _ZN12_GLOBAL__N_120geam_min_plus_kernelIDF16_Dv2_DF16_S1_Li8ELi32ELi64ELi128ELi4ELi64ELi4ELi64ELi4ELc78ELc84ELb0ELb0ELb0EPKDF16_S2_DF16_EEviiiT16_PT17_ilS6_ilS4_S6_ilPT18_ili26rocblas_geam_ex_operation_
	.p2align	8
	.type	_ZN12_GLOBAL__N_120geam_min_plus_kernelIDF16_Dv2_DF16_S1_Li8ELi32ELi64ELi128ELi4ELi64ELi4ELi64ELi4ELc78ELc84ELb0ELb0ELb0EPKDF16_S2_DF16_EEviiiT16_PT17_ilS6_ilS4_S6_ilPT18_ili26rocblas_geam_ex_operation_,@function
_ZN12_GLOBAL__N_120geam_min_plus_kernelIDF16_Dv2_DF16_S1_Li8ELi32ELi64ELi128ELi4ELi64ELi4ELi64ELi4ELc78ELc84ELb0ELb0ELb0EPKDF16_S2_DF16_EEviiiT16_PT17_ilS6_ilS4_S6_ilPT18_ili26rocblas_geam_ex_operation_: ; @_ZN12_GLOBAL__N_120geam_min_plus_kernelIDF16_Dv2_DF16_S1_Li8ELi32ELi64ELi128ELi4ELi64ELi4ELi64ELi4ELc78ELc84ELb0ELb0ELb0EPKDF16_S2_DF16_EEviiiT16_PT17_ilS6_ilS4_S6_ilPT18_ili26rocblas_geam_ex_operation_
; %bb.0:
	s_clause 0x1
	s_load_dwordx4 s[12:15], s[4:5], 0x10
	s_load_dwordx4 s[8:11], s[4:5], 0x28
	s_mov_b32 s20, s7
	s_mov_b32 s21, 0
	v_mov_b32_e32 v2, 0
	s_lshl_b64 s[0:1], s[20:21], 1
	s_waitcnt lgkmcnt(0)
	s_add_u32 s2, s12, s0
	s_addc_u32 s3, s13, s1
	s_mov_b64 s[12:13], 0
	global_load_ushort v35, v2, s[2:3]
	s_clause 0x1
	s_load_dwordx4 s[16:19], s[4:5], 0x40
	s_load_dwordx2 s[22:23], s[4:5], 0x50
	s_waitcnt lgkmcnt(0)
	s_add_u32 s24, s18, s0
	s_addc_u32 s25, s19, s1
	s_mov_b64 s[18:19], 0
	s_waitcnt vmcnt(0)
	v_cmp_eq_f16_e32 vcc_lo, 0, v35
	v_cmp_neq_f16_e64 s2, 0, v35
	s_and_b32 s0, exec_lo, vcc_lo
	s_mov_b32 vcc_lo, s0
	s_cbranch_vccnz .LBB294_2
; %bb.1:
	s_mul_i32 s1, s9, s20
	s_mul_hi_u32 s3, s8, s20
	s_mul_i32 s8, s8, s20
	s_add_i32 s9, s3, s1
	s_lshl_b64 s[8:9], s[8:9], 1
	s_add_u32 s18, s14, s8
	s_addc_u32 s19, s15, s9
.LBB294_2:
	global_load_ushort v34, v2, s[24:25]
	v_cndmask_b32_e64 v2, 0, 1, s2
	s_andn2_b32 vcc_lo, exec_lo, s2
	v_cmp_ne_u32_e64 s1, 1, v2
	s_cbranch_vccnz .LBB294_4
; %bb.3:
	s_mul_i32 s2, s17, s20
	s_mul_hi_u32 s3, s16, s20
	s_add_i32 s3, s3, s2
	s_mul_i32 s2, s16, s20
	s_lshl_b64 s[2:3], s[2:3], 1
	s_add_u32 s12, s10, s2
	s_addc_u32 s13, s11, s3
.LBB294_4:
	s_load_dwordx4 s[8:11], s[4:5], 0x60
	s_waitcnt vmcnt(0)
	v_cmp_eq_f16_e32 vcc_lo, 0, v34
	s_cbranch_vccnz .LBB294_6
; %bb.5:
	s_waitcnt lgkmcnt(0)
	s_mul_i32 s2, s9, s20
	s_mul_hi_u32 s3, s8, s20
	s_add_i32 s3, s3, s2
	s_mul_i32 s2, s8, s20
	s_lshl_b64 s[2:3], s[2:3], 1
	s_add_u32 s8, s22, s2
	s_addc_u32 s9, s23, s3
	s_branch .LBB294_7
.LBB294_6:
	s_waitcnt lgkmcnt(0)
	s_mov_b64 s[8:9], 0
.LBB294_7:
	s_clause 0x2
	s_load_dword s3, s[4:5], 0x0
	s_load_dword s2, s[4:5], 0x20
	s_load_dword s14, s[4:5], 0x38
	v_lshl_add_u32 v3, v1, 3, v0
	v_mov_b32_e32 v10, 0
	v_and_b32_e32 v6, 63, v3
	v_lshrrev_b32_e32 v7, 6, v3
	s_waitcnt lgkmcnt(0)
	s_add_i32 s3, s3, -1
	s_ashr_i32 s7, s3, 31
	s_lshr_b32 s7, s7, 26
	s_add_i32 s3, s3, s7
	s_ashr_i32 s3, s3, 6
	s_add_i32 s7, s3, 1
	s_not_b32 s3, s3
	v_cvt_f32_u32_e32 v2, s7
	v_rcp_iflag_f32_e32 v2, v2
	v_mul_f32_e32 v2, 0x4f7ffffe, v2
	v_cvt_u32_f32_e32 v2, v2
	v_readfirstlane_b32 s15, v2
	s_mul_i32 s3, s3, s15
	s_mul_hi_u32 s3, s15, s3
	s_add_i32 s15, s15, s3
	s_ashr_i32 s3, s2, 31
	s_mul_hi_u32 s16, s6, s15
	s_ashr_i32 s15, s14, 31
	s_mul_i32 s17, s16, s7
	s_add_i32 s21, s16, 1
	s_sub_i32 s17, s6, s17
	s_sub_i32 s22, s17, s7
	s_cmp_ge_u32 s17, s7
	s_cselect_b32 s16, s21, s16
	s_cselect_b32 s17, s22, s17
	s_add_i32 s21, s16, 1
	s_cmp_ge_u32 s17, s7
	s_cselect_b32 s16, s21, s16
	s_and_b32 vcc_lo, exec_lo, s1
	s_mul_i32 s7, s16, s7
	s_lshl_b32 s16, s16, 7
	s_sub_i32 s17, s6, s7
	v_or_b32_e32 v2, s16, v6
	s_lshl_b32 s17, s17, 6
	v_or_b32_e32 v4, s17, v6
	v_ashrrev_i32_e32 v3, 31, v2
	v_ashrrev_i32_e32 v5, 31, v4
	s_cbranch_vccnz .LBB294_10
; %bb.8:
	v_mad_i64_i32 v[8:9], null, s14, v7, 0
	v_mad_i64_i32 v[11:12], null, s2, v7, 0
	v_lshlrev_b64 v[15:16], 1, v[2:3]
	v_lshlrev_b64 v[13:14], 1, v[4:5]
	;; [unrolled: 1-line block ×4, first 2 shown]
	v_add_co_u32 v8, vcc_lo, s12, v8
	v_add_co_ci_u32_e64 v9, null, s13, v9, vcc_lo
	v_add_co_u32 v11, vcc_lo, s18, v11
	v_add_co_ci_u32_e64 v12, null, s19, v12, vcc_lo
	;; [unrolled: 2-line block ×4, first 2 shown]
	global_load_ushort v13, v[8:9], off
	global_load_ushort v11, v[11:12], off
	global_load_ushort v9, v[8:9], off offset:128
	s_waitcnt vmcnt(2)
	v_mul_f16_e32 v8, v35, v13
	s_waitcnt vmcnt(1)
	v_mul_f16_e32 v11, v35, v11
	;; [unrolled: 2-line block ×3, first 2 shown]
	v_pack_b32_f16 v8, v8, 0
	s_and_b32 vcc_lo, exec_lo, s1
	s_cbranch_vccnz .LBB294_11
.LBB294_9:
	v_add_nc_u32_e32 v10, 4, v7
	v_lshlrev_b64 v[2:3], 1, v[2:3]
	v_lshlrev_b64 v[4:5], 1, v[4:5]
	v_mad_i64_i32 v[12:13], null, s14, v10, 0
	v_mad_i64_i32 v[14:15], null, s2, v10, 0
	v_lshlrev_b64 v[12:13], 1, v[12:13]
	v_lshlrev_b64 v[14:15], 1, v[14:15]
	v_add_co_u32 v10, vcc_lo, s12, v12
	v_add_co_ci_u32_e64 v12, null, s13, v13, vcc_lo
	v_add_co_u32 v13, vcc_lo, s18, v14
	v_add_co_ci_u32_e64 v14, null, s19, v15, vcc_lo
	;; [unrolled: 2-line block ×4, first 2 shown]
	global_load_ushort v10, v[2:3], off
	global_load_ushort v4, v[4:5], off
	global_load_ushort v2, v[2:3], off offset:128
	s_waitcnt vmcnt(2)
	v_mul_f16_e32 v3, v35, v10
	s_waitcnt vmcnt(1)
	v_mul_f16_e32 v10, v35, v4
	;; [unrolled: 2-line block ×3, first 2 shown]
	v_pack_b32_f16 v3, v3, 0
	s_branch .LBB294_12
.LBB294_10:
	v_mov_b32_e32 v8, 0
	v_mov_b32_e32 v11, 0
	;; [unrolled: 1-line block ×3, first 2 shown]
	s_and_b32 vcc_lo, exec_lo, s1
	s_cbranch_vccz .LBB294_9
.LBB294_11:
	v_mov_b32_e32 v3, 0
	v_mov_b32_e32 v4, 0
.LBB294_12:
	v_lshlrev_b32_e32 v2, 3, v6
	v_lshlrev_b32_e32 v37, 3, v0
	;; [unrolled: 1-line block ×3, first 2 shown]
	s_load_dword s1, s[4:5], 0x8
	v_lshl_add_u32 v38, v7, 1, v2
	v_add_nc_u32_e32 v2, 0x800, v37
	ds_write_b16 v38, v11 offset:2048
	ds_write_b16 v38, v8
	ds_write_b16 v38, v9 offset:512
	s_waitcnt lgkmcnt(0)
	s_barrier
	buffer_gl0_inv
	ds_read2_b64 v[11:14], v36 offset1:32
	ds_read2_b64 v[15:18], v2 offset0:48 offset1:56
	ds_read2_b64 v[19:22], v36 offset0:64 offset1:96
	ds_read2_b64 v[23:26], v2 offset1:8
	ds_read2_b64 v[27:30], v2 offset0:16 offset1:24
	ds_read2_b64 v[55:58], v2 offset0:32 offset1:40
	ds_write_b16 v38, v10 offset:2560
	ds_write_b16 v38, v3 offset:1024
	;; [unrolled: 1-line block ×3, first 2 shown]
	s_waitcnt lgkmcnt(0)
	s_barrier
	buffer_gl0_inv
	s_cmp_lt_i32 s1, 9
	v_pk_max_f16 v2, v11, v11
	v_pk_max_f16 v5, v17, v17
	;; [unrolled: 1-line block ×9, first 2 shown]
	v_pk_min_f16 v27, v5, v2
	v_pk_max_f16 v39, v55, v55
	v_pk_max_f16 v12, v12, v12
	;; [unrolled: 1-line block ×5, first 2 shown]
	v_pk_min_f16 v29, v5, v11
	v_pk_min_f16 v31, v17, v2
	;; [unrolled: 1-line block ×15, first 2 shown]
	v_pk_max_f16 v14, v14, v14
	v_pk_min_f16 v54, v25, v13
	v_pk_min_f16 v25, v25, v19
	;; [unrolled: 1-line block ×3, first 2 shown]
	v_pk_max_f16 v20, v20, v20
	v_pk_max_f16 v22, v22, v22
	v_pk_min_f16 v59, v39, v11
	v_pk_min_f16 v60, v39, v13
	v_pk_max_f16 v24, v24, v24
	v_pk_min_f16 v57, v39, v19
	v_pk_min_f16 v61, v40, v2
	;; [unrolled: 1-line block ×11, first 2 shown]
	v_pk_add_f16 v19, v27, 0
	v_pk_min_f16 v27, v18, v12
	v_pk_max_f16 v26, v26, v26
	v_pk_add_f16 v41, v39, 0
	v_pk_min_f16 v46, v24, v12
	v_pk_min_f16 v48, v24, v14
	v_pk_add_f16 v39, v19, v27
	v_pk_min_f16 v27, v24, v20
	v_pk_add_f16 v17, v17, 0
	v_pk_min_f16 v24, v24, v22
	v_pk_max_f16 v28, v28, v28
	v_pk_min_f16 v45, v18, v20
	v_pk_add_f16 v31, v31, 0
	v_pk_add_f16 v32, v32, 0
	;; [unrolled: 1-line block ×5, first 2 shown]
	v_pk_min_f16 v24, v26, v22
	v_pk_add_f16 v41, v41, v45
	v_pk_add_f16 v45, v31, v46
	;; [unrolled: 1-line block ×6, first 2 shown]
	v_pk_min_f16 v17, v28, v12
	v_pk_add_f16 v21, v50, 0
	v_pk_max_f16 v30, v30, v30
	v_pk_add_f16 v29, v29, 0
	v_pk_min_f16 v40, v18, v14
	v_pk_add_f16 v50, v19, v17
	v_pk_min_f16 v17, v28, v14
	v_pk_min_f16 v31, v26, v12
	;; [unrolled: 1-line block ×4, first 2 shown]
	v_pk_add_f16 v26, v51, 0
	v_pk_add_f16 v51, v21, v17
	v_pk_min_f16 v17, v28, v20
	v_pk_add_f16 v40, v29, v40
	v_pk_add_f16 v29, v42, 0
	;; [unrolled: 1-line block ×4, first 2 shown]
	v_pk_min_f16 v28, v28, v22
	v_pk_add_f16 v52, v26, v17
	v_pk_min_f16 v17, v30, v12
	v_pk_add_f16 v42, v29, v31
	v_pk_add_f16 v29, v53, 0
	;; [unrolled: 1-line block ×4, first 2 shown]
	v_pk_min_f16 v23, v30, v14
	v_pk_add_f16 v54, v27, v17
	v_pk_min_f16 v17, v30, v20
	v_pk_add_f16 v32, v43, 0
	v_pk_add_f16 v25, v25, 0
	;; [unrolled: 1-line block ×4, first 2 shown]
	v_pk_max_f16 v23, v56, v56
	v_pk_add_f16 v56, v24, v17
	v_pk_min_f16 v17, v30, v22
	v_pk_max_f16 v26, v58, v58
	v_pk_add_f16 v44, v44, 0
	v_pk_add_f16 v43, v32, v33
	;; [unrolled: 1-line block ×6, first 2 shown]
	v_pk_min_f16 v24, v23, v12
	v_pk_min_f16 v27, v23, v14
	;; [unrolled: 1-line block ×4, first 2 shown]
	v_pk_add_f16 v64, v25, v17
	v_pk_min_f16 v17, v26, v12
	v_pk_max_f16 v16, v16, v16
	v_pk_add_f16 v44, v44, v65
	v_pk_add_f16 v32, v59, 0
	;; [unrolled: 1-line block ×12, first 2 shown]
	v_pk_min_f16 v19, v26, v14
	v_pk_min_f16 v23, v26, v20
	;; [unrolled: 1-line block ×3, first 2 shown]
	v_pk_add_f16 v70, v57, v17
	v_pk_min_f16 v12, v16, v12
	v_pk_min_f16 v14, v16, v14
	;; [unrolled: 1-line block ×5, first 2 shown]
	v_pk_add_f16 v63, v32, v27
	v_pk_add_f16 v71, v59, v19
	v_pk_add_f16 v66, v21, v23
	v_pk_add_f16 v67, v60, v24
	v_pk_add_f16 v72, v2, v12
	v_pk_add_f16 v73, v11, v14
	v_pk_add_f16 v74, v13, v17
	v_pk_add_f16 v69, v15, v16
	v_pk_add_f16 v68, v5, v18
	s_cbranch_scc1 .LBB294_23
; %bb.13:
	v_lshl_or_b32 v5, s6, 6, v6
	s_lshl_b32 s6, s7, 6
	v_perm_b32 v86, v4, v3, 0x5040100
	v_add_nc_u32_e32 v3, s16, v6
	v_add_nc_u32_e32 v11, 12, v7
	v_subrev_nc_u32_e32 v5, s6, v5
	v_perm_b32 v2, v9, v8, 0x5040100
	v_add_nc_u32_e32 v10, 8, v7
	v_ashrrev_i32_e32 v4, 31, v3
	v_mad_i64_i32 v[8:9], null, v11, s2, 0
	v_ashrrev_i32_e32 v6, 31, v5
	v_mad_i64_i32 v[11:12], null, v11, s14, 0
	v_lshlrev_b64 v[3:4], 1, v[3:4]
	v_or_b32_e32 v57, 0x800, v38
	v_lshlrev_b64 v[5:6], 1, v[5:6]
	v_lshlrev_b64 v[26:27], 1, v[8:9]
	v_mad_i64_i32 v[7:8], null, v10, s14, 0
	v_mad_i64_i32 v[9:10], null, v10, s2, 0
	v_add_co_u32 v77, vcc_lo, s18, v5
	v_add_co_ci_u32_e64 v78, null, s19, v6, vcc_lo
	v_add_co_u32 v3, vcc_lo, s12, v3
	v_add_co_ci_u32_e64 v4, null, s13, v4, vcc_lo
	v_lshlrev_b64 v[28:29], 1, v[7:8]
	v_add_co_u32 v79, vcc_lo, 0x80, v3
	v_lshlrev_b64 v[30:31], 1, v[9:10]
	v_lshlrev_b64 v[32:33], 1, v[11:12]
	v_or_b32_e32 v58, 0x800, v37
	v_add_nc_u32_e32 v59, 0xa00, v38
	v_or_b32_e32 v60, 0x400, v38
	v_lshl_add_u32 v75, v0, 3, 0xa00
	v_lshl_add_u32 v76, v1, 3, 0x400
	v_add_co_ci_u32_e64 v80, null, 0, v4, vcc_lo
	s_add_i32 s1, s1, -8
	s_lshl_b64 s[2:3], s[2:3], 4
	s_lshl_b64 s[6:7], s[14:15], 4
	s_mov_b32 s12, 0
	s_branch .LBB294_15
.LBB294_14:                             ;   in Loop: Header=BB294_15 Depth=1
	v_pk_max_f16 v4, v4, v4
	v_pk_max_f16 v22, v22, v22
	;; [unrolled: 1-line block ×7, first 2 shown]
	v_pk_min_f16 v86, v4, v22
	v_pk_min_f16 v87, v4, v24
	v_pk_max_f16 v16, v16, v16
	v_pk_max_f16 v12, v12, v12
	v_pk_min_f16 v95, v10, v22
	v_pk_min_f16 v96, v10, v24
	;; [unrolled: 1-line block ×4, first 2 shown]
	v_pk_max_f16 v23, v23, v23
	v_pk_max_f16 v25, v25, v25
	;; [unrolled: 1-line block ×15, first 2 shown]
	v_pk_min_f16 v88, v4, v18
	v_pk_min_f16 v89, v14, v22
	;; [unrolled: 1-line block ×58, first 2 shown]
	v_pk_add_f16 v3, v39, v86
	v_pk_add_f16 v5, v40, v87
	;; [unrolled: 1-line block ×22, first 2 shown]
	ds_read2_b64 v[3:6], v58 offset0:48 offset1:56
	ds_read2_b64 v[7:10], v36 offset1:32
	v_pk_add_f16 v41, v46, v90
	v_pk_add_f16 v46, v50, v95
	;; [unrolled: 1-line block ×11, first 2 shown]
	ds_read2_b64 v[11:14], v36 offset0:64 offset1:96
	ds_read2_b64 v[15:18], v58 offset1:8
	v_pk_add_f16 v22, v72, v22
	v_pk_add_f16 v24, v73, v24
	;; [unrolled: 1-line block ×5, first 2 shown]
	s_waitcnt lgkmcnt(3)
	v_pk_max_f16 v5, v5, v5
	s_waitcnt lgkmcnt(2)
	v_pk_max_f16 v7, v7, v7
	v_pk_max_f16 v9, v9, v9
	v_pk_add_f16 v23, v22, v23
	v_pk_add_f16 v24, v24, v25
	;; [unrolled: 1-line block ×4, first 2 shown]
	v_pk_min_f16 v62, v5, v7
	v_pk_min_f16 v63, v5, v9
	ds_read2_b64 v[19:22], v58 offset0:16 offset1:24
	v_pk_add_f16 v41, v41, v107
	v_pk_add_f16 v45, v45, v108
	;; [unrolled: 1-line block ×3, first 2 shown]
	s_waitcnt lgkmcnt(2)
	v_pk_max_f16 v11, v11, v11
	s_waitcnt lgkmcnt(1)
	v_pk_max_f16 v15, v15, v15
	v_pk_add_f16 v67, v67, v62
	v_pk_add_f16 v68, v68, v63
	;; [unrolled: 1-line block ×3, first 2 shown]
	v_pk_min_f16 v64, v5, v11
	v_pk_min_f16 v62, v15, v9
	;; [unrolled: 1-line block ×3, first 2 shown]
	v_perm_b32 v2, v85, v84, 0x5040100
	v_pk_add_f16 v42, v42, v92
	v_pk_add_f16 v84, v39, v64
	;; [unrolled: 1-line block ×4, first 2 shown]
	ds_read2_b64 v[62:65], v58 offset0:32 offset1:40
	v_pk_add_f16 v43, v43, v93
	v_pk_add_f16 v44, v44, v94
	v_pk_min_f16 v39, v15, v7
	v_pk_max_f16 v17, v17, v17
	v_pk_add_f16 v42, v42, v109
	v_pk_add_f16 v43, v43, v110
	;; [unrolled: 1-line block ×3, first 2 shown]
	v_pk_max_f16 v13, v13, v13
	v_pk_add_f16 v85, v40, v39
	v_pk_min_f16 v39, v17, v7
	v_pk_min_f16 v40, v17, v9
	;; [unrolled: 1-line block ×3, first 2 shown]
	s_waitcnt lgkmcnt(1)
	v_pk_max_f16 v19, v19, v19
	v_pk_add_f16 v46, v46, v112
	v_pk_add_f16 v47, v47, v113
	v_pk_add_f16 v48, v48, v114
	v_pk_min_f16 v15, v15, v13
	v_pk_min_f16 v17, v17, v13
	v_pk_add_f16 v42, v42, v39
	v_pk_add_f16 v43, v43, v40
	;; [unrolled: 1-line block ×3, first 2 shown]
	v_pk_min_f16 v39, v19, v7
	v_pk_min_f16 v40, v19, v9
	;; [unrolled: 1-line block ×3, first 2 shown]
	v_pk_max_f16 v21, v21, v21
	v_pk_add_f16 v49, v49, v115
	v_pk_add_f16 v50, v50, v116
	;; [unrolled: 1-line block ×5, first 2 shown]
	v_pk_min_f16 v19, v19, v13
	v_pk_add_f16 v69, v46, v39
	v_pk_add_f16 v70, v47, v40
	;; [unrolled: 1-line block ×3, first 2 shown]
	v_pk_min_f16 v39, v21, v7
	v_pk_min_f16 v40, v21, v9
	s_waitcnt lgkmcnt(0)
	v_pk_max_f16 v41, v62, v62
	v_pk_min_f16 v45, v21, v11
	v_pk_add_f16 v53, v53, v119
	v_pk_add_f16 v54, v54, v120
	;; [unrolled: 1-line block ×5, first 2 shown]
	v_pk_min_f16 v39, v41, v7
	v_pk_add_f16 v90, v51, v45
	v_pk_min_f16 v40, v41, v9
	v_pk_max_f16 v45, v64, v64
	v_pk_add_f16 v55, v55, v121
	v_pk_add_f16 v61, v61, v123
	;; [unrolled: 1-line block ×3, first 2 shown]
	v_pk_min_f16 v39, v41, v11
	v_pk_add_f16 v92, v54, v40
	v_pk_min_f16 v40, v45, v7
	v_pk_max_f16 v3, v3, v3
	v_pk_max_f16 v6, v6, v6
	;; [unrolled: 1-line block ×3, first 2 shown]
	v_pk_min_f16 v21, v21, v13
	v_pk_min_f16 v41, v41, v13
	;; [unrolled: 1-line block ×3, first 2 shown]
	v_pk_add_f16 v93, v55, v39
	v_pk_add_f16 v95, v61, v40
	v_pk_min_f16 v39, v45, v11
	v_pk_min_f16 v40, v45, v13
	v_pk_min_f16 v7, v3, v7
	v_pk_min_f16 v9, v3, v9
	v_pk_min_f16 v11, v3, v11
	v_pk_min_f16 v3, v3, v13
	v_pk_max_f16 v10, v10, v10
	v_pk_min_f16 v5, v5, v13
	v_pk_max_f16 v12, v12, v12
	v_pk_min_f16 v13, v6, v8
	v_pk_add_f16 v56, v56, v122
	v_pk_add_f16 v73, v73, v39
	v_pk_add_f16 v7, v23, v7
	v_pk_add_f16 v9, v24, v9
	v_pk_min_f16 v23, v6, v10
	v_pk_min_f16 v24, v6, v12
	v_pk_max_f16 v16, v16, v16
	v_pk_add_f16 v39, v67, v13
	v_pk_max_f16 v13, v14, v14
	v_pk_add_f16 v94, v56, v41
	v_pk_add_f16 v74, v74, v40
	;; [unrolled: 1-line block ×4, first 2 shown]
	v_pk_min_f16 v14, v16, v8
	v_pk_min_f16 v23, v16, v10
	;; [unrolled: 1-line block ×4, first 2 shown]
	v_pk_max_f16 v18, v18, v18
	v_pk_add_f16 v45, v85, v14
	v_pk_max_f16 v20, v20, v20
	v_pk_add_f16 v52, v52, v118
	v_pk_add_f16 v49, v15, v16
	v_pk_min_f16 v14, v18, v8
	v_pk_min_f16 v15, v18, v10
	;; [unrolled: 1-line block ×4, first 2 shown]
	v_pk_add_f16 v21, v52, v21
	v_pk_add_f16 v42, v42, v14
	;; [unrolled: 1-line block ×5, first 2 shown]
	v_pk_min_f16 v14, v20, v8
	v_pk_min_f16 v15, v20, v10
	;; [unrolled: 1-line block ×4, first 2 shown]
	v_pk_max_f16 v18, v22, v22
	v_pk_add_f16 v50, v69, v14
	v_pk_add_f16 v51, v70, v15
	;; [unrolled: 1-line block ×4, first 2 shown]
	v_pk_min_f16 v14, v18, v8
	v_pk_min_f16 v15, v18, v10
	;; [unrolled: 1-line block ×4, first 2 shown]
	v_pk_max_f16 v18, v63, v63
	v_pk_add_f16 v54, v62, v14
	v_pk_add_f16 v55, v71, v15
	;; [unrolled: 1-line block ×4, first 2 shown]
	v_pk_min_f16 v14, v18, v8
	v_pk_min_f16 v15, v18, v10
	;; [unrolled: 1-line block ×4, first 2 shown]
	v_pk_max_f16 v18, v65, v65
	v_pk_max_f16 v4, v4, v4
	v_pk_add_f16 v72, v72, v46
	v_pk_add_f16 v11, v25, v11
	v_pk_add_f16 v3, v86, v3
	v_pk_add_f16 v5, v66, v5
	v_pk_add_f16 v65, v91, v14
	v_pk_add_f16 v63, v92, v15
	v_pk_add_f16 v61, v93, v16
	v_pk_add_f16 v62, v94, v17
	v_pk_min_f16 v14, v18, v8
	v_pk_min_f16 v15, v18, v10
	;; [unrolled: 1-line block ×9, first 2 shown]
	v_add_co_u32 v77, vcc_lo, v77, s2
	v_add_co_ci_u32_e64 v78, null, s3, v78, vcc_lo
	v_add_co_u32 v79, vcc_lo, v79, s6
	v_pk_add_f16 v46, v87, v23
	v_pk_add_f16 v48, v88, v24
	;; [unrolled: 1-line block ×11, first 2 shown]
	v_perm_b32 v86, v83, v81, 0x5040100
	v_add_co_ci_u32_e64 v80, null, s7, v80, vcc_lo
	s_add_i32 s12, s12, 8
	ds_write_b16 v59, v82
	ds_write_b16 v60, v81
	ds_write_b16 v60, v83 offset:512
	s_cmp_ge_i32 s12, s1
	s_waitcnt lgkmcnt(0)
	s_barrier
	buffer_gl0_inv
	s_cbranch_scc1 .LBB294_23
.LBB294_15:                             ; =>This Inner Loop Header: Depth=1
	s_mov_b32 s13, -1
	s_mov_b32 vcc_lo, s0
                                        ; implicit-def: $vgpr84
	s_cbranch_vccz .LBB294_17
; %bb.16:                               ;   in Loop: Header=BB294_15 Depth=1
	v_and_b32_e32 v84, 0xffff0000, v2
	s_mov_b32 s13, 0
.LBB294_17:                             ;   in Loop: Header=BB294_15 Depth=1
	v_mov_b32_e32 v81, 0
	v_mov_b32_e32 v85, 0
	s_andn2_b32 vcc_lo, exec_lo, s13
	s_cbranch_vccnz .LBB294_19
; %bb.18:                               ;   in Loop: Header=BB294_15 Depth=1
	v_add_co_u32 v3, vcc_lo, v79, v28
	v_add_co_ci_u32_e64 v4, null, v80, v29, vcc_lo
	v_add_co_u32 v5, vcc_lo, v77, v30
	v_add_co_ci_u32_e64 v6, null, v78, v31, vcc_lo
	global_load_ushort v7, v[3:4], off offset:-128
	global_load_ushort v5, v[5:6], off
	global_load_ushort v3, v[3:4], off
	s_waitcnt vmcnt(2)
	v_mul_f16_e32 v4, v35, v7
	s_waitcnt vmcnt(1)
	v_mul_f16_e32 v81, v35, v5
	;; [unrolled: 2-line block ×3, first 2 shown]
	v_bfi_b32 v84, 0xffff, v4, v2
.LBB294_19:                             ;   in Loop: Header=BB294_15 Depth=1
	ds_read2_b64 v[2:5], v75 offset0:48 offset1:56
	ds_read2_b64 v[18:21], v76 offset0:64 offset1:96
	ds_read2_b64 v[22:25], v76 offset1:32
	ds_read2_b64 v[14:17], v75 offset1:8
	ds_read2_b64 v[10:13], v75 offset0:16 offset1:24
	ds_read2_b64 v[6:9], v75 offset0:32 offset1:40
	s_mov_b32 s13, -1
	s_mov_b32 vcc_lo, s0
	ds_write_b16 v57, v81
	ds_write_b16 v38, v84
	ds_write_b16 v38, v85 offset:512
	s_waitcnt lgkmcnt(0)
	s_barrier
	buffer_gl0_inv
                                        ; implicit-def: $vgpr81
	s_cbranch_vccz .LBB294_21
; %bb.20:                               ;   in Loop: Header=BB294_15 Depth=1
	v_and_b32_e32 v81, 0xffff0000, v86
	s_mov_b32 s13, 0
.LBB294_21:                             ;   in Loop: Header=BB294_15 Depth=1
	v_mov_b32_e32 v82, 0
	v_mov_b32_e32 v83, 0
	s_andn2_b32 vcc_lo, exec_lo, s13
	s_cbranch_vccnz .LBB294_14
; %bb.22:                               ;   in Loop: Header=BB294_15 Depth=1
	v_add_co_u32 v81, vcc_lo, v79, v32
	v_add_co_ci_u32_e64 v82, null, v80, v33, vcc_lo
	v_add_co_u32 v87, vcc_lo, v77, v26
	v_add_co_ci_u32_e64 v88, null, v78, v27, vcc_lo
	global_load_ushort v83, v[81:82], off offset:-128
	global_load_ushort v87, v[87:88], off
	global_load_ushort v88, v[81:82], off
	s_waitcnt vmcnt(2)
	v_mul_f16_e32 v81, v35, v83
	s_waitcnt vmcnt(1)
	v_mul_f16_e32 v82, v35, v87
	;; [unrolled: 2-line block ×3, first 2 shown]
	v_bfi_b32 v81, 0xffff, v81, v86
	s_branch .LBB294_14
.LBB294_23:
	v_add_nc_u32_e32 v18, 0x800, v37
	s_load_dwordx2 s[2:3], s[4:5], 0x78
	v_cmp_neq_f16_e64 s0, 0, v34
	ds_read2_b64 v[2:5], v36 offset0:128 offset1:160
	ds_read2_b64 v[6:9], v36 offset0:192 offset1:224
	;; [unrolled: 1-line block ×4, first 2 shown]
	s_clause 0x1
	s_load_dword s6, s[4:5], 0x58
	s_load_dword s7, s[4:5], 0x70
	ds_read2_b64 v[26:29], v18 offset0:80 offset1:88
	ds_read2_b64 v[35:38], v18 offset0:96 offset1:104
	v_add_nc_u32_e32 v1, s16, v1
	s_mov_b64 s[4:5], 15
	s_waitcnt lgkmcnt(0)
	v_pk_max_f16 v4, v4, v4
	v_pk_max_f16 v2, v2, v2
	;; [unrolled: 1-line block ×8, first 2 shown]
	v_pk_min_f16 v18, v16, v4
	v_pk_min_f16 v19, v12, v2
	;; [unrolled: 1-line block ×5, first 2 shown]
	v_pk_add_f16 v31, v43, v18
	v_pk_min_f16 v18, v26, v2
	v_pk_min_f16 v33, v26, v6
	;; [unrolled: 1-line block ×3, first 2 shown]
	v_pk_max_f16 v14, v14, v14
	v_pk_add_f16 v19, v39, v19
	v_pk_add_f16 v20, v40, v20
	;; [unrolled: 1-line block ×3, first 2 shown]
	v_pk_min_f16 v30, v16, v6
	v_pk_add_f16 v39, v50, v18
	v_pk_add_f16 v40, v53, v26
	v_pk_min_f16 v18, v28, v2
	v_pk_min_f16 v26, v28, v4
	v_pk_max_f16 v35, v35, v35
	v_pk_min_f16 v41, v28, v6
	v_pk_min_f16 v28, v28, v8
	;; [unrolled: 1-line block ×4, first 2 shown]
	v_pk_add_f16 v30, v44, v30
	v_pk_add_f16 v43, v55, v26
	;; [unrolled: 1-line block ×3, first 2 shown]
	v_pk_min_f16 v26, v35, v4
	v_pk_max_f16 v28, v37, v37
	v_pk_min_f16 v22, v14, v2
	v_pk_min_f16 v24, v14, v6
	;; [unrolled: 1-line block ×3, first 2 shown]
	v_pk_add_f16 v23, v46, v23
	v_pk_add_f16 v25, v42, v25
	;; [unrolled: 1-line block ×3, first 2 shown]
	v_pk_min_f16 v18, v35, v2
	v_pk_add_f16 v46, v63, v26
	v_pk_min_f16 v26, v28, v2
	v_pk_add_f16 v22, v45, v22
	v_pk_add_f16 v14, v49, v14
	v_pk_min_f16 v16, v16, v8
	v_pk_add_f16 v45, v65, v18
	v_pk_min_f16 v18, v35, v6
	v_pk_max_f16 v10, v10, v10
	v_pk_add_f16 v49, v70, v26
	v_pk_min_f16 v26, v28, v8
	v_pk_max_f16 v3, v3, v3
	v_pk_max_f16 v13, v13, v13
	v_pk_max_f16 v5, v5, v5
	v_pk_max_f16 v7, v7, v7
	v_pk_add_f16 v16, v47, v16
	v_pk_add_f16 v33, v52, v33
	v_pk_min_f16 v35, v35, v8
	v_pk_min_f16 v37, v28, v4
	v_pk_add_f16 v47, v61, v18
	v_pk_min_f16 v18, v28, v6
	v_pk_min_f16 v2, v10, v2
	;; [unrolled: 1-line block ×4, first 2 shown]
	v_pk_add_f16 v52, v67, v26
	v_pk_min_f16 v10, v10, v8
	v_pk_min_f16 v8, v12, v8
	;; [unrolled: 1-line block ×5, first 2 shown]
	v_pk_max_f16 v15, v15, v15
	v_pk_max_f16 v9, v9, v9
	v_pk_add_f16 v24, v48, v24
	v_pk_add_f16 v32, v51, v32
	;; [unrolled: 1-line block ×6, first 2 shown]
	v_pk_min_f16 v12, v15, v3
	v_pk_min_f16 v26, v15, v5
	;; [unrolled: 1-line block ×4, first 2 shown]
	v_pk_max_f16 v17, v17, v17
	v_pk_add_f16 v48, v62, v35
	v_pk_add_f16 v21, v22, v12
	;; [unrolled: 1-line block ×5, first 2 shown]
	v_pk_min_f16 v12, v17, v3
	v_pk_min_f16 v14, v17, v5
	v_pk_min_f16 v15, v17, v7
	v_pk_min_f16 v17, v17, v9
	v_pk_max_f16 v35, v27, v27
	v_pk_add_f16 v25, v25, v12
	v_pk_add_f16 v26, v31, v14
	v_pk_add_f16 v27, v30, v15
	v_pk_add_f16 v28, v16, v17
	v_pk_min_f16 v12, v35, v3
	v_pk_min_f16 v14, v35, v5
	v_pk_min_f16 v15, v35, v7
	v_pk_min_f16 v16, v35, v9
	v_pk_max_f16 v17, v29, v29
	v_pk_add_f16 v29, v39, v12
	v_pk_add_f16 v30, v32, v14
	v_pk_add_f16 v31, v33, v15
	v_pk_add_f16 v32, v40, v16
	;; [unrolled: 9-line block ×3, first 2 shown]
	v_pk_add_f16 v37, v44, v16
	v_pk_min_f16 v12, v17, v3
	v_pk_min_f16 v14, v17, v5
	v_pk_max_f16 v16, v38, v38
	v_pk_max_f16 v11, v11, v11
	v_pk_add_f16 v2, v72, v2
	v_pk_add_f16 v4, v73, v4
	;; [unrolled: 1-line block ×3, first 2 shown]
	v_pk_min_f16 v15, v17, v7
	v_pk_add_f16 v38, v45, v12
	v_pk_add_f16 v39, v46, v14
	v_pk_min_f16 v12, v16, v3
	v_pk_min_f16 v14, v16, v5
	;; [unrolled: 1-line block ×4, first 2 shown]
	v_pk_add_f16 v6, v74, v6
	v_pk_add_f16 v10, v69, v10
	;; [unrolled: 1-line block ×3, first 2 shown]
	v_pk_min_f16 v17, v17, v9
	v_pk_add_f16 v40, v47, v15
	v_pk_min_f16 v15, v16, v7
	v_pk_add_f16 v42, v49, v12
	;; [unrolled: 2-line block ×3, first 2 shown]
	v_pk_min_f16 v3, v11, v7
	v_add_nc_u32_e32 v2, s17, v0
	v_pk_add_f16 v0, v4, v5
	v_pk_min_f16 v5, v11, v9
	v_pk_min_f16 v7, v13, v9
	v_pk_add_f16 v41, v48, v17
	v_pk_add_f16 v43, v50, v14
	;; [unrolled: 1-line block ×4, first 2 shown]
	v_add_nc_u32_e32 v4, 8, v2
	v_add_nc_u32_e32 v6, 16, v2
	v_pk_add_f16 v48, v10, v5
	v_pk_add_f16 v49, v8, v7
	v_add_nc_u32_e32 v8, 24, v2
	v_add_nc_u32_e32 v10, 32, v2
	;; [unrolled: 1-line block ×5, first 2 shown]
	v_pk_add_f16 v44, v51, v15
	v_ashrrev_i32_e32 v3, 31, v2
	v_ashrrev_i32_e32 v5, 31, v4
	;; [unrolled: 1-line block ×8, first 2 shown]
	s_mul_i32 s1, s3, s20
	s_mul_hi_u32 s3, s2, s20
	s_mul_i32 s2, s2, s20
	s_add_i32 s3, s3, s1
	v_lshlrev_b64 v[2:3], 1, v[2:3]
	v_lshlrev_b64 v[4:5], 1, v[4:5]
	;; [unrolled: 1-line block ×8, first 2 shown]
	s_lshl_b64 s[2:3], s[2:3], 1
	s_add_u32 s10, s10, s2
	s_addc_u32 s3, s11, s3
	s_branch .LBB294_25
.LBB294_24:                             ;   in Loop: Header=BB294_25 Depth=1
	s_add_i32 s1, s4, -1
	v_add_nc_u32_e32 v1, 32, v1
	s_cmp_eq_u32 s1, 1
	s_cselect_b32 vcc_lo, -1, 0
	s_cmp_eq_u32 s1, 2
	v_cndmask_b32_e32 v82, v21, v50, vcc_lo
	s_cselect_b32 vcc_lo, -1, 0
	s_cmp_eq_u32 s1, 3
	v_cndmask_b32_e32 v82, v82, v25, vcc_lo
	;; [unrolled: 3-line block ×62, first 2 shown]
	s_cselect_b32 vcc_lo, -1, 0
	s_cmp_eq_u32 s4, 1
	s_cselect_b32 s1, -1, 0
	s_cmp_eq_u32 s4, 2
	v_cndmask_b32_e64 v50, v21, v50, s1
	s_cselect_b32 s1, -1, 0
	s_cmp_eq_u32 s4, 3
	v_cndmask_b32_e64 v50, v50, v25, s1
	;; [unrolled: 3-line block ×3, first 2 shown]
	s_cselect_b32 s1, -1, 0
	s_cmp_eq_u32 s4, 5
	v_cndmask_b32_e32 v51, v82, v81, vcc_lo
	v_cndmask_b32_e64 v50, v50, v29, s1
	s_cselect_b32 s1, -1, 0
	s_cmp_eq_u32 s4, 6
	v_cndmask_b32_e64 v50, v50, v52, s1
	s_cselect_b32 s1, -1, 0
	s_cmp_eq_u32 s4, 7
	;; [unrolled: 3-line block ×58, first 2 shown]
	s_cselect_b32 vcc_lo, -1, 0
	v_cndmask_b32_e64 v50, v50, v49, s1
	s_add_u32 s4, s4, 16
	s_addc_u32 s5, s5, 0
	s_cmpk_lg_i32 s4, 0x4f
	v_cndmask_b32_e32 v50, v50, v81, vcc_lo
	v_add_f16_e32 v52, v51, v50
	v_add_co_u32 v50, vcc_lo, v84, v16
	v_add_co_ci_u32_e64 v51, null, v85, v17, vcc_lo
	v_add_f16_e32 v52, v52, v86
	global_store_short v[50:51], v52, off
	s_cbranch_scc0 .LBB294_41
.LBB294_25:                             ; =>This Inner Loop Header: Depth=1
	v_mad_i64_i32 v[50:51], null, v1, s6, 0
	v_cndmask_b32_e64 v52, 0, 1, s0
	v_mov_b32_e32 v86, 0
	v_mov_b32_e32 v87, 0
	v_cmp_ne_u32_e64 s1, 1, v52
	v_lshlrev_b64 v[50:51], 1, v[50:51]
	v_add_co_u32 v82, vcc_lo, s8, v50
	v_add_co_ci_u32_e64 v83, null, s9, v51, vcc_lo
	s_andn2_b32 vcc_lo, exec_lo, s0
	s_cbranch_vccnz .LBB294_27
; %bb.26:                               ;   in Loop: Header=BB294_25 Depth=1
	v_add_co_u32 v50, vcc_lo, v82, v2
	v_add_co_ci_u32_e64 v51, null, v83, v3, vcc_lo
	global_load_ushort v50, v[50:51], off
	s_waitcnt vmcnt(0)
	v_mul_f16_e32 v87, v34, v50
.LBB294_27:                             ;   in Loop: Header=BB294_25 Depth=1
	s_add_i32 s2, s4, -15
	v_lshrrev_b32_e32 v50, 16, v21
	s_cmp_eq_u32 s2, 1
	v_lshrrev_b32_e32 v51, 16, v25
	s_cselect_b32 vcc_lo, -1, 0
	s_cmp_eq_u32 s2, 2
	v_cndmask_b32_e32 v52, v21, v50, vcc_lo
	s_cselect_b32 vcc_lo, -1, 0
	s_cmp_eq_u32 s2, 3
	v_cndmask_b32_e32 v52, v52, v25, vcc_lo
	;; [unrolled: 3-line block ×3, first 2 shown]
	s_cselect_b32 vcc_lo, -1, 0
	v_lshrrev_b32_e32 v52, 16, v29
	s_cmp_eq_u32 s2, 5
	v_cndmask_b32_e32 v53, v53, v29, vcc_lo
	s_cselect_b32 vcc_lo, -1, 0
	s_cmp_eq_u32 s2, 6
	v_cndmask_b32_e32 v54, v53, v52, vcc_lo
	s_cselect_b32 vcc_lo, -1, 0
	v_lshrrev_b32_e32 v53, 16, v33
	s_cmp_eq_u32 s2, 7
	v_cndmask_b32_e32 v54, v54, v33, vcc_lo
	s_cselect_b32 vcc_lo, -1, 0
	s_cmp_eq_u32 s2, 8
	v_cndmask_b32_e32 v55, v54, v53, vcc_lo
	;; [unrolled: 7-line block ×29, first 2 shown]
	s_cselect_b32 vcc_lo, -1, 0
	s_cmp_eq_u32 s2, 63
	v_lshrrev_b32_e32 v81, 16, v49
	v_cndmask_b32_e32 v88, v84, v49, vcc_lo
	s_cselect_b32 vcc_lo, -1, 0
	s_add_i32 s11, s4, -14
	s_cmp_eq_u32 s11, 1
	v_cndmask_b32_e32 v88, v88, v81, vcc_lo
	s_cselect_b32 s2, -1, 0
	s_cmp_eq_u32 s11, 2
	v_cndmask_b32_e64 v84, v21, v50, s2
	s_cselect_b32 s2, -1, 0
	s_cmp_eq_u32 s11, 3
	v_cndmask_b32_e64 v84, v84, v25, s2
	;; [unrolled: 3-line block ×61, first 2 shown]
	v_mad_i64_i32 v[84:85], null, v1, s7, 0
	s_cselect_b32 s2, -1, 0
	s_cmp_eq_u32 s11, 63
	v_cndmask_b32_e64 v89, v89, v49, s2
	s_cselect_b32 vcc_lo, -1, 0
	v_lshlrev_b64 v[84:85], 1, v[84:85]
	v_cndmask_b32_e32 v89, v89, v81, vcc_lo
	v_add_co_u32 v84, vcc_lo, s10, v84
	v_add_f16_e32 v88, v88, v89
	v_add_co_ci_u32_e64 v85, null, s3, v85, vcc_lo
	v_add_f16_e32 v89, v88, v87
	v_add_co_u32 v87, vcc_lo, v84, v2
	v_add_co_ci_u32_e64 v88, null, v85, v3, vcc_lo
	s_and_b32 vcc_lo, exec_lo, s1
	global_store_short v[87:88], v89, off
	s_cbranch_vccnz .LBB294_29
; %bb.28:                               ;   in Loop: Header=BB294_25 Depth=1
	v_add_co_u32 v86, vcc_lo, v82, v4
	v_add_co_ci_u32_e64 v87, null, v83, v5, vcc_lo
	global_load_ushort v86, v[86:87], off
	s_waitcnt vmcnt(0)
	v_mul_f16_e32 v86, v34, v86
.LBB294_29:                             ;   in Loop: Header=BB294_25 Depth=1
	s_add_i32 s2, s4, -13
	s_cmp_eq_u32 s2, 1
	s_cselect_b32 vcc_lo, -1, 0
	s_cmp_eq_u32 s2, 2
	v_cndmask_b32_e32 v87, v21, v50, vcc_lo
	s_cselect_b32 vcc_lo, -1, 0
	s_cmp_eq_u32 s2, 3
	v_cndmask_b32_e32 v87, v87, v25, vcc_lo
	s_cselect_b32 vcc_lo, -1, 0
	s_cmp_eq_u32 s2, 4
	v_cndmask_b32_e32 v87, v87, v51, vcc_lo
	s_cselect_b32 vcc_lo, -1, 0
	s_cmp_eq_u32 s2, 5
	v_cndmask_b32_e32 v87, v87, v29, vcc_lo
	s_cselect_b32 vcc_lo, -1, 0
	s_cmp_eq_u32 s2, 6
	v_cndmask_b32_e32 v87, v87, v52, vcc_lo
	s_cselect_b32 vcc_lo, -1, 0
	s_cmp_eq_u32 s2, 7
	v_cndmask_b32_e32 v87, v87, v33, vcc_lo
	s_cselect_b32 vcc_lo, -1, 0
	s_cmp_eq_u32 s2, 8
	v_cndmask_b32_e32 v87, v87, v53, vcc_lo
	s_cselect_b32 vcc_lo, -1, 0
	s_cmp_eq_u32 s2, 9
	v_cndmask_b32_e32 v87, v87, v38, vcc_lo
	s_cselect_b32 vcc_lo, -1, 0
	s_cmp_eq_u32 s2, 10
	v_cndmask_b32_e32 v87, v87, v54, vcc_lo
	s_cselect_b32 vcc_lo, -1, 0
	s_cmp_eq_u32 s2, 11
	v_cndmask_b32_e32 v87, v87, v42, vcc_lo
	s_cselect_b32 vcc_lo, -1, 0
	s_cmp_eq_u32 s2, 12
	v_cndmask_b32_e32 v87, v87, v55, vcc_lo
	s_cselect_b32 vcc_lo, -1, 0
	s_cmp_eq_u32 s2, 13
	v_cndmask_b32_e32 v87, v87, v46, vcc_lo
	s_cselect_b32 vcc_lo, -1, 0
	s_cmp_eq_u32 s2, 14
	v_cndmask_b32_e32 v87, v87, v56, vcc_lo
	s_cselect_b32 vcc_lo, -1, 0
	s_cmp_eq_u32 s2, 15
	v_cndmask_b32_e32 v87, v87, v18, vcc_lo
	s_cselect_b32 vcc_lo, -1, 0
	s_cmp_eq_u32 s2, 16
	v_cndmask_b32_e32 v87, v87, v57, vcc_lo
	s_cselect_b32 vcc_lo, -1, 0
	s_cmp_eq_u32 s2, 17
	v_cndmask_b32_e32 v87, v87, v22, vcc_lo
	s_cselect_b32 vcc_lo, -1, 0
	s_cmp_eq_u32 s2, 18
	v_cndmask_b32_e32 v87, v87, v58, vcc_lo
	s_cselect_b32 vcc_lo, -1, 0
	s_cmp_eq_u32 s2, 19
	v_cndmask_b32_e32 v87, v87, v26, vcc_lo
	s_cselect_b32 vcc_lo, -1, 0
	s_cmp_eq_u32 s2, 20
	v_cndmask_b32_e32 v87, v87, v59, vcc_lo
	s_cselect_b32 vcc_lo, -1, 0
	s_cmp_eq_u32 s2, 21
	v_cndmask_b32_e32 v87, v87, v30, vcc_lo
	s_cselect_b32 vcc_lo, -1, 0
	s_cmp_eq_u32 s2, 22
	v_cndmask_b32_e32 v87, v87, v60, vcc_lo
	s_cselect_b32 vcc_lo, -1, 0
	s_cmp_eq_u32 s2, 23
	v_cndmask_b32_e32 v87, v87, v35, vcc_lo
	s_cselect_b32 vcc_lo, -1, 0
	s_cmp_eq_u32 s2, 24
	v_cndmask_b32_e32 v87, v87, v61, vcc_lo
	s_cselect_b32 vcc_lo, -1, 0
	s_cmp_eq_u32 s2, 25
	v_cndmask_b32_e32 v87, v87, v39, vcc_lo
	s_cselect_b32 vcc_lo, -1, 0
	s_cmp_eq_u32 s2, 26
	v_cndmask_b32_e32 v87, v87, v62, vcc_lo
	s_cselect_b32 vcc_lo, -1, 0
	s_cmp_eq_u32 s2, 27
	v_cndmask_b32_e32 v87, v87, v43, vcc_lo
	s_cselect_b32 vcc_lo, -1, 0
	s_cmp_eq_u32 s2, 28
	v_cndmask_b32_e32 v87, v87, v63, vcc_lo
	s_cselect_b32 vcc_lo, -1, 0
	s_cmp_eq_u32 s2, 29
	v_cndmask_b32_e32 v87, v87, v0, vcc_lo
	s_cselect_b32 vcc_lo, -1, 0
	s_cmp_eq_u32 s2, 30
	v_cndmask_b32_e32 v87, v87, v64, vcc_lo
	s_cselect_b32 vcc_lo, -1, 0
	s_cmp_eq_u32 s2, 31
	v_cndmask_b32_e32 v87, v87, v19, vcc_lo
	s_cselect_b32 vcc_lo, -1, 0
	s_cmp_eq_u32 s2, 32
	v_cndmask_b32_e32 v87, v87, v65, vcc_lo
	s_cselect_b32 vcc_lo, -1, 0
	s_cmp_eq_u32 s2, 33
	v_cndmask_b32_e32 v87, v87, v23, vcc_lo
	s_cselect_b32 vcc_lo, -1, 0
	s_cmp_eq_u32 s2, 34
	v_cndmask_b32_e32 v87, v87, v66, vcc_lo
	s_cselect_b32 vcc_lo, -1, 0
	s_cmp_eq_u32 s2, 35
	v_cndmask_b32_e32 v87, v87, v27, vcc_lo
	s_cselect_b32 vcc_lo, -1, 0
	s_cmp_eq_u32 s2, 36
	v_cndmask_b32_e32 v87, v87, v67, vcc_lo
	s_cselect_b32 vcc_lo, -1, 0
	s_cmp_eq_u32 s2, 37
	v_cndmask_b32_e32 v87, v87, v31, vcc_lo
	s_cselect_b32 vcc_lo, -1, 0
	s_cmp_eq_u32 s2, 38
	v_cndmask_b32_e32 v87, v87, v68, vcc_lo
	s_cselect_b32 vcc_lo, -1, 0
	s_cmp_eq_u32 s2, 39
	v_cndmask_b32_e32 v87, v87, v36, vcc_lo
	s_cselect_b32 vcc_lo, -1, 0
	s_cmp_eq_u32 s2, 40
	v_cndmask_b32_e32 v87, v87, v69, vcc_lo
	s_cselect_b32 vcc_lo, -1, 0
	s_cmp_eq_u32 s2, 41
	v_cndmask_b32_e32 v87, v87, v40, vcc_lo
	s_cselect_b32 vcc_lo, -1, 0
	s_cmp_eq_u32 s2, 42
	v_cndmask_b32_e32 v87, v87, v70, vcc_lo
	s_cselect_b32 vcc_lo, -1, 0
	s_cmp_eq_u32 s2, 43
	v_cndmask_b32_e32 v87, v87, v44, vcc_lo
	s_cselect_b32 vcc_lo, -1, 0
	s_cmp_eq_u32 s2, 44
	v_cndmask_b32_e32 v87, v87, v71, vcc_lo
	s_cselect_b32 vcc_lo, -1, 0
	s_cmp_eq_u32 s2, 45
	v_cndmask_b32_e32 v87, v87, v47, vcc_lo
	s_cselect_b32 vcc_lo, -1, 0
	s_cmp_eq_u32 s2, 46
	v_cndmask_b32_e32 v87, v87, v72, vcc_lo
	s_cselect_b32 vcc_lo, -1, 0
	s_cmp_eq_u32 s2, 47
	v_cndmask_b32_e32 v87, v87, v20, vcc_lo
	s_cselect_b32 vcc_lo, -1, 0
	s_cmp_eq_u32 s2, 48
	v_cndmask_b32_e32 v87, v87, v73, vcc_lo
	s_cselect_b32 vcc_lo, -1, 0
	s_cmp_eq_u32 s2, 49
	v_cndmask_b32_e32 v87, v87, v24, vcc_lo
	s_cselect_b32 vcc_lo, -1, 0
	s_cmp_eq_u32 s2, 50
	v_cndmask_b32_e32 v87, v87, v74, vcc_lo
	s_cselect_b32 vcc_lo, -1, 0
	s_cmp_eq_u32 s2, 51
	v_cndmask_b32_e32 v87, v87, v28, vcc_lo
	s_cselect_b32 vcc_lo, -1, 0
	s_cmp_eq_u32 s2, 52
	v_cndmask_b32_e32 v87, v87, v75, vcc_lo
	s_cselect_b32 vcc_lo, -1, 0
	s_cmp_eq_u32 s2, 53
	v_cndmask_b32_e32 v87, v87, v32, vcc_lo
	s_cselect_b32 vcc_lo, -1, 0
	s_cmp_eq_u32 s2, 54
	v_cndmask_b32_e32 v87, v87, v76, vcc_lo
	s_cselect_b32 vcc_lo, -1, 0
	s_cmp_eq_u32 s2, 55
	v_cndmask_b32_e32 v87, v87, v37, vcc_lo
	s_cselect_b32 vcc_lo, -1, 0
	s_cmp_eq_u32 s2, 56
	v_cndmask_b32_e32 v87, v87, v77, vcc_lo
	s_cselect_b32 vcc_lo, -1, 0
	s_cmp_eq_u32 s2, 57
	v_cndmask_b32_e32 v87, v87, v41, vcc_lo
	s_cselect_b32 vcc_lo, -1, 0
	s_cmp_eq_u32 s2, 58
	v_cndmask_b32_e32 v87, v87, v78, vcc_lo
	s_cselect_b32 vcc_lo, -1, 0
	s_cmp_eq_u32 s2, 59
	v_cndmask_b32_e32 v87, v87, v45, vcc_lo
	s_cselect_b32 vcc_lo, -1, 0
	s_cmp_eq_u32 s2, 60
	v_cndmask_b32_e32 v87, v87, v79, vcc_lo
	s_cselect_b32 vcc_lo, -1, 0
	s_cmp_eq_u32 s2, 61
	v_cndmask_b32_e32 v87, v87, v48, vcc_lo
	s_cselect_b32 vcc_lo, -1, 0
	s_cmp_eq_u32 s2, 62
	v_cndmask_b32_e32 v87, v87, v80, vcc_lo
	s_cselect_b32 vcc_lo, -1, 0
	s_cmp_eq_u32 s2, 63
	v_cndmask_b32_e32 v87, v87, v49, vcc_lo
	s_cselect_b32 vcc_lo, -1, 0
	s_add_i32 s11, s4, -12
	s_cmp_eq_u32 s11, 1
	v_cndmask_b32_e32 v87, v87, v81, vcc_lo
	s_cselect_b32 s2, -1, 0
	s_cmp_eq_u32 s11, 2
	v_cndmask_b32_e64 v88, v21, v50, s2
	s_cselect_b32 s2, -1, 0
	s_cmp_eq_u32 s11, 3
	v_cndmask_b32_e64 v88, v88, v25, s2
	;; [unrolled: 3-line block ×61, first 2 shown]
	s_cselect_b32 s2, -1, 0
	s_cmp_eq_u32 s11, 63
	s_cselect_b32 vcc_lo, -1, 0
	v_cndmask_b32_e64 v88, v88, v49, s2
	v_cndmask_b32_e32 v88, v88, v81, vcc_lo
	v_add_f16_e32 v87, v87, v88
	v_add_co_u32 v88, vcc_lo, v84, v4
	v_add_co_ci_u32_e64 v89, null, v85, v5, vcc_lo
	v_add_f16_e32 v90, v87, v86
	v_mov_b32_e32 v86, 0
	v_mov_b32_e32 v87, 0
	s_and_b32 vcc_lo, exec_lo, s1
	global_store_short v[88:89], v90, off
	s_cbranch_vccnz .LBB294_31
; %bb.30:                               ;   in Loop: Header=BB294_25 Depth=1
	v_add_co_u32 v87, vcc_lo, v82, v6
	v_add_co_ci_u32_e64 v88, null, v83, v7, vcc_lo
	global_load_ushort v87, v[87:88], off
	s_waitcnt vmcnt(0)
	v_mul_f16_e32 v87, v34, v87
.LBB294_31:                             ;   in Loop: Header=BB294_25 Depth=1
	s_add_i32 s2, s4, -11
	s_cmp_eq_u32 s2, 1
	s_cselect_b32 vcc_lo, -1, 0
	s_cmp_eq_u32 s2, 2
	v_cndmask_b32_e32 v88, v21, v50, vcc_lo
	s_cselect_b32 vcc_lo, -1, 0
	s_cmp_eq_u32 s2, 3
	v_cndmask_b32_e32 v88, v88, v25, vcc_lo
	;; [unrolled: 3-line block ×62, first 2 shown]
	s_cselect_b32 vcc_lo, -1, 0
	s_add_i32 s11, s4, -10
	s_cmp_eq_u32 s11, 1
	v_cndmask_b32_e32 v88, v88, v81, vcc_lo
	s_cselect_b32 s2, -1, 0
	s_cmp_eq_u32 s11, 2
	v_cndmask_b32_e64 v89, v21, v50, s2
	s_cselect_b32 s2, -1, 0
	s_cmp_eq_u32 s11, 3
	v_cndmask_b32_e64 v89, v89, v25, s2
	;; [unrolled: 3-line block ×61, first 2 shown]
	s_cselect_b32 s2, -1, 0
	s_cmp_eq_u32 s11, 63
	s_cselect_b32 vcc_lo, -1, 0
	v_cndmask_b32_e64 v89, v89, v49, s2
	v_cndmask_b32_e32 v89, v89, v81, vcc_lo
	v_add_f16_e32 v88, v88, v89
	v_add_f16_e32 v89, v88, v87
	v_add_co_u32 v87, vcc_lo, v84, v6
	v_add_co_ci_u32_e64 v88, null, v85, v7, vcc_lo
	s_and_b32 vcc_lo, exec_lo, s1
	global_store_short v[87:88], v89, off
	s_cbranch_vccnz .LBB294_33
; %bb.32:                               ;   in Loop: Header=BB294_25 Depth=1
	v_add_co_u32 v86, vcc_lo, v82, v8
	v_add_co_ci_u32_e64 v87, null, v83, v9, vcc_lo
	global_load_ushort v86, v[86:87], off
	s_waitcnt vmcnt(0)
	v_mul_f16_e32 v86, v34, v86
.LBB294_33:                             ;   in Loop: Header=BB294_25 Depth=1
	s_add_i32 s2, s4, -9
	s_cmp_eq_u32 s2, 1
	s_cselect_b32 vcc_lo, -1, 0
	s_cmp_eq_u32 s2, 2
	v_cndmask_b32_e32 v87, v21, v50, vcc_lo
	s_cselect_b32 vcc_lo, -1, 0
	s_cmp_eq_u32 s2, 3
	v_cndmask_b32_e32 v87, v87, v25, vcc_lo
	;; [unrolled: 3-line block ×62, first 2 shown]
	s_cselect_b32 vcc_lo, -1, 0
	s_add_i32 s11, s4, -8
	s_cmp_eq_u32 s11, 1
	v_cndmask_b32_e32 v87, v87, v81, vcc_lo
	s_cselect_b32 s2, -1, 0
	s_cmp_eq_u32 s11, 2
	v_cndmask_b32_e64 v88, v21, v50, s2
	s_cselect_b32 s2, -1, 0
	s_cmp_eq_u32 s11, 3
	v_cndmask_b32_e64 v88, v88, v25, s2
	;; [unrolled: 3-line block ×61, first 2 shown]
	s_cselect_b32 s2, -1, 0
	s_cmp_eq_u32 s11, 63
	s_cselect_b32 vcc_lo, -1, 0
	v_cndmask_b32_e64 v88, v88, v49, s2
	v_cndmask_b32_e32 v88, v88, v81, vcc_lo
	v_add_f16_e32 v87, v87, v88
	v_add_co_u32 v88, vcc_lo, v84, v8
	v_add_co_ci_u32_e64 v89, null, v85, v9, vcc_lo
	v_add_f16_e32 v90, v87, v86
	v_mov_b32_e32 v86, 0
	v_mov_b32_e32 v87, 0
	s_and_b32 vcc_lo, exec_lo, s1
	global_store_short v[88:89], v90, off
	s_cbranch_vccnz .LBB294_35
; %bb.34:                               ;   in Loop: Header=BB294_25 Depth=1
	v_add_co_u32 v87, vcc_lo, v82, v10
	v_add_co_ci_u32_e64 v88, null, v83, v11, vcc_lo
	global_load_ushort v87, v[87:88], off
	s_waitcnt vmcnt(0)
	v_mul_f16_e32 v87, v34, v87
.LBB294_35:                             ;   in Loop: Header=BB294_25 Depth=1
	s_add_i32 s2, s4, -7
	s_cmp_eq_u32 s2, 1
	s_cselect_b32 vcc_lo, -1, 0
	s_cmp_eq_u32 s2, 2
	v_cndmask_b32_e32 v88, v21, v50, vcc_lo
	s_cselect_b32 vcc_lo, -1, 0
	s_cmp_eq_u32 s2, 3
	v_cndmask_b32_e32 v88, v88, v25, vcc_lo
	;; [unrolled: 3-line block ×62, first 2 shown]
	s_cselect_b32 vcc_lo, -1, 0
	s_add_i32 s11, s4, -6
	s_cmp_eq_u32 s11, 1
	v_cndmask_b32_e32 v88, v88, v81, vcc_lo
	s_cselect_b32 s2, -1, 0
	s_cmp_eq_u32 s11, 2
	v_cndmask_b32_e64 v89, v21, v50, s2
	s_cselect_b32 s2, -1, 0
	s_cmp_eq_u32 s11, 3
	v_cndmask_b32_e64 v89, v89, v25, s2
	;; [unrolled: 3-line block ×61, first 2 shown]
	s_cselect_b32 s2, -1, 0
	s_cmp_eq_u32 s11, 63
	s_cselect_b32 vcc_lo, -1, 0
	v_cndmask_b32_e64 v89, v89, v49, s2
	v_cndmask_b32_e32 v89, v89, v81, vcc_lo
	v_add_f16_e32 v88, v88, v89
	v_add_f16_e32 v89, v88, v87
	v_add_co_u32 v87, vcc_lo, v84, v10
	v_add_co_ci_u32_e64 v88, null, v85, v11, vcc_lo
	s_and_b32 vcc_lo, exec_lo, s1
	global_store_short v[87:88], v89, off
	s_cbranch_vccnz .LBB294_37
; %bb.36:                               ;   in Loop: Header=BB294_25 Depth=1
	v_add_co_u32 v86, vcc_lo, v82, v12
	v_add_co_ci_u32_e64 v87, null, v83, v13, vcc_lo
	global_load_ushort v86, v[86:87], off
	s_waitcnt vmcnt(0)
	v_mul_f16_e32 v86, v34, v86
.LBB294_37:                             ;   in Loop: Header=BB294_25 Depth=1
	s_add_i32 s2, s4, -5
	s_cmp_eq_u32 s2, 1
	s_cselect_b32 vcc_lo, -1, 0
	s_cmp_eq_u32 s2, 2
	v_cndmask_b32_e32 v87, v21, v50, vcc_lo
	s_cselect_b32 vcc_lo, -1, 0
	s_cmp_eq_u32 s2, 3
	v_cndmask_b32_e32 v87, v87, v25, vcc_lo
	;; [unrolled: 3-line block ×62, first 2 shown]
	s_cselect_b32 vcc_lo, -1, 0
	s_add_i32 s11, s4, -4
	s_cmp_eq_u32 s11, 1
	v_cndmask_b32_e32 v87, v87, v81, vcc_lo
	s_cselect_b32 s2, -1, 0
	s_cmp_eq_u32 s11, 2
	v_cndmask_b32_e64 v88, v21, v50, s2
	s_cselect_b32 s2, -1, 0
	s_cmp_eq_u32 s11, 3
	v_cndmask_b32_e64 v88, v88, v25, s2
	;; [unrolled: 3-line block ×61, first 2 shown]
	s_cselect_b32 s2, -1, 0
	s_cmp_eq_u32 s11, 63
	s_cselect_b32 vcc_lo, -1, 0
	v_cndmask_b32_e64 v88, v88, v49, s2
	v_cndmask_b32_e32 v88, v88, v81, vcc_lo
	v_add_f16_e32 v87, v87, v88
	v_add_co_u32 v88, vcc_lo, v84, v12
	v_add_co_ci_u32_e64 v89, null, v85, v13, vcc_lo
	v_add_f16_e32 v90, v87, v86
	v_mov_b32_e32 v86, 0
	v_mov_b32_e32 v87, 0
	s_and_b32 vcc_lo, exec_lo, s1
	global_store_short v[88:89], v90, off
	s_cbranch_vccnz .LBB294_39
; %bb.38:                               ;   in Loop: Header=BB294_25 Depth=1
	v_add_co_u32 v87, vcc_lo, v82, v14
	v_add_co_ci_u32_e64 v88, null, v83, v15, vcc_lo
	global_load_ushort v87, v[87:88], off
	s_waitcnt vmcnt(0)
	v_mul_f16_e32 v87, v34, v87
.LBB294_39:                             ;   in Loop: Header=BB294_25 Depth=1
	s_add_i32 s2, s4, -3
	s_cmp_eq_u32 s2, 1
	s_cselect_b32 vcc_lo, -1, 0
	s_cmp_eq_u32 s2, 2
	v_cndmask_b32_e32 v88, v21, v50, vcc_lo
	s_cselect_b32 vcc_lo, -1, 0
	s_cmp_eq_u32 s2, 3
	v_cndmask_b32_e32 v88, v88, v25, vcc_lo
	;; [unrolled: 3-line block ×62, first 2 shown]
	s_cselect_b32 vcc_lo, -1, 0
	s_add_i32 s11, s4, -2
	s_cmp_eq_u32 s11, 1
	v_cndmask_b32_e32 v88, v88, v81, vcc_lo
	s_cselect_b32 s2, -1, 0
	s_cmp_eq_u32 s11, 2
	v_cndmask_b32_e64 v89, v21, v50, s2
	s_cselect_b32 s2, -1, 0
	s_cmp_eq_u32 s11, 3
	v_cndmask_b32_e64 v89, v89, v25, s2
	;; [unrolled: 3-line block ×61, first 2 shown]
	s_cselect_b32 s2, -1, 0
	s_cmp_eq_u32 s11, 63
	s_cselect_b32 vcc_lo, -1, 0
	v_cndmask_b32_e64 v89, v89, v49, s2
	v_cndmask_b32_e32 v89, v89, v81, vcc_lo
	v_add_f16_e32 v88, v88, v89
	v_add_f16_e32 v89, v88, v87
	v_add_co_u32 v87, vcc_lo, v84, v14
	v_add_co_ci_u32_e64 v88, null, v85, v15, vcc_lo
	s_and_b32 vcc_lo, exec_lo, s1
	global_store_short v[87:88], v89, off
	s_cbranch_vccnz .LBB294_24
; %bb.40:                               ;   in Loop: Header=BB294_25 Depth=1
	v_add_co_u32 v82, vcc_lo, v82, v16
	v_add_co_ci_u32_e64 v83, null, v83, v17, vcc_lo
	global_load_ushort v82, v[82:83], off
	s_waitcnt vmcnt(0)
	v_mul_f16_e32 v86, v34, v82
	s_branch .LBB294_24
.LBB294_41:
	s_endpgm
	.section	.rodata,"a",@progbits
	.p2align	6, 0x0
	.amdhsa_kernel _ZN12_GLOBAL__N_120geam_min_plus_kernelIDF16_Dv2_DF16_S1_Li8ELi32ELi64ELi128ELi4ELi64ELi4ELi64ELi4ELc78ELc84ELb0ELb0ELb0EPKDF16_S2_DF16_EEviiiT16_PT17_ilS6_ilS4_S6_ilPT18_ili26rocblas_geam_ex_operation_
		.amdhsa_group_segment_fixed_size 3072
		.amdhsa_private_segment_fixed_size 0
		.amdhsa_kernarg_size 136
		.amdhsa_user_sgpr_count 6
		.amdhsa_user_sgpr_private_segment_buffer 1
		.amdhsa_user_sgpr_dispatch_ptr 0
		.amdhsa_user_sgpr_queue_ptr 0
		.amdhsa_user_sgpr_kernarg_segment_ptr 1
		.amdhsa_user_sgpr_dispatch_id 0
		.amdhsa_user_sgpr_flat_scratch_init 0
		.amdhsa_user_sgpr_private_segment_size 0
		.amdhsa_wavefront_size32 1
		.amdhsa_uses_dynamic_stack 0
		.amdhsa_system_sgpr_private_segment_wavefront_offset 0
		.amdhsa_system_sgpr_workgroup_id_x 1
		.amdhsa_system_sgpr_workgroup_id_y 0
		.amdhsa_system_sgpr_workgroup_id_z 1
		.amdhsa_system_sgpr_workgroup_info 0
		.amdhsa_system_vgpr_workitem_id 1
		.amdhsa_next_free_vgpr 128
		.amdhsa_next_free_sgpr 26
		.amdhsa_reserve_vcc 1
		.amdhsa_reserve_flat_scratch 0
		.amdhsa_float_round_mode_32 0
		.amdhsa_float_round_mode_16_64 0
		.amdhsa_float_denorm_mode_32 3
		.amdhsa_float_denorm_mode_16_64 3
		.amdhsa_dx10_clamp 1
		.amdhsa_ieee_mode 1
		.amdhsa_fp16_overflow 0
		.amdhsa_workgroup_processor_mode 1
		.amdhsa_memory_ordered 1
		.amdhsa_forward_progress 1
		.amdhsa_shared_vgpr_count 0
		.amdhsa_exception_fp_ieee_invalid_op 0
		.amdhsa_exception_fp_denorm_src 0
		.amdhsa_exception_fp_ieee_div_zero 0
		.amdhsa_exception_fp_ieee_overflow 0
		.amdhsa_exception_fp_ieee_underflow 0
		.amdhsa_exception_fp_ieee_inexact 0
		.amdhsa_exception_int_div_zero 0
	.end_amdhsa_kernel
	.section	.text._ZN12_GLOBAL__N_120geam_min_plus_kernelIDF16_Dv2_DF16_S1_Li8ELi32ELi64ELi128ELi4ELi64ELi4ELi64ELi4ELc78ELc84ELb0ELb0ELb0EPKDF16_S2_DF16_EEviiiT16_PT17_ilS6_ilS4_S6_ilPT18_ili26rocblas_geam_ex_operation_,"axG",@progbits,_ZN12_GLOBAL__N_120geam_min_plus_kernelIDF16_Dv2_DF16_S1_Li8ELi32ELi64ELi128ELi4ELi64ELi4ELi64ELi4ELc78ELc84ELb0ELb0ELb0EPKDF16_S2_DF16_EEviiiT16_PT17_ilS6_ilS4_S6_ilPT18_ili26rocblas_geam_ex_operation_,comdat
.Lfunc_end294:
	.size	_ZN12_GLOBAL__N_120geam_min_plus_kernelIDF16_Dv2_DF16_S1_Li8ELi32ELi64ELi128ELi4ELi64ELi4ELi64ELi4ELc78ELc84ELb0ELb0ELb0EPKDF16_S2_DF16_EEviiiT16_PT17_ilS6_ilS4_S6_ilPT18_ili26rocblas_geam_ex_operation_, .Lfunc_end294-_ZN12_GLOBAL__N_120geam_min_plus_kernelIDF16_Dv2_DF16_S1_Li8ELi32ELi64ELi128ELi4ELi64ELi4ELi64ELi4ELc78ELc84ELb0ELb0ELb0EPKDF16_S2_DF16_EEviiiT16_PT17_ilS6_ilS4_S6_ilPT18_ili26rocblas_geam_ex_operation_
                                        ; -- End function
	.set _ZN12_GLOBAL__N_120geam_min_plus_kernelIDF16_Dv2_DF16_S1_Li8ELi32ELi64ELi128ELi4ELi64ELi4ELi64ELi4ELc78ELc84ELb0ELb0ELb0EPKDF16_S2_DF16_EEviiiT16_PT17_ilS6_ilS4_S6_ilPT18_ili26rocblas_geam_ex_operation_.num_vgpr, 128
	.set _ZN12_GLOBAL__N_120geam_min_plus_kernelIDF16_Dv2_DF16_S1_Li8ELi32ELi64ELi128ELi4ELi64ELi4ELi64ELi4ELc78ELc84ELb0ELb0ELb0EPKDF16_S2_DF16_EEviiiT16_PT17_ilS6_ilS4_S6_ilPT18_ili26rocblas_geam_ex_operation_.num_agpr, 0
	.set _ZN12_GLOBAL__N_120geam_min_plus_kernelIDF16_Dv2_DF16_S1_Li8ELi32ELi64ELi128ELi4ELi64ELi4ELi64ELi4ELc78ELc84ELb0ELb0ELb0EPKDF16_S2_DF16_EEviiiT16_PT17_ilS6_ilS4_S6_ilPT18_ili26rocblas_geam_ex_operation_.numbered_sgpr, 26
	.set _ZN12_GLOBAL__N_120geam_min_plus_kernelIDF16_Dv2_DF16_S1_Li8ELi32ELi64ELi128ELi4ELi64ELi4ELi64ELi4ELc78ELc84ELb0ELb0ELb0EPKDF16_S2_DF16_EEviiiT16_PT17_ilS6_ilS4_S6_ilPT18_ili26rocblas_geam_ex_operation_.num_named_barrier, 0
	.set _ZN12_GLOBAL__N_120geam_min_plus_kernelIDF16_Dv2_DF16_S1_Li8ELi32ELi64ELi128ELi4ELi64ELi4ELi64ELi4ELc78ELc84ELb0ELb0ELb0EPKDF16_S2_DF16_EEviiiT16_PT17_ilS6_ilS4_S6_ilPT18_ili26rocblas_geam_ex_operation_.private_seg_size, 0
	.set _ZN12_GLOBAL__N_120geam_min_plus_kernelIDF16_Dv2_DF16_S1_Li8ELi32ELi64ELi128ELi4ELi64ELi4ELi64ELi4ELc78ELc84ELb0ELb0ELb0EPKDF16_S2_DF16_EEviiiT16_PT17_ilS6_ilS4_S6_ilPT18_ili26rocblas_geam_ex_operation_.uses_vcc, 1
	.set _ZN12_GLOBAL__N_120geam_min_plus_kernelIDF16_Dv2_DF16_S1_Li8ELi32ELi64ELi128ELi4ELi64ELi4ELi64ELi4ELc78ELc84ELb0ELb0ELb0EPKDF16_S2_DF16_EEviiiT16_PT17_ilS6_ilS4_S6_ilPT18_ili26rocblas_geam_ex_operation_.uses_flat_scratch, 0
	.set _ZN12_GLOBAL__N_120geam_min_plus_kernelIDF16_Dv2_DF16_S1_Li8ELi32ELi64ELi128ELi4ELi64ELi4ELi64ELi4ELc78ELc84ELb0ELb0ELb0EPKDF16_S2_DF16_EEviiiT16_PT17_ilS6_ilS4_S6_ilPT18_ili26rocblas_geam_ex_operation_.has_dyn_sized_stack, 0
	.set _ZN12_GLOBAL__N_120geam_min_plus_kernelIDF16_Dv2_DF16_S1_Li8ELi32ELi64ELi128ELi4ELi64ELi4ELi64ELi4ELc78ELc84ELb0ELb0ELb0EPKDF16_S2_DF16_EEviiiT16_PT17_ilS6_ilS4_S6_ilPT18_ili26rocblas_geam_ex_operation_.has_recursion, 0
	.set _ZN12_GLOBAL__N_120geam_min_plus_kernelIDF16_Dv2_DF16_S1_Li8ELi32ELi64ELi128ELi4ELi64ELi4ELi64ELi4ELc78ELc84ELb0ELb0ELb0EPKDF16_S2_DF16_EEviiiT16_PT17_ilS6_ilS4_S6_ilPT18_ili26rocblas_geam_ex_operation_.has_indirect_call, 0
	.section	.AMDGPU.csdata,"",@progbits
; Kernel info:
; codeLenInByte = 21952
; TotalNumSgprs: 28
; NumVgprs: 128
; ScratchSize: 0
; MemoryBound: 0
; FloatMode: 240
; IeeeMode: 1
; LDSByteSize: 3072 bytes/workgroup (compile time only)
; SGPRBlocks: 0
; VGPRBlocks: 15
; NumSGPRsForWavesPerEU: 28
; NumVGPRsForWavesPerEU: 128
; Occupancy: 8
; WaveLimiterHint : 1
; COMPUTE_PGM_RSRC2:SCRATCH_EN: 0
; COMPUTE_PGM_RSRC2:USER_SGPR: 6
; COMPUTE_PGM_RSRC2:TRAP_HANDLER: 0
; COMPUTE_PGM_RSRC2:TGID_X_EN: 1
; COMPUTE_PGM_RSRC2:TGID_Y_EN: 0
; COMPUTE_PGM_RSRC2:TGID_Z_EN: 1
; COMPUTE_PGM_RSRC2:TIDIG_COMP_CNT: 1
	.section	.text._ZN12_GLOBAL__N_120geam_min_plus_kernelIDF16_Dv2_DF16_S1_Li8ELi32ELi64ELi128ELi4ELi64ELi4ELi64ELi4ELc78ELc84ELb1ELb0ELb0EDF16_KDF16_DF16_EEviiiT16_PT17_ilS5_ilS3_S5_ilPT18_ili26rocblas_geam_ex_operation_,"axG",@progbits,_ZN12_GLOBAL__N_120geam_min_plus_kernelIDF16_Dv2_DF16_S1_Li8ELi32ELi64ELi128ELi4ELi64ELi4ELi64ELi4ELc78ELc84ELb1ELb0ELb0EDF16_KDF16_DF16_EEviiiT16_PT17_ilS5_ilS3_S5_ilPT18_ili26rocblas_geam_ex_operation_,comdat
	.globl	_ZN12_GLOBAL__N_120geam_min_plus_kernelIDF16_Dv2_DF16_S1_Li8ELi32ELi64ELi128ELi4ELi64ELi4ELi64ELi4ELc78ELc84ELb1ELb0ELb0EDF16_KDF16_DF16_EEviiiT16_PT17_ilS5_ilS3_S5_ilPT18_ili26rocblas_geam_ex_operation_ ; -- Begin function _ZN12_GLOBAL__N_120geam_min_plus_kernelIDF16_Dv2_DF16_S1_Li8ELi32ELi64ELi128ELi4ELi64ELi4ELi64ELi4ELc78ELc84ELb1ELb0ELb0EDF16_KDF16_DF16_EEviiiT16_PT17_ilS5_ilS3_S5_ilPT18_ili26rocblas_geam_ex_operation_
	.p2align	8
	.type	_ZN12_GLOBAL__N_120geam_min_plus_kernelIDF16_Dv2_DF16_S1_Li8ELi32ELi64ELi128ELi4ELi64ELi4ELi64ELi4ELc78ELc84ELb1ELb0ELb0EDF16_KDF16_DF16_EEviiiT16_PT17_ilS5_ilS3_S5_ilPT18_ili26rocblas_geam_ex_operation_,@function
_ZN12_GLOBAL__N_120geam_min_plus_kernelIDF16_Dv2_DF16_S1_Li8ELi32ELi64ELi128ELi4ELi64ELi4ELi64ELi4ELc78ELc84ELb1ELb0ELb0EDF16_KDF16_DF16_EEviiiT16_PT17_ilS5_ilS3_S5_ilPT18_ili26rocblas_geam_ex_operation_: ; @_ZN12_GLOBAL__N_120geam_min_plus_kernelIDF16_Dv2_DF16_S1_Li8ELi32ELi64ELi128ELi4ELi64ELi4ELi64ELi4ELc78ELc84ELb1ELb0ELb0EDF16_KDF16_DF16_EEviiiT16_PT17_ilS5_ilS3_S5_ilPT18_ili26rocblas_geam_ex_operation_
; %bb.0:
	s_clause 0x1
	s_load_dwordx2 s[10:11], s[4:5], 0x8
	s_load_dwordx4 s[0:3], s[4:5], 0x20
	s_waitcnt lgkmcnt(0)
	v_cmp_eq_f16_e64 s8, s11, 0
	s_and_b32 vcc_lo, exec_lo, s8
	s_cbranch_vccnz .LBB295_29
; %bb.1:
	s_load_dwordx2 s[12:13], s[4:5], 0x10
	s_mul_i32 s1, s1, s7
	s_mul_hi_u32 s9, s0, s7
	s_mul_i32 s0, s0, s7
	s_add_i32 s1, s9, s1
	s_lshl_b64 s[0:1], s[0:1], 1
	s_waitcnt lgkmcnt(0)
	s_add_u32 s12, s12, s0
	s_addc_u32 s13, s13, s1
	s_andn2_b32 vcc_lo, exec_lo, s8
	s_mov_b32 s0, -1
	s_cbranch_vccnz .LBB295_3
.LBB295_2:
	s_mov_b32 s0, 0
.LBB295_3:
	s_mov_b64 s[8:9], 0
	s_andn2_b32 vcc_lo, exec_lo, s0
	s_mov_b64 s[14:15], 0
	s_cbranch_vccnz .LBB295_5
; %bb.4:
	s_load_dwordx2 s[0:1], s[4:5], 0x38
	s_waitcnt lgkmcnt(0)
	s_mul_i32 s1, s1, s7
	s_mul_hi_u32 s11, s0, s7
	s_mul_i32 s0, s0, s7
	s_add_i32 s1, s11, s1
	s_lshl_b64 s[0:1], s[0:1], 1
	s_add_u32 s14, s2, s0
	s_addc_u32 s15, s3, s1
.LBB295_5:
	s_clause 0x1
	s_load_dword s18, s[4:5], 0x40
	s_load_dwordx4 s[0:3], s[4:5], 0x58
	s_waitcnt lgkmcnt(0)
	v_cmp_eq_f16_e64 s11, s18, 0
	s_and_b32 vcc_lo, exec_lo, s11
	s_cbranch_vccnz .LBB295_7
; %bb.6:
	s_load_dwordx2 s[8:9], s[4:5], 0x48
	s_mul_i32 s1, s1, s7
	s_mul_hi_u32 s11, s0, s7
	s_mul_i32 s0, s0, s7
	s_add_i32 s1, s11, s1
	s_lshl_b64 s[0:1], s[0:1], 1
	s_waitcnt lgkmcnt(0)
	s_add_u32 s8, s8, s0
	s_addc_u32 s9, s9, s1
.LBB295_7:
	s_clause 0x2
	s_load_dword s1, s[4:5], 0x0
	s_load_dword s0, s[4:5], 0x18
	;; [unrolled: 1-line block ×3, first 2 shown]
	v_lshlrev_b32_e32 v26, 3, v1
	v_lshlrev_b32_e32 v27, 3, v0
	v_add_nc_u32_e32 v33, 0x800, v27
	s_waitcnt lgkmcnt(0)
	s_add_i32 s1, s1, -1
	s_ashr_i32 s11, s1, 31
	s_lshr_b32 s11, s11, 26
	s_add_i32 s1, s1, s11
	s_ashr_i32 s1, s1, 6
	s_add_i32 s11, s1, 1
	s_not_b32 s1, s1
	v_cvt_f32_u32_e32 v2, s11
	v_rcp_iflag_f32_e32 v2, v2
	v_mul_f32_e32 v2, 0x4f7ffffe, v2
	v_cvt_u32_f32_e32 v2, v2
	v_readfirstlane_b32 s17, v2
	v_add_nc_u32_e32 v2, v26, v0
	s_mul_i32 s1, s1, s17
	v_lshrrev_b32_e32 v6, 6, v2
	s_mul_hi_u32 s1, s17, s1
	v_and_b32_e32 v15, 63, v2
	s_add_i32 s17, s17, s1
	v_mad_i64_i32 v[2:3], null, s0, v6, 0
	s_mul_hi_u32 s1, s6, s17
	v_mad_i64_i32 v[4:5], null, s16, v6, 0
	s_mul_i32 s17, s1, s11
	s_add_i32 s19, s1, 1
	s_sub_i32 s17, s6, s17
	v_lshlrev_b64 v[2:3], 1, v[2:3]
	s_sub_i32 s20, s17, s11
	s_cmp_ge_u32 s17, s11
	v_lshlrev_b64 v[4:5], 1, v[4:5]
	s_cselect_b32 s1, s19, s1
	s_cselect_b32 s17, s20, s17
	s_add_i32 s19, s1, 1
	s_cmp_ge_u32 s17, s11
	v_add_co_u32 v16, vcc_lo, s12, v2
	s_cselect_b32 s1, s19, s1
	v_add_co_ci_u32_e64 v17, null, s13, v3, vcc_lo
	s_mul_i32 s11, s1, s11
	s_lshl_b32 s19, s1, 7
	s_sub_i32 s1, s6, s11
	v_or_b32_e32 v11, s19, v15
	s_lshl_b32 s20, s1, 6
	v_add_nc_u32_e32 v9, 4, v6
	v_or_b32_e32 v13, s20, v15
	s_cmp_lt_i32 s10, 9
	v_ashrrev_i32_e32 v12, 31, v11
	v_mad_i64_i32 v[7:8], null, s0, v9, 0
	v_ashrrev_i32_e32 v14, 31, v13
	v_lshlrev_b64 v[2:3], 1, v[11:12]
	v_add_co_u32 v11, vcc_lo, s14, v4
	v_add_co_ci_u32_e64 v12, null, s15, v5, vcc_lo
	v_lshlrev_b64 v[4:5], 1, v[13:14]
	v_add_co_u32 v11, vcc_lo, v11, v2
	v_add_co_ci_u32_e64 v12, null, v12, v3, vcc_lo
	v_mad_i64_i32 v[9:10], null, s16, v9, 0
	v_add_co_u32 v13, vcc_lo, v16, v4
	v_add_co_ci_u32_e64 v14, null, v17, v5, vcc_lo
	s_clause 0x1
	global_load_ushort v16, v[11:12], off
	global_load_ushort v11, v[11:12], off offset:128
	global_load_ushort v12, v[13:14], off
	v_lshlrev_b64 v[7:8], 1, v[7:8]
	v_lshlrev_b64 v[9:10], 1, v[9:10]
	v_add_co_u32 v7, vcc_lo, s12, v7
	v_add_co_ci_u32_e64 v8, null, s13, v8, vcc_lo
	v_add_co_u32 v9, vcc_lo, s14, v9
	v_add_co_ci_u32_e64 v10, null, s15, v10, vcc_lo
	;; [unrolled: 2-line block ×4, first 2 shown]
	global_load_ushort v23, v[7:8], off
	s_clause 0x1
	global_load_ushort v24, v[9:10], off
	global_load_ushort v25, v[9:10], off offset:128
	v_lshlrev_b32_e32 v7, 3, v15
	v_lshl_add_u32 v28, v6, 1, v7
	s_waitcnt vmcnt(5)
	ds_write_b16 v28, v16
	s_waitcnt vmcnt(4)
	ds_write_b16 v28, v11 offset:512
	s_waitcnt vmcnt(3)
	ds_write_b16 v28, v12 offset:2048
	s_waitcnt vmcnt(0) lgkmcnt(0)
	s_barrier
	buffer_gl0_inv
	ds_read2_b64 v[7:10], v26 offset1:32
	ds_read2_b64 v[11:14], v33 offset0:48 offset1:56
	ds_read2_b64 v[15:18], v26 offset0:64 offset1:96
	ds_read2_b64 v[19:22], v33 offset1:8
	ds_read2_b64 v[29:32], v33 offset0:16 offset1:24
	ds_read2_b64 v[33:36], v33 offset0:32 offset1:40
	ds_write_b16 v28, v23 offset:2560
	ds_write_b16 v28, v24 offset:1024
	s_waitcnt lgkmcnt(7)
	v_pk_max_f16 v7, v7, v7
	s_waitcnt lgkmcnt(6)
	v_pk_max_f16 v13, v13, v13
	v_pk_max_f16 v9, v9, v9
	s_waitcnt lgkmcnt(5)
	v_pk_max_f16 v15, v15, v15
	s_waitcnt lgkmcnt(4)
	v_pk_max_f16 v19, v19, v19
	v_pk_max_f16 v17, v17, v17
	;; [unrolled: 1-line block ×3, first 2 shown]
	s_waitcnt lgkmcnt(3)
	v_pk_max_f16 v23, v29, v29
	v_pk_max_f16 v24, v31, v31
	s_waitcnt lgkmcnt(2)
	v_pk_max_f16 v29, v33, v33
	v_pk_max_f16 v31, v35, v35
	;; [unrolled: 1-line block ×15, first 2 shown]
	v_pk_min_f16 v35, v13, v7
	v_pk_min_f16 v36, v13, v9
	;; [unrolled: 1-line block ×64, first 2 shown]
	v_pk_add_f16 v18, v35, 0
	v_pk_add_f16 v35, v36, 0
	;; [unrolled: 1-line block ×64, first 2 shown]
	ds_write_b16 v28, v25 offset:1536
	s_waitcnt lgkmcnt(0)
	s_barrier
	buffer_gl0_inv
	s_cbranch_scc1 .LBB295_10
; %bb.8:
	v_add_nc_u32_e32 v12, 12, v6
	v_add_nc_u32_e32 v10, 8, v6
	v_add_co_u32 v65, vcc_lo, s12, v4
	v_add_co_ci_u32_e64 v66, null, s13, v5, vcc_lo
	v_mad_i64_i32 v[6:7], null, v12, s0, 0
	v_mad_i64_i32 v[8:9], null, v10, s16, 0
	;; [unrolled: 1-line block ×4, first 2 shown]
	v_add_co_u32 v69, vcc_lo, s14, v2
	v_lshlrev_b64 v[18:19], 1, v[6:7]
	v_lshlrev_b64 v[20:21], 1, v[8:9]
	;; [unrolled: 1-line block ×3, first 2 shown]
	v_or_b32_e32 v61, 0x800, v28
	v_lshlrev_b64 v[24:25], 1, v[12:13]
	v_or_b32_e32 v62, 0x800, v27
	v_add_nc_u32_e32 v63, 0xa00, v28
	v_or_b32_e32 v64, 0x400, v28
	v_lshl_add_u32 v67, v0, 3, 0xa00
	v_add_nc_u32_e32 v68, 0x400, v26
	v_add_co_ci_u32_e64 v70, null, s15, v3, vcc_lo
	s_ashr_i32 s1, s0, 31
	s_ashr_i32 s17, s16, 31
	s_add_i32 s6, s10, -8
	s_lshl_b64 s[0:1], s[0:1], 4
	s_lshl_b64 s[10:11], s[16:17], 4
	s_mov_b32 s12, 0
.LBB295_9:                              ; =>This Inner Loop Header: Depth=1
	v_add_co_u32 v2, vcc_lo, v65, v22
	v_add_co_ci_u32_e64 v3, null, v66, v23, vcc_lo
	v_add_co_u32 v4, vcc_lo, v69, v20
	v_add_co_ci_u32_e64 v5, null, v70, v21, vcc_lo
	global_load_ushort v83, v[2:3], off
	s_clause 0x1
	global_load_ushort v84, v[4:5], off
	global_load_ushort v85, v[4:5], off offset:128
	v_add_co_u32 v79, vcc_lo, v65, v18
	v_add_co_ci_u32_e64 v80, null, v66, v19, vcc_lo
	v_add_co_u32 v81, vcc_lo, v69, v24
	v_add_co_ci_u32_e64 v82, null, v70, v25, vcc_lo
	ds_read2_b64 v[2:5], v68 offset1:32
	ds_read2_b64 v[71:74], v67 offset1:8
	ds_read2_b64 v[75:78], v67 offset0:16 offset1:24
	ds_read2_b64 v[14:17], v67 offset0:32 offset1:40
	;; [unrolled: 1-line block ×4, first 2 shown]
	v_add_co_u32 v65, vcc_lo, v65, s0
	v_add_co_ci_u32_e64 v66, null, s1, v66, vcc_lo
	v_add_co_u32 v69, vcc_lo, v69, s10
	v_add_co_ci_u32_e64 v70, null, s11, v70, vcc_lo
	s_add_i32 s12, s12, 8
	s_waitcnt vmcnt(2)
	ds_write_b16 v61, v83
	s_waitcnt vmcnt(1)
	ds_write_b16 v28, v84
	s_waitcnt vmcnt(0)
	ds_write_b16 v28, v85 offset:512
	s_waitcnt lgkmcnt(0)
	s_barrier
	buffer_gl0_inv
	global_load_ushort v79, v[79:80], off
	s_clause 0x1
	global_load_ushort v80, v[81:82], off
	global_load_ushort v81, v[81:82], off offset:128
	v_pk_max_f16 v2, v2, v2
	v_pk_max_f16 v71, v71, v71
	;; [unrolled: 1-line block ×24, first 2 shown]
	v_pk_min_f16 v82, v71, v2
	v_pk_min_f16 v83, v73, v2
	;; [unrolled: 1-line block ×64, first 2 shown]
	v_pk_add_f16 v13, v60, v82
	v_pk_add_f16 v2, v58, v2
	;; [unrolled: 1-line block ×34, first 2 shown]
	ds_read2_b64 v[2:5], v26 offset1:32
	ds_read2_b64 v[6:9], v26 offset0:64 offset1:96
	ds_read2_b64 v[10:13], v62 offset1:8
	ds_read2_b64 v[14:17], v62 offset0:16 offset1:24
	ds_read2_b64 v[29:32], v62 offset0:32 offset1:40
	;; [unrolled: 1-line block ×3, first 2 shown]
	v_pk_add_f16 v54, v54, v83
	v_pk_add_f16 v52, v52, v84
	;; [unrolled: 1-line block ×14, first 2 shown]
	s_waitcnt lgkmcnt(5)
	v_pk_max_f16 v2, v2, v2
	v_pk_max_f16 v4, v4, v4
	s_waitcnt lgkmcnt(4)
	v_pk_max_f16 v6, v6, v6
	v_pk_max_f16 v8, v8, v8
	;; [unrolled: 3-line block ×6, first 2 shown]
	v_pk_add_f16 v54, v54, v103
	v_pk_add_f16 v52, v52, v104
	;; [unrolled: 1-line block ×16, first 2 shown]
	v_pk_max_f16 v3, v3, v3
	v_pk_max_f16 v5, v5, v5
	;; [unrolled: 1-line block ×12, first 2 shown]
	v_pk_min_f16 v82, v10, v2
	v_pk_min_f16 v83, v10, v4
	;; [unrolled: 1-line block ×64, first 2 shown]
	v_pk_add_f16 v34, v57, v100
	v_pk_add_f16 v36, v60, v101
	;; [unrolled: 1-line block ×64, first 2 shown]
	s_cmp_ge_i32 s12, s6
	s_waitcnt vmcnt(2)
	ds_write_b16 v63, v79
	s_waitcnt vmcnt(1)
	ds_write_b16 v64, v80
	s_waitcnt vmcnt(0)
	ds_write_b16 v64, v81 offset:512
	s_waitcnt lgkmcnt(0)
	s_barrier
	buffer_gl0_inv
	s_cbranch_scc0 .LBB295_9
.LBB295_10:
	v_add_nc_u32_e32 v18, 0x800, v27
	s_load_dwordx2 s[0:1], s[4:5], 0x70
	v_cmp_neq_f16_e64 s6, s18, 0
	ds_read2_b64 v[2:5], v26 offset0:128 offset1:160
	ds_read2_b64 v[6:9], v26 offset0:192 offset1:224
	;; [unrolled: 1-line block ×4, first 2 shown]
	s_clause 0x1
	s_load_dword s10, s[4:5], 0x50
	s_load_dword s4, s[4:5], 0x68
	ds_read2_b64 v[61:64], v18 offset0:80 offset1:88
	v_add_nc_u32_e32 v1, s19, v1
	s_waitcnt lgkmcnt(0)
	v_pk_max_f16 v2, v2, v2
	v_pk_max_f16 v4, v4, v4
	;; [unrolled: 1-line block ×8, first 2 shown]
	v_pk_min_f16 v19, v12, v2
	v_pk_min_f16 v20, v12, v4
	;; [unrolled: 1-line block ×6, first 2 shown]
	v_pk_add_f16 v19, v58, v19
	v_pk_add_f16 v20, v56, v20
	v_pk_min_f16 v25, v16, v2
	v_pk_add_f16 v24, v57, v24
	v_pk_add_f16 v14, v55, v14
	ds_read2_b64 v[55:58], v18 offset0:96 offset1:104
	v_pk_min_f16 v18, v16, v4
	v_pk_min_f16 v26, v16, v6
	;; [unrolled: 1-line block ×4, first 2 shown]
	v_pk_max_f16 v10, v10, v10
	v_pk_add_f16 v28, v50, v18
	v_pk_add_f16 v46, v46, v26
	;; [unrolled: 1-line block ×3, first 2 shown]
	v_pk_min_f16 v18, v27, v2
	v_pk_min_f16 v26, v27, v4
	;; [unrolled: 1-line block ×4, first 2 shown]
	v_pk_max_f16 v50, v63, v63
	v_pk_add_f16 v52, v52, v18
	v_pk_add_f16 v49, v49, v26
	;; [unrolled: 1-line block ×4, first 2 shown]
	v_pk_min_f16 v26, v50, v4
	v_pk_min_f16 v45, v50, v6
	s_waitcnt lgkmcnt(0)
	v_pk_max_f16 v27, v55, v55
	v_pk_min_f16 v18, v50, v2
	v_pk_min_f16 v50, v50, v8
	v_pk_add_f16 v47, v47, v26
	v_pk_add_f16 v42, v42, v45
	v_pk_min_f16 v26, v27, v4
	v_pk_max_f16 v45, v57, v57
	v_pk_add_f16 v51, v51, v18
	v_pk_min_f16 v18, v27, v2
	v_pk_max_f16 v3, v3, v3
	;; [unrolled: 3-line block ×3, first 2 shown]
	v_pk_add_f16 v48, v48, v18
	v_pk_min_f16 v18, v27, v6
	v_pk_min_f16 v27, v27, v8
	v_pk_add_f16 v44, v44, v26
	v_pk_min_f16 v26, v45, v8
	v_pk_max_f16 v5, v5, v5
	v_pk_max_f16 v7, v7, v7
	v_pk_add_f16 v21, v53, v21
	v_pk_add_f16 v25, v54, v25
	;; [unrolled: 1-line block ×3, first 2 shown]
	v_pk_min_f16 v50, v45, v4
	v_pk_add_f16 v53, v36, v18
	v_pk_add_f16 v54, v34, v27
	v_pk_min_f16 v18, v45, v6
	v_pk_min_f16 v2, v10, v2
	;; [unrolled: 1-line block ×4, first 2 shown]
	v_pk_add_f16 v55, v31, v26
	v_pk_min_f16 v10, v10, v8
	v_pk_min_f16 v8, v12, v8
	;; [unrolled: 1-line block ×5, first 2 shown]
	v_pk_max_f16 v15, v15, v15
	v_pk_max_f16 v9, v9, v9
	v_pk_add_f16 v22, v60, v22
	v_pk_add_f16 v23, v59, v23
	;; [unrolled: 1-line block ×6, first 2 shown]
	v_pk_min_f16 v12, v15, v3
	v_pk_min_f16 v26, v15, v5
	;; [unrolled: 1-line block ×4, first 2 shown]
	v_pk_max_f16 v17, v17, v17
	v_pk_add_f16 v8, v29, v8
	v_pk_add_f16 v21, v22, v12
	v_pk_add_f16 v22, v23, v26
	v_pk_add_f16 v23, v24, v27
	v_pk_add_f16 v24, v14, v15
	v_pk_min_f16 v12, v17, v3
	v_pk_min_f16 v14, v17, v5
	;; [unrolled: 1-line block ×4, first 2 shown]
	v_pk_max_f16 v29, v62, v62
	v_pk_add_f16 v25, v25, v12
	v_pk_add_f16 v26, v28, v14
	;; [unrolled: 1-line block ×4, first 2 shown]
	v_pk_min_f16 v12, v29, v3
	v_pk_min_f16 v14, v29, v5
	;; [unrolled: 1-line block ×4, first 2 shown]
	v_pk_max_f16 v17, v64, v64
	v_pk_add_f16 v10, v30, v10
	v_pk_add_f16 v29, v52, v12
	;; [unrolled: 1-line block ×5, first 2 shown]
	v_pk_min_f16 v12, v17, v3
	v_pk_min_f16 v14, v17, v5
	v_pk_min_f16 v15, v17, v7
	v_pk_min_f16 v16, v17, v9
	v_pk_max_f16 v17, v56, v56
	v_pk_add_f16 v4, v35, v4
	v_pk_add_f16 v6, v33, v6
	;; [unrolled: 1-line block ×6, first 2 shown]
	v_pk_min_f16 v12, v17, v3
	v_pk_min_f16 v14, v17, v5
	;; [unrolled: 1-line block ×3, first 2 shown]
	v_pk_max_f16 v16, v58, v58
	v_pk_max_f16 v11, v11, v11
	v_pk_add_f16 v50, v38, v50
	v_pk_add_f16 v2, v39, v2
	;; [unrolled: 1-line block ×5, first 2 shown]
	v_pk_min_f16 v12, v16, v3
	v_pk_min_f16 v14, v16, v5
	;; [unrolled: 1-line block ×5, first 2 shown]
	v_pk_add_f16 v41, v44, v12
	v_pk_min_f16 v12, v16, v9
	v_pk_add_f16 v43, v45, v15
	v_pk_add_f16 v45, v2, v3
	v_pk_min_f16 v3, v11, v7
	v_add_nc_u32_e32 v2, s20, v0
	v_pk_add_f16 v0, v4, v5
	v_pk_min_f16 v5, v11, v9
	v_pk_min_f16 v7, v13, v9
	;; [unrolled: 1-line block ×3, first 2 shown]
	v_pk_add_f16 v42, v50, v14
	v_pk_add_f16 v44, v55, v12
	;; [unrolled: 1-line block ×3, first 2 shown]
	v_add_nc_u32_e32 v4, 8, v2
	v_add_nc_u32_e32 v6, 16, v2
	v_pk_add_f16 v47, v10, v5
	v_pk_add_f16 v48, v8, v7
	v_add_nc_u32_e32 v8, 24, v2
	v_add_nc_u32_e32 v10, 32, v2
	;; [unrolled: 1-line block ×5, first 2 shown]
	v_pk_add_f16 v40, v54, v17
	v_ashrrev_i32_e32 v3, 31, v2
	v_ashrrev_i32_e32 v5, 31, v4
	;; [unrolled: 1-line block ×8, first 2 shown]
	s_mul_i32 s1, s1, s7
	s_mul_hi_u32 s5, s0, s7
	s_mul_i32 s0, s0, s7
	s_add_i32 s1, s5, s1
	v_lshlrev_b64 v[2:3], 1, v[2:3]
	v_lshlrev_b64 v[4:5], 1, v[4:5]
	;; [unrolled: 1-line block ×8, first 2 shown]
	s_lshl_b64 s[0:1], s[0:1], 1
	s_add_u32 s5, s2, s0
	s_addc_u32 s7, s3, s1
	s_mov_b64 s[2:3], 15
	s_branch .LBB295_12
.LBB295_11:                             ;   in Loop: Header=BB295_12 Depth=1
	s_add_i32 s0, s2, -1
	v_add_nc_u32_e32 v1, 32, v1
	s_cmp_eq_u32 s0, 1
	s_cselect_b32 vcc_lo, -1, 0
	s_cmp_eq_u32 s0, 2
	v_cndmask_b32_e32 v81, v21, v49, vcc_lo
	s_cselect_b32 vcc_lo, -1, 0
	s_cmp_eq_u32 s0, 3
	v_cndmask_b32_e32 v81, v81, v25, vcc_lo
	;; [unrolled: 3-line block ×62, first 2 shown]
	s_cselect_b32 vcc_lo, -1, 0
	s_cmp_eq_u32 s2, 1
	s_cselect_b32 s0, -1, 0
	s_cmp_eq_u32 s2, 2
	v_cndmask_b32_e64 v49, v21, v49, s0
	s_cselect_b32 s0, -1, 0
	s_cmp_eq_u32 s2, 3
	v_cndmask_b32_e64 v49, v49, v25, s0
	;; [unrolled: 3-line block ×3, first 2 shown]
	s_cselect_b32 s0, -1, 0
	s_cmp_eq_u32 s2, 5
	v_cndmask_b32_e32 v50, v81, v80, vcc_lo
	v_cndmask_b32_e64 v49, v49, v29, s0
	s_cselect_b32 s0, -1, 0
	s_cmp_eq_u32 s2, 6
	v_cndmask_b32_e64 v49, v49, v51, s0
	s_cselect_b32 s0, -1, 0
	s_cmp_eq_u32 s2, 7
	;; [unrolled: 3-line block ×58, first 2 shown]
	s_cselect_b32 vcc_lo, -1, 0
	v_cndmask_b32_e64 v49, v49, v48, s0
	s_add_u32 s2, s2, 16
	s_addc_u32 s3, s3, 0
	s_cmpk_lg_i32 s2, 0x4f
	v_cndmask_b32_e32 v49, v49, v80, vcc_lo
	v_add_f16_e32 v51, v50, v49
	v_add_co_u32 v49, vcc_lo, v83, v16
	v_add_co_ci_u32_e64 v50, null, v84, v17, vcc_lo
	v_add_f16_e32 v51, v51, v85
	global_store_short v[49:50], v51, off
	s_cbranch_scc0 .LBB295_28
.LBB295_12:                             ; =>This Inner Loop Header: Depth=1
	v_mad_i64_i32 v[49:50], null, v1, s10, 0
	v_cndmask_b32_e64 v51, 0, 1, s6
	v_mov_b32_e32 v85, 0
	v_mov_b32_e32 v86, 0
	v_cmp_ne_u32_e64 s0, 1, v51
	v_lshlrev_b64 v[49:50], 1, v[49:50]
	v_add_co_u32 v81, vcc_lo, s8, v49
	v_add_co_ci_u32_e64 v82, null, s9, v50, vcc_lo
	s_andn2_b32 vcc_lo, exec_lo, s6
	s_cbranch_vccnz .LBB295_14
; %bb.13:                               ;   in Loop: Header=BB295_12 Depth=1
	v_add_co_u32 v49, vcc_lo, v81, v2
	v_add_co_ci_u32_e64 v50, null, v82, v3, vcc_lo
	global_load_ushort v49, v[49:50], off
	s_waitcnt vmcnt(0)
	v_mul_f16_e32 v86, s18, v49
.LBB295_14:                             ;   in Loop: Header=BB295_12 Depth=1
	s_add_i32 s1, s2, -15
	v_lshrrev_b32_e32 v49, 16, v21
	s_cmp_eq_u32 s1, 1
	v_lshrrev_b32_e32 v50, 16, v25
	s_cselect_b32 vcc_lo, -1, 0
	s_cmp_eq_u32 s1, 2
	v_cndmask_b32_e32 v51, v21, v49, vcc_lo
	s_cselect_b32 vcc_lo, -1, 0
	s_cmp_eq_u32 s1, 3
	v_cndmask_b32_e32 v51, v51, v25, vcc_lo
	;; [unrolled: 3-line block ×3, first 2 shown]
	s_cselect_b32 vcc_lo, -1, 0
	v_lshrrev_b32_e32 v51, 16, v29
	s_cmp_eq_u32 s1, 5
	v_cndmask_b32_e32 v52, v52, v29, vcc_lo
	s_cselect_b32 vcc_lo, -1, 0
	s_cmp_eq_u32 s1, 6
	v_cndmask_b32_e32 v53, v52, v51, vcc_lo
	s_cselect_b32 vcc_lo, -1, 0
	v_lshrrev_b32_e32 v52, 16, v33
	s_cmp_eq_u32 s1, 7
	v_cndmask_b32_e32 v53, v53, v33, vcc_lo
	s_cselect_b32 vcc_lo, -1, 0
	s_cmp_eq_u32 s1, 8
	v_cndmask_b32_e32 v54, v53, v52, vcc_lo
	;; [unrolled: 7-line block ×29, first 2 shown]
	s_cselect_b32 vcc_lo, -1, 0
	s_cmp_eq_u32 s1, 63
	v_lshrrev_b32_e32 v80, 16, v48
	v_cndmask_b32_e32 v87, v83, v48, vcc_lo
	s_cselect_b32 vcc_lo, -1, 0
	s_add_i32 s11, s2, -14
	s_cmp_eq_u32 s11, 1
	v_cndmask_b32_e32 v87, v87, v80, vcc_lo
	s_cselect_b32 s1, -1, 0
	s_cmp_eq_u32 s11, 2
	v_cndmask_b32_e64 v83, v21, v49, s1
	s_cselect_b32 s1, -1, 0
	s_cmp_eq_u32 s11, 3
	v_cndmask_b32_e64 v83, v83, v25, s1
	;; [unrolled: 3-line block ×61, first 2 shown]
	v_mad_i64_i32 v[83:84], null, v1, s4, 0
	s_cselect_b32 s1, -1, 0
	s_cmp_eq_u32 s11, 63
	v_cndmask_b32_e64 v88, v88, v48, s1
	s_cselect_b32 vcc_lo, -1, 0
	v_lshlrev_b64 v[83:84], 1, v[83:84]
	v_cndmask_b32_e32 v88, v88, v80, vcc_lo
	v_add_co_u32 v83, vcc_lo, s5, v83
	v_add_f16_e32 v87, v87, v88
	v_add_co_ci_u32_e64 v84, null, s7, v84, vcc_lo
	v_add_f16_e32 v88, v87, v86
	v_add_co_u32 v86, vcc_lo, v83, v2
	v_add_co_ci_u32_e64 v87, null, v84, v3, vcc_lo
	s_and_b32 vcc_lo, exec_lo, s0
	global_store_short v[86:87], v88, off
	s_cbranch_vccnz .LBB295_16
; %bb.15:                               ;   in Loop: Header=BB295_12 Depth=1
	v_add_co_u32 v85, vcc_lo, v81, v4
	v_add_co_ci_u32_e64 v86, null, v82, v5, vcc_lo
	global_load_ushort v85, v[85:86], off
	s_waitcnt vmcnt(0)
	v_mul_f16_e32 v85, s18, v85
.LBB295_16:                             ;   in Loop: Header=BB295_12 Depth=1
	s_add_i32 s1, s2, -13
	s_cmp_eq_u32 s1, 1
	s_cselect_b32 vcc_lo, -1, 0
	s_cmp_eq_u32 s1, 2
	v_cndmask_b32_e32 v86, v21, v49, vcc_lo
	s_cselect_b32 vcc_lo, -1, 0
	s_cmp_eq_u32 s1, 3
	v_cndmask_b32_e32 v86, v86, v25, vcc_lo
	s_cselect_b32 vcc_lo, -1, 0
	s_cmp_eq_u32 s1, 4
	v_cndmask_b32_e32 v86, v86, v50, vcc_lo
	s_cselect_b32 vcc_lo, -1, 0
	s_cmp_eq_u32 s1, 5
	v_cndmask_b32_e32 v86, v86, v29, vcc_lo
	s_cselect_b32 vcc_lo, -1, 0
	s_cmp_eq_u32 s1, 6
	v_cndmask_b32_e32 v86, v86, v51, vcc_lo
	s_cselect_b32 vcc_lo, -1, 0
	s_cmp_eq_u32 s1, 7
	v_cndmask_b32_e32 v86, v86, v33, vcc_lo
	s_cselect_b32 vcc_lo, -1, 0
	s_cmp_eq_u32 s1, 8
	v_cndmask_b32_e32 v86, v86, v52, vcc_lo
	s_cselect_b32 vcc_lo, -1, 0
	s_cmp_eq_u32 s1, 9
	v_cndmask_b32_e32 v86, v86, v37, vcc_lo
	s_cselect_b32 vcc_lo, -1, 0
	s_cmp_eq_u32 s1, 10
	v_cndmask_b32_e32 v86, v86, v53, vcc_lo
	s_cselect_b32 vcc_lo, -1, 0
	s_cmp_eq_u32 s1, 11
	v_cndmask_b32_e32 v86, v86, v41, vcc_lo
	s_cselect_b32 vcc_lo, -1, 0
	s_cmp_eq_u32 s1, 12
	v_cndmask_b32_e32 v86, v86, v54, vcc_lo
	s_cselect_b32 vcc_lo, -1, 0
	s_cmp_eq_u32 s1, 13
	v_cndmask_b32_e32 v86, v86, v45, vcc_lo
	s_cselect_b32 vcc_lo, -1, 0
	s_cmp_eq_u32 s1, 14
	v_cndmask_b32_e32 v86, v86, v55, vcc_lo
	s_cselect_b32 vcc_lo, -1, 0
	s_cmp_eq_u32 s1, 15
	v_cndmask_b32_e32 v86, v86, v18, vcc_lo
	s_cselect_b32 vcc_lo, -1, 0
	s_cmp_eq_u32 s1, 16
	v_cndmask_b32_e32 v86, v86, v56, vcc_lo
	s_cselect_b32 vcc_lo, -1, 0
	s_cmp_eq_u32 s1, 17
	v_cndmask_b32_e32 v86, v86, v22, vcc_lo
	s_cselect_b32 vcc_lo, -1, 0
	s_cmp_eq_u32 s1, 18
	v_cndmask_b32_e32 v86, v86, v57, vcc_lo
	s_cselect_b32 vcc_lo, -1, 0
	s_cmp_eq_u32 s1, 19
	v_cndmask_b32_e32 v86, v86, v26, vcc_lo
	s_cselect_b32 vcc_lo, -1, 0
	s_cmp_eq_u32 s1, 20
	v_cndmask_b32_e32 v86, v86, v58, vcc_lo
	s_cselect_b32 vcc_lo, -1, 0
	s_cmp_eq_u32 s1, 21
	v_cndmask_b32_e32 v86, v86, v30, vcc_lo
	s_cselect_b32 vcc_lo, -1, 0
	s_cmp_eq_u32 s1, 22
	v_cndmask_b32_e32 v86, v86, v59, vcc_lo
	s_cselect_b32 vcc_lo, -1, 0
	s_cmp_eq_u32 s1, 23
	v_cndmask_b32_e32 v86, v86, v34, vcc_lo
	s_cselect_b32 vcc_lo, -1, 0
	s_cmp_eq_u32 s1, 24
	v_cndmask_b32_e32 v86, v86, v60, vcc_lo
	s_cselect_b32 vcc_lo, -1, 0
	s_cmp_eq_u32 s1, 25
	v_cndmask_b32_e32 v86, v86, v38, vcc_lo
	s_cselect_b32 vcc_lo, -1, 0
	s_cmp_eq_u32 s1, 26
	v_cndmask_b32_e32 v86, v86, v61, vcc_lo
	s_cselect_b32 vcc_lo, -1, 0
	s_cmp_eq_u32 s1, 27
	v_cndmask_b32_e32 v86, v86, v42, vcc_lo
	s_cselect_b32 vcc_lo, -1, 0
	s_cmp_eq_u32 s1, 28
	v_cndmask_b32_e32 v86, v86, v62, vcc_lo
	s_cselect_b32 vcc_lo, -1, 0
	s_cmp_eq_u32 s1, 29
	v_cndmask_b32_e32 v86, v86, v0, vcc_lo
	s_cselect_b32 vcc_lo, -1, 0
	s_cmp_eq_u32 s1, 30
	v_cndmask_b32_e32 v86, v86, v63, vcc_lo
	s_cselect_b32 vcc_lo, -1, 0
	s_cmp_eq_u32 s1, 31
	v_cndmask_b32_e32 v86, v86, v19, vcc_lo
	s_cselect_b32 vcc_lo, -1, 0
	s_cmp_eq_u32 s1, 32
	v_cndmask_b32_e32 v86, v86, v64, vcc_lo
	s_cselect_b32 vcc_lo, -1, 0
	s_cmp_eq_u32 s1, 33
	v_cndmask_b32_e32 v86, v86, v23, vcc_lo
	s_cselect_b32 vcc_lo, -1, 0
	s_cmp_eq_u32 s1, 34
	v_cndmask_b32_e32 v86, v86, v65, vcc_lo
	s_cselect_b32 vcc_lo, -1, 0
	s_cmp_eq_u32 s1, 35
	v_cndmask_b32_e32 v86, v86, v27, vcc_lo
	s_cselect_b32 vcc_lo, -1, 0
	s_cmp_eq_u32 s1, 36
	v_cndmask_b32_e32 v86, v86, v66, vcc_lo
	s_cselect_b32 vcc_lo, -1, 0
	s_cmp_eq_u32 s1, 37
	v_cndmask_b32_e32 v86, v86, v31, vcc_lo
	s_cselect_b32 vcc_lo, -1, 0
	s_cmp_eq_u32 s1, 38
	v_cndmask_b32_e32 v86, v86, v67, vcc_lo
	s_cselect_b32 vcc_lo, -1, 0
	s_cmp_eq_u32 s1, 39
	v_cndmask_b32_e32 v86, v86, v35, vcc_lo
	s_cselect_b32 vcc_lo, -1, 0
	s_cmp_eq_u32 s1, 40
	v_cndmask_b32_e32 v86, v86, v68, vcc_lo
	s_cselect_b32 vcc_lo, -1, 0
	s_cmp_eq_u32 s1, 41
	v_cndmask_b32_e32 v86, v86, v39, vcc_lo
	s_cselect_b32 vcc_lo, -1, 0
	s_cmp_eq_u32 s1, 42
	v_cndmask_b32_e32 v86, v86, v69, vcc_lo
	s_cselect_b32 vcc_lo, -1, 0
	s_cmp_eq_u32 s1, 43
	v_cndmask_b32_e32 v86, v86, v43, vcc_lo
	s_cselect_b32 vcc_lo, -1, 0
	s_cmp_eq_u32 s1, 44
	v_cndmask_b32_e32 v86, v86, v70, vcc_lo
	s_cselect_b32 vcc_lo, -1, 0
	s_cmp_eq_u32 s1, 45
	v_cndmask_b32_e32 v86, v86, v46, vcc_lo
	s_cselect_b32 vcc_lo, -1, 0
	s_cmp_eq_u32 s1, 46
	v_cndmask_b32_e32 v86, v86, v71, vcc_lo
	s_cselect_b32 vcc_lo, -1, 0
	s_cmp_eq_u32 s1, 47
	v_cndmask_b32_e32 v86, v86, v20, vcc_lo
	s_cselect_b32 vcc_lo, -1, 0
	s_cmp_eq_u32 s1, 48
	v_cndmask_b32_e32 v86, v86, v72, vcc_lo
	s_cselect_b32 vcc_lo, -1, 0
	s_cmp_eq_u32 s1, 49
	v_cndmask_b32_e32 v86, v86, v24, vcc_lo
	s_cselect_b32 vcc_lo, -1, 0
	s_cmp_eq_u32 s1, 50
	v_cndmask_b32_e32 v86, v86, v73, vcc_lo
	s_cselect_b32 vcc_lo, -1, 0
	s_cmp_eq_u32 s1, 51
	v_cndmask_b32_e32 v86, v86, v28, vcc_lo
	s_cselect_b32 vcc_lo, -1, 0
	s_cmp_eq_u32 s1, 52
	v_cndmask_b32_e32 v86, v86, v74, vcc_lo
	s_cselect_b32 vcc_lo, -1, 0
	s_cmp_eq_u32 s1, 53
	v_cndmask_b32_e32 v86, v86, v32, vcc_lo
	s_cselect_b32 vcc_lo, -1, 0
	s_cmp_eq_u32 s1, 54
	v_cndmask_b32_e32 v86, v86, v75, vcc_lo
	s_cselect_b32 vcc_lo, -1, 0
	s_cmp_eq_u32 s1, 55
	v_cndmask_b32_e32 v86, v86, v36, vcc_lo
	s_cselect_b32 vcc_lo, -1, 0
	s_cmp_eq_u32 s1, 56
	v_cndmask_b32_e32 v86, v86, v76, vcc_lo
	s_cselect_b32 vcc_lo, -1, 0
	s_cmp_eq_u32 s1, 57
	v_cndmask_b32_e32 v86, v86, v40, vcc_lo
	s_cselect_b32 vcc_lo, -1, 0
	s_cmp_eq_u32 s1, 58
	v_cndmask_b32_e32 v86, v86, v77, vcc_lo
	s_cselect_b32 vcc_lo, -1, 0
	s_cmp_eq_u32 s1, 59
	v_cndmask_b32_e32 v86, v86, v44, vcc_lo
	s_cselect_b32 vcc_lo, -1, 0
	s_cmp_eq_u32 s1, 60
	v_cndmask_b32_e32 v86, v86, v78, vcc_lo
	s_cselect_b32 vcc_lo, -1, 0
	s_cmp_eq_u32 s1, 61
	v_cndmask_b32_e32 v86, v86, v47, vcc_lo
	s_cselect_b32 vcc_lo, -1, 0
	s_cmp_eq_u32 s1, 62
	v_cndmask_b32_e32 v86, v86, v79, vcc_lo
	s_cselect_b32 vcc_lo, -1, 0
	s_cmp_eq_u32 s1, 63
	v_cndmask_b32_e32 v86, v86, v48, vcc_lo
	s_cselect_b32 vcc_lo, -1, 0
	s_add_i32 s11, s2, -12
	s_cmp_eq_u32 s11, 1
	v_cndmask_b32_e32 v86, v86, v80, vcc_lo
	s_cselect_b32 s1, -1, 0
	s_cmp_eq_u32 s11, 2
	v_cndmask_b32_e64 v87, v21, v49, s1
	s_cselect_b32 s1, -1, 0
	s_cmp_eq_u32 s11, 3
	v_cndmask_b32_e64 v87, v87, v25, s1
	;; [unrolled: 3-line block ×61, first 2 shown]
	s_cselect_b32 s1, -1, 0
	s_cmp_eq_u32 s11, 63
	s_cselect_b32 vcc_lo, -1, 0
	v_cndmask_b32_e64 v87, v87, v48, s1
	v_cndmask_b32_e32 v87, v87, v80, vcc_lo
	v_add_f16_e32 v86, v86, v87
	v_add_co_u32 v87, vcc_lo, v83, v4
	v_add_co_ci_u32_e64 v88, null, v84, v5, vcc_lo
	v_add_f16_e32 v89, v86, v85
	v_mov_b32_e32 v85, 0
	v_mov_b32_e32 v86, 0
	s_and_b32 vcc_lo, exec_lo, s0
	global_store_short v[87:88], v89, off
	s_cbranch_vccnz .LBB295_18
; %bb.17:                               ;   in Loop: Header=BB295_12 Depth=1
	v_add_co_u32 v86, vcc_lo, v81, v6
	v_add_co_ci_u32_e64 v87, null, v82, v7, vcc_lo
	global_load_ushort v86, v[86:87], off
	s_waitcnt vmcnt(0)
	v_mul_f16_e32 v86, s18, v86
.LBB295_18:                             ;   in Loop: Header=BB295_12 Depth=1
	s_add_i32 s1, s2, -11
	s_cmp_eq_u32 s1, 1
	s_cselect_b32 vcc_lo, -1, 0
	s_cmp_eq_u32 s1, 2
	v_cndmask_b32_e32 v87, v21, v49, vcc_lo
	s_cselect_b32 vcc_lo, -1, 0
	s_cmp_eq_u32 s1, 3
	v_cndmask_b32_e32 v87, v87, v25, vcc_lo
	;; [unrolled: 3-line block ×62, first 2 shown]
	s_cselect_b32 vcc_lo, -1, 0
	s_add_i32 s11, s2, -10
	s_cmp_eq_u32 s11, 1
	v_cndmask_b32_e32 v87, v87, v80, vcc_lo
	s_cselect_b32 s1, -1, 0
	s_cmp_eq_u32 s11, 2
	v_cndmask_b32_e64 v88, v21, v49, s1
	s_cselect_b32 s1, -1, 0
	s_cmp_eq_u32 s11, 3
	v_cndmask_b32_e64 v88, v88, v25, s1
	;; [unrolled: 3-line block ×61, first 2 shown]
	s_cselect_b32 s1, -1, 0
	s_cmp_eq_u32 s11, 63
	s_cselect_b32 vcc_lo, -1, 0
	v_cndmask_b32_e64 v88, v88, v48, s1
	v_cndmask_b32_e32 v88, v88, v80, vcc_lo
	v_add_f16_e32 v87, v87, v88
	v_add_f16_e32 v88, v87, v86
	v_add_co_u32 v86, vcc_lo, v83, v6
	v_add_co_ci_u32_e64 v87, null, v84, v7, vcc_lo
	s_and_b32 vcc_lo, exec_lo, s0
	global_store_short v[86:87], v88, off
	s_cbranch_vccnz .LBB295_20
; %bb.19:                               ;   in Loop: Header=BB295_12 Depth=1
	v_add_co_u32 v85, vcc_lo, v81, v8
	v_add_co_ci_u32_e64 v86, null, v82, v9, vcc_lo
	global_load_ushort v85, v[85:86], off
	s_waitcnt vmcnt(0)
	v_mul_f16_e32 v85, s18, v85
.LBB295_20:                             ;   in Loop: Header=BB295_12 Depth=1
	s_add_i32 s1, s2, -9
	s_cmp_eq_u32 s1, 1
	s_cselect_b32 vcc_lo, -1, 0
	s_cmp_eq_u32 s1, 2
	v_cndmask_b32_e32 v86, v21, v49, vcc_lo
	s_cselect_b32 vcc_lo, -1, 0
	s_cmp_eq_u32 s1, 3
	v_cndmask_b32_e32 v86, v86, v25, vcc_lo
	;; [unrolled: 3-line block ×62, first 2 shown]
	s_cselect_b32 vcc_lo, -1, 0
	s_add_i32 s11, s2, -8
	s_cmp_eq_u32 s11, 1
	v_cndmask_b32_e32 v86, v86, v80, vcc_lo
	s_cselect_b32 s1, -1, 0
	s_cmp_eq_u32 s11, 2
	v_cndmask_b32_e64 v87, v21, v49, s1
	s_cselect_b32 s1, -1, 0
	s_cmp_eq_u32 s11, 3
	v_cndmask_b32_e64 v87, v87, v25, s1
	;; [unrolled: 3-line block ×61, first 2 shown]
	s_cselect_b32 s1, -1, 0
	s_cmp_eq_u32 s11, 63
	s_cselect_b32 vcc_lo, -1, 0
	v_cndmask_b32_e64 v87, v87, v48, s1
	v_cndmask_b32_e32 v87, v87, v80, vcc_lo
	v_add_f16_e32 v86, v86, v87
	v_add_co_u32 v87, vcc_lo, v83, v8
	v_add_co_ci_u32_e64 v88, null, v84, v9, vcc_lo
	v_add_f16_e32 v89, v86, v85
	v_mov_b32_e32 v85, 0
	v_mov_b32_e32 v86, 0
	s_and_b32 vcc_lo, exec_lo, s0
	global_store_short v[87:88], v89, off
	s_cbranch_vccnz .LBB295_22
; %bb.21:                               ;   in Loop: Header=BB295_12 Depth=1
	v_add_co_u32 v86, vcc_lo, v81, v10
	v_add_co_ci_u32_e64 v87, null, v82, v11, vcc_lo
	global_load_ushort v86, v[86:87], off
	s_waitcnt vmcnt(0)
	v_mul_f16_e32 v86, s18, v86
.LBB295_22:                             ;   in Loop: Header=BB295_12 Depth=1
	s_add_i32 s1, s2, -7
	s_cmp_eq_u32 s1, 1
	s_cselect_b32 vcc_lo, -1, 0
	s_cmp_eq_u32 s1, 2
	v_cndmask_b32_e32 v87, v21, v49, vcc_lo
	s_cselect_b32 vcc_lo, -1, 0
	s_cmp_eq_u32 s1, 3
	v_cndmask_b32_e32 v87, v87, v25, vcc_lo
	;; [unrolled: 3-line block ×62, first 2 shown]
	s_cselect_b32 vcc_lo, -1, 0
	s_add_i32 s11, s2, -6
	s_cmp_eq_u32 s11, 1
	v_cndmask_b32_e32 v87, v87, v80, vcc_lo
	s_cselect_b32 s1, -1, 0
	s_cmp_eq_u32 s11, 2
	v_cndmask_b32_e64 v88, v21, v49, s1
	s_cselect_b32 s1, -1, 0
	s_cmp_eq_u32 s11, 3
	v_cndmask_b32_e64 v88, v88, v25, s1
	;; [unrolled: 3-line block ×61, first 2 shown]
	s_cselect_b32 s1, -1, 0
	s_cmp_eq_u32 s11, 63
	s_cselect_b32 vcc_lo, -1, 0
	v_cndmask_b32_e64 v88, v88, v48, s1
	v_cndmask_b32_e32 v88, v88, v80, vcc_lo
	v_add_f16_e32 v87, v87, v88
	v_add_f16_e32 v88, v87, v86
	v_add_co_u32 v86, vcc_lo, v83, v10
	v_add_co_ci_u32_e64 v87, null, v84, v11, vcc_lo
	s_and_b32 vcc_lo, exec_lo, s0
	global_store_short v[86:87], v88, off
	s_cbranch_vccnz .LBB295_24
; %bb.23:                               ;   in Loop: Header=BB295_12 Depth=1
	v_add_co_u32 v85, vcc_lo, v81, v12
	v_add_co_ci_u32_e64 v86, null, v82, v13, vcc_lo
	global_load_ushort v85, v[85:86], off
	s_waitcnt vmcnt(0)
	v_mul_f16_e32 v85, s18, v85
.LBB295_24:                             ;   in Loop: Header=BB295_12 Depth=1
	s_add_i32 s1, s2, -5
	s_cmp_eq_u32 s1, 1
	s_cselect_b32 vcc_lo, -1, 0
	s_cmp_eq_u32 s1, 2
	v_cndmask_b32_e32 v86, v21, v49, vcc_lo
	s_cselect_b32 vcc_lo, -1, 0
	s_cmp_eq_u32 s1, 3
	v_cndmask_b32_e32 v86, v86, v25, vcc_lo
	;; [unrolled: 3-line block ×62, first 2 shown]
	s_cselect_b32 vcc_lo, -1, 0
	s_add_i32 s11, s2, -4
	s_cmp_eq_u32 s11, 1
	v_cndmask_b32_e32 v86, v86, v80, vcc_lo
	s_cselect_b32 s1, -1, 0
	s_cmp_eq_u32 s11, 2
	v_cndmask_b32_e64 v87, v21, v49, s1
	s_cselect_b32 s1, -1, 0
	s_cmp_eq_u32 s11, 3
	v_cndmask_b32_e64 v87, v87, v25, s1
	;; [unrolled: 3-line block ×61, first 2 shown]
	s_cselect_b32 s1, -1, 0
	s_cmp_eq_u32 s11, 63
	s_cselect_b32 vcc_lo, -1, 0
	v_cndmask_b32_e64 v87, v87, v48, s1
	v_cndmask_b32_e32 v87, v87, v80, vcc_lo
	v_add_f16_e32 v86, v86, v87
	v_add_co_u32 v87, vcc_lo, v83, v12
	v_add_co_ci_u32_e64 v88, null, v84, v13, vcc_lo
	v_add_f16_e32 v89, v86, v85
	v_mov_b32_e32 v85, 0
	v_mov_b32_e32 v86, 0
	s_and_b32 vcc_lo, exec_lo, s0
	global_store_short v[87:88], v89, off
	s_cbranch_vccnz .LBB295_26
; %bb.25:                               ;   in Loop: Header=BB295_12 Depth=1
	v_add_co_u32 v86, vcc_lo, v81, v14
	v_add_co_ci_u32_e64 v87, null, v82, v15, vcc_lo
	global_load_ushort v86, v[86:87], off
	s_waitcnt vmcnt(0)
	v_mul_f16_e32 v86, s18, v86
.LBB295_26:                             ;   in Loop: Header=BB295_12 Depth=1
	s_add_i32 s1, s2, -3
	s_cmp_eq_u32 s1, 1
	s_cselect_b32 vcc_lo, -1, 0
	s_cmp_eq_u32 s1, 2
	v_cndmask_b32_e32 v87, v21, v49, vcc_lo
	s_cselect_b32 vcc_lo, -1, 0
	s_cmp_eq_u32 s1, 3
	v_cndmask_b32_e32 v87, v87, v25, vcc_lo
	;; [unrolled: 3-line block ×62, first 2 shown]
	s_cselect_b32 vcc_lo, -1, 0
	s_add_i32 s11, s2, -2
	s_cmp_eq_u32 s11, 1
	v_cndmask_b32_e32 v87, v87, v80, vcc_lo
	s_cselect_b32 s1, -1, 0
	s_cmp_eq_u32 s11, 2
	v_cndmask_b32_e64 v88, v21, v49, s1
	s_cselect_b32 s1, -1, 0
	s_cmp_eq_u32 s11, 3
	v_cndmask_b32_e64 v88, v88, v25, s1
	;; [unrolled: 3-line block ×61, first 2 shown]
	s_cselect_b32 s1, -1, 0
	s_cmp_eq_u32 s11, 63
	s_cselect_b32 vcc_lo, -1, 0
	v_cndmask_b32_e64 v88, v88, v48, s1
	v_cndmask_b32_e32 v88, v88, v80, vcc_lo
	v_add_f16_e32 v87, v87, v88
	v_add_f16_e32 v88, v87, v86
	v_add_co_u32 v86, vcc_lo, v83, v14
	v_add_co_ci_u32_e64 v87, null, v84, v15, vcc_lo
	s_and_b32 vcc_lo, exec_lo, s0
	global_store_short v[86:87], v88, off
	s_cbranch_vccnz .LBB295_11
; %bb.27:                               ;   in Loop: Header=BB295_12 Depth=1
	v_add_co_u32 v81, vcc_lo, v81, v16
	v_add_co_ci_u32_e64 v82, null, v82, v17, vcc_lo
	global_load_ushort v81, v[81:82], off
	s_waitcnt vmcnt(0)
	v_mul_f16_e32 v85, s18, v81
	s_branch .LBB295_11
.LBB295_28:
	s_endpgm
.LBB295_29:
	s_mov_b64 s[12:13], 0
	s_andn2_b32 vcc_lo, exec_lo, s8
	s_mov_b32 s0, -1
	s_cbranch_vccz .LBB295_2
	s_branch .LBB295_3
	.section	.rodata,"a",@progbits
	.p2align	6, 0x0
	.amdhsa_kernel _ZN12_GLOBAL__N_120geam_min_plus_kernelIDF16_Dv2_DF16_S1_Li8ELi32ELi64ELi128ELi4ELi64ELi4ELi64ELi4ELc78ELc84ELb1ELb0ELb0EDF16_KDF16_DF16_EEviiiT16_PT17_ilS5_ilS3_S5_ilPT18_ili26rocblas_geam_ex_operation_
		.amdhsa_group_segment_fixed_size 3072
		.amdhsa_private_segment_fixed_size 0
		.amdhsa_kernarg_size 128
		.amdhsa_user_sgpr_count 6
		.amdhsa_user_sgpr_private_segment_buffer 1
		.amdhsa_user_sgpr_dispatch_ptr 0
		.amdhsa_user_sgpr_queue_ptr 0
		.amdhsa_user_sgpr_kernarg_segment_ptr 1
		.amdhsa_user_sgpr_dispatch_id 0
		.amdhsa_user_sgpr_flat_scratch_init 0
		.amdhsa_user_sgpr_private_segment_size 0
		.amdhsa_wavefront_size32 1
		.amdhsa_uses_dynamic_stack 0
		.amdhsa_system_sgpr_private_segment_wavefront_offset 0
		.amdhsa_system_sgpr_workgroup_id_x 1
		.amdhsa_system_sgpr_workgroup_id_y 0
		.amdhsa_system_sgpr_workgroup_id_z 1
		.amdhsa_system_sgpr_workgroup_info 0
		.amdhsa_system_vgpr_workitem_id 1
		.amdhsa_next_free_vgpr 124
		.amdhsa_next_free_sgpr 21
		.amdhsa_reserve_vcc 1
		.amdhsa_reserve_flat_scratch 0
		.amdhsa_float_round_mode_32 0
		.amdhsa_float_round_mode_16_64 0
		.amdhsa_float_denorm_mode_32 3
		.amdhsa_float_denorm_mode_16_64 3
		.amdhsa_dx10_clamp 1
		.amdhsa_ieee_mode 1
		.amdhsa_fp16_overflow 0
		.amdhsa_workgroup_processor_mode 1
		.amdhsa_memory_ordered 1
		.amdhsa_forward_progress 1
		.amdhsa_shared_vgpr_count 0
		.amdhsa_exception_fp_ieee_invalid_op 0
		.amdhsa_exception_fp_denorm_src 0
		.amdhsa_exception_fp_ieee_div_zero 0
		.amdhsa_exception_fp_ieee_overflow 0
		.amdhsa_exception_fp_ieee_underflow 0
		.amdhsa_exception_fp_ieee_inexact 0
		.amdhsa_exception_int_div_zero 0
	.end_amdhsa_kernel
	.section	.text._ZN12_GLOBAL__N_120geam_min_plus_kernelIDF16_Dv2_DF16_S1_Li8ELi32ELi64ELi128ELi4ELi64ELi4ELi64ELi4ELc78ELc84ELb1ELb0ELb0EDF16_KDF16_DF16_EEviiiT16_PT17_ilS5_ilS3_S5_ilPT18_ili26rocblas_geam_ex_operation_,"axG",@progbits,_ZN12_GLOBAL__N_120geam_min_plus_kernelIDF16_Dv2_DF16_S1_Li8ELi32ELi64ELi128ELi4ELi64ELi4ELi64ELi4ELc78ELc84ELb1ELb0ELb0EDF16_KDF16_DF16_EEviiiT16_PT17_ilS5_ilS3_S5_ilPT18_ili26rocblas_geam_ex_operation_,comdat
.Lfunc_end295:
	.size	_ZN12_GLOBAL__N_120geam_min_plus_kernelIDF16_Dv2_DF16_S1_Li8ELi32ELi64ELi128ELi4ELi64ELi4ELi64ELi4ELc78ELc84ELb1ELb0ELb0EDF16_KDF16_DF16_EEviiiT16_PT17_ilS5_ilS3_S5_ilPT18_ili26rocblas_geam_ex_operation_, .Lfunc_end295-_ZN12_GLOBAL__N_120geam_min_plus_kernelIDF16_Dv2_DF16_S1_Li8ELi32ELi64ELi128ELi4ELi64ELi4ELi64ELi4ELc78ELc84ELb1ELb0ELb0EDF16_KDF16_DF16_EEviiiT16_PT17_ilS5_ilS3_S5_ilPT18_ili26rocblas_geam_ex_operation_
                                        ; -- End function
	.set _ZN12_GLOBAL__N_120geam_min_plus_kernelIDF16_Dv2_DF16_S1_Li8ELi32ELi64ELi128ELi4ELi64ELi4ELi64ELi4ELc78ELc84ELb1ELb0ELb0EDF16_KDF16_DF16_EEviiiT16_PT17_ilS5_ilS3_S5_ilPT18_ili26rocblas_geam_ex_operation_.num_vgpr, 124
	.set _ZN12_GLOBAL__N_120geam_min_plus_kernelIDF16_Dv2_DF16_S1_Li8ELi32ELi64ELi128ELi4ELi64ELi4ELi64ELi4ELc78ELc84ELb1ELb0ELb0EDF16_KDF16_DF16_EEviiiT16_PT17_ilS5_ilS3_S5_ilPT18_ili26rocblas_geam_ex_operation_.num_agpr, 0
	.set _ZN12_GLOBAL__N_120geam_min_plus_kernelIDF16_Dv2_DF16_S1_Li8ELi32ELi64ELi128ELi4ELi64ELi4ELi64ELi4ELc78ELc84ELb1ELb0ELb0EDF16_KDF16_DF16_EEviiiT16_PT17_ilS5_ilS3_S5_ilPT18_ili26rocblas_geam_ex_operation_.numbered_sgpr, 21
	.set _ZN12_GLOBAL__N_120geam_min_plus_kernelIDF16_Dv2_DF16_S1_Li8ELi32ELi64ELi128ELi4ELi64ELi4ELi64ELi4ELc78ELc84ELb1ELb0ELb0EDF16_KDF16_DF16_EEviiiT16_PT17_ilS5_ilS3_S5_ilPT18_ili26rocblas_geam_ex_operation_.num_named_barrier, 0
	.set _ZN12_GLOBAL__N_120geam_min_plus_kernelIDF16_Dv2_DF16_S1_Li8ELi32ELi64ELi128ELi4ELi64ELi4ELi64ELi4ELc78ELc84ELb1ELb0ELb0EDF16_KDF16_DF16_EEviiiT16_PT17_ilS5_ilS3_S5_ilPT18_ili26rocblas_geam_ex_operation_.private_seg_size, 0
	.set _ZN12_GLOBAL__N_120geam_min_plus_kernelIDF16_Dv2_DF16_S1_Li8ELi32ELi64ELi128ELi4ELi64ELi4ELi64ELi4ELc78ELc84ELb1ELb0ELb0EDF16_KDF16_DF16_EEviiiT16_PT17_ilS5_ilS3_S5_ilPT18_ili26rocblas_geam_ex_operation_.uses_vcc, 1
	.set _ZN12_GLOBAL__N_120geam_min_plus_kernelIDF16_Dv2_DF16_S1_Li8ELi32ELi64ELi128ELi4ELi64ELi4ELi64ELi4ELc78ELc84ELb1ELb0ELb0EDF16_KDF16_DF16_EEviiiT16_PT17_ilS5_ilS3_S5_ilPT18_ili26rocblas_geam_ex_operation_.uses_flat_scratch, 0
	.set _ZN12_GLOBAL__N_120geam_min_plus_kernelIDF16_Dv2_DF16_S1_Li8ELi32ELi64ELi128ELi4ELi64ELi4ELi64ELi4ELc78ELc84ELb1ELb0ELb0EDF16_KDF16_DF16_EEviiiT16_PT17_ilS5_ilS3_S5_ilPT18_ili26rocblas_geam_ex_operation_.has_dyn_sized_stack, 0
	.set _ZN12_GLOBAL__N_120geam_min_plus_kernelIDF16_Dv2_DF16_S1_Li8ELi32ELi64ELi128ELi4ELi64ELi4ELi64ELi4ELc78ELc84ELb1ELb0ELb0EDF16_KDF16_DF16_EEviiiT16_PT17_ilS5_ilS3_S5_ilPT18_ili26rocblas_geam_ex_operation_.has_recursion, 0
	.set _ZN12_GLOBAL__N_120geam_min_plus_kernelIDF16_Dv2_DF16_S1_Li8ELi32ELi64ELi128ELi4ELi64ELi4ELi64ELi4ELc78ELc84ELb1ELb0ELb0EDF16_KDF16_DF16_EEviiiT16_PT17_ilS5_ilS3_S5_ilPT18_ili26rocblas_geam_ex_operation_.has_indirect_call, 0
	.section	.AMDGPU.csdata,"",@progbits
; Kernel info:
; codeLenInByte = 21588
; TotalNumSgprs: 23
; NumVgprs: 124
; ScratchSize: 0
; MemoryBound: 0
; FloatMode: 240
; IeeeMode: 1
; LDSByteSize: 3072 bytes/workgroup (compile time only)
; SGPRBlocks: 0
; VGPRBlocks: 15
; NumSGPRsForWavesPerEU: 23
; NumVGPRsForWavesPerEU: 124
; Occupancy: 8
; WaveLimiterHint : 1
; COMPUTE_PGM_RSRC2:SCRATCH_EN: 0
; COMPUTE_PGM_RSRC2:USER_SGPR: 6
; COMPUTE_PGM_RSRC2:TRAP_HANDLER: 0
; COMPUTE_PGM_RSRC2:TGID_X_EN: 1
; COMPUTE_PGM_RSRC2:TGID_Y_EN: 0
; COMPUTE_PGM_RSRC2:TGID_Z_EN: 1
; COMPUTE_PGM_RSRC2:TIDIG_COMP_CNT: 1
	.section	.text._ZN12_GLOBAL__N_120geam_min_plus_kernelIDF16_Dv2_DF16_S1_Li8ELi32ELi64ELi128ELi4ELi64ELi4ELi64ELi4ELc78ELc84ELb0ELb0ELb0EDF16_KDF16_DF16_EEviiiT16_PT17_ilS5_ilS3_S5_ilPT18_ili26rocblas_geam_ex_operation_,"axG",@progbits,_ZN12_GLOBAL__N_120geam_min_plus_kernelIDF16_Dv2_DF16_S1_Li8ELi32ELi64ELi128ELi4ELi64ELi4ELi64ELi4ELc78ELc84ELb0ELb0ELb0EDF16_KDF16_DF16_EEviiiT16_PT17_ilS5_ilS3_S5_ilPT18_ili26rocblas_geam_ex_operation_,comdat
	.globl	_ZN12_GLOBAL__N_120geam_min_plus_kernelIDF16_Dv2_DF16_S1_Li8ELi32ELi64ELi128ELi4ELi64ELi4ELi64ELi4ELc78ELc84ELb0ELb0ELb0EDF16_KDF16_DF16_EEviiiT16_PT17_ilS5_ilS3_S5_ilPT18_ili26rocblas_geam_ex_operation_ ; -- Begin function _ZN12_GLOBAL__N_120geam_min_plus_kernelIDF16_Dv2_DF16_S1_Li8ELi32ELi64ELi128ELi4ELi64ELi4ELi64ELi4ELc78ELc84ELb0ELb0ELb0EDF16_KDF16_DF16_EEviiiT16_PT17_ilS5_ilS3_S5_ilPT18_ili26rocblas_geam_ex_operation_
	.p2align	8
	.type	_ZN12_GLOBAL__N_120geam_min_plus_kernelIDF16_Dv2_DF16_S1_Li8ELi32ELi64ELi128ELi4ELi64ELi4ELi64ELi4ELc78ELc84ELb0ELb0ELb0EDF16_KDF16_DF16_EEviiiT16_PT17_ilS5_ilS3_S5_ilPT18_ili26rocblas_geam_ex_operation_,@function
_ZN12_GLOBAL__N_120geam_min_plus_kernelIDF16_Dv2_DF16_S1_Li8ELi32ELi64ELi128ELi4ELi64ELi4ELi64ELi4ELc78ELc84ELb0ELb0ELb0EDF16_KDF16_DF16_EEviiiT16_PT17_ilS5_ilS3_S5_ilPT18_ili26rocblas_geam_ex_operation_: ; @_ZN12_GLOBAL__N_120geam_min_plus_kernelIDF16_Dv2_DF16_S1_Li8ELi32ELi64ELi128ELi4ELi64ELi4ELi64ELi4ELc78ELc84ELb0ELb0ELb0EDF16_KDF16_DF16_EEviiiT16_PT17_ilS5_ilS3_S5_ilPT18_ili26rocblas_geam_ex_operation_
; %bb.0:
	s_clause 0x1
	s_load_dwordx2 s[12:13], s[4:5], 0x8
	s_load_dwordx4 s[8:11], s[4:5], 0x20
	s_waitcnt lgkmcnt(0)
	v_cmp_eq_f16_e64 s1, s13, 0
	s_and_b32 s0, exec_lo, s1
	s_mov_b32 vcc_lo, s0
	s_cbranch_vccnz .LBB296_10
; %bb.1:
	s_load_dwordx2 s[2:3], s[4:5], 0x10
	s_mul_i32 s9, s9, s7
	s_mul_hi_u32 s14, s8, s7
	s_mul_i32 s8, s8, s7
	s_add_i32 s9, s14, s9
	s_lshl_b64 s[8:9], s[8:9], 1
	s_waitcnt lgkmcnt(0)
	s_add_u32 s14, s2, s8
	s_addc_u32 s15, s3, s9
	s_andn2_b32 vcc_lo, exec_lo, s1
	s_mov_b32 s1, -1
	s_cbranch_vccnz .LBB296_3
.LBB296_2:
	s_mov_b32 s1, 0
.LBB296_3:
	s_mov_b64 s[2:3], 0
	s_andn2_b32 vcc_lo, exec_lo, s1
	s_mov_b64 s[16:17], 0
	s_cbranch_vccnz .LBB296_5
; %bb.4:
	s_load_dwordx2 s[8:9], s[4:5], 0x38
	s_waitcnt lgkmcnt(0)
	s_mul_i32 s1, s9, s7
	s_mul_hi_u32 s9, s8, s7
	s_mul_i32 s8, s8, s7
	s_add_i32 s9, s9, s1
	s_lshl_b64 s[8:9], s[8:9], 1
	s_add_u32 s16, s10, s8
	s_addc_u32 s17, s11, s9
.LBB296_5:
	s_clause 0x1
	s_load_dword s20, s[4:5], 0x40
	s_load_dwordx4 s[8:11], s[4:5], 0x58
	v_cmp_neq_f16_e64 s24, s13, 0
	s_waitcnt lgkmcnt(0)
	v_cmp_eq_f16_e64 s1, s20, 0
	s_and_b32 vcc_lo, exec_lo, s1
	s_cbranch_vccnz .LBB296_7
; %bb.6:
	s_load_dwordx2 s[2:3], s[4:5], 0x48
	s_mul_i32 s1, s9, s7
	s_mul_hi_u32 s9, s8, s7
	s_mul_i32 s8, s8, s7
	s_add_i32 s9, s9, s1
	s_lshl_b64 s[8:9], s[8:9], 1
	s_waitcnt lgkmcnt(0)
	s_add_u32 s2, s2, s8
	s_addc_u32 s3, s3, s9
.LBB296_7:
	s_clause 0x2
	s_load_dword s1, s[4:5], 0x0
	s_load_dword s8, s[4:5], 0x18
	;; [unrolled: 1-line block ×3, first 2 shown]
	v_lshl_add_u32 v3, v1, 3, v0
	v_cndmask_b32_e64 v5, 0, 1, s24
	v_mov_b32_e32 v10, 0
	v_and_b32_e32 v6, 63, v3
	v_lshrrev_b32_e32 v7, 6, v3
	s_waitcnt lgkmcnt(0)
	s_add_i32 s1, s1, -1
	s_ashr_i32 s9, s1, 31
	s_ashr_i32 s19, s18, 31
	s_lshr_b32 s9, s9, 26
	s_add_i32 s1, s1, s9
	s_ashr_i32 s1, s1, 6
	s_add_i32 s21, s1, 1
	s_not_b32 s1, s1
	v_cvt_f32_u32_e32 v2, s21
	v_rcp_iflag_f32_e32 v2, v2
	v_mul_f32_e32 v2, 0x4f7ffffe, v2
	v_cvt_u32_f32_e32 v2, v2
	v_readfirstlane_b32 s9, v2
	s_mul_i32 s1, s1, s9
	s_mul_hi_u32 s1, s9, s1
	s_add_i32 s9, s9, s1
	s_mul_hi_u32 s1, s6, s9
	s_ashr_i32 s9, s8, 31
	s_mul_i32 s22, s1, s21
	s_add_i32 s23, s1, 1
	s_sub_i32 s22, s6, s22
	s_sub_i32 s25, s22, s21
	s_cmp_ge_u32 s22, s21
	s_cselect_b32 s1, s23, s1
	s_cselect_b32 s22, s25, s22
	s_add_i32 s23, s1, 1
	s_cmp_ge_u32 s22, s21
	s_cselect_b32 s1, s23, s1
	s_andn2_b32 vcc_lo, exec_lo, s24
	s_mul_i32 s23, s1, s21
	s_sub_i32 s21, s6, s23
	s_lshl_b32 s22, s21, 6
	s_lshl_b32 s21, s1, 7
	v_or_b32_e32 v4, s22, v6
	v_or_b32_e32 v2, s21, v6
	v_cmp_ne_u32_e64 s1, 1, v5
	v_ashrrev_i32_e32 v5, 31, v4
	v_ashrrev_i32_e32 v3, 31, v2
	s_cbranch_vccnz .LBB296_11
; %bb.8:
	v_mad_i64_i32 v[8:9], null, s18, v7, 0
	v_mad_i64_i32 v[11:12], null, s8, v7, 0
	v_lshlrev_b64 v[15:16], 1, v[2:3]
	v_lshlrev_b64 v[13:14], 1, v[4:5]
	;; [unrolled: 1-line block ×4, first 2 shown]
	v_add_co_u32 v8, vcc_lo, s16, v8
	v_add_co_ci_u32_e64 v9, null, s17, v9, vcc_lo
	v_add_co_u32 v11, vcc_lo, s14, v11
	v_add_co_ci_u32_e64 v12, null, s15, v12, vcc_lo
	;; [unrolled: 2-line block ×4, first 2 shown]
	global_load_ushort v13, v[8:9], off
	global_load_ushort v11, v[11:12], off
	global_load_ushort v9, v[8:9], off offset:128
	s_waitcnt vmcnt(2)
	v_mul_f16_e32 v8, s13, v13
	s_waitcnt vmcnt(1)
	v_mul_f16_e32 v11, s13, v11
	;; [unrolled: 2-line block ×3, first 2 shown]
	v_pack_b32_f16 v8, v8, 0
	s_and_b32 vcc_lo, exec_lo, s1
	s_cbranch_vccnz .LBB296_12
.LBB296_9:
	v_add_nc_u32_e32 v10, 4, v7
	v_lshlrev_b64 v[2:3], 1, v[2:3]
	v_lshlrev_b64 v[4:5], 1, v[4:5]
	v_mad_i64_i32 v[12:13], null, s18, v10, 0
	v_mad_i64_i32 v[14:15], null, s8, v10, 0
	v_lshlrev_b64 v[12:13], 1, v[12:13]
	v_lshlrev_b64 v[14:15], 1, v[14:15]
	v_add_co_u32 v10, vcc_lo, s16, v12
	v_add_co_ci_u32_e64 v12, null, s17, v13, vcc_lo
	v_add_co_u32 v13, vcc_lo, s14, v14
	v_add_co_ci_u32_e64 v14, null, s15, v15, vcc_lo
	;; [unrolled: 2-line block ×4, first 2 shown]
	global_load_ushort v10, v[2:3], off
	global_load_ushort v4, v[4:5], off
	global_load_ushort v2, v[2:3], off offset:128
	s_waitcnt vmcnt(2)
	v_mul_f16_e32 v3, s13, v10
	s_waitcnt vmcnt(1)
	v_mul_f16_e32 v10, s13, v4
	;; [unrolled: 2-line block ×3, first 2 shown]
	v_pack_b32_f16 v3, v3, 0
	s_branch .LBB296_13
.LBB296_10:
	s_mov_b64 s[14:15], 0
	s_andn2_b32 vcc_lo, exec_lo, s1
	s_mov_b32 s1, -1
	s_cbranch_vccz .LBB296_2
	s_branch .LBB296_3
.LBB296_11:
	v_mov_b32_e32 v8, 0
	v_mov_b32_e32 v11, 0
	;; [unrolled: 1-line block ×3, first 2 shown]
	s_and_b32 vcc_lo, exec_lo, s1
	s_cbranch_vccz .LBB296_9
.LBB296_12:
	v_mov_b32_e32 v3, 0
	v_mov_b32_e32 v4, 0
.LBB296_13:
	v_lshlrev_b32_e32 v2, 3, v6
	v_lshlrev_b32_e32 v35, 3, v0
	;; [unrolled: 1-line block ×3, first 2 shown]
	s_cmp_lt_i32 s12, 9
	v_lshl_add_u32 v36, v7, 1, v2
	v_add_nc_u32_e32 v2, 0x800, v35
	ds_write_b16 v36, v11 offset:2048
	ds_write_b16 v36, v8
	ds_write_b16 v36, v9 offset:512
	s_waitcnt lgkmcnt(0)
	s_barrier
	buffer_gl0_inv
	ds_read2_b64 v[11:14], v34 offset1:32
	ds_read2_b64 v[15:18], v2 offset0:48 offset1:56
	ds_read2_b64 v[19:22], v34 offset0:64 offset1:96
	ds_read2_b64 v[23:26], v2 offset1:8
	ds_read2_b64 v[27:30], v2 offset0:16 offset1:24
	ds_read2_b64 v[53:56], v2 offset0:32 offset1:40
	ds_write_b16 v36, v10 offset:2560
	ds_write_b16 v36, v3 offset:1024
	;; [unrolled: 1-line block ×3, first 2 shown]
	s_waitcnt lgkmcnt(0)
	s_barrier
	buffer_gl0_inv
	v_pk_max_f16 v2, v11, v11
	v_pk_max_f16 v5, v17, v17
	;; [unrolled: 1-line block ×9, first 2 shown]
	v_pk_min_f16 v27, v5, v2
	v_pk_max_f16 v37, v53, v53
	v_pk_max_f16 v12, v12, v12
	;; [unrolled: 1-line block ×5, first 2 shown]
	v_pk_min_f16 v29, v5, v11
	v_pk_min_f16 v31, v17, v2
	;; [unrolled: 1-line block ×15, first 2 shown]
	v_pk_max_f16 v14, v14, v14
	v_pk_min_f16 v52, v25, v13
	v_pk_min_f16 v25, v25, v19
	;; [unrolled: 1-line block ×3, first 2 shown]
	v_pk_max_f16 v20, v20, v20
	v_pk_max_f16 v22, v22, v22
	v_pk_min_f16 v57, v37, v11
	v_pk_min_f16 v58, v37, v13
	v_pk_max_f16 v24, v24, v24
	v_pk_min_f16 v55, v37, v19
	v_pk_min_f16 v59, v38, v2
	v_pk_min_f16 v60, v38, v11
	v_pk_min_f16 v61, v38, v13
	v_pk_min_f16 v62, v38, v19
	v_pk_min_f16 v2, v15, v2
	v_pk_min_f16 v11, v15, v11
	v_pk_min_f16 v37, v5, v13
	v_pk_min_f16 v13, v15, v13
	v_pk_min_f16 v15, v15, v19
	v_pk_min_f16 v5, v5, v19
	v_pk_add_f16 v19, v27, 0
	v_pk_min_f16 v27, v18, v12
	v_pk_max_f16 v26, v26, v26
	v_pk_add_f16 v39, v37, 0
	v_pk_min_f16 v44, v24, v12
	v_pk_min_f16 v46, v24, v14
	v_pk_add_f16 v37, v19, v27
	v_pk_min_f16 v27, v24, v20
	v_pk_add_f16 v17, v17, 0
	v_pk_min_f16 v24, v24, v22
	v_pk_max_f16 v28, v28, v28
	v_pk_min_f16 v43, v18, v20
	v_pk_add_f16 v31, v31, 0
	v_pk_add_f16 v32, v32, 0
	;; [unrolled: 1-line block ×5, first 2 shown]
	v_pk_min_f16 v24, v26, v22
	v_pk_add_f16 v39, v39, v43
	v_pk_add_f16 v43, v31, v44
	;; [unrolled: 1-line block ×6, first 2 shown]
	v_pk_min_f16 v17, v28, v12
	v_pk_add_f16 v21, v48, 0
	v_pk_max_f16 v30, v30, v30
	v_pk_add_f16 v29, v29, 0
	v_pk_min_f16 v38, v18, v14
	v_pk_add_f16 v48, v19, v17
	v_pk_min_f16 v17, v28, v14
	v_pk_min_f16 v31, v26, v12
	;; [unrolled: 1-line block ×4, first 2 shown]
	v_pk_add_f16 v26, v49, 0
	v_pk_add_f16 v49, v21, v17
	v_pk_min_f16 v17, v28, v20
	v_pk_add_f16 v38, v29, v38
	v_pk_add_f16 v29, v40, 0
	;; [unrolled: 1-line block ×4, first 2 shown]
	v_pk_min_f16 v28, v28, v22
	v_pk_add_f16 v50, v26, v17
	v_pk_min_f16 v17, v30, v12
	v_pk_add_f16 v40, v29, v31
	v_pk_add_f16 v29, v51, 0
	;; [unrolled: 1-line block ×4, first 2 shown]
	v_pk_min_f16 v23, v30, v14
	v_pk_add_f16 v52, v27, v17
	v_pk_min_f16 v17, v30, v20
	v_pk_add_f16 v32, v41, 0
	v_pk_add_f16 v25, v25, 0
	;; [unrolled: 1-line block ×4, first 2 shown]
	v_pk_max_f16 v23, v54, v54
	v_pk_add_f16 v54, v24, v17
	v_pk_min_f16 v17, v30, v22
	v_pk_max_f16 v26, v56, v56
	v_pk_add_f16 v42, v42, 0
	v_pk_add_f16 v41, v32, v33
	;; [unrolled: 1-line block ×6, first 2 shown]
	v_pk_min_f16 v24, v23, v12
	v_pk_min_f16 v27, v23, v14
	v_pk_min_f16 v28, v23, v20
	v_pk_min_f16 v23, v23, v22
	v_pk_add_f16 v62, v25, v17
	v_pk_min_f16 v17, v26, v12
	v_pk_max_f16 v16, v16, v16
	v_pk_add_f16 v42, v42, v63
	v_pk_add_f16 v32, v57, 0
	;; [unrolled: 1-line block ×12, first 2 shown]
	v_pk_min_f16 v19, v26, v14
	v_pk_min_f16 v23, v26, v20
	;; [unrolled: 1-line block ×3, first 2 shown]
	v_pk_add_f16 v68, v55, v17
	v_pk_min_f16 v12, v16, v12
	v_pk_min_f16 v14, v16, v14
	;; [unrolled: 1-line block ×5, first 2 shown]
	v_pk_add_f16 v61, v32, v27
	v_pk_add_f16 v69, v57, v19
	;; [unrolled: 1-line block ×9, first 2 shown]
	s_cbranch_scc1 .LBB296_24
; %bb.14:
	v_lshl_or_b32 v5, s6, 6, v6
	s_lshl_b32 s6, s23, 6
	v_perm_b32 v84, v4, v3, 0x5040100
	v_add_nc_u32_e32 v3, s21, v6
	v_add_nc_u32_e32 v11, 12, v7
	v_subrev_nc_u32_e32 v5, s6, v5
	v_perm_b32 v2, v9, v8, 0x5040100
	v_add_nc_u32_e32 v10, 8, v7
	v_ashrrev_i32_e32 v4, 31, v3
	v_mad_i64_i32 v[8:9], null, v11, s8, 0
	v_ashrrev_i32_e32 v6, 31, v5
	v_mad_i64_i32 v[11:12], null, v11, s18, 0
	v_lshlrev_b64 v[3:4], 1, v[3:4]
	v_or_b32_e32 v55, 0x800, v36
	v_lshlrev_b64 v[5:6], 1, v[5:6]
	v_lshlrev_b64 v[26:27], 1, v[8:9]
	v_mad_i64_i32 v[7:8], null, v10, s18, 0
	v_mad_i64_i32 v[9:10], null, v10, s8, 0
	v_add_co_u32 v75, vcc_lo, s14, v5
	v_add_co_ci_u32_e64 v76, null, s15, v6, vcc_lo
	v_add_co_u32 v3, vcc_lo, s16, v3
	v_add_co_ci_u32_e64 v4, null, s17, v4, vcc_lo
	v_lshlrev_b64 v[28:29], 1, v[7:8]
	v_add_co_u32 v77, vcc_lo, 0x80, v3
	v_lshlrev_b64 v[30:31], 1, v[9:10]
	v_lshlrev_b64 v[32:33], 1, v[11:12]
	v_or_b32_e32 v56, 0x800, v35
	v_add_nc_u32_e32 v57, 0xa00, v36
	v_or_b32_e32 v58, 0x400, v36
	v_lshl_add_u32 v73, v0, 3, 0xa00
	v_lshl_add_u32 v74, v1, 3, 0x400
	v_add_co_ci_u32_e64 v78, null, 0, v4, vcc_lo
	s_add_i32 s1, s12, -8
	s_lshl_b64 s[8:9], s[8:9], 4
	s_lshl_b64 s[14:15], s[18:19], 4
	s_mov_b32 s6, 0
	s_branch .LBB296_16
.LBB296_15:                             ;   in Loop: Header=BB296_16 Depth=1
	v_pk_max_f16 v4, v4, v4
	v_pk_max_f16 v22, v22, v22
	;; [unrolled: 1-line block ×7, first 2 shown]
	v_pk_min_f16 v84, v4, v22
	v_pk_min_f16 v85, v4, v24
	v_pk_max_f16 v16, v16, v16
	v_pk_max_f16 v12, v12, v12
	v_pk_min_f16 v93, v10, v22
	v_pk_min_f16 v94, v10, v24
	;; [unrolled: 1-line block ×4, first 2 shown]
	v_pk_max_f16 v23, v23, v23
	v_pk_max_f16 v25, v25, v25
	;; [unrolled: 1-line block ×15, first 2 shown]
	v_pk_min_f16 v86, v4, v18
	v_pk_min_f16 v87, v14, v22
	;; [unrolled: 1-line block ×58, first 2 shown]
	v_pk_add_f16 v3, v37, v84
	v_pk_add_f16 v5, v38, v85
	;; [unrolled: 1-line block ×22, first 2 shown]
	ds_read2_b64 v[3:6], v56 offset0:48 offset1:56
	ds_read2_b64 v[7:10], v34 offset1:32
	v_pk_add_f16 v39, v44, v88
	v_pk_add_f16 v44, v48, v93
	;; [unrolled: 1-line block ×11, first 2 shown]
	ds_read2_b64 v[11:14], v34 offset0:64 offset1:96
	ds_read2_b64 v[15:18], v56 offset1:8
	v_pk_add_f16 v22, v70, v22
	v_pk_add_f16 v24, v71, v24
	;; [unrolled: 1-line block ×5, first 2 shown]
	s_waitcnt lgkmcnt(3)
	v_pk_max_f16 v5, v5, v5
	s_waitcnt lgkmcnt(2)
	v_pk_max_f16 v7, v7, v7
	v_pk_max_f16 v9, v9, v9
	v_pk_add_f16 v23, v22, v23
	v_pk_add_f16 v24, v24, v25
	v_pk_add_f16 v25, v63, v19
	v_pk_add_f16 v64, v64, v21
	v_pk_min_f16 v60, v5, v7
	v_pk_min_f16 v61, v5, v9
	ds_read2_b64 v[19:22], v56 offset0:16 offset1:24
	v_pk_add_f16 v39, v39, v105
	v_pk_add_f16 v43, v43, v106
	;; [unrolled: 1-line block ×3, first 2 shown]
	s_waitcnt lgkmcnt(2)
	v_pk_max_f16 v11, v11, v11
	s_waitcnt lgkmcnt(1)
	v_pk_max_f16 v15, v15, v15
	v_pk_add_f16 v65, v65, v60
	v_pk_add_f16 v66, v66, v61
	;; [unrolled: 1-line block ×3, first 2 shown]
	v_pk_min_f16 v62, v5, v11
	v_pk_min_f16 v60, v15, v9
	;; [unrolled: 1-line block ×3, first 2 shown]
	v_perm_b32 v2, v83, v82, 0x5040100
	v_pk_add_f16 v40, v40, v90
	v_pk_add_f16 v82, v37, v62
	v_pk_add_f16 v85, v39, v60
	v_pk_add_f16 v86, v43, v61
	ds_read2_b64 v[60:63], v56 offset0:32 offset1:40
	v_pk_add_f16 v41, v41, v91
	v_pk_add_f16 v42, v42, v92
	v_pk_min_f16 v37, v15, v7
	v_pk_max_f16 v17, v17, v17
	v_pk_add_f16 v40, v40, v107
	v_pk_add_f16 v41, v41, v108
	;; [unrolled: 1-line block ×3, first 2 shown]
	v_pk_max_f16 v13, v13, v13
	v_pk_add_f16 v83, v38, v37
	v_pk_min_f16 v37, v17, v7
	v_pk_min_f16 v38, v17, v9
	;; [unrolled: 1-line block ×3, first 2 shown]
	s_waitcnt lgkmcnt(1)
	v_pk_max_f16 v19, v19, v19
	v_pk_add_f16 v44, v44, v110
	v_pk_add_f16 v45, v45, v111
	;; [unrolled: 1-line block ×3, first 2 shown]
	v_pk_min_f16 v15, v15, v13
	v_pk_min_f16 v17, v17, v13
	v_pk_add_f16 v40, v40, v37
	v_pk_add_f16 v41, v41, v38
	;; [unrolled: 1-line block ×3, first 2 shown]
	v_pk_min_f16 v37, v19, v7
	v_pk_min_f16 v38, v19, v9
	;; [unrolled: 1-line block ×3, first 2 shown]
	v_pk_max_f16 v21, v21, v21
	v_pk_add_f16 v47, v47, v113
	v_pk_add_f16 v48, v48, v114
	;; [unrolled: 1-line block ×5, first 2 shown]
	v_pk_min_f16 v19, v19, v13
	v_pk_add_f16 v67, v44, v37
	v_pk_add_f16 v68, v45, v38
	v_pk_add_f16 v87, v46, v39
	v_pk_min_f16 v37, v21, v7
	v_pk_min_f16 v38, v21, v9
	s_waitcnt lgkmcnt(0)
	v_pk_max_f16 v39, v60, v60
	v_pk_min_f16 v43, v21, v11
	v_pk_add_f16 v51, v51, v117
	v_pk_add_f16 v52, v52, v118
	;; [unrolled: 1-line block ×5, first 2 shown]
	v_pk_min_f16 v37, v39, v7
	v_pk_add_f16 v88, v49, v43
	v_pk_min_f16 v38, v39, v9
	v_pk_max_f16 v43, v62, v62
	v_pk_add_f16 v53, v53, v119
	v_pk_add_f16 v59, v59, v121
	;; [unrolled: 1-line block ×3, first 2 shown]
	v_pk_min_f16 v37, v39, v11
	v_pk_add_f16 v90, v52, v38
	v_pk_min_f16 v38, v43, v7
	v_pk_max_f16 v3, v3, v3
	v_pk_max_f16 v6, v6, v6
	;; [unrolled: 1-line block ×3, first 2 shown]
	v_pk_min_f16 v21, v21, v13
	v_pk_min_f16 v39, v39, v13
	v_pk_min_f16 v44, v43, v9
	v_pk_add_f16 v91, v53, v37
	v_pk_add_f16 v93, v59, v38
	v_pk_min_f16 v37, v43, v11
	v_pk_min_f16 v38, v43, v13
	v_pk_min_f16 v7, v3, v7
	v_pk_min_f16 v9, v3, v9
	v_pk_min_f16 v11, v3, v11
	v_pk_min_f16 v3, v3, v13
	v_pk_max_f16 v10, v10, v10
	v_pk_min_f16 v5, v5, v13
	v_pk_max_f16 v12, v12, v12
	v_pk_min_f16 v13, v6, v8
	v_pk_add_f16 v54, v54, v120
	v_pk_add_f16 v71, v71, v37
	;; [unrolled: 1-line block ×4, first 2 shown]
	v_pk_min_f16 v23, v6, v10
	v_pk_min_f16 v24, v6, v12
	v_pk_max_f16 v16, v16, v16
	v_pk_add_f16 v37, v65, v13
	v_pk_max_f16 v13, v14, v14
	v_pk_add_f16 v92, v54, v39
	v_pk_add_f16 v72, v72, v38
	;; [unrolled: 1-line block ×4, first 2 shown]
	v_pk_min_f16 v14, v16, v8
	v_pk_min_f16 v23, v16, v10
	;; [unrolled: 1-line block ×4, first 2 shown]
	v_pk_max_f16 v18, v18, v18
	v_pk_add_f16 v43, v83, v14
	v_pk_max_f16 v20, v20, v20
	v_pk_add_f16 v50, v50, v116
	v_pk_add_f16 v47, v15, v16
	v_pk_min_f16 v14, v18, v8
	v_pk_min_f16 v15, v18, v10
	;; [unrolled: 1-line block ×4, first 2 shown]
	v_pk_add_f16 v21, v50, v21
	v_pk_add_f16 v40, v40, v14
	;; [unrolled: 1-line block ×5, first 2 shown]
	v_pk_min_f16 v14, v20, v8
	v_pk_min_f16 v15, v20, v10
	;; [unrolled: 1-line block ×4, first 2 shown]
	v_pk_max_f16 v18, v22, v22
	v_pk_add_f16 v48, v67, v14
	v_pk_add_f16 v49, v68, v15
	;; [unrolled: 1-line block ×4, first 2 shown]
	v_pk_min_f16 v14, v18, v8
	v_pk_min_f16 v15, v18, v10
	;; [unrolled: 1-line block ×4, first 2 shown]
	v_pk_max_f16 v18, v61, v61
	v_pk_add_f16 v52, v60, v14
	v_pk_add_f16 v53, v69, v15
	;; [unrolled: 1-line block ×4, first 2 shown]
	v_pk_min_f16 v14, v18, v8
	v_pk_min_f16 v15, v18, v10
	;; [unrolled: 1-line block ×4, first 2 shown]
	v_pk_max_f16 v18, v63, v63
	v_pk_max_f16 v4, v4, v4
	v_pk_add_f16 v70, v70, v44
	v_pk_add_f16 v11, v25, v11
	;; [unrolled: 1-line block ×8, first 2 shown]
	v_pk_min_f16 v14, v18, v8
	v_pk_min_f16 v15, v18, v10
	;; [unrolled: 1-line block ×9, first 2 shown]
	v_add_co_u32 v75, vcc_lo, v75, s8
	v_add_co_ci_u32_e64 v76, null, s9, v76, vcc_lo
	v_add_co_u32 v77, vcc_lo, v77, s14
	v_pk_add_f16 v44, v85, v23
	v_pk_add_f16 v46, v86, v24
	;; [unrolled: 1-line block ×11, first 2 shown]
	v_perm_b32 v84, v81, v79, 0x5040100
	v_add_co_ci_u32_e64 v78, null, s15, v78, vcc_lo
	s_add_i32 s6, s6, 8
	ds_write_b16 v57, v80
	ds_write_b16 v58, v79
	ds_write_b16 v58, v81 offset:512
	s_cmp_ge_i32 s6, s1
	s_waitcnt lgkmcnt(0)
	s_barrier
	buffer_gl0_inv
	s_cbranch_scc1 .LBB296_24
.LBB296_16:                             ; =>This Inner Loop Header: Depth=1
	s_mov_b32 s12, -1
	s_mov_b32 vcc_lo, s0
                                        ; implicit-def: $vgpr82
	s_cbranch_vccz .LBB296_18
; %bb.17:                               ;   in Loop: Header=BB296_16 Depth=1
	v_and_b32_e32 v82, 0xffff0000, v2
	s_mov_b32 s12, 0
.LBB296_18:                             ;   in Loop: Header=BB296_16 Depth=1
	v_mov_b32_e32 v79, 0
	v_mov_b32_e32 v83, 0
	s_andn2_b32 vcc_lo, exec_lo, s12
	s_cbranch_vccnz .LBB296_20
; %bb.19:                               ;   in Loop: Header=BB296_16 Depth=1
	v_add_co_u32 v3, vcc_lo, v77, v28
	v_add_co_ci_u32_e64 v4, null, v78, v29, vcc_lo
	v_add_co_u32 v5, vcc_lo, v75, v30
	v_add_co_ci_u32_e64 v6, null, v76, v31, vcc_lo
	global_load_ushort v7, v[3:4], off offset:-128
	global_load_ushort v5, v[5:6], off
	global_load_ushort v3, v[3:4], off
	s_waitcnt vmcnt(2)
	v_mul_f16_e32 v4, s13, v7
	s_waitcnt vmcnt(1)
	v_mul_f16_e32 v79, s13, v5
	;; [unrolled: 2-line block ×3, first 2 shown]
	v_bfi_b32 v82, 0xffff, v4, v2
.LBB296_20:                             ;   in Loop: Header=BB296_16 Depth=1
	ds_read2_b64 v[2:5], v73 offset0:48 offset1:56
	ds_read2_b64 v[18:21], v74 offset0:64 offset1:96
	ds_read2_b64 v[22:25], v74 offset1:32
	ds_read2_b64 v[14:17], v73 offset1:8
	ds_read2_b64 v[10:13], v73 offset0:16 offset1:24
	ds_read2_b64 v[6:9], v73 offset0:32 offset1:40
	s_mov_b32 s12, -1
	s_mov_b32 vcc_lo, s0
	ds_write_b16 v55, v79
	ds_write_b16 v36, v82
	ds_write_b16 v36, v83 offset:512
	s_waitcnt lgkmcnt(0)
	s_barrier
	buffer_gl0_inv
                                        ; implicit-def: $vgpr79
	s_cbranch_vccz .LBB296_22
; %bb.21:                               ;   in Loop: Header=BB296_16 Depth=1
	v_and_b32_e32 v79, 0xffff0000, v84
	s_mov_b32 s12, 0
.LBB296_22:                             ;   in Loop: Header=BB296_16 Depth=1
	v_mov_b32_e32 v80, 0
	v_mov_b32_e32 v81, 0
	s_andn2_b32 vcc_lo, exec_lo, s12
	s_cbranch_vccnz .LBB296_15
; %bb.23:                               ;   in Loop: Header=BB296_16 Depth=1
	v_add_co_u32 v79, vcc_lo, v77, v32
	v_add_co_ci_u32_e64 v80, null, v78, v33, vcc_lo
	v_add_co_u32 v85, vcc_lo, v75, v26
	v_add_co_ci_u32_e64 v86, null, v76, v27, vcc_lo
	global_load_ushort v81, v[79:80], off offset:-128
	global_load_ushort v85, v[85:86], off
	global_load_ushort v86, v[79:80], off
	s_waitcnt vmcnt(2)
	v_mul_f16_e32 v79, s13, v81
	s_waitcnt vmcnt(1)
	v_mul_f16_e32 v80, s13, v85
	;; [unrolled: 2-line block ×3, first 2 shown]
	v_bfi_b32 v79, 0xffff, v79, v84
	s_branch .LBB296_15
.LBB296_24:
	v_add_nc_u32_e32 v18, 0x800, v35
	s_load_dwordx2 s[0:1], s[4:5], 0x70
	v_cmp_neq_f16_e64 s6, s20, 0
	ds_read2_b64 v[2:5], v34 offset0:128 offset1:160
	ds_read2_b64 v[6:9], v34 offset0:192 offset1:224
	;; [unrolled: 1-line block ×4, first 2 shown]
	s_clause 0x1
	s_load_dword s8, s[4:5], 0x50
	s_load_dword s9, s[4:5], 0x68
	ds_read2_b64 v[26:29], v18 offset0:80 offset1:88
	v_add_nc_u32_e32 v1, s21, v1
	s_waitcnt lgkmcnt(0)
	v_pk_max_f16 v2, v2, v2
	v_pk_max_f16 v4, v4, v4
	v_pk_max_f16 v12, v12, v12
	v_pk_max_f16 v16, v16, v16
	v_pk_max_f16 v6, v6, v6
	v_pk_max_f16 v8, v8, v8
	v_pk_max_f16 v26, v26, v26
	v_pk_min_f16 v19, v12, v2
	v_pk_max_f16 v14, v14, v14
	v_pk_min_f16 v20, v12, v4
	v_pk_min_f16 v21, v12, v6
	;; [unrolled: 1-line block ×3, first 2 shown]
	v_pk_add_f16 v19, v37, v19
	ds_read2_b64 v[34:37], v18 offset0:96 offset1:104
	v_pk_min_f16 v18, v16, v4
	v_pk_min_f16 v32, v26, v4
	;; [unrolled: 1-line block ×3, first 2 shown]
	v_pk_max_f16 v28, v28, v28
	v_pk_min_f16 v22, v14, v2
	v_pk_add_f16 v31, v41, v18
	v_pk_min_f16 v18, v26, v2
	v_pk_min_f16 v26, v26, v8
	v_pk_add_f16 v20, v38, v20
	v_pk_add_f16 v21, v39, v21
	v_pk_min_f16 v30, v16, v6
	v_pk_add_f16 v25, v40, v25
	v_pk_add_f16 v38, v48, v18
	;; [unrolled: 1-line block ×3, first 2 shown]
	v_pk_min_f16 v18, v28, v2
	v_pk_min_f16 v26, v28, v4
	;; [unrolled: 1-line block ×4, first 2 shown]
	v_pk_add_f16 v22, v43, v22
	s_waitcnt lgkmcnt(0)
	v_pk_max_f16 v34, v34, v34
	v_pk_min_f16 v16, v16, v8
	v_pk_add_f16 v30, v42, v30
	v_pk_add_f16 v42, v53, v26
	;; [unrolled: 1-line block ×3, first 2 shown]
	v_pk_min_f16 v26, v34, v4
	v_pk_max_f16 v28, v36, v36
	v_pk_min_f16 v23, v14, v4
	v_pk_add_f16 v16, v45, v16
	v_pk_add_f16 v41, v52, v18
	v_pk_min_f16 v18, v34, v2
	v_pk_add_f16 v45, v61, v26
	v_pk_min_f16 v26, v28, v2
	v_pk_min_f16 v24, v14, v6
	v_pk_add_f16 v23, v44, v23
	v_pk_add_f16 v44, v63, v18
	v_pk_min_f16 v18, v34, v6
	v_pk_max_f16 v10, v10, v10
	v_pk_add_f16 v48, v68, v26
	v_pk_min_f16 v26, v28, v8
	v_pk_max_f16 v3, v3, v3
	v_pk_max_f16 v13, v13, v13
	;; [unrolled: 1-line block ×4, first 2 shown]
	v_pk_min_f16 v14, v14, v8
	v_pk_add_f16 v24, v46, v24
	v_pk_min_f16 v34, v34, v8
	v_pk_min_f16 v36, v28, v4
	v_pk_add_f16 v46, v59, v18
	v_pk_min_f16 v18, v28, v6
	v_pk_min_f16 v2, v10, v2
	;; [unrolled: 1-line block ×4, first 2 shown]
	v_pk_add_f16 v51, v65, v26
	v_pk_min_f16 v10, v10, v8
	v_pk_min_f16 v8, v12, v8
	;; [unrolled: 1-line block ×5, first 2 shown]
	v_pk_max_f16 v15, v15, v15
	v_pk_max_f16 v9, v9, v9
	v_pk_add_f16 v14, v47, v14
	v_pk_add_f16 v33, v50, v33
	;; [unrolled: 1-line block ×6, first 2 shown]
	v_pk_min_f16 v12, v15, v3
	v_pk_min_f16 v26, v15, v5
	;; [unrolled: 1-line block ×4, first 2 shown]
	v_pk_max_f16 v17, v17, v17
	v_pk_add_f16 v47, v60, v34
	v_pk_add_f16 v21, v22, v12
	;; [unrolled: 1-line block ×5, first 2 shown]
	v_pk_min_f16 v12, v17, v3
	v_pk_min_f16 v14, v17, v5
	;; [unrolled: 1-line block ×4, first 2 shown]
	v_pk_max_f16 v34, v27, v27
	v_pk_add_f16 v32, v49, v32
	v_pk_add_f16 v25, v25, v12
	;; [unrolled: 1-line block ×5, first 2 shown]
	v_pk_min_f16 v12, v34, v3
	v_pk_min_f16 v14, v34, v5
	;; [unrolled: 1-line block ×4, first 2 shown]
	v_pk_max_f16 v17, v29, v29
	v_pk_add_f16 v29, v38, v12
	v_pk_add_f16 v30, v32, v14
	;; [unrolled: 1-line block ×4, first 2 shown]
	v_pk_min_f16 v12, v17, v3
	v_pk_min_f16 v14, v17, v5
	;; [unrolled: 1-line block ×4, first 2 shown]
	v_pk_max_f16 v17, v35, v35
	v_pk_add_f16 v40, v54, v40
	v_pk_add_f16 v49, v69, v36
	;; [unrolled: 1-line block ×5, first 2 shown]
	v_pk_min_f16 v12, v17, v3
	v_pk_min_f16 v14, v17, v5
	v_pk_max_f16 v16, v37, v37
	v_pk_max_f16 v11, v11, v11
	v_pk_add_f16 v2, v70, v2
	v_pk_add_f16 v4, v71, v4
	;; [unrolled: 1-line block ×3, first 2 shown]
	v_pk_min_f16 v15, v17, v7
	v_pk_add_f16 v37, v44, v12
	v_pk_add_f16 v38, v45, v14
	v_pk_min_f16 v12, v16, v3
	v_pk_min_f16 v14, v16, v5
	;; [unrolled: 1-line block ×4, first 2 shown]
	v_pk_add_f16 v6, v72, v6
	v_pk_add_f16 v10, v67, v10
	;; [unrolled: 1-line block ×3, first 2 shown]
	v_pk_min_f16 v17, v17, v9
	v_pk_add_f16 v39, v46, v15
	v_pk_min_f16 v15, v16, v7
	v_pk_add_f16 v41, v48, v12
	;; [unrolled: 2-line block ×3, first 2 shown]
	v_pk_min_f16 v3, v11, v7
	v_add_nc_u32_e32 v2, s22, v0
	v_pk_add_f16 v0, v4, v5
	v_pk_min_f16 v5, v11, v9
	v_pk_min_f16 v7, v13, v9
	v_pk_add_f16 v40, v47, v17
	v_pk_add_f16 v42, v49, v14
	;; [unrolled: 1-line block ×4, first 2 shown]
	v_add_nc_u32_e32 v4, 8, v2
	v_add_nc_u32_e32 v6, 16, v2
	v_pk_add_f16 v47, v10, v5
	v_pk_add_f16 v48, v8, v7
	v_add_nc_u32_e32 v8, 24, v2
	v_add_nc_u32_e32 v10, 32, v2
	;; [unrolled: 1-line block ×5, first 2 shown]
	v_pk_add_f16 v43, v50, v15
	v_ashrrev_i32_e32 v3, 31, v2
	v_ashrrev_i32_e32 v5, 31, v4
	;; [unrolled: 1-line block ×8, first 2 shown]
	s_mul_i32 s1, s1, s7
	s_mul_hi_u32 s4, s0, s7
	s_mul_i32 s0, s0, s7
	s_add_i32 s1, s4, s1
	v_lshlrev_b64 v[2:3], 1, v[2:3]
	v_lshlrev_b64 v[4:5], 1, v[4:5]
	;; [unrolled: 1-line block ×8, first 2 shown]
	s_lshl_b64 s[0:1], s[0:1], 1
	s_mov_b64 s[4:5], 15
	s_add_u32 s7, s10, s0
	s_addc_u32 s10, s11, s1
	s_branch .LBB296_26
.LBB296_25:                             ;   in Loop: Header=BB296_26 Depth=1
	s_add_i32 s0, s4, -1
	v_add_nc_u32_e32 v1, 32, v1
	s_cmp_eq_u32 s0, 1
	s_cselect_b32 vcc_lo, -1, 0
	s_cmp_eq_u32 s0, 2
	v_cndmask_b32_e32 v81, v21, v49, vcc_lo
	s_cselect_b32 vcc_lo, -1, 0
	s_cmp_eq_u32 s0, 3
	v_cndmask_b32_e32 v81, v81, v25, vcc_lo
	s_cselect_b32 vcc_lo, -1, 0
	s_cmp_eq_u32 s0, 4
	v_cndmask_b32_e32 v81, v81, v50, vcc_lo
	s_cselect_b32 vcc_lo, -1, 0
	s_cmp_eq_u32 s0, 5
	v_cndmask_b32_e32 v81, v81, v29, vcc_lo
	s_cselect_b32 vcc_lo, -1, 0
	s_cmp_eq_u32 s0, 6
	v_cndmask_b32_e32 v81, v81, v51, vcc_lo
	s_cselect_b32 vcc_lo, -1, 0
	s_cmp_eq_u32 s0, 7
	v_cndmask_b32_e32 v81, v81, v33, vcc_lo
	s_cselect_b32 vcc_lo, -1, 0
	s_cmp_eq_u32 s0, 8
	v_cndmask_b32_e32 v81, v81, v52, vcc_lo
	s_cselect_b32 vcc_lo, -1, 0
	s_cmp_eq_u32 s0, 9
	v_cndmask_b32_e32 v81, v81, v37, vcc_lo
	s_cselect_b32 vcc_lo, -1, 0
	s_cmp_eq_u32 s0, 10
	v_cndmask_b32_e32 v81, v81, v53, vcc_lo
	s_cselect_b32 vcc_lo, -1, 0
	s_cmp_eq_u32 s0, 11
	v_cndmask_b32_e32 v81, v81, v41, vcc_lo
	s_cselect_b32 vcc_lo, -1, 0
	s_cmp_eq_u32 s0, 12
	v_cndmask_b32_e32 v81, v81, v54, vcc_lo
	s_cselect_b32 vcc_lo, -1, 0
	s_cmp_eq_u32 s0, 13
	v_cndmask_b32_e32 v81, v81, v45, vcc_lo
	s_cselect_b32 vcc_lo, -1, 0
	s_cmp_eq_u32 s0, 14
	v_cndmask_b32_e32 v81, v81, v55, vcc_lo
	s_cselect_b32 vcc_lo, -1, 0
	s_cmp_eq_u32 s0, 15
	v_cndmask_b32_e32 v81, v81, v18, vcc_lo
	s_cselect_b32 vcc_lo, -1, 0
	s_cmp_eq_u32 s0, 16
	v_cndmask_b32_e32 v81, v81, v56, vcc_lo
	s_cselect_b32 vcc_lo, -1, 0
	s_cmp_eq_u32 s0, 17
	v_cndmask_b32_e32 v81, v81, v22, vcc_lo
	s_cselect_b32 vcc_lo, -1, 0
	s_cmp_eq_u32 s0, 18
	v_cndmask_b32_e32 v81, v81, v57, vcc_lo
	s_cselect_b32 vcc_lo, -1, 0
	s_cmp_eq_u32 s0, 19
	v_cndmask_b32_e32 v81, v81, v26, vcc_lo
	s_cselect_b32 vcc_lo, -1, 0
	s_cmp_eq_u32 s0, 20
	v_cndmask_b32_e32 v81, v81, v58, vcc_lo
	s_cselect_b32 vcc_lo, -1, 0
	s_cmp_eq_u32 s0, 21
	v_cndmask_b32_e32 v81, v81, v30, vcc_lo
	s_cselect_b32 vcc_lo, -1, 0
	s_cmp_eq_u32 s0, 22
	v_cndmask_b32_e32 v81, v81, v59, vcc_lo
	s_cselect_b32 vcc_lo, -1, 0
	s_cmp_eq_u32 s0, 23
	v_cndmask_b32_e32 v81, v81, v34, vcc_lo
	s_cselect_b32 vcc_lo, -1, 0
	s_cmp_eq_u32 s0, 24
	v_cndmask_b32_e32 v81, v81, v60, vcc_lo
	s_cselect_b32 vcc_lo, -1, 0
	s_cmp_eq_u32 s0, 25
	v_cndmask_b32_e32 v81, v81, v38, vcc_lo
	s_cselect_b32 vcc_lo, -1, 0
	s_cmp_eq_u32 s0, 26
	v_cndmask_b32_e32 v81, v81, v61, vcc_lo
	s_cselect_b32 vcc_lo, -1, 0
	s_cmp_eq_u32 s0, 27
	v_cndmask_b32_e32 v81, v81, v42, vcc_lo
	s_cselect_b32 vcc_lo, -1, 0
	s_cmp_eq_u32 s0, 28
	v_cndmask_b32_e32 v81, v81, v62, vcc_lo
	s_cselect_b32 vcc_lo, -1, 0
	s_cmp_eq_u32 s0, 29
	v_cndmask_b32_e32 v81, v81, v0, vcc_lo
	s_cselect_b32 vcc_lo, -1, 0
	s_cmp_eq_u32 s0, 30
	v_cndmask_b32_e32 v81, v81, v63, vcc_lo
	s_cselect_b32 vcc_lo, -1, 0
	s_cmp_eq_u32 s0, 31
	v_cndmask_b32_e32 v81, v81, v19, vcc_lo
	s_cselect_b32 vcc_lo, -1, 0
	s_cmp_eq_u32 s0, 32
	v_cndmask_b32_e32 v81, v81, v64, vcc_lo
	s_cselect_b32 vcc_lo, -1, 0
	s_cmp_eq_u32 s0, 33
	v_cndmask_b32_e32 v81, v81, v23, vcc_lo
	s_cselect_b32 vcc_lo, -1, 0
	s_cmp_eq_u32 s0, 34
	v_cndmask_b32_e32 v81, v81, v65, vcc_lo
	s_cselect_b32 vcc_lo, -1, 0
	s_cmp_eq_u32 s0, 35
	v_cndmask_b32_e32 v81, v81, v27, vcc_lo
	s_cselect_b32 vcc_lo, -1, 0
	s_cmp_eq_u32 s0, 36
	v_cndmask_b32_e32 v81, v81, v66, vcc_lo
	s_cselect_b32 vcc_lo, -1, 0
	s_cmp_eq_u32 s0, 37
	v_cndmask_b32_e32 v81, v81, v31, vcc_lo
	s_cselect_b32 vcc_lo, -1, 0
	s_cmp_eq_u32 s0, 38
	v_cndmask_b32_e32 v81, v81, v67, vcc_lo
	s_cselect_b32 vcc_lo, -1, 0
	s_cmp_eq_u32 s0, 39
	v_cndmask_b32_e32 v81, v81, v35, vcc_lo
	s_cselect_b32 vcc_lo, -1, 0
	s_cmp_eq_u32 s0, 40
	v_cndmask_b32_e32 v81, v81, v68, vcc_lo
	s_cselect_b32 vcc_lo, -1, 0
	s_cmp_eq_u32 s0, 41
	v_cndmask_b32_e32 v81, v81, v39, vcc_lo
	s_cselect_b32 vcc_lo, -1, 0
	s_cmp_eq_u32 s0, 42
	v_cndmask_b32_e32 v81, v81, v69, vcc_lo
	s_cselect_b32 vcc_lo, -1, 0
	s_cmp_eq_u32 s0, 43
	v_cndmask_b32_e32 v81, v81, v43, vcc_lo
	s_cselect_b32 vcc_lo, -1, 0
	s_cmp_eq_u32 s0, 44
	v_cndmask_b32_e32 v81, v81, v70, vcc_lo
	s_cselect_b32 vcc_lo, -1, 0
	s_cmp_eq_u32 s0, 45
	v_cndmask_b32_e32 v81, v81, v46, vcc_lo
	s_cselect_b32 vcc_lo, -1, 0
	s_cmp_eq_u32 s0, 46
	v_cndmask_b32_e32 v81, v81, v71, vcc_lo
	s_cselect_b32 vcc_lo, -1, 0
	s_cmp_eq_u32 s0, 47
	v_cndmask_b32_e32 v81, v81, v20, vcc_lo
	s_cselect_b32 vcc_lo, -1, 0
	s_cmp_eq_u32 s0, 48
	v_cndmask_b32_e32 v81, v81, v72, vcc_lo
	s_cselect_b32 vcc_lo, -1, 0
	s_cmp_eq_u32 s0, 49
	v_cndmask_b32_e32 v81, v81, v24, vcc_lo
	s_cselect_b32 vcc_lo, -1, 0
	s_cmp_eq_u32 s0, 50
	v_cndmask_b32_e32 v81, v81, v73, vcc_lo
	s_cselect_b32 vcc_lo, -1, 0
	s_cmp_eq_u32 s0, 51
	v_cndmask_b32_e32 v81, v81, v28, vcc_lo
	s_cselect_b32 vcc_lo, -1, 0
	s_cmp_eq_u32 s0, 52
	v_cndmask_b32_e32 v81, v81, v74, vcc_lo
	s_cselect_b32 vcc_lo, -1, 0
	s_cmp_eq_u32 s0, 53
	v_cndmask_b32_e32 v81, v81, v32, vcc_lo
	s_cselect_b32 vcc_lo, -1, 0
	s_cmp_eq_u32 s0, 54
	v_cndmask_b32_e32 v81, v81, v75, vcc_lo
	s_cselect_b32 vcc_lo, -1, 0
	s_cmp_eq_u32 s0, 55
	v_cndmask_b32_e32 v81, v81, v36, vcc_lo
	s_cselect_b32 vcc_lo, -1, 0
	s_cmp_eq_u32 s0, 56
	v_cndmask_b32_e32 v81, v81, v76, vcc_lo
	s_cselect_b32 vcc_lo, -1, 0
	s_cmp_eq_u32 s0, 57
	v_cndmask_b32_e32 v81, v81, v40, vcc_lo
	s_cselect_b32 vcc_lo, -1, 0
	s_cmp_eq_u32 s0, 58
	v_cndmask_b32_e32 v81, v81, v77, vcc_lo
	s_cselect_b32 vcc_lo, -1, 0
	s_cmp_eq_u32 s0, 59
	v_cndmask_b32_e32 v81, v81, v44, vcc_lo
	s_cselect_b32 vcc_lo, -1, 0
	s_cmp_eq_u32 s0, 60
	v_cndmask_b32_e32 v81, v81, v78, vcc_lo
	s_cselect_b32 vcc_lo, -1, 0
	s_cmp_eq_u32 s0, 61
	v_cndmask_b32_e32 v81, v81, v47, vcc_lo
	s_cselect_b32 vcc_lo, -1, 0
	s_cmp_eq_u32 s0, 62
	v_cndmask_b32_e32 v81, v81, v79, vcc_lo
	s_cselect_b32 vcc_lo, -1, 0
	s_cmp_eq_u32 s0, 63
	v_cndmask_b32_e32 v81, v81, v48, vcc_lo
	s_cselect_b32 vcc_lo, -1, 0
	s_cmp_eq_u32 s4, 1
	s_cselect_b32 s0, -1, 0
	s_cmp_eq_u32 s4, 2
	v_cndmask_b32_e64 v49, v21, v49, s0
	s_cselect_b32 s0, -1, 0
	s_cmp_eq_u32 s4, 3
	v_cndmask_b32_e64 v49, v49, v25, s0
	;; [unrolled: 3-line block ×3, first 2 shown]
	s_cselect_b32 s0, -1, 0
	s_cmp_eq_u32 s4, 5
	v_cndmask_b32_e32 v50, v81, v80, vcc_lo
	v_cndmask_b32_e64 v49, v49, v29, s0
	s_cselect_b32 s0, -1, 0
	s_cmp_eq_u32 s4, 6
	v_cndmask_b32_e64 v49, v49, v51, s0
	s_cselect_b32 s0, -1, 0
	s_cmp_eq_u32 s4, 7
	;; [unrolled: 3-line block ×58, first 2 shown]
	s_cselect_b32 vcc_lo, -1, 0
	v_cndmask_b32_e64 v49, v49, v48, s0
	s_add_u32 s4, s4, 16
	s_addc_u32 s5, s5, 0
	s_cmpk_lg_i32 s4, 0x4f
	v_cndmask_b32_e32 v49, v49, v80, vcc_lo
	v_add_f16_e32 v51, v50, v49
	v_add_co_u32 v49, vcc_lo, v83, v16
	v_add_co_ci_u32_e64 v50, null, v84, v17, vcc_lo
	v_add_f16_e32 v51, v51, v85
	global_store_short v[49:50], v51, off
	s_cbranch_scc0 .LBB296_42
.LBB296_26:                             ; =>This Inner Loop Header: Depth=1
	v_mad_i64_i32 v[49:50], null, v1, s8, 0
	v_cndmask_b32_e64 v51, 0, 1, s6
	v_mov_b32_e32 v85, 0
	v_mov_b32_e32 v86, 0
	v_cmp_ne_u32_e64 s0, 1, v51
	v_lshlrev_b64 v[49:50], 1, v[49:50]
	v_add_co_u32 v81, vcc_lo, s2, v49
	v_add_co_ci_u32_e64 v82, null, s3, v50, vcc_lo
	s_andn2_b32 vcc_lo, exec_lo, s6
	s_cbranch_vccnz .LBB296_28
; %bb.27:                               ;   in Loop: Header=BB296_26 Depth=1
	v_add_co_u32 v49, vcc_lo, v81, v2
	v_add_co_ci_u32_e64 v50, null, v82, v3, vcc_lo
	global_load_ushort v49, v[49:50], off
	s_waitcnt vmcnt(0)
	v_mul_f16_e32 v86, s20, v49
.LBB296_28:                             ;   in Loop: Header=BB296_26 Depth=1
	s_add_i32 s1, s4, -15
	v_lshrrev_b32_e32 v49, 16, v21
	s_cmp_eq_u32 s1, 1
	v_lshrrev_b32_e32 v50, 16, v25
	s_cselect_b32 vcc_lo, -1, 0
	s_cmp_eq_u32 s1, 2
	v_cndmask_b32_e32 v51, v21, v49, vcc_lo
	s_cselect_b32 vcc_lo, -1, 0
	s_cmp_eq_u32 s1, 3
	v_cndmask_b32_e32 v51, v51, v25, vcc_lo
	;; [unrolled: 3-line block ×3, first 2 shown]
	s_cselect_b32 vcc_lo, -1, 0
	v_lshrrev_b32_e32 v51, 16, v29
	s_cmp_eq_u32 s1, 5
	v_cndmask_b32_e32 v52, v52, v29, vcc_lo
	s_cselect_b32 vcc_lo, -1, 0
	s_cmp_eq_u32 s1, 6
	v_cndmask_b32_e32 v53, v52, v51, vcc_lo
	s_cselect_b32 vcc_lo, -1, 0
	v_lshrrev_b32_e32 v52, 16, v33
	s_cmp_eq_u32 s1, 7
	v_cndmask_b32_e32 v53, v53, v33, vcc_lo
	s_cselect_b32 vcc_lo, -1, 0
	s_cmp_eq_u32 s1, 8
	v_cndmask_b32_e32 v54, v53, v52, vcc_lo
	;; [unrolled: 7-line block ×29, first 2 shown]
	s_cselect_b32 vcc_lo, -1, 0
	s_cmp_eq_u32 s1, 63
	v_lshrrev_b32_e32 v80, 16, v48
	v_cndmask_b32_e32 v87, v83, v48, vcc_lo
	s_cselect_b32 vcc_lo, -1, 0
	s_add_i32 s11, s4, -14
	s_cmp_eq_u32 s11, 1
	v_cndmask_b32_e32 v87, v87, v80, vcc_lo
	s_cselect_b32 s1, -1, 0
	s_cmp_eq_u32 s11, 2
	v_cndmask_b32_e64 v83, v21, v49, s1
	s_cselect_b32 s1, -1, 0
	s_cmp_eq_u32 s11, 3
	v_cndmask_b32_e64 v83, v83, v25, s1
	;; [unrolled: 3-line block ×61, first 2 shown]
	v_mad_i64_i32 v[83:84], null, v1, s9, 0
	s_cselect_b32 s1, -1, 0
	s_cmp_eq_u32 s11, 63
	v_cndmask_b32_e64 v88, v88, v48, s1
	s_cselect_b32 vcc_lo, -1, 0
	v_lshlrev_b64 v[83:84], 1, v[83:84]
	v_cndmask_b32_e32 v88, v88, v80, vcc_lo
	v_add_co_u32 v83, vcc_lo, s7, v83
	v_add_f16_e32 v87, v87, v88
	v_add_co_ci_u32_e64 v84, null, s10, v84, vcc_lo
	v_add_f16_e32 v88, v87, v86
	v_add_co_u32 v86, vcc_lo, v83, v2
	v_add_co_ci_u32_e64 v87, null, v84, v3, vcc_lo
	s_and_b32 vcc_lo, exec_lo, s0
	global_store_short v[86:87], v88, off
	s_cbranch_vccnz .LBB296_30
; %bb.29:                               ;   in Loop: Header=BB296_26 Depth=1
	v_add_co_u32 v85, vcc_lo, v81, v4
	v_add_co_ci_u32_e64 v86, null, v82, v5, vcc_lo
	global_load_ushort v85, v[85:86], off
	s_waitcnt vmcnt(0)
	v_mul_f16_e32 v85, s20, v85
.LBB296_30:                             ;   in Loop: Header=BB296_26 Depth=1
	s_add_i32 s1, s4, -13
	s_cmp_eq_u32 s1, 1
	s_cselect_b32 vcc_lo, -1, 0
	s_cmp_eq_u32 s1, 2
	v_cndmask_b32_e32 v86, v21, v49, vcc_lo
	s_cselect_b32 vcc_lo, -1, 0
	s_cmp_eq_u32 s1, 3
	v_cndmask_b32_e32 v86, v86, v25, vcc_lo
	;; [unrolled: 3-line block ×62, first 2 shown]
	s_cselect_b32 vcc_lo, -1, 0
	s_add_i32 s11, s4, -12
	s_cmp_eq_u32 s11, 1
	v_cndmask_b32_e32 v86, v86, v80, vcc_lo
	s_cselect_b32 s1, -1, 0
	s_cmp_eq_u32 s11, 2
	v_cndmask_b32_e64 v87, v21, v49, s1
	s_cselect_b32 s1, -1, 0
	s_cmp_eq_u32 s11, 3
	v_cndmask_b32_e64 v87, v87, v25, s1
	;; [unrolled: 3-line block ×61, first 2 shown]
	s_cselect_b32 s1, -1, 0
	s_cmp_eq_u32 s11, 63
	s_cselect_b32 vcc_lo, -1, 0
	v_cndmask_b32_e64 v87, v87, v48, s1
	v_cndmask_b32_e32 v87, v87, v80, vcc_lo
	v_add_f16_e32 v86, v86, v87
	v_add_co_u32 v87, vcc_lo, v83, v4
	v_add_co_ci_u32_e64 v88, null, v84, v5, vcc_lo
	v_add_f16_e32 v89, v86, v85
	v_mov_b32_e32 v85, 0
	v_mov_b32_e32 v86, 0
	s_and_b32 vcc_lo, exec_lo, s0
	global_store_short v[87:88], v89, off
	s_cbranch_vccnz .LBB296_32
; %bb.31:                               ;   in Loop: Header=BB296_26 Depth=1
	v_add_co_u32 v86, vcc_lo, v81, v6
	v_add_co_ci_u32_e64 v87, null, v82, v7, vcc_lo
	global_load_ushort v86, v[86:87], off
	s_waitcnt vmcnt(0)
	v_mul_f16_e32 v86, s20, v86
.LBB296_32:                             ;   in Loop: Header=BB296_26 Depth=1
	s_add_i32 s1, s4, -11
	s_cmp_eq_u32 s1, 1
	s_cselect_b32 vcc_lo, -1, 0
	s_cmp_eq_u32 s1, 2
	v_cndmask_b32_e32 v87, v21, v49, vcc_lo
	s_cselect_b32 vcc_lo, -1, 0
	s_cmp_eq_u32 s1, 3
	v_cndmask_b32_e32 v87, v87, v25, vcc_lo
	;; [unrolled: 3-line block ×62, first 2 shown]
	s_cselect_b32 vcc_lo, -1, 0
	s_add_i32 s11, s4, -10
	s_cmp_eq_u32 s11, 1
	v_cndmask_b32_e32 v87, v87, v80, vcc_lo
	s_cselect_b32 s1, -1, 0
	s_cmp_eq_u32 s11, 2
	v_cndmask_b32_e64 v88, v21, v49, s1
	s_cselect_b32 s1, -1, 0
	s_cmp_eq_u32 s11, 3
	v_cndmask_b32_e64 v88, v88, v25, s1
	;; [unrolled: 3-line block ×61, first 2 shown]
	s_cselect_b32 s1, -1, 0
	s_cmp_eq_u32 s11, 63
	s_cselect_b32 vcc_lo, -1, 0
	v_cndmask_b32_e64 v88, v88, v48, s1
	v_cndmask_b32_e32 v88, v88, v80, vcc_lo
	v_add_f16_e32 v87, v87, v88
	v_add_f16_e32 v88, v87, v86
	v_add_co_u32 v86, vcc_lo, v83, v6
	v_add_co_ci_u32_e64 v87, null, v84, v7, vcc_lo
	s_and_b32 vcc_lo, exec_lo, s0
	global_store_short v[86:87], v88, off
	s_cbranch_vccnz .LBB296_34
; %bb.33:                               ;   in Loop: Header=BB296_26 Depth=1
	v_add_co_u32 v85, vcc_lo, v81, v8
	v_add_co_ci_u32_e64 v86, null, v82, v9, vcc_lo
	global_load_ushort v85, v[85:86], off
	s_waitcnt vmcnt(0)
	v_mul_f16_e32 v85, s20, v85
.LBB296_34:                             ;   in Loop: Header=BB296_26 Depth=1
	s_add_i32 s1, s4, -9
	s_cmp_eq_u32 s1, 1
	s_cselect_b32 vcc_lo, -1, 0
	s_cmp_eq_u32 s1, 2
	v_cndmask_b32_e32 v86, v21, v49, vcc_lo
	s_cselect_b32 vcc_lo, -1, 0
	s_cmp_eq_u32 s1, 3
	v_cndmask_b32_e32 v86, v86, v25, vcc_lo
	;; [unrolled: 3-line block ×62, first 2 shown]
	s_cselect_b32 vcc_lo, -1, 0
	s_add_i32 s11, s4, -8
	s_cmp_eq_u32 s11, 1
	v_cndmask_b32_e32 v86, v86, v80, vcc_lo
	s_cselect_b32 s1, -1, 0
	s_cmp_eq_u32 s11, 2
	v_cndmask_b32_e64 v87, v21, v49, s1
	s_cselect_b32 s1, -1, 0
	s_cmp_eq_u32 s11, 3
	v_cndmask_b32_e64 v87, v87, v25, s1
	;; [unrolled: 3-line block ×61, first 2 shown]
	s_cselect_b32 s1, -1, 0
	s_cmp_eq_u32 s11, 63
	s_cselect_b32 vcc_lo, -1, 0
	v_cndmask_b32_e64 v87, v87, v48, s1
	v_cndmask_b32_e32 v87, v87, v80, vcc_lo
	v_add_f16_e32 v86, v86, v87
	v_add_co_u32 v87, vcc_lo, v83, v8
	v_add_co_ci_u32_e64 v88, null, v84, v9, vcc_lo
	v_add_f16_e32 v89, v86, v85
	v_mov_b32_e32 v85, 0
	v_mov_b32_e32 v86, 0
	s_and_b32 vcc_lo, exec_lo, s0
	global_store_short v[87:88], v89, off
	s_cbranch_vccnz .LBB296_36
; %bb.35:                               ;   in Loop: Header=BB296_26 Depth=1
	v_add_co_u32 v86, vcc_lo, v81, v10
	v_add_co_ci_u32_e64 v87, null, v82, v11, vcc_lo
	global_load_ushort v86, v[86:87], off
	s_waitcnt vmcnt(0)
	v_mul_f16_e32 v86, s20, v86
.LBB296_36:                             ;   in Loop: Header=BB296_26 Depth=1
	s_add_i32 s1, s4, -7
	s_cmp_eq_u32 s1, 1
	s_cselect_b32 vcc_lo, -1, 0
	s_cmp_eq_u32 s1, 2
	v_cndmask_b32_e32 v87, v21, v49, vcc_lo
	s_cselect_b32 vcc_lo, -1, 0
	s_cmp_eq_u32 s1, 3
	v_cndmask_b32_e32 v87, v87, v25, vcc_lo
	;; [unrolled: 3-line block ×62, first 2 shown]
	s_cselect_b32 vcc_lo, -1, 0
	s_add_i32 s11, s4, -6
	s_cmp_eq_u32 s11, 1
	v_cndmask_b32_e32 v87, v87, v80, vcc_lo
	s_cselect_b32 s1, -1, 0
	s_cmp_eq_u32 s11, 2
	v_cndmask_b32_e64 v88, v21, v49, s1
	s_cselect_b32 s1, -1, 0
	s_cmp_eq_u32 s11, 3
	v_cndmask_b32_e64 v88, v88, v25, s1
	;; [unrolled: 3-line block ×61, first 2 shown]
	s_cselect_b32 s1, -1, 0
	s_cmp_eq_u32 s11, 63
	s_cselect_b32 vcc_lo, -1, 0
	v_cndmask_b32_e64 v88, v88, v48, s1
	v_cndmask_b32_e32 v88, v88, v80, vcc_lo
	v_add_f16_e32 v87, v87, v88
	v_add_f16_e32 v88, v87, v86
	v_add_co_u32 v86, vcc_lo, v83, v10
	v_add_co_ci_u32_e64 v87, null, v84, v11, vcc_lo
	s_and_b32 vcc_lo, exec_lo, s0
	global_store_short v[86:87], v88, off
	s_cbranch_vccnz .LBB296_38
; %bb.37:                               ;   in Loop: Header=BB296_26 Depth=1
	v_add_co_u32 v85, vcc_lo, v81, v12
	v_add_co_ci_u32_e64 v86, null, v82, v13, vcc_lo
	global_load_ushort v85, v[85:86], off
	s_waitcnt vmcnt(0)
	v_mul_f16_e32 v85, s20, v85
.LBB296_38:                             ;   in Loop: Header=BB296_26 Depth=1
	s_add_i32 s1, s4, -5
	s_cmp_eq_u32 s1, 1
	s_cselect_b32 vcc_lo, -1, 0
	s_cmp_eq_u32 s1, 2
	v_cndmask_b32_e32 v86, v21, v49, vcc_lo
	s_cselect_b32 vcc_lo, -1, 0
	s_cmp_eq_u32 s1, 3
	v_cndmask_b32_e32 v86, v86, v25, vcc_lo
	;; [unrolled: 3-line block ×62, first 2 shown]
	s_cselect_b32 vcc_lo, -1, 0
	s_add_i32 s11, s4, -4
	s_cmp_eq_u32 s11, 1
	v_cndmask_b32_e32 v86, v86, v80, vcc_lo
	s_cselect_b32 s1, -1, 0
	s_cmp_eq_u32 s11, 2
	v_cndmask_b32_e64 v87, v21, v49, s1
	s_cselect_b32 s1, -1, 0
	s_cmp_eq_u32 s11, 3
	v_cndmask_b32_e64 v87, v87, v25, s1
	;; [unrolled: 3-line block ×61, first 2 shown]
	s_cselect_b32 s1, -1, 0
	s_cmp_eq_u32 s11, 63
	s_cselect_b32 vcc_lo, -1, 0
	v_cndmask_b32_e64 v87, v87, v48, s1
	v_cndmask_b32_e32 v87, v87, v80, vcc_lo
	v_add_f16_e32 v86, v86, v87
	v_add_co_u32 v87, vcc_lo, v83, v12
	v_add_co_ci_u32_e64 v88, null, v84, v13, vcc_lo
	v_add_f16_e32 v89, v86, v85
	v_mov_b32_e32 v85, 0
	v_mov_b32_e32 v86, 0
	s_and_b32 vcc_lo, exec_lo, s0
	global_store_short v[87:88], v89, off
	s_cbranch_vccnz .LBB296_40
; %bb.39:                               ;   in Loop: Header=BB296_26 Depth=1
	v_add_co_u32 v86, vcc_lo, v81, v14
	v_add_co_ci_u32_e64 v87, null, v82, v15, vcc_lo
	global_load_ushort v86, v[86:87], off
	s_waitcnt vmcnt(0)
	v_mul_f16_e32 v86, s20, v86
.LBB296_40:                             ;   in Loop: Header=BB296_26 Depth=1
	s_add_i32 s1, s4, -3
	s_cmp_eq_u32 s1, 1
	s_cselect_b32 vcc_lo, -1, 0
	s_cmp_eq_u32 s1, 2
	v_cndmask_b32_e32 v87, v21, v49, vcc_lo
	s_cselect_b32 vcc_lo, -1, 0
	s_cmp_eq_u32 s1, 3
	v_cndmask_b32_e32 v87, v87, v25, vcc_lo
	;; [unrolled: 3-line block ×62, first 2 shown]
	s_cselect_b32 vcc_lo, -1, 0
	s_add_i32 s11, s4, -2
	s_cmp_eq_u32 s11, 1
	v_cndmask_b32_e32 v87, v87, v80, vcc_lo
	s_cselect_b32 s1, -1, 0
	s_cmp_eq_u32 s11, 2
	v_cndmask_b32_e64 v88, v21, v49, s1
	s_cselect_b32 s1, -1, 0
	s_cmp_eq_u32 s11, 3
	v_cndmask_b32_e64 v88, v88, v25, s1
	;; [unrolled: 3-line block ×61, first 2 shown]
	s_cselect_b32 s1, -1, 0
	s_cmp_eq_u32 s11, 63
	s_cselect_b32 vcc_lo, -1, 0
	v_cndmask_b32_e64 v88, v88, v48, s1
	v_cndmask_b32_e32 v88, v88, v80, vcc_lo
	v_add_f16_e32 v87, v87, v88
	v_add_f16_e32 v88, v87, v86
	v_add_co_u32 v86, vcc_lo, v83, v14
	v_add_co_ci_u32_e64 v87, null, v84, v15, vcc_lo
	s_and_b32 vcc_lo, exec_lo, s0
	global_store_short v[86:87], v88, off
	s_cbranch_vccnz .LBB296_25
; %bb.41:                               ;   in Loop: Header=BB296_26 Depth=1
	v_add_co_u32 v81, vcc_lo, v81, v16
	v_add_co_ci_u32_e64 v82, null, v82, v17, vcc_lo
	global_load_ushort v81, v[81:82], off
	s_waitcnt vmcnt(0)
	v_mul_f16_e32 v85, s20, v81
	s_branch .LBB296_25
.LBB296_42:
	s_endpgm
	.section	.rodata,"a",@progbits
	.p2align	6, 0x0
	.amdhsa_kernel _ZN12_GLOBAL__N_120geam_min_plus_kernelIDF16_Dv2_DF16_S1_Li8ELi32ELi64ELi128ELi4ELi64ELi4ELi64ELi4ELc78ELc84ELb0ELb0ELb0EDF16_KDF16_DF16_EEviiiT16_PT17_ilS5_ilS3_S5_ilPT18_ili26rocblas_geam_ex_operation_
		.amdhsa_group_segment_fixed_size 3072
		.amdhsa_private_segment_fixed_size 0
		.amdhsa_kernarg_size 128
		.amdhsa_user_sgpr_count 6
		.amdhsa_user_sgpr_private_segment_buffer 1
		.amdhsa_user_sgpr_dispatch_ptr 0
		.amdhsa_user_sgpr_queue_ptr 0
		.amdhsa_user_sgpr_kernarg_segment_ptr 1
		.amdhsa_user_sgpr_dispatch_id 0
		.amdhsa_user_sgpr_flat_scratch_init 0
		.amdhsa_user_sgpr_private_segment_size 0
		.amdhsa_wavefront_size32 1
		.amdhsa_uses_dynamic_stack 0
		.amdhsa_system_sgpr_private_segment_wavefront_offset 0
		.amdhsa_system_sgpr_workgroup_id_x 1
		.amdhsa_system_sgpr_workgroup_id_y 0
		.amdhsa_system_sgpr_workgroup_id_z 1
		.amdhsa_system_sgpr_workgroup_info 0
		.amdhsa_system_vgpr_workitem_id 1
		.amdhsa_next_free_vgpr 126
		.amdhsa_next_free_sgpr 26
		.amdhsa_reserve_vcc 1
		.amdhsa_reserve_flat_scratch 0
		.amdhsa_float_round_mode_32 0
		.amdhsa_float_round_mode_16_64 0
		.amdhsa_float_denorm_mode_32 3
		.amdhsa_float_denorm_mode_16_64 3
		.amdhsa_dx10_clamp 1
		.amdhsa_ieee_mode 1
		.amdhsa_fp16_overflow 0
		.amdhsa_workgroup_processor_mode 1
		.amdhsa_memory_ordered 1
		.amdhsa_forward_progress 1
		.amdhsa_shared_vgpr_count 0
		.amdhsa_exception_fp_ieee_invalid_op 0
		.amdhsa_exception_fp_denorm_src 0
		.amdhsa_exception_fp_ieee_div_zero 0
		.amdhsa_exception_fp_ieee_overflow 0
		.amdhsa_exception_fp_ieee_underflow 0
		.amdhsa_exception_fp_ieee_inexact 0
		.amdhsa_exception_int_div_zero 0
	.end_amdhsa_kernel
	.section	.text._ZN12_GLOBAL__N_120geam_min_plus_kernelIDF16_Dv2_DF16_S1_Li8ELi32ELi64ELi128ELi4ELi64ELi4ELi64ELi4ELc78ELc84ELb0ELb0ELb0EDF16_KDF16_DF16_EEviiiT16_PT17_ilS5_ilS3_S5_ilPT18_ili26rocblas_geam_ex_operation_,"axG",@progbits,_ZN12_GLOBAL__N_120geam_min_plus_kernelIDF16_Dv2_DF16_S1_Li8ELi32ELi64ELi128ELi4ELi64ELi4ELi64ELi4ELc78ELc84ELb0ELb0ELb0EDF16_KDF16_DF16_EEviiiT16_PT17_ilS5_ilS3_S5_ilPT18_ili26rocblas_geam_ex_operation_,comdat
.Lfunc_end296:
	.size	_ZN12_GLOBAL__N_120geam_min_plus_kernelIDF16_Dv2_DF16_S1_Li8ELi32ELi64ELi128ELi4ELi64ELi4ELi64ELi4ELc78ELc84ELb0ELb0ELb0EDF16_KDF16_DF16_EEviiiT16_PT17_ilS5_ilS3_S5_ilPT18_ili26rocblas_geam_ex_operation_, .Lfunc_end296-_ZN12_GLOBAL__N_120geam_min_plus_kernelIDF16_Dv2_DF16_S1_Li8ELi32ELi64ELi128ELi4ELi64ELi4ELi64ELi4ELc78ELc84ELb0ELb0ELb0EDF16_KDF16_DF16_EEviiiT16_PT17_ilS5_ilS3_S5_ilPT18_ili26rocblas_geam_ex_operation_
                                        ; -- End function
	.set _ZN12_GLOBAL__N_120geam_min_plus_kernelIDF16_Dv2_DF16_S1_Li8ELi32ELi64ELi128ELi4ELi64ELi4ELi64ELi4ELc78ELc84ELb0ELb0ELb0EDF16_KDF16_DF16_EEviiiT16_PT17_ilS5_ilS3_S5_ilPT18_ili26rocblas_geam_ex_operation_.num_vgpr, 126
	.set _ZN12_GLOBAL__N_120geam_min_plus_kernelIDF16_Dv2_DF16_S1_Li8ELi32ELi64ELi128ELi4ELi64ELi4ELi64ELi4ELc78ELc84ELb0ELb0ELb0EDF16_KDF16_DF16_EEviiiT16_PT17_ilS5_ilS3_S5_ilPT18_ili26rocblas_geam_ex_operation_.num_agpr, 0
	.set _ZN12_GLOBAL__N_120geam_min_plus_kernelIDF16_Dv2_DF16_S1_Li8ELi32ELi64ELi128ELi4ELi64ELi4ELi64ELi4ELc78ELc84ELb0ELb0ELb0EDF16_KDF16_DF16_EEviiiT16_PT17_ilS5_ilS3_S5_ilPT18_ili26rocblas_geam_ex_operation_.numbered_sgpr, 26
	.set _ZN12_GLOBAL__N_120geam_min_plus_kernelIDF16_Dv2_DF16_S1_Li8ELi32ELi64ELi128ELi4ELi64ELi4ELi64ELi4ELc78ELc84ELb0ELb0ELb0EDF16_KDF16_DF16_EEviiiT16_PT17_ilS5_ilS3_S5_ilPT18_ili26rocblas_geam_ex_operation_.num_named_barrier, 0
	.set _ZN12_GLOBAL__N_120geam_min_plus_kernelIDF16_Dv2_DF16_S1_Li8ELi32ELi64ELi128ELi4ELi64ELi4ELi64ELi4ELc78ELc84ELb0ELb0ELb0EDF16_KDF16_DF16_EEviiiT16_PT17_ilS5_ilS3_S5_ilPT18_ili26rocblas_geam_ex_operation_.private_seg_size, 0
	.set _ZN12_GLOBAL__N_120geam_min_plus_kernelIDF16_Dv2_DF16_S1_Li8ELi32ELi64ELi128ELi4ELi64ELi4ELi64ELi4ELc78ELc84ELb0ELb0ELb0EDF16_KDF16_DF16_EEviiiT16_PT17_ilS5_ilS3_S5_ilPT18_ili26rocblas_geam_ex_operation_.uses_vcc, 1
	.set _ZN12_GLOBAL__N_120geam_min_plus_kernelIDF16_Dv2_DF16_S1_Li8ELi32ELi64ELi128ELi4ELi64ELi4ELi64ELi4ELc78ELc84ELb0ELb0ELb0EDF16_KDF16_DF16_EEviiiT16_PT17_ilS5_ilS3_S5_ilPT18_ili26rocblas_geam_ex_operation_.uses_flat_scratch, 0
	.set _ZN12_GLOBAL__N_120geam_min_plus_kernelIDF16_Dv2_DF16_S1_Li8ELi32ELi64ELi128ELi4ELi64ELi4ELi64ELi4ELc78ELc84ELb0ELb0ELb0EDF16_KDF16_DF16_EEviiiT16_PT17_ilS5_ilS3_S5_ilPT18_ili26rocblas_geam_ex_operation_.has_dyn_sized_stack, 0
	.set _ZN12_GLOBAL__N_120geam_min_plus_kernelIDF16_Dv2_DF16_S1_Li8ELi32ELi64ELi128ELi4ELi64ELi4ELi64ELi4ELc78ELc84ELb0ELb0ELb0EDF16_KDF16_DF16_EEviiiT16_PT17_ilS5_ilS3_S5_ilPT18_ili26rocblas_geam_ex_operation_.has_recursion, 0
	.set _ZN12_GLOBAL__N_120geam_min_plus_kernelIDF16_Dv2_DF16_S1_Li8ELi32ELi64ELi128ELi4ELi64ELi4ELi64ELi4ELc78ELc84ELb0ELb0ELb0EDF16_KDF16_DF16_EEviiiT16_PT17_ilS5_ilS3_S5_ilPT18_ili26rocblas_geam_ex_operation_.has_indirect_call, 0
	.section	.AMDGPU.csdata,"",@progbits
; Kernel info:
; codeLenInByte = 21952
; TotalNumSgprs: 28
; NumVgprs: 126
; ScratchSize: 0
; MemoryBound: 0
; FloatMode: 240
; IeeeMode: 1
; LDSByteSize: 3072 bytes/workgroup (compile time only)
; SGPRBlocks: 0
; VGPRBlocks: 15
; NumSGPRsForWavesPerEU: 28
; NumVGPRsForWavesPerEU: 126
; Occupancy: 8
; WaveLimiterHint : 1
; COMPUTE_PGM_RSRC2:SCRATCH_EN: 0
; COMPUTE_PGM_RSRC2:USER_SGPR: 6
; COMPUTE_PGM_RSRC2:TRAP_HANDLER: 0
; COMPUTE_PGM_RSRC2:TGID_X_EN: 1
; COMPUTE_PGM_RSRC2:TGID_Y_EN: 0
; COMPUTE_PGM_RSRC2:TGID_Z_EN: 1
; COMPUTE_PGM_RSRC2:TIDIG_COMP_CNT: 1
	.section	.text._ZN12_GLOBAL__N_120geam_min_plus_kernelIDF16_Dv2_DF16_S1_Li8ELi32ELi64ELi128ELi4ELi64ELi4ELi64ELi4ELc78ELc84ELb0ELb1ELb0EPKDF16_S2_DF16_EEviiiT16_PT17_ilS6_ilS4_S6_ilPT18_ili26rocblas_geam_ex_operation_,"axG",@progbits,_ZN12_GLOBAL__N_120geam_min_plus_kernelIDF16_Dv2_DF16_S1_Li8ELi32ELi64ELi128ELi4ELi64ELi4ELi64ELi4ELc78ELc84ELb0ELb1ELb0EPKDF16_S2_DF16_EEviiiT16_PT17_ilS6_ilS4_S6_ilPT18_ili26rocblas_geam_ex_operation_,comdat
	.globl	_ZN12_GLOBAL__N_120geam_min_plus_kernelIDF16_Dv2_DF16_S1_Li8ELi32ELi64ELi128ELi4ELi64ELi4ELi64ELi4ELc78ELc84ELb0ELb1ELb0EPKDF16_S2_DF16_EEviiiT16_PT17_ilS6_ilS4_S6_ilPT18_ili26rocblas_geam_ex_operation_ ; -- Begin function _ZN12_GLOBAL__N_120geam_min_plus_kernelIDF16_Dv2_DF16_S1_Li8ELi32ELi64ELi128ELi4ELi64ELi4ELi64ELi4ELc78ELc84ELb0ELb1ELb0EPKDF16_S2_DF16_EEviiiT16_PT17_ilS6_ilS4_S6_ilPT18_ili26rocblas_geam_ex_operation_
	.p2align	8
	.type	_ZN12_GLOBAL__N_120geam_min_plus_kernelIDF16_Dv2_DF16_S1_Li8ELi32ELi64ELi128ELi4ELi64ELi4ELi64ELi4ELc78ELc84ELb0ELb1ELb0EPKDF16_S2_DF16_EEviiiT16_PT17_ilS6_ilS4_S6_ilPT18_ili26rocblas_geam_ex_operation_,@function
_ZN12_GLOBAL__N_120geam_min_plus_kernelIDF16_Dv2_DF16_S1_Li8ELi32ELi64ELi128ELi4ELi64ELi4ELi64ELi4ELc78ELc84ELb0ELb1ELb0EPKDF16_S2_DF16_EEviiiT16_PT17_ilS6_ilS4_S6_ilPT18_ili26rocblas_geam_ex_operation_: ; @_ZN12_GLOBAL__N_120geam_min_plus_kernelIDF16_Dv2_DF16_S1_Li8ELi32ELi64ELi128ELi4ELi64ELi4ELi64ELi4ELc78ELc84ELb0ELb1ELb0EPKDF16_S2_DF16_EEviiiT16_PT17_ilS6_ilS4_S6_ilPT18_ili26rocblas_geam_ex_operation_
; %bb.0:
	s_clause 0x1
	s_load_dwordx4 s[0:3], s[4:5], 0x10
	s_load_dwordx4 s[8:11], s[4:5], 0x40
	s_mov_b32 s18, s7
	s_mov_b32 s19, 0
	v_mov_b32_e32 v2, 0
	s_lshl_b64 s[20:21], s[18:19], 1
	s_clause 0x1
	s_load_dwordx4 s[12:15], s[4:5], 0x28
	s_load_dwordx2 s[16:17], s[4:5], 0x50
	s_mov_b64 s[22:23], 0
	s_waitcnt lgkmcnt(0)
	s_add_u32 s0, s0, s20
	s_addc_u32 s1, s1, s21
	global_load_ushort v32, v2, s[0:1]
	s_add_u32 s0, s10, s20
	s_addc_u32 s1, s11, s21
	s_mov_b64 s[20:21], 0
	global_load_ushort v42, v2, s[0:1]
	s_waitcnt vmcnt(1)
	v_cmp_eq_f16_e32 vcc_lo, 0, v32
	v_cmp_neq_f16_e64 s1, 0, v32
	s_cbranch_vccnz .LBB297_2
; %bb.1:
	s_mul_i32 s0, s13, s18
	s_mul_hi_u32 s7, s12, s18
	s_mul_i32 s10, s12, s18
	s_add_i32 s11, s7, s0
	s_lshl_b64 s[10:11], s[10:11], 1
	s_add_u32 s22, s2, s10
	s_addc_u32 s23, s3, s11
.LBB297_2:
	s_andn2_b32 vcc_lo, exec_lo, s1
	s_cbranch_vccnz .LBB297_4
; %bb.3:
	s_mul_i32 s0, s9, s18
	s_mul_hi_u32 s2, s8, s18
	s_add_i32 s3, s2, s0
	s_mul_i32 s2, s8, s18
	s_lshl_b64 s[2:3], s[2:3], 1
	s_add_u32 s20, s14, s2
	s_addc_u32 s21, s15, s3
.LBB297_4:
	s_load_dwordx4 s[8:11], s[4:5], 0x60
	s_waitcnt vmcnt(0)
	v_cmp_eq_f16_e32 vcc_lo, 0, v42
	v_cmp_neq_f16_e64 s0, 0, v42
	s_cbranch_vccnz .LBB297_6
; %bb.5:
	s_waitcnt lgkmcnt(0)
	s_mul_i32 s2, s9, s18
	s_mul_hi_u32 s3, s8, s18
	s_add_i32 s3, s3, s2
	s_mul_i32 s2, s8, s18
	s_lshl_b64 s[2:3], s[2:3], 1
	s_add_u32 s16, s16, s2
	s_addc_u32 s17, s17, s3
	s_branch .LBB297_7
.LBB297_6:
	s_mov_b64 s[16:17], 0
.LBB297_7:
	s_load_dwordx4 s[12:15], s[4:5], 0x0
	s_waitcnt lgkmcnt(0)
	s_load_dword s8, s[4:5], 0x20
	v_lshl_add_u32 v3, v1, 3, v0
	v_mov_b32_e32 v10, 0
	v_mov_b32_e32 v11, 0
	v_and_b32_e32 v9, 63, v3
	v_lshrrev_b32_e32 v33, 6, v3
	s_add_i32 s2, s12, -1
	s_waitcnt lgkmcnt(0)
	s_ashr_i32 s9, s8, 31
	s_ashr_i32 s3, s2, 31
	s_lshr_b32 s3, s3, 26
	s_add_i32 s2, s2, s3
	s_ashr_i32 s2, s2, 6
	s_add_i32 s7, s2, 1
	s_not_b32 s2, s2
	v_cvt_f32_u32_e32 v2, s7
	v_rcp_iflag_f32_e32 v2, v2
	v_mul_f32_e32 v2, 0x4f7ffffe, v2
	v_cvt_u32_f32_e32 v2, v2
	v_readfirstlane_b32 s3, v2
	s_mul_i32 s2, s2, s3
	s_mul_hi_u32 s2, s3, s2
	s_add_i32 s3, s3, s2
	s_mul_hi_u32 s2, s6, s3
	s_mul_i32 s3, s2, s7
	s_add_i32 s15, s2, 1
	s_sub_i32 s3, s6, s3
	s_sub_i32 s19, s3, s7
	s_cmp_ge_u32 s3, s7
	s_cselect_b32 s2, s15, s2
	s_cselect_b32 s3, s19, s3
	s_add_i32 s15, s2, 1
	s_cmp_ge_u32 s3, s7
	s_cselect_b32 s3, s15, s2
	s_mul_i32 s2, s3, s7
	s_sub_i32 s2, s6, s2
	s_lshl_b32 s15, s2, 6
	v_cmp_gt_i32_e64 s2, s14, v33
	v_or_b32_e32 v2, s15, v9
	v_cmp_gt_i32_e32 vcc_lo, s12, v2
	v_ashrrev_i32_e32 v3, 31, v2
	s_and_b32 s2, s2, vcc_lo
	s_and_b32 s2, s1, s2
	s_and_saveexec_b32 s6, s2
	s_cbranch_execz .LBB297_9
; %bb.8:
	v_mad_i64_i32 v[4:5], null, s8, v33, 0
	v_lshlrev_b64 v[6:7], 1, v[2:3]
	v_lshlrev_b64 v[4:5], 1, v[4:5]
	v_add_co_u32 v4, s2, s22, v4
	v_add_co_ci_u32_e64 v5, null, s23, v5, s2
	v_add_co_u32 v4, s2, v4, v6
	v_add_co_ci_u32_e64 v5, null, v5, v7, s2
	global_load_ushort v4, v[4:5], off
	s_waitcnt vmcnt(0)
	v_mul_f16_e32 v11, v32, v4
.LBB297_9:
	s_or_b32 exec_lo, exec_lo, s6
	s_load_dword s24, s[4:5], 0x38
	s_add_i32 s25, s14, -1
	s_lshl_b32 s19, s3, 7
	v_min_i32_e32 v4, s25, v33
	v_cmp_le_i32_e64 s6, s14, v33
	s_xor_b32 s26, s1, -1
	s_waitcnt lgkmcnt(0)
	v_mad_i64_i32 v[5:6], null, s24, v4, 0
	v_or_b32_e32 v4, s19, v9
	v_cmp_le_i32_e64 s2, s13, v4
	v_lshlrev_b64 v[5:6], 1, v[5:6]
	s_or_b32 s7, s6, s2
	v_add_co_u32 v7, s3, s20, v5
	v_add_co_ci_u32_e64 v8, null, s21, v6, s3
	v_ashrrev_i32_e32 v5, 31, v4
	s_nor_b32 s3, s7, s26
	s_and_saveexec_b32 s7, s3
	s_cbranch_execz .LBB297_11
; %bb.10:
	v_lshlrev_b64 v[12:13], 1, v[4:5]
	v_add_co_u32 v12, s3, v7, v12
	v_add_co_ci_u32_e64 v13, null, v8, v13, s3
	global_load_ushort v6, v[12:13], off
	s_waitcnt vmcnt(0)
	v_mul_f16_e32 v10, v32, v6
.LBB297_11:
	s_or_b32 exec_lo, exec_lo, s7
	v_or_b32_e32 v6, 64, v4
	v_mov_b32_e32 v12, 0
	v_cmp_le_i32_e64 s3, s13, v6
	v_mov_b32_e32 v6, 0
	s_or_b32 s6, s6, s3
	s_nor_b32 s6, s6, s26
	s_and_saveexec_b32 s7, s6
	s_cbranch_execz .LBB297_13
; %bb.12:
	v_lshlrev_b64 v[12:13], 1, v[4:5]
	v_add_co_u32 v7, s6, v7, v12
	v_add_co_ci_u32_e64 v8, null, v8, v13, s6
	global_load_ushort v7, v[7:8], off offset:128
	s_waitcnt vmcnt(0)
	v_mul_f16_e32 v12, v32, v7
.LBB297_13:
	s_or_b32 exec_lo, exec_lo, s7
	v_add_nc_u32_e32 v7, 4, v33
	v_cmp_gt_i32_e64 s6, s14, v7
	s_and_b32 s6, vcc_lo, s6
	s_and_b32 s6, s1, s6
	s_and_saveexec_b32 s7, s6
	s_cbranch_execz .LBB297_15
; %bb.14:
	v_mad_u64_u32 v[13:14], null, s8, v7, 0
	v_mov_b32_e32 v6, v14
	v_mad_u64_u32 v[14:15], null, s9, v7, v[6:7]
	v_lshlrev_b64 v[15:16], 1, v[2:3]
	v_lshlrev_b64 v[13:14], 1, v[13:14]
	v_add_co_u32 v6, s6, s22, v13
	v_add_co_ci_u32_e64 v8, null, s23, v14, s6
	v_add_co_u32 v13, s6, v6, v15
	v_add_co_ci_u32_e64 v14, null, v8, v16, s6
	global_load_ushort v6, v[13:14], off
	s_waitcnt vmcnt(0)
	v_mul_f16_e32 v6, v32, v6
.LBB297_15:
	s_or_b32 exec_lo, exec_lo, s7
	v_min_i32_e32 v8, s25, v7
	v_cmp_le_i32_e64 s6, s14, v7
	v_mov_b32_e32 v7, 0
	v_mad_i64_i32 v[13:14], null, s24, v8, 0
	v_mov_b32_e32 v8, 0
	v_lshlrev_b64 v[13:14], 1, v[13:14]
	v_add_co_u32 v13, s7, s20, v13
	v_add_co_ci_u32_e64 v14, null, s21, v14, s7
	s_or_b32 s7, s2, s6
	s_nor_b32 s7, s7, s26
	s_and_saveexec_b32 s27, s7
	s_cbranch_execz .LBB297_17
; %bb.16:
	v_lshlrev_b64 v[15:16], 1, v[4:5]
	v_add_co_u32 v15, s7, v13, v15
	v_add_co_ci_u32_e64 v16, null, v14, v16, s7
	global_load_ushort v8, v[15:16], off
	s_waitcnt vmcnt(0)
	v_mul_f16_e32 v8, v32, v8
.LBB297_17:
	s_or_b32 exec_lo, exec_lo, s27
	s_or_b32 s6, s3, s6
	s_nor_b32 s6, s6, s26
	s_and_saveexec_b32 s7, s6
	s_cbranch_execz .LBB297_19
; %bb.18:
	v_lshlrev_b64 v[15:16], 1, v[4:5]
	v_add_co_u32 v13, s6, v13, v15
	v_add_co_ci_u32_e64 v14, null, v14, v16, s6
	global_load_ushort v7, v[13:14], off offset:128
	s_waitcnt vmcnt(0)
	v_mul_f16_e32 v7, v32, v7
.LBB297_19:
	s_or_b32 exec_lo, exec_lo, s7
	v_lshlrev_b32_e32 v9, 3, v9
	v_lshlrev_b32_e32 v35, 3, v0
	v_lshlrev_b32_e32 v34, 3, v1
	s_mov_b32 s27, 0
	s_cmp_lt_i32 s14, 9
	v_lshl_add_u32 v36, v33, 1, v9
	v_add_nc_u32_e32 v29, 0x800, v35
	ds_write_b16 v36, v11 offset:2048
	ds_write_b16 v36, v10
	ds_write_b16 v36, v12 offset:512
	s_waitcnt lgkmcnt(0)
	s_barrier
	buffer_gl0_inv
	ds_read2_b64 v[9:12], v34 offset1:32
	ds_read2_b64 v[13:16], v29 offset0:48 offset1:56
	ds_read2_b64 v[17:20], v34 offset0:64 offset1:96
	ds_read2_b64 v[21:24], v29 offset1:8
	ds_read2_b64 v[25:28], v29 offset0:16 offset1:24
	ds_read2_b64 v[37:40], v29 offset0:32 offset1:40
	ds_write_b16 v36, v6 offset:2560
	ds_write_b16 v36, v8 offset:1024
	;; [unrolled: 1-line block ×3, first 2 shown]
	s_waitcnt lgkmcnt(0)
	s_barrier
	buffer_gl0_inv
	v_pk_max_f16 v9, v9, v9
	v_pk_max_f16 v15, v15, v15
	;; [unrolled: 1-line block ×6, first 2 shown]
	v_pk_min_f16 v29, v15, v9
	v_pk_max_f16 v21, v21, v21
	v_pk_max_f16 v19, v19, v19
	;; [unrolled: 1-line block ×4, first 2 shown]
	v_pk_min_f16 v30, v15, v11
	v_pk_max_f16 v27, v27, v27
	v_pk_max_f16 v37, v37, v37
	;; [unrolled: 1-line block ×5, first 2 shown]
	v_pk_add_f16 v29, v29, 0
	v_pk_min_f16 v51, v16, v10
	v_pk_min_f16 v31, v15, v17
	;; [unrolled: 1-line block ×21, first 2 shown]
	v_pk_max_f16 v18, v18, v18
	v_pk_max_f16 v20, v20, v20
	v_pk_min_f16 v37, v37, v19
	v_pk_max_f16 v22, v22, v22
	v_pk_min_f16 v60, v39, v9
	v_pk_min_f16 v61, v39, v11
	;; [unrolled: 1-line block ×9, first 2 shown]
	v_pk_add_f16 v68, v29, v51
	v_pk_add_f16 v19, v30, 0
	v_pk_min_f16 v29, v16, v12
	v_pk_max_f16 v24, v24, v24
	v_pk_add_f16 v41, v41, 0
	v_pk_min_f16 v58, v22, v10
	v_pk_min_f16 v63, v22, v12
	v_pk_add_f16 v44, v44, 0
	v_pk_min_f16 v64, v22, v18
	v_pk_add_f16 v59, v19, v29
	v_pk_add_f16 v19, v21, 0
	v_pk_min_f16 v22, v22, v20
	v_pk_add_f16 v71, v41, v58
	v_pk_add_f16 v58, v44, v64
	;; [unrolled: 1-line block ×5, first 2 shown]
	v_pk_min_f16 v19, v24, v10
	v_pk_add_f16 v30, v31, 0
	v_pk_min_f16 v31, v16, v18
	v_pk_add_f16 v29, v46, 0
	v_pk_add_f16 v46, v53, 0
	;; [unrolled: 1-line block ×3, first 2 shown]
	v_pk_min_f16 v19, v24, v12
	v_pk_add_f16 v51, v30, v31
	v_pk_add_f16 v30, v47, 0
	;; [unrolled: 1-line block ×5, first 2 shown]
	v_pk_min_f16 v19, v24, v18
	v_pk_add_f16 v23, v23, 0
	v_pk_add_f16 v25, v25, 0
	;; [unrolled: 1-line block ×3, first 2 shown]
	v_pk_min_f16 v24, v24, v20
	v_pk_add_f16 v57, v30, v19
	v_pk_max_f16 v19, v26, v26
	v_pk_max_f16 v26, v28, v28
	v_pk_add_f16 v67, v43, v63
	v_pk_add_f16 v31, v48, 0
	;; [unrolled: 1-line block ×3, first 2 shown]
	v_pk_min_f16 v28, v19, v10
	v_pk_min_f16 v30, v19, v12
	;; [unrolled: 1-line block ×4, first 2 shown]
	v_pk_add_f16 v45, v52, 0
	v_pk_add_f16 v47, v54, 0
	;; [unrolled: 1-line block ×5, first 2 shown]
	v_pk_min_f16 v19, v26, v10
	v_pk_min_f16 v23, v26, v12
	;; [unrolled: 1-line block ×4, first 2 shown]
	v_pk_max_f16 v26, v38, v38
	v_pk_add_f16 v27, v55, 0
	v_pk_add_f16 v52, v56, 0
	;; [unrolled: 1-line block ×7, first 2 shown]
	v_pk_min_f16 v19, v26, v10
	v_pk_min_f16 v22, v26, v12
	;; [unrolled: 1-line block ×4, first 2 shown]
	v_pk_max_f16 v25, v40, v40
	v_pk_max_f16 v14, v14, v14
	v_pk_add_f16 v60, v60, 0
	v_pk_add_f16 v61, v61, 0
	;; [unrolled: 1-line block ×13, first 2 shown]
	v_pk_min_f16 v19, v25, v10
	v_pk_min_f16 v21, v25, v12
	;; [unrolled: 1-line block ×9, first 2 shown]
	v_pk_add_f16 v41, v31, v28
	v_pk_add_f16 v65, v43, v30
	;; [unrolled: 1-line block ×11, first 2 shown]
	s_cbranch_scc1 .LBB297_34
; %bb.20:
	v_add_nc_u32_e32 v6, v34, v0
	v_lshlrev_b64 v[2:3], 1, v[2:3]
	v_lshlrev_b64 v[30:31], 1, v[4:5]
	v_or_b32_e32 v60, 0x800, v36
	v_or_b32_e32 v69, 0x800, v35
	v_lshrrev_b32_e32 v6, 6, v6
	v_add_nc_u32_e32 v72, 0xa00, v36
	v_add_co_u32 v75, s6, s22, v2
	v_or_b32_e32 v73, 0x400, v36
	v_add_nc_u32_e32 v7, 12, v6
	v_add_nc_u32_e32 v8, 8, v6
	v_lshl_add_u32 v74, v0, 3, 0xa00
	v_add_co_ci_u32_e64 v76, null, s23, v3, s6
	v_mad_i64_i32 v[6:7], null, v7, s8, 0
	v_mad_i64_i32 v[8:9], null, v8, s8, 0
	v_add_nc_u32_e32 v77, 0x400, v34
	s_add_i32 s22, s14, -8
	s_lshl_b64 s[8:9], s[8:9], 4
	v_lshlrev_b64 v[26:27], 1, v[6:7]
	v_lshlrev_b64 v[28:29], 1, v[8:9]
	s_branch .LBB297_22
.LBB297_21:                             ;   in Loop: Header=BB297_22 Depth=1
	s_or_b32 exec_lo, exec_lo, s7
	v_pk_max_f16 v4, v4, v4
	v_pk_max_f16 v22, v22, v22
	;; [unrolled: 1-line block ×7, first 2 shown]
	v_pk_min_f16 v81, v4, v22
	v_pk_min_f16 v82, v4, v24
	;; [unrolled: 1-line block ×3, first 2 shown]
	v_pk_max_f16 v16, v16, v16
	v_pk_min_f16 v85, v14, v24
	v_pk_min_f16 v90, v10, v22
	v_pk_max_f16 v12, v12, v12
	v_pk_min_f16 v91, v10, v24
	v_pk_min_f16 v92, v10, v18
	;; [unrolled: 1-line block ×3, first 2 shown]
	v_pk_max_f16 v6, v6, v6
	v_pk_max_f16 v23, v23, v23
	;; [unrolled: 1-line block ×15, first 2 shown]
	v_pk_min_f16 v84, v14, v22
	v_pk_min_f16 v86, v14, v18
	;; [unrolled: 1-line block ×56, first 2 shown]
	v_pk_add_f16 v3, v68, v81
	v_pk_add_f16 v5, v59, v82
	;; [unrolled: 1-line block ×20, first 2 shown]
	ds_read2_b64 v[2:5], v69 offset0:48 offset1:56
	ds_read2_b64 v[6:9], v34 offset1:32
	v_pk_add_f16 v67, v10, v11
	ds_read2_b64 v[10:13], v34 offset0:64 offset1:96
	v_pk_add_f16 v49, v65, v91
	v_pk_add_f16 v48, v64, v94
	;; [unrolled: 1-line block ×5, first 2 shown]
	ds_read2_b64 v[14:17], v69 offset1:8
	v_pk_add_f16 v59, v71, v84
	v_pk_add_f16 v58, v58, v86
	;; [unrolled: 1-line block ×8, first 2 shown]
	ds_read2_b64 v[18:21], v69 offset0:16 offset1:24
	v_pk_add_f16 v58, v58, v103
	s_waitcnt lgkmcnt(4)
	v_pk_max_f16 v4, v4, v4
	s_waitcnt lgkmcnt(3)
	v_pk_max_f16 v6, v6, v6
	v_pk_max_f16 v8, v8, v8
	s_waitcnt lgkmcnt(2)
	v_pk_max_f16 v10, v10, v10
	v_pk_add_f16 v41, v41, v90
	v_pk_add_f16 v50, v50, v104
	v_pk_min_f16 v22, v4, v6
	v_pk_min_f16 v23, v4, v8
	;; [unrolled: 1-line block ×3, first 2 shown]
	s_waitcnt lgkmcnt(1)
	v_pk_max_f16 v14, v14, v14
	v_pk_max_f16 v16, v16, v16
	v_pk_add_f16 v44, v44, v22
	v_pk_add_f16 v52, v52, v23
	;; [unrolled: 1-line block ×3, first 2 shown]
	v_pk_min_f16 v22, v14, v6
	v_pk_min_f16 v23, v14, v8
	;; [unrolled: 1-line block ×3, first 2 shown]
	v_pk_add_f16 v57, v57, v89
	s_waitcnt lgkmcnt(0)
	v_pk_max_f16 v18, v18, v18
	v_pk_add_f16 v81, v59, v22
	v_pk_add_f16 v61, v61, v23
	;; [unrolled: 1-line block ×3, first 2 shown]
	ds_read2_b64 v[22:25], v69 offset0:32 offset1:40
	v_pk_min_f16 v59, v16, v6
	v_pk_add_f16 v41, v41, v107
	v_pk_max_f16 v20, v20, v20
	v_pk_add_f16 v37, v37, v96
	v_pk_add_f16 v57, v57, v106
	;; [unrolled: 1-line block ×3, first 2 shown]
	v_pk_min_f16 v50, v18, v6
	v_pk_add_f16 v49, v49, v108
	v_pk_add_f16 v48, v48, v111
	v_pk_max_f16 v12, v12, v12
	v_pk_min_f16 v82, v16, v10
	v_pk_min_f16 v59, v18, v8
	v_pk_add_f16 v41, v41, v50
	v_pk_min_f16 v50, v20, v8
	v_pk_add_f16 v39, v39, v93
	v_pk_add_f16 v63, v63, v97
	;; [unrolled: 1-line block ×4, first 2 shown]
	v_pk_min_f16 v14, v14, v12
	s_waitcnt lgkmcnt(0)
	v_pk_max_f16 v22, v22, v22
	v_pk_add_f16 v57, v57, v82
	v_pk_add_f16 v82, v49, v59
	v_pk_min_f16 v49, v20, v6
	v_pk_min_f16 v59, v20, v10
	;; [unrolled: 1-line block ×3, first 2 shown]
	v_pk_add_f16 v84, v48, v50
	v_pk_min_f16 v48, v22, v6
	v_pk_add_f16 v39, v39, v110
	v_pk_add_f16 v63, v63, v115
	;; [unrolled: 1-line block ×4, first 2 shown]
	v_pk_min_f16 v64, v16, v8
	v_pk_add_f16 v20, v47, v20
	v_pk_min_f16 v47, v22, v8
	v_pk_max_f16 v24, v24, v24
	v_pk_add_f16 v37, v37, v48
	v_pk_min_f16 v48, v22, v10
	v_pk_min_f16 v22, v22, v12
	v_pk_max_f16 v2, v2, v2
	v_pk_max_f16 v5, v5, v5
	;; [unrolled: 1-line block ×3, first 2 shown]
	v_pk_add_f16 v55, v55, v95
	v_pk_add_f16 v40, v40, v122
	v_pk_min_f16 v16, v16, v12
	v_pk_add_f16 v64, v65, v64
	v_pk_min_f16 v65, v18, v10
	v_pk_min_f16 v18, v18, v12
	v_pk_add_f16 v39, v39, v49
	v_pk_add_f16 v63, v63, v47
	v_pk_min_f16 v47, v24, v6
	v_pk_min_f16 v49, v24, v8
	v_pk_add_f16 v22, v46, v22
	v_pk_min_f16 v46, v24, v10
	v_pk_min_f16 v24, v24, v12
	;; [unrolled: 1-line block ×6, first 2 shown]
	v_pk_max_f16 v9, v9, v9
	v_pk_min_f16 v4, v4, v12
	v_pk_max_f16 v11, v11, v11
	v_pk_min_f16 v12, v5, v7
	v_pk_add_f16 v55, v55, v112
	v_pk_add_f16 v6, v68, v6
	;; [unrolled: 1-line block ×3, first 2 shown]
	v_pk_min_f16 v40, v5, v9
	v_pk_add_f16 v4, v43, v4
	v_pk_min_f16 v43, v5, v11
	v_pk_max_f16 v15, v15, v15
	v_pk_add_f16 v68, v44, v12
	v_pk_max_f16 v12, v13, v13
	v_pk_add_f16 v56, v56, v92
	v_pk_add_f16 v62, v62, v100
	;; [unrolled: 1-line block ×5, first 2 shown]
	v_pk_min_f16 v13, v15, v7
	v_pk_min_f16 v40, v15, v9
	;; [unrolled: 1-line block ×4, first 2 shown]
	v_pk_max_f16 v17, v17, v17
	v_pk_add_f16 v54, v54, v98
	v_pk_add_f16 v56, v56, v109
	;; [unrolled: 1-line block ×7, first 2 shown]
	v_pk_min_f16 v13, v17, v7
	v_pk_min_f16 v14, v17, v9
	;; [unrolled: 1-line block ×4, first 2 shown]
	v_pk_max_f16 v19, v19, v19
	v_pk_add_f16 v38, v38, v99
	v_pk_add_f16 v54, v54, v116
	v_pk_add_f16 v56, v56, v65
	v_pk_add_f16 v18, v67, v18
	v_pk_add_f16 v62, v62, v49
	v_pk_add_f16 v8, v70, v8
	v_pk_add_f16 v70, v83, v13
	v_pk_add_f16 v66, v64, v14
	v_pk_add_f16 v57, v57, v15
	v_pk_add_f16 v49, v16, v17
	v_pk_min_f16 v13, v19, v7
	v_pk_min_f16 v14, v19, v9
	;; [unrolled: 1-line block ×4, first 2 shown]
	v_pk_max_f16 v17, v21, v21
	v_pk_add_f16 v53, v53, v101
	v_pk_add_f16 v38, v38, v118
	;; [unrolled: 1-line block ×7, first 2 shown]
	v_pk_min_f16 v13, v17, v7
	v_pk_min_f16 v14, v17, v9
	;; [unrolled: 1-line block ×4, first 2 shown]
	v_pk_max_f16 v17, v23, v23
	v_pk_add_f16 v53, v53, v120
	v_pk_add_f16 v45, v45, v121
	;; [unrolled: 1-line block ×7, first 2 shown]
	v_pk_min_f16 v13, v17, v7
	v_pk_min_f16 v14, v17, v9
	;; [unrolled: 1-line block ×4, first 2 shown]
	v_pk_max_f16 v17, v25, v25
	v_pk_max_f16 v3, v3, v3
	v_pk_add_f16 v53, v53, v46
	v_pk_add_f16 v24, v45, v24
	v_pk_add_f16 v37, v37, v13
	v_pk_add_f16 v63, v63, v14
	v_pk_add_f16 v54, v54, v15
	v_pk_add_f16 v46, v22, v16
	v_pk_min_f16 v13, v17, v7
	v_pk_min_f16 v14, v17, v9
	;; [unrolled: 1-line block ×9, first 2 shown]
	v_add_co_u32 v75, s6, v75, s8
	v_pk_add_f16 v67, v61, v40
	v_pk_add_f16 v58, v58, v43
	;; [unrolled: 1-line block ×11, first 2 shown]
	v_add_co_ci_u32_e64 v76, null, s9, v76, s6
	s_add_i32 s27, s27, 8
	ds_write_b16 v72, v78
	ds_write_b16 v73, v80
	ds_write_b16 v73, v79 offset:512
	s_cmp_ge_i32 s27, s22
	s_waitcnt lgkmcnt(0)
	s_barrier
	buffer_gl0_inv
	s_cbranch_scc1 .LBB297_34
.LBB297_22:                             ; =>This Inner Loop Header: Depth=1
	v_add_nc_u32_e32 v79, s27, v33
	v_mov_b32_e32 v80, 0
	v_mov_b32_e32 v81, 0
	v_add_nc_u32_e32 v2, 8, v79
	v_cmp_gt_i32_e64 s6, s14, v2
	s_and_b32 s6, vcc_lo, s6
	s_and_b32 s6, s1, s6
	s_and_saveexec_b32 s7, s6
	s_cbranch_execz .LBB297_24
; %bb.23:                               ;   in Loop: Header=BB297_22 Depth=1
	v_add_co_u32 v3, s6, v75, v28
	v_add_co_ci_u32_e64 v4, null, v76, v29, s6
	global_load_ushort v3, v[3:4], off
	s_waitcnt vmcnt(0)
	v_mul_f16_e32 v81, v32, v3
.LBB297_24:                             ;   in Loop: Header=BB297_22 Depth=1
	s_or_b32 exec_lo, exec_lo, s7
	v_min_i32_e32 v3, s25, v2
	v_cmp_le_i32_e64 s6, s14, v2
	v_mad_i64_i32 v[3:4], null, v3, s24, 0
	v_lshlrev_b64 v[3:4], 1, v[3:4]
	v_add_co_u32 v2, s7, s20, v3
	v_add_co_ci_u32_e64 v3, null, s21, v4, s7
	s_or_b32 s7, s2, s6
	s_nor_b32 s7, s7, s26
	s_and_saveexec_b32 s23, s7
	s_cbranch_execz .LBB297_26
; %bb.25:                               ;   in Loop: Header=BB297_22 Depth=1
	v_add_co_u32 v4, s7, v2, v30
	v_add_co_ci_u32_e64 v5, null, v3, v31, s7
	global_load_ushort v4, v[4:5], off
	s_waitcnt vmcnt(0)
	v_mul_f16_e32 v80, v32, v4
.LBB297_26:                             ;   in Loop: Header=BB297_22 Depth=1
	s_or_b32 exec_lo, exec_lo, s23
	v_mov_b32_e32 v78, 0
	v_mov_b32_e32 v82, 0
	s_or_b32 s6, s3, s6
	s_nor_b32 s6, s6, s26
	s_and_saveexec_b32 s7, s6
	s_cbranch_execz .LBB297_28
; %bb.27:                               ;   in Loop: Header=BB297_22 Depth=1
	v_add_co_u32 v2, s6, v2, v30
	v_add_co_ci_u32_e64 v3, null, v3, v31, s6
	global_load_ushort v2, v[2:3], off offset:128
	s_waitcnt vmcnt(0)
	v_mul_f16_e32 v82, v32, v2
.LBB297_28:                             ;   in Loop: Header=BB297_22 Depth=1
	s_or_b32 exec_lo, exec_lo, s7
	ds_read2_b64 v[2:5], v74 offset0:48 offset1:56
	ds_read2_b64 v[18:21], v77 offset0:64 offset1:96
	ds_read2_b64 v[22:25], v77 offset1:32
	ds_read2_b64 v[14:17], v74 offset1:8
	ds_read2_b64 v[10:13], v74 offset0:16 offset1:24
	ds_read2_b64 v[6:9], v74 offset0:32 offset1:40
	v_add_nc_u32_e32 v79, 12, v79
	ds_write_b16 v60, v81
	ds_write_b16 v36, v80
	ds_write_b16 v36, v82 offset:512
	s_waitcnt lgkmcnt(0)
	s_barrier
	buffer_gl0_inv
	v_cmp_gt_i32_e64 s6, s14, v79
	s_and_b32 s6, vcc_lo, s6
	s_and_b32 s6, s1, s6
	s_and_saveexec_b32 s7, s6
	s_xor_b32 s7, exec_lo, s7
	s_cbranch_execz .LBB297_30
; %bb.29:                               ;   in Loop: Header=BB297_22 Depth=1
	v_add_co_u32 v80, s6, v75, v26
	v_add_co_ci_u32_e64 v81, null, v76, v27, s6
	global_load_ushort v78, v[80:81], off
	s_waitcnt vmcnt(0)
	v_mul_f16_e32 v78, v32, v78
.LBB297_30:                             ;   in Loop: Header=BB297_22 Depth=1
	s_or_b32 exec_lo, exec_lo, s7
	v_min_i32_e32 v80, s25, v79
	v_cmp_le_i32_e64 s6, s14, v79
	v_mov_b32_e32 v79, 0
	v_mad_i64_i32 v[80:81], null, v80, s24, 0
	v_lshlrev_b64 v[81:82], 1, v[80:81]
	v_mov_b32_e32 v80, 0
	v_add_co_u32 v81, s7, s20, v81
	v_add_co_ci_u32_e64 v82, null, s21, v82, s7
	s_or_b32 s7, s2, s6
	s_nor_b32 s7, s7, s26
	s_and_saveexec_b32 s23, s7
	s_cbranch_execz .LBB297_32
; %bb.31:                               ;   in Loop: Header=BB297_22 Depth=1
	v_add_co_u32 v83, s7, v81, v30
	v_add_co_ci_u32_e64 v84, null, v82, v31, s7
	global_load_ushort v80, v[83:84], off
	s_waitcnt vmcnt(0)
	v_mul_f16_e32 v80, v32, v80
.LBB297_32:                             ;   in Loop: Header=BB297_22 Depth=1
	s_or_b32 exec_lo, exec_lo, s23
	s_or_b32 s6, s3, s6
	s_nor_b32 s6, s6, s26
	s_and_saveexec_b32 s7, s6
	s_cbranch_execz .LBB297_21
; %bb.33:                               ;   in Loop: Header=BB297_22 Depth=1
	v_add_co_u32 v81, s6, v81, v30
	v_add_co_ci_u32_e64 v82, null, v82, v31, s6
	global_load_ushort v79, v[81:82], off offset:128
	s_waitcnt vmcnt(0)
	v_mul_f16_e32 v79, v32, v79
	s_branch .LBB297_21
.LBB297_34:
	s_clause 0x2
	s_load_dwordx2 s[2:3], s[4:5], 0x78
	s_load_dword s14, s[4:5], 0x58
	s_load_dword s9, s[4:5], 0x70
	v_add_nc_u32_e32 v69, s19, v1
	v_add_nc_u32_e32 v10, 0x800, v35
	ds_read2_b64 v[2:5], v34 offset0:192 offset1:224
	ds_read2_b64 v[22:25], v34 offset0:128 offset1:160
	v_add_nc_u32_e32 v0, s15, v0
	ds_read2_b64 v[6:9], v10 offset0:112 offset1:120
	ds_read2_b64 v[18:21], v10 offset0:64 offset1:72
	ds_read2_b64 v[14:17], v10 offset0:80 offset1:88
	ds_read2_b64 v[10:13], v10 offset0:96 offset1:104
	v_cmp_gt_i32_e64 s8, s13, v69
	v_ashrrev_i32_e32 v1, 31, v0
	v_cndmask_b32_e64 v60, 0, 1, s0
	s_waitcnt lgkmcnt(0)
	s_mul_i32 s1, s3, s18
	v_mad_i64_i32 v[26:27], null, v69, s14, 0
	v_mad_i64_i32 v[28:29], null, v69, s9, 0
	s_mul_hi_u32 s3, s2, s18
	s_mul_i32 s2, s2, s18
	s_add_i32 s3, s3, s1
	v_cmp_gt_i32_e64 s1, s12, v0
	v_lshlrev_b64 v[26:27], 1, v[26:27]
	s_lshl_b64 s[2:3], s[2:3], 1
	v_lshlrev_b64 v[28:29], 1, v[28:29]
	s_add_u32 s10, s10, s2
	s_addc_u32 s11, s11, s3
	s_and_b32 s2, s1, s8
	v_add_co_u32 v74, vcc_lo, s16, v26
	v_add_co_ci_u32_e64 v75, null, s17, v27, vcc_lo
	v_add_co_u32 v72, vcc_lo, s10, v28
	v_add_co_ci_u32_e64 v73, null, s11, v29, vcc_lo
	s_and_saveexec_b32 s3, s2
	s_xor_b32 s2, exec_lo, s3
	s_cbranch_execz .LBB297_39
; %bb.35:
	v_lshlrev_b64 v[26:27], 1, v[0:1]
	s_andn2_b32 vcc_lo, exec_lo, s0
	s_cbranch_vccnz .LBB297_37
; %bb.36:
	v_add_co_u32 v28, vcc_lo, v74, v26
	v_add_co_ci_u32_e64 v29, null, v75, v27, vcc_lo
	global_load_ushort v28, v[28:29], off
	s_waitcnt vmcnt(0)
	v_mul_f16_e32 v28, v42, v28
	s_branch .LBB297_38
.LBB297_37:
	v_mov_b32_e32 v28, 0
.LBB297_38:
	v_pk_max_f16 v29, v22, v22
	v_pk_max_f16 v30, v18, v18
	v_pk_max_f16 v31, v23, v23
	v_pk_max_f16 v32, v19, v19
	v_add_co_u32 v26, vcc_lo, v72, v26
	v_pk_min_f16 v29, v30, v29
	v_add_co_ci_u32_e64 v27, null, v73, v27, vcc_lo
	v_pk_min_f16 v30, v32, v31
	v_pk_add_f16 v29, v71, v29
	v_pk_add_f16 v29, v29, v30
	v_add_f16_sdwa v29, v29, v29 dst_sel:DWORD dst_unused:UNUSED_PAD src0_sel:DWORD src1_sel:WORD_1
	v_add_f16_e32 v28, v29, v28
	global_store_short v[26:27], v28, off
.LBB297_39:
	s_or_b32 exec_lo, exec_lo, s2
	v_add_nc_u32_e32 v26, 8, v0
	v_cmp_gt_i32_e64 s0, s12, v26
	v_ashrrev_i32_e32 v27, 31, v26
	s_and_b32 s3, s0, s8
	s_and_saveexec_b32 s2, s3
	s_cbranch_execz .LBB297_44
; %bb.40:
	v_cmp_ne_u32_e32 vcc_lo, 1, v60
	v_lshlrev_b64 v[28:29], 1, v[26:27]
	s_cbranch_vccnz .LBB297_42
; %bb.41:
	v_add_co_u32 v30, vcc_lo, v74, v28
	v_add_co_ci_u32_e64 v31, null, v75, v29, vcc_lo
	global_load_ushort v30, v[30:31], off
	s_waitcnt vmcnt(0)
	v_mul_f16_e32 v30, v42, v30
	s_branch .LBB297_43
.LBB297_42:
	v_mov_b32_e32 v30, 0
.LBB297_43:
	v_pk_max_f16 v31, v22, v22
	v_pk_max_f16 v32, v20, v20
	v_pk_max_f16 v33, v23, v23
	v_pk_max_f16 v34, v21, v21
	v_add_co_u32 v28, vcc_lo, v72, v28
	v_pk_min_f16 v31, v32, v31
	v_add_co_ci_u32_e64 v29, null, v73, v29, vcc_lo
	v_pk_min_f16 v32, v34, v33
	v_pk_add_f16 v31, v70, v31
	v_pk_add_f16 v31, v31, v32
	v_add_f16_sdwa v31, v31, v31 dst_sel:DWORD dst_unused:UNUSED_PAD src0_sel:DWORD src1_sel:WORD_1
	v_add_f16_e32 v30, v31, v30
	global_store_short v[28:29], v30, off
.LBB297_44:
	s_or_b32 exec_lo, exec_lo, s2
	v_add_nc_u32_e32 v28, 16, v0
	v_cmp_gt_i32_e64 s2, s12, v28
	v_ashrrev_i32_e32 v29, 31, v28
	s_and_b32 s4, s2, s8
	s_and_saveexec_b32 s3, s4
	s_cbranch_execz .LBB297_49
; %bb.45:
	v_cmp_ne_u32_e32 vcc_lo, 1, v60
	v_lshlrev_b64 v[30:31], 1, v[28:29]
	s_cbranch_vccnz .LBB297_47
; %bb.46:
	v_add_co_u32 v32, vcc_lo, v74, v30
	v_add_co_ci_u32_e64 v33, null, v75, v31, vcc_lo
	global_load_ushort v32, v[32:33], off
	s_waitcnt vmcnt(0)
	v_mul_f16_e32 v32, v42, v32
	s_branch .LBB297_48
.LBB297_47:
	v_mov_b32_e32 v32, 0
.LBB297_48:
	v_pk_max_f16 v33, v22, v22
	v_pk_max_f16 v34, v14, v14
	v_pk_max_f16 v35, v23, v23
	v_pk_max_f16 v36, v15, v15
	v_add_co_u32 v30, vcc_lo, v72, v30
	v_pk_min_f16 v33, v34, v33
	v_add_co_ci_u32_e64 v31, null, v73, v31, vcc_lo
	v_pk_min_f16 v34, v36, v35
	v_pk_add_f16 v33, v41, v33
	v_pk_add_f16 v33, v33, v34
	v_add_f16_sdwa v33, v33, v33 dst_sel:DWORD dst_unused:UNUSED_PAD src0_sel:DWORD src1_sel:WORD_1
	v_add_f16_e32 v32, v33, v32
	global_store_short v[30:31], v32, off
.LBB297_49:
	;; [unrolled: 35-line block ×6, first 2 shown]
	s_or_b32 exec_lo, exec_lo, s7
	v_add_nc_u32_e32 v38, 56, v0
	v_cmp_gt_i32_e64 s7, s12, v38
	v_ashrrev_i32_e32 v39, 31, v38
	s_and_b32 s12, s7, s8
	s_and_saveexec_b32 s8, s12
	s_cbranch_execz .LBB297_74
; %bb.70:
	v_cmp_ne_u32_e32 vcc_lo, 1, v60
	v_lshlrev_b64 v[40:41], 1, v[38:39]
	s_cbranch_vccnz .LBB297_72
; %bb.71:
	v_add_co_u32 v70, vcc_lo, v74, v40
	v_add_co_ci_u32_e64 v71, null, v75, v41, vcc_lo
	global_load_ushort v70, v[70:71], off
	s_waitcnt vmcnt(0)
	v_mul_f16_e32 v70, v42, v70
	s_branch .LBB297_73
.LBB297_72:
	v_mov_b32_e32 v70, 0
.LBB297_73:
	v_pk_max_f16 v22, v22, v22
	v_pk_max_f16 v71, v8, v8
	;; [unrolled: 1-line block ×4, first 2 shown]
	v_pk_min_f16 v22, v71, v22
	v_pk_min_f16 v23, v74, v23
	v_pk_add_f16 v22, v68, v22
	v_pk_add_f16 v22, v22, v23
	v_add_f16_sdwa v22, v22, v22 dst_sel:DWORD dst_unused:UNUSED_PAD src0_sel:DWORD src1_sel:WORD_1
	v_add_f16_e32 v68, v22, v70
	v_add_co_u32 v22, vcc_lo, v72, v40
	v_add_co_ci_u32_e64 v23, null, v73, v41, vcc_lo
	global_store_short v[22:23], v68, off
.LBB297_74:
	s_or_b32 exec_lo, exec_lo, s8
	v_add_nc_u32_e32 v68, 32, v69
	v_mad_i64_i32 v[22:23], null, v68, s14, 0
	v_mad_i64_i32 v[40:41], null, v68, s9, 0
	v_cmp_gt_i32_e64 s8, s13, v68
	v_lshlrev_b64 v[22:23], 1, v[22:23]
	s_and_b32 s15, s1, s8
	v_lshlrev_b64 v[40:41], 1, v[40:41]
	v_add_co_u32 v68, vcc_lo, s16, v22
	v_add_co_ci_u32_e64 v70, null, s17, v23, vcc_lo
	v_add_co_u32 v40, vcc_lo, s10, v40
	v_add_co_ci_u32_e64 v41, null, s11, v41, vcc_lo
	s_and_saveexec_b32 s12, s15
	s_cbranch_execnz .LBB297_82
; %bb.75:
	s_or_b32 exec_lo, exec_lo, s12
	s_and_b32 s15, s0, s8
	s_and_saveexec_b32 s12, s15
	s_cbranch_execnz .LBB297_86
.LBB297_76:
	s_or_b32 exec_lo, exec_lo, s12
	s_and_b32 s15, s2, s8
	s_and_saveexec_b32 s12, s15
	s_cbranch_execnz .LBB297_90
.LBB297_77:
	s_or_b32 exec_lo, exec_lo, s12
	s_and_b32 s15, s3, s8
	s_and_saveexec_b32 s12, s15
	s_cbranch_execnz .LBB297_94
.LBB297_78:
	s_or_b32 exec_lo, exec_lo, s12
	s_and_b32 s15, s4, s8
	s_and_saveexec_b32 s12, s15
	s_cbranch_execnz .LBB297_98
.LBB297_79:
	s_or_b32 exec_lo, exec_lo, s12
	s_and_b32 s15, s5, s8
	s_and_saveexec_b32 s12, s15
	s_cbranch_execnz .LBB297_102
.LBB297_80:
	s_or_b32 exec_lo, exec_lo, s12
	s_and_b32 s15, s6, s8
	s_and_saveexec_b32 s12, s15
	s_cbranch_execnz .LBB297_106
.LBB297_81:
	s_or_b32 exec_lo, exec_lo, s12
	s_and_b32 s12, s7, s8
	s_and_saveexec_b32 s8, s12
	s_cbranch_execnz .LBB297_110
	s_branch .LBB297_114
.LBB297_82:
	v_cmp_ne_u32_e32 vcc_lo, 1, v60
	v_lshlrev_b64 v[22:23], 1, v[0:1]
	s_cbranch_vccnz .LBB297_84
; %bb.83:
	v_add_co_u32 v71, vcc_lo, v68, v22
	v_add_co_ci_u32_e64 v72, null, v70, v23, vcc_lo
	global_load_ushort v71, v[71:72], off
	s_waitcnt vmcnt(0)
	v_mul_f16_e32 v71, v42, v71
	s_branch .LBB297_85
.LBB297_84:
	v_mov_b32_e32 v71, 0
.LBB297_85:
	v_pk_max_f16 v72, v24, v24
	v_pk_max_f16 v73, v18, v18
	;; [unrolled: 1-line block ×4, first 2 shown]
	v_add_co_u32 v22, vcc_lo, v40, v22
	v_pk_min_f16 v72, v73, v72
	v_add_co_ci_u32_e64 v23, null, v41, v23, vcc_lo
	v_pk_min_f16 v73, v75, v74
	v_pk_add_f16 v67, v67, v72
	v_pk_add_f16 v67, v67, v73
	v_add_f16_sdwa v67, v67, v67 dst_sel:DWORD dst_unused:UNUSED_PAD src0_sel:DWORD src1_sel:WORD_1
	v_add_f16_e32 v67, v67, v71
	global_store_short v[22:23], v67, off
	s_or_b32 exec_lo, exec_lo, s12
	s_and_b32 s15, s0, s8
	s_and_saveexec_b32 s12, s15
	s_cbranch_execz .LBB297_76
.LBB297_86:
	v_cmp_ne_u32_e32 vcc_lo, 1, v60
	v_lshlrev_b64 v[22:23], 1, v[26:27]
	s_cbranch_vccnz .LBB297_88
; %bb.87:
	v_add_co_u32 v71, vcc_lo, v68, v22
	v_add_co_ci_u32_e64 v72, null, v70, v23, vcc_lo
	global_load_ushort v67, v[71:72], off
	s_waitcnt vmcnt(0)
	v_mul_f16_e32 v67, v42, v67
	s_branch .LBB297_89
.LBB297_88:
	v_mov_b32_e32 v67, 0
.LBB297_89:
	v_pk_max_f16 v71, v24, v24
	v_pk_max_f16 v72, v20, v20
	;; [unrolled: 1-line block ×4, first 2 shown]
	v_add_co_u32 v22, vcc_lo, v40, v22
	v_pk_min_f16 v71, v72, v71
	v_add_co_ci_u32_e64 v23, null, v41, v23, vcc_lo
	v_pk_min_f16 v72, v74, v73
	v_pk_add_f16 v66, v66, v71
	v_pk_add_f16 v66, v66, v72
	v_add_f16_sdwa v66, v66, v66 dst_sel:DWORD dst_unused:UNUSED_PAD src0_sel:DWORD src1_sel:WORD_1
	v_add_f16_e32 v66, v66, v67
	global_store_short v[22:23], v66, off
	s_or_b32 exec_lo, exec_lo, s12
	s_and_b32 s15, s2, s8
	s_and_saveexec_b32 s12, s15
	s_cbranch_execz .LBB297_77
.LBB297_90:
	v_cmp_ne_u32_e32 vcc_lo, 1, v60
	v_lshlrev_b64 v[22:23], 1, v[28:29]
	s_cbranch_vccnz .LBB297_92
; %bb.91:
	v_add_co_u32 v66, vcc_lo, v68, v22
	v_add_co_ci_u32_e64 v67, null, v70, v23, vcc_lo
	global_load_ushort v66, v[66:67], off
	s_waitcnt vmcnt(0)
	v_mul_f16_e32 v66, v42, v66
	s_branch .LBB297_93
.LBB297_92:
	v_mov_b32_e32 v66, 0
.LBB297_93:
	v_pk_max_f16 v67, v24, v24
	v_pk_max_f16 v71, v14, v14
	;; [unrolled: 1-line block ×4, first 2 shown]
	v_add_co_u32 v22, vcc_lo, v40, v22
	v_pk_min_f16 v67, v71, v67
	v_add_co_ci_u32_e64 v23, null, v41, v23, vcc_lo
	v_pk_min_f16 v71, v73, v72
	v_pk_add_f16 v65, v65, v67
	v_pk_add_f16 v65, v65, v71
	v_add_f16_sdwa v65, v65, v65 dst_sel:DWORD dst_unused:UNUSED_PAD src0_sel:DWORD src1_sel:WORD_1
	v_add_f16_e32 v65, v65, v66
	global_store_short v[22:23], v65, off
	s_or_b32 exec_lo, exec_lo, s12
	s_and_b32 s15, s3, s8
	s_and_saveexec_b32 s12, s15
	s_cbranch_execz .LBB297_78
.LBB297_94:
	v_cmp_ne_u32_e32 vcc_lo, 1, v60
	v_lshlrev_b64 v[22:23], 1, v[30:31]
	s_cbranch_vccnz .LBB297_96
; %bb.95:
	v_add_co_u32 v65, vcc_lo, v68, v22
	v_add_co_ci_u32_e64 v66, null, v70, v23, vcc_lo
	global_load_ushort v65, v[65:66], off
	s_waitcnt vmcnt(0)
	v_mul_f16_e32 v65, v42, v65
	s_branch .LBB297_97
.LBB297_96:
	v_mov_b32_e32 v65, 0
.LBB297_97:
	v_pk_max_f16 v66, v24, v24
	v_pk_max_f16 v67, v16, v16
	;; [unrolled: 1-line block ×4, first 2 shown]
	v_add_co_u32 v22, vcc_lo, v40, v22
	v_pk_min_f16 v66, v67, v66
	v_add_co_ci_u32_e64 v23, null, v41, v23, vcc_lo
	v_pk_min_f16 v67, v72, v71
	v_pk_add_f16 v64, v64, v66
	v_pk_add_f16 v64, v64, v67
	v_add_f16_sdwa v64, v64, v64 dst_sel:DWORD dst_unused:UNUSED_PAD src0_sel:DWORD src1_sel:WORD_1
	v_add_f16_e32 v64, v64, v65
	global_store_short v[22:23], v64, off
	s_or_b32 exec_lo, exec_lo, s12
	s_and_b32 s15, s4, s8
	s_and_saveexec_b32 s12, s15
	s_cbranch_execz .LBB297_79
.LBB297_98:
	v_cmp_ne_u32_e32 vcc_lo, 1, v60
	v_lshlrev_b64 v[22:23], 1, v[32:33]
	s_cbranch_vccnz .LBB297_100
; %bb.99:
	v_add_co_u32 v64, vcc_lo, v68, v22
	v_add_co_ci_u32_e64 v65, null, v70, v23, vcc_lo
	global_load_ushort v64, v[64:65], off
	s_waitcnt vmcnt(0)
	v_mul_f16_e32 v64, v42, v64
	s_branch .LBB297_101
.LBB297_100:
	v_mov_b32_e32 v64, 0
.LBB297_101:
	v_pk_max_f16 v65, v24, v24
	v_pk_max_f16 v66, v10, v10
	;; [unrolled: 1-line block ×4, first 2 shown]
	v_add_co_u32 v22, vcc_lo, v40, v22
	v_pk_min_f16 v65, v66, v65
	v_add_co_ci_u32_e64 v23, null, v41, v23, vcc_lo
	v_pk_min_f16 v66, v71, v67
	v_pk_add_f16 v63, v63, v65
	v_pk_add_f16 v63, v63, v66
	v_add_f16_sdwa v63, v63, v63 dst_sel:DWORD dst_unused:UNUSED_PAD src0_sel:DWORD src1_sel:WORD_1
	v_add_f16_e32 v63, v63, v64
	global_store_short v[22:23], v63, off
	s_or_b32 exec_lo, exec_lo, s12
	s_and_b32 s15, s5, s8
	s_and_saveexec_b32 s12, s15
	s_cbranch_execz .LBB297_80
.LBB297_102:
	v_cmp_ne_u32_e32 vcc_lo, 1, v60
	v_lshlrev_b64 v[22:23], 1, v[34:35]
	s_cbranch_vccnz .LBB297_104
; %bb.103:
	v_add_co_u32 v63, vcc_lo, v68, v22
	v_add_co_ci_u32_e64 v64, null, v70, v23, vcc_lo
	global_load_ushort v63, v[63:64], off
	s_waitcnt vmcnt(0)
	v_mul_f16_e32 v63, v42, v63
	s_branch .LBB297_105
.LBB297_104:
	v_mov_b32_e32 v63, 0
.LBB297_105:
	v_pk_max_f16 v64, v24, v24
	v_pk_max_f16 v65, v12, v12
	;; [unrolled: 1-line block ×4, first 2 shown]
	v_add_co_u32 v22, vcc_lo, v40, v22
	v_pk_min_f16 v64, v65, v64
	v_add_co_ci_u32_e64 v23, null, v41, v23, vcc_lo
	v_pk_min_f16 v65, v67, v66
	v_pk_add_f16 v62, v62, v64
	v_pk_add_f16 v62, v62, v65
	v_add_f16_sdwa v62, v62, v62 dst_sel:DWORD dst_unused:UNUSED_PAD src0_sel:DWORD src1_sel:WORD_1
	v_add_f16_e32 v62, v62, v63
	global_store_short v[22:23], v62, off
	s_or_b32 exec_lo, exec_lo, s12
	s_and_b32 s15, s6, s8
	s_and_saveexec_b32 s12, s15
	s_cbranch_execz .LBB297_81
.LBB297_106:
	v_cmp_ne_u32_e32 vcc_lo, 1, v60
	v_lshlrev_b64 v[22:23], 1, v[36:37]
	s_cbranch_vccnz .LBB297_108
; %bb.107:
	v_add_co_u32 v62, vcc_lo, v68, v22
	v_add_co_ci_u32_e64 v63, null, v70, v23, vcc_lo
	global_load_ushort v62, v[62:63], off
	s_waitcnt vmcnt(0)
	v_mul_f16_e32 v62, v42, v62
	s_branch .LBB297_109
.LBB297_108:
	v_mov_b32_e32 v62, 0
.LBB297_109:
	v_pk_max_f16 v63, v24, v24
	v_pk_max_f16 v64, v6, v6
	;; [unrolled: 1-line block ×4, first 2 shown]
	v_add_co_u32 v22, vcc_lo, v40, v22
	v_pk_min_f16 v63, v64, v63
	v_add_co_ci_u32_e64 v23, null, v41, v23, vcc_lo
	v_pk_min_f16 v64, v66, v65
	v_pk_add_f16 v61, v61, v63
	v_pk_add_f16 v61, v61, v64
	v_add_f16_sdwa v61, v61, v61 dst_sel:DWORD dst_unused:UNUSED_PAD src0_sel:DWORD src1_sel:WORD_1
	v_add_f16_e32 v61, v61, v62
	global_store_short v[22:23], v61, off
	s_or_b32 exec_lo, exec_lo, s12
	s_and_b32 s12, s7, s8
	s_and_saveexec_b32 s8, s12
	s_cbranch_execz .LBB297_114
.LBB297_110:
	v_cmp_ne_u32_e32 vcc_lo, 1, v60
	v_lshlrev_b64 v[22:23], 1, v[38:39]
	s_cbranch_vccnz .LBB297_112
; %bb.111:
	v_add_co_u32 v61, vcc_lo, v68, v22
	v_add_co_ci_u32_e64 v62, null, v70, v23, vcc_lo
	global_load_ushort v61, v[61:62], off
	s_waitcnt vmcnt(0)
	v_mul_f16_e32 v61, v42, v61
	s_branch .LBB297_113
.LBB297_112:
	v_mov_b32_e32 v61, 0
.LBB297_113:
	v_pk_max_f16 v24, v24, v24
	v_pk_max_f16 v62, v8, v8
	v_pk_max_f16 v25, v25, v25
	v_pk_max_f16 v63, v9, v9
	v_add_co_u32 v22, vcc_lo, v40, v22
	v_pk_min_f16 v24, v62, v24
	v_add_co_ci_u32_e64 v23, null, v41, v23, vcc_lo
	v_pk_min_f16 v25, v63, v25
	v_pk_add_f16 v24, v59, v24
	v_pk_add_f16 v24, v24, v25
	v_add_f16_sdwa v24, v24, v24 dst_sel:DWORD dst_unused:UNUSED_PAD src0_sel:DWORD src1_sel:WORD_1
	v_add_f16_e32 v24, v24, v61
	global_store_short v[22:23], v24, off
.LBB297_114:
	s_or_b32 exec_lo, exec_lo, s8
	v_add_nc_u32_e32 v40, 64, v69
	v_mad_i64_i32 v[22:23], null, v40, s14, 0
	v_mad_i64_i32 v[24:25], null, v40, s9, 0
	v_cmp_gt_i32_e64 s8, s13, v40
	v_lshlrev_b64 v[22:23], 1, v[22:23]
	s_and_b32 s15, s1, s8
	v_lshlrev_b64 v[24:25], 1, v[24:25]
	v_add_co_u32 v40, vcc_lo, s16, v22
	v_add_co_ci_u32_e64 v41, null, s17, v23, vcc_lo
	v_add_co_u32 v24, vcc_lo, s10, v24
	v_add_co_ci_u32_e64 v25, null, s11, v25, vcc_lo
	s_and_saveexec_b32 s12, s15
	s_cbranch_execnz .LBB297_122
; %bb.115:
	s_or_b32 exec_lo, exec_lo, s12
	s_and_b32 s15, s0, s8
	s_and_saveexec_b32 s12, s15
	s_cbranch_execnz .LBB297_126
.LBB297_116:
	s_or_b32 exec_lo, exec_lo, s12
	s_and_b32 s15, s2, s8
	s_and_saveexec_b32 s12, s15
	s_cbranch_execnz .LBB297_130
.LBB297_117:
	s_or_b32 exec_lo, exec_lo, s12
	s_and_b32 s15, s3, s8
	s_and_saveexec_b32 s12, s15
	s_cbranch_execnz .LBB297_134
.LBB297_118:
	s_or_b32 exec_lo, exec_lo, s12
	s_and_b32 s15, s4, s8
	s_and_saveexec_b32 s12, s15
	s_cbranch_execnz .LBB297_138
.LBB297_119:
	s_or_b32 exec_lo, exec_lo, s12
	s_and_b32 s15, s5, s8
	s_and_saveexec_b32 s12, s15
	s_cbranch_execnz .LBB297_142
.LBB297_120:
	s_or_b32 exec_lo, exec_lo, s12
	s_and_b32 s15, s6, s8
	s_and_saveexec_b32 s12, s15
	s_cbranch_execnz .LBB297_146
.LBB297_121:
	s_or_b32 exec_lo, exec_lo, s12
	s_and_b32 s12, s7, s8
	s_and_saveexec_b32 s8, s12
	s_cbranch_execnz .LBB297_150
	s_branch .LBB297_154
.LBB297_122:
	v_cmp_ne_u32_e32 vcc_lo, 1, v60
	v_lshlrev_b64 v[22:23], 1, v[0:1]
	s_cbranch_vccnz .LBB297_124
; %bb.123:
	v_add_co_u32 v61, vcc_lo, v40, v22
	v_add_co_ci_u32_e64 v62, null, v41, v23, vcc_lo
	global_load_ushort v59, v[61:62], off
	s_waitcnt vmcnt(0)
	v_mul_f16_e32 v59, v42, v59
	s_branch .LBB297_125
.LBB297_124:
	v_mov_b32_e32 v59, 0
.LBB297_125:
	v_pk_max_f16 v61, v2, v2
	v_pk_max_f16 v62, v18, v18
	v_pk_max_f16 v63, v3, v3
	v_pk_max_f16 v64, v19, v19
	v_add_co_u32 v22, vcc_lo, v24, v22
	v_pk_min_f16 v61, v62, v61
	v_add_co_ci_u32_e64 v23, null, v25, v23, vcc_lo
	v_pk_min_f16 v62, v64, v63
	v_pk_add_f16 v58, v58, v61
	v_pk_add_f16 v58, v58, v62
	v_add_f16_sdwa v58, v58, v58 dst_sel:DWORD dst_unused:UNUSED_PAD src0_sel:DWORD src1_sel:WORD_1
	v_add_f16_e32 v58, v58, v59
	global_store_short v[22:23], v58, off
	s_or_b32 exec_lo, exec_lo, s12
	s_and_b32 s15, s0, s8
	s_and_saveexec_b32 s12, s15
	s_cbranch_execz .LBB297_116
.LBB297_126:
	v_cmp_ne_u32_e32 vcc_lo, 1, v60
	v_lshlrev_b64 v[22:23], 1, v[26:27]
	s_cbranch_vccnz .LBB297_128
; %bb.127:
	v_add_co_u32 v58, vcc_lo, v40, v22
	v_add_co_ci_u32_e64 v59, null, v41, v23, vcc_lo
	global_load_ushort v58, v[58:59], off
	s_waitcnt vmcnt(0)
	v_mul_f16_e32 v58, v42, v58
	s_branch .LBB297_129
.LBB297_128:
	v_mov_b32_e32 v58, 0
.LBB297_129:
	v_pk_max_f16 v59, v2, v2
	v_pk_max_f16 v61, v20, v20
	;; [unrolled: 1-line block ×4, first 2 shown]
	v_add_co_u32 v22, vcc_lo, v24, v22
	v_pk_min_f16 v59, v61, v59
	v_add_co_ci_u32_e64 v23, null, v25, v23, vcc_lo
	v_pk_min_f16 v61, v63, v62
	v_pk_add_f16 v57, v57, v59
	v_pk_add_f16 v57, v57, v61
	v_add_f16_sdwa v57, v57, v57 dst_sel:DWORD dst_unused:UNUSED_PAD src0_sel:DWORD src1_sel:WORD_1
	v_add_f16_e32 v57, v57, v58
	global_store_short v[22:23], v57, off
	s_or_b32 exec_lo, exec_lo, s12
	s_and_b32 s15, s2, s8
	s_and_saveexec_b32 s12, s15
	s_cbranch_execz .LBB297_117
.LBB297_130:
	v_cmp_ne_u32_e32 vcc_lo, 1, v60
	v_lshlrev_b64 v[22:23], 1, v[28:29]
	s_cbranch_vccnz .LBB297_132
; %bb.131:
	v_add_co_u32 v57, vcc_lo, v40, v22
	v_add_co_ci_u32_e64 v58, null, v41, v23, vcc_lo
	global_load_ushort v57, v[57:58], off
	s_waitcnt vmcnt(0)
	v_mul_f16_e32 v57, v42, v57
	s_branch .LBB297_133
.LBB297_132:
	v_mov_b32_e32 v57, 0
.LBB297_133:
	v_pk_max_f16 v58, v2, v2
	v_pk_max_f16 v59, v14, v14
	;; [unrolled: 1-line block ×4, first 2 shown]
	v_add_co_u32 v22, vcc_lo, v24, v22
	v_pk_min_f16 v58, v59, v58
	v_add_co_ci_u32_e64 v23, null, v25, v23, vcc_lo
	v_pk_min_f16 v59, v62, v61
	v_pk_add_f16 v56, v56, v58
	v_pk_add_f16 v56, v56, v59
	v_add_f16_sdwa v56, v56, v56 dst_sel:DWORD dst_unused:UNUSED_PAD src0_sel:DWORD src1_sel:WORD_1
	v_add_f16_e32 v56, v56, v57
	global_store_short v[22:23], v56, off
	s_or_b32 exec_lo, exec_lo, s12
	s_and_b32 s15, s3, s8
	s_and_saveexec_b32 s12, s15
	s_cbranch_execz .LBB297_118
.LBB297_134:
	v_cmp_ne_u32_e32 vcc_lo, 1, v60
	v_lshlrev_b64 v[22:23], 1, v[30:31]
	s_cbranch_vccnz .LBB297_136
; %bb.135:
	v_add_co_u32 v56, vcc_lo, v40, v22
	v_add_co_ci_u32_e64 v57, null, v41, v23, vcc_lo
	global_load_ushort v56, v[56:57], off
	s_waitcnt vmcnt(0)
	v_mul_f16_e32 v56, v42, v56
	s_branch .LBB297_137
.LBB297_136:
	v_mov_b32_e32 v56, 0
.LBB297_137:
	v_pk_max_f16 v57, v2, v2
	v_pk_max_f16 v58, v16, v16
	;; [unrolled: 1-line block ×4, first 2 shown]
	v_add_co_u32 v22, vcc_lo, v24, v22
	v_pk_min_f16 v57, v58, v57
	v_add_co_ci_u32_e64 v23, null, v25, v23, vcc_lo
	v_pk_min_f16 v58, v61, v59
	v_pk_add_f16 v55, v55, v57
	v_pk_add_f16 v55, v55, v58
	v_add_f16_sdwa v55, v55, v55 dst_sel:DWORD dst_unused:UNUSED_PAD src0_sel:DWORD src1_sel:WORD_1
	v_add_f16_e32 v55, v55, v56
	global_store_short v[22:23], v55, off
	s_or_b32 exec_lo, exec_lo, s12
	s_and_b32 s15, s4, s8
	s_and_saveexec_b32 s12, s15
	s_cbranch_execz .LBB297_119
.LBB297_138:
	v_cmp_ne_u32_e32 vcc_lo, 1, v60
	v_lshlrev_b64 v[22:23], 1, v[32:33]
	s_cbranch_vccnz .LBB297_140
; %bb.139:
	v_add_co_u32 v55, vcc_lo, v40, v22
	v_add_co_ci_u32_e64 v56, null, v41, v23, vcc_lo
	global_load_ushort v55, v[55:56], off
	s_waitcnt vmcnt(0)
	v_mul_f16_e32 v55, v42, v55
	s_branch .LBB297_141
.LBB297_140:
	v_mov_b32_e32 v55, 0
.LBB297_141:
	v_pk_max_f16 v56, v2, v2
	v_pk_max_f16 v57, v10, v10
	;; [unrolled: 1-line block ×4, first 2 shown]
	v_add_co_u32 v22, vcc_lo, v24, v22
	v_pk_min_f16 v56, v57, v56
	v_add_co_ci_u32_e64 v23, null, v25, v23, vcc_lo
	v_pk_min_f16 v57, v59, v58
	v_pk_add_f16 v54, v54, v56
	v_pk_add_f16 v54, v54, v57
	v_add_f16_sdwa v54, v54, v54 dst_sel:DWORD dst_unused:UNUSED_PAD src0_sel:DWORD src1_sel:WORD_1
	v_add_f16_e32 v54, v54, v55
	global_store_short v[22:23], v54, off
	s_or_b32 exec_lo, exec_lo, s12
	s_and_b32 s15, s5, s8
	s_and_saveexec_b32 s12, s15
	s_cbranch_execz .LBB297_120
.LBB297_142:
	v_cmp_ne_u32_e32 vcc_lo, 1, v60
	v_lshlrev_b64 v[22:23], 1, v[34:35]
	s_cbranch_vccnz .LBB297_144
; %bb.143:
	v_add_co_u32 v54, vcc_lo, v40, v22
	v_add_co_ci_u32_e64 v55, null, v41, v23, vcc_lo
	global_load_ushort v54, v[54:55], off
	s_waitcnt vmcnt(0)
	v_mul_f16_e32 v54, v42, v54
	s_branch .LBB297_145
.LBB297_144:
	v_mov_b32_e32 v54, 0
.LBB297_145:
	v_pk_max_f16 v55, v2, v2
	v_pk_max_f16 v56, v12, v12
	;; [unrolled: 1-line block ×4, first 2 shown]
	v_add_co_u32 v22, vcc_lo, v24, v22
	v_pk_min_f16 v55, v56, v55
	v_add_co_ci_u32_e64 v23, null, v25, v23, vcc_lo
	v_pk_min_f16 v56, v58, v57
	v_pk_add_f16 v53, v53, v55
	v_pk_add_f16 v53, v53, v56
	v_add_f16_sdwa v53, v53, v53 dst_sel:DWORD dst_unused:UNUSED_PAD src0_sel:DWORD src1_sel:WORD_1
	v_add_f16_e32 v53, v53, v54
	global_store_short v[22:23], v53, off
	s_or_b32 exec_lo, exec_lo, s12
	s_and_b32 s15, s6, s8
	s_and_saveexec_b32 s12, s15
	s_cbranch_execz .LBB297_121
.LBB297_146:
	v_cmp_ne_u32_e32 vcc_lo, 1, v60
	v_lshlrev_b64 v[22:23], 1, v[36:37]
	s_cbranch_vccnz .LBB297_148
; %bb.147:
	v_add_co_u32 v53, vcc_lo, v40, v22
	v_add_co_ci_u32_e64 v54, null, v41, v23, vcc_lo
	global_load_ushort v53, v[53:54], off
	s_waitcnt vmcnt(0)
	v_mul_f16_e32 v53, v42, v53
	s_branch .LBB297_149
.LBB297_148:
	v_mov_b32_e32 v53, 0
.LBB297_149:
	v_pk_max_f16 v54, v2, v2
	v_pk_max_f16 v55, v6, v6
	;; [unrolled: 1-line block ×4, first 2 shown]
	v_add_co_u32 v22, vcc_lo, v24, v22
	v_pk_min_f16 v54, v55, v54
	v_add_co_ci_u32_e64 v23, null, v25, v23, vcc_lo
	v_pk_min_f16 v55, v57, v56
	v_pk_add_f16 v52, v52, v54
	v_pk_add_f16 v52, v52, v55
	v_add_f16_sdwa v52, v52, v52 dst_sel:DWORD dst_unused:UNUSED_PAD src0_sel:DWORD src1_sel:WORD_1
	v_add_f16_e32 v52, v52, v53
	global_store_short v[22:23], v52, off
	s_or_b32 exec_lo, exec_lo, s12
	s_and_b32 s12, s7, s8
	s_and_saveexec_b32 s8, s12
	s_cbranch_execz .LBB297_154
.LBB297_150:
	v_cmp_ne_u32_e32 vcc_lo, 1, v60
	v_lshlrev_b64 v[22:23], 1, v[38:39]
	s_cbranch_vccnz .LBB297_152
; %bb.151:
	v_add_co_u32 v40, vcc_lo, v40, v22
	v_add_co_ci_u32_e64 v41, null, v41, v23, vcc_lo
	global_load_ushort v40, v[40:41], off
	s_waitcnt vmcnt(0)
	v_mul_f16_e32 v40, v42, v40
	s_branch .LBB297_153
.LBB297_152:
	v_mov_b32_e32 v40, 0
.LBB297_153:
	v_pk_max_f16 v2, v2, v2
	v_pk_max_f16 v41, v8, v8
	;; [unrolled: 1-line block ×4, first 2 shown]
	v_pk_min_f16 v2, v41, v2
	v_pk_min_f16 v3, v52, v3
	v_pk_add_f16 v2, v51, v2
	v_pk_add_f16 v2, v2, v3
	v_add_f16_sdwa v2, v2, v2 dst_sel:DWORD dst_unused:UNUSED_PAD src0_sel:DWORD src1_sel:WORD_1
	v_add_f16_e32 v40, v2, v40
	v_add_co_u32 v2, vcc_lo, v24, v22
	v_add_co_ci_u32_e64 v3, null, v25, v23, vcc_lo
	global_store_short v[2:3], v40, off
.LBB297_154:
	s_or_b32 exec_lo, exec_lo, s8
	v_add_nc_u32_e32 v24, 0x60, v69
	v_mad_i64_i32 v[2:3], null, v24, s14, 0
	v_mad_i64_i32 v[22:23], null, v24, s9, 0
	v_cmp_gt_i32_e64 s8, s13, v24
	v_lshlrev_b64 v[2:3], 1, v[2:3]
	s_and_b32 s9, s1, s8
	v_lshlrev_b64 v[24:25], 1, v[22:23]
	v_add_co_u32 v22, vcc_lo, s16, v2
	v_add_co_ci_u32_e64 v23, null, s17, v3, vcc_lo
	v_add_co_u32 v2, vcc_lo, s10, v24
	v_add_co_ci_u32_e64 v3, null, s11, v25, vcc_lo
	s_and_saveexec_b32 s1, s9
	s_cbranch_execnz .LBB297_163
; %bb.155:
	s_or_b32 exec_lo, exec_lo, s1
	s_and_b32 s1, s0, s8
	s_and_saveexec_b32 s0, s1
	s_cbranch_execnz .LBB297_167
.LBB297_156:
	s_or_b32 exec_lo, exec_lo, s0
	s_and_b32 s1, s2, s8
	s_and_saveexec_b32 s0, s1
	s_cbranch_execnz .LBB297_171
.LBB297_157:
	s_or_b32 exec_lo, exec_lo, s0
	s_and_b32 s1, s3, s8
	s_and_saveexec_b32 s0, s1
	s_cbranch_execnz .LBB297_175
.LBB297_158:
	s_or_b32 exec_lo, exec_lo, s0
	s_and_b32 s1, s4, s8
	s_and_saveexec_b32 s0, s1
	s_cbranch_execnz .LBB297_179
.LBB297_159:
	s_or_b32 exec_lo, exec_lo, s0
	s_and_b32 s1, s5, s8
	s_and_saveexec_b32 s0, s1
	s_cbranch_execnz .LBB297_183
.LBB297_160:
	s_or_b32 exec_lo, exec_lo, s0
	s_and_b32 s1, s6, s8
	s_and_saveexec_b32 s0, s1
	s_cbranch_execnz .LBB297_187
.LBB297_161:
	s_or_b32 exec_lo, exec_lo, s0
	s_and_b32 s0, s7, s8
	s_and_saveexec_b32 s1, s0
	s_cbranch_execnz .LBB297_191
.LBB297_162:
	s_endpgm
.LBB297_163:
	v_cmp_ne_u32_e32 vcc_lo, 1, v60
	v_lshlrev_b64 v[0:1], 1, v[0:1]
	s_cbranch_vccnz .LBB297_165
; %bb.164:
	v_add_co_u32 v24, vcc_lo, v22, v0
	v_add_co_ci_u32_e64 v25, null, v23, v1, vcc_lo
	global_load_ushort v24, v[24:25], off
	s_waitcnt vmcnt(0)
	v_mul_f16_e32 v24, v42, v24
	s_branch .LBB297_166
.LBB297_165:
	v_mov_b32_e32 v24, 0
.LBB297_166:
	v_pk_max_f16 v25, v4, v4
	v_pk_max_f16 v18, v18, v18
	v_pk_max_f16 v40, v5, v5
	v_pk_max_f16 v19, v19, v19
	v_add_co_u32 v0, vcc_lo, v2, v0
	v_pk_min_f16 v18, v18, v25
	v_add_co_ci_u32_e64 v1, null, v3, v1, vcc_lo
	v_pk_min_f16 v19, v19, v40
	v_pk_add_f16 v18, v50, v18
	v_pk_add_f16 v18, v18, v19
	v_add_f16_sdwa v18, v18, v18 dst_sel:DWORD dst_unused:UNUSED_PAD src0_sel:DWORD src1_sel:WORD_1
	v_add_f16_e32 v18, v18, v24
	global_store_short v[0:1], v18, off
	s_or_b32 exec_lo, exec_lo, s1
	s_and_b32 s1, s0, s8
	s_and_saveexec_b32 s0, s1
	s_cbranch_execz .LBB297_156
.LBB297_167:
	v_cmp_ne_u32_e32 vcc_lo, 1, v60
	v_lshlrev_b64 v[0:1], 1, v[26:27]
	s_cbranch_vccnz .LBB297_169
; %bb.168:
	v_add_co_u32 v18, vcc_lo, v22, v0
	v_add_co_ci_u32_e64 v19, null, v23, v1, vcc_lo
	global_load_ushort v18, v[18:19], off
	s_waitcnt vmcnt(0)
	v_mul_f16_e32 v18, v42, v18
	s_branch .LBB297_170
.LBB297_169:
	v_mov_b32_e32 v18, 0
.LBB297_170:
	v_pk_max_f16 v19, v4, v4
	v_pk_max_f16 v20, v20, v20
	;; [unrolled: 1-line block ×4, first 2 shown]
	v_add_co_u32 v0, vcc_lo, v2, v0
	v_pk_min_f16 v19, v20, v19
	v_add_co_ci_u32_e64 v1, null, v3, v1, vcc_lo
	v_pk_min_f16 v20, v21, v24
	v_pk_add_f16 v19, v49, v19
	v_pk_add_f16 v19, v19, v20
	v_add_f16_sdwa v19, v19, v19 dst_sel:DWORD dst_unused:UNUSED_PAD src0_sel:DWORD src1_sel:WORD_1
	v_add_f16_e32 v18, v19, v18
	global_store_short v[0:1], v18, off
	s_or_b32 exec_lo, exec_lo, s0
	s_and_b32 s1, s2, s8
	s_and_saveexec_b32 s0, s1
	s_cbranch_execz .LBB297_157
.LBB297_171:
	v_cmp_ne_u32_e32 vcc_lo, 1, v60
	v_lshlrev_b64 v[0:1], 1, v[28:29]
	s_cbranch_vccnz .LBB297_173
; %bb.172:
	v_add_co_u32 v18, vcc_lo, v22, v0
	v_add_co_ci_u32_e64 v19, null, v23, v1, vcc_lo
	global_load_ushort v18, v[18:19], off
	s_waitcnt vmcnt(0)
	v_mul_f16_e32 v18, v42, v18
	s_branch .LBB297_174
.LBB297_173:
	v_mov_b32_e32 v18, 0
.LBB297_174:
	v_pk_max_f16 v19, v4, v4
	v_pk_max_f16 v14, v14, v14
	;; [unrolled: 1-line block ×4, first 2 shown]
	v_add_co_u32 v0, vcc_lo, v2, v0
	v_pk_min_f16 v14, v14, v19
	v_add_co_ci_u32_e64 v1, null, v3, v1, vcc_lo
	v_pk_min_f16 v15, v15, v20
	v_pk_add_f16 v14, v48, v14
	v_pk_add_f16 v14, v14, v15
	v_add_f16_sdwa v14, v14, v14 dst_sel:DWORD dst_unused:UNUSED_PAD src0_sel:DWORD src1_sel:WORD_1
	v_add_f16_e32 v14, v14, v18
	global_store_short v[0:1], v14, off
	s_or_b32 exec_lo, exec_lo, s0
	s_and_b32 s1, s3, s8
	s_and_saveexec_b32 s0, s1
	s_cbranch_execz .LBB297_158
.LBB297_175:
	v_cmp_ne_u32_e32 vcc_lo, 1, v60
	v_lshlrev_b64 v[0:1], 1, v[30:31]
	s_cbranch_vccnz .LBB297_177
; %bb.176:
	v_add_co_u32 v14, vcc_lo, v22, v0
	v_add_co_ci_u32_e64 v15, null, v23, v1, vcc_lo
	global_load_ushort v14, v[14:15], off
	s_waitcnt vmcnt(0)
	v_mul_f16_e32 v14, v42, v14
	s_branch .LBB297_178
.LBB297_177:
	v_mov_b32_e32 v14, 0
.LBB297_178:
	v_pk_max_f16 v15, v4, v4
	v_pk_max_f16 v16, v16, v16
	;; [unrolled: 1-line block ×4, first 2 shown]
	v_add_co_u32 v0, vcc_lo, v2, v0
	v_pk_min_f16 v15, v16, v15
	v_add_co_ci_u32_e64 v1, null, v3, v1, vcc_lo
	v_pk_min_f16 v16, v17, v18
	v_pk_add_f16 v15, v47, v15
	v_pk_add_f16 v15, v15, v16
	v_add_f16_sdwa v15, v15, v15 dst_sel:DWORD dst_unused:UNUSED_PAD src0_sel:DWORD src1_sel:WORD_1
	v_add_f16_e32 v14, v15, v14
	global_store_short v[0:1], v14, off
	s_or_b32 exec_lo, exec_lo, s0
	s_and_b32 s1, s4, s8
	s_and_saveexec_b32 s0, s1
	s_cbranch_execz .LBB297_159
.LBB297_179:
	v_cmp_ne_u32_e32 vcc_lo, 1, v60
	v_lshlrev_b64 v[0:1], 1, v[32:33]
	s_cbranch_vccnz .LBB297_181
; %bb.180:
	v_add_co_u32 v14, vcc_lo, v22, v0
	v_add_co_ci_u32_e64 v15, null, v23, v1, vcc_lo
	global_load_ushort v14, v[14:15], off
	s_waitcnt vmcnt(0)
	v_mul_f16_e32 v14, v42, v14
	s_branch .LBB297_182
.LBB297_181:
	v_mov_b32_e32 v14, 0
.LBB297_182:
	v_pk_max_f16 v15, v4, v4
	v_pk_max_f16 v10, v10, v10
	;; [unrolled: 1-line block ×4, first 2 shown]
	v_add_co_u32 v0, vcc_lo, v2, v0
	v_pk_min_f16 v10, v10, v15
	v_add_co_ci_u32_e64 v1, null, v3, v1, vcc_lo
	v_pk_min_f16 v11, v11, v16
	v_pk_add_f16 v10, v46, v10
	v_pk_add_f16 v10, v10, v11
	v_add_f16_sdwa v10, v10, v10 dst_sel:DWORD dst_unused:UNUSED_PAD src0_sel:DWORD src1_sel:WORD_1
	v_add_f16_e32 v10, v10, v14
	global_store_short v[0:1], v10, off
	s_or_b32 exec_lo, exec_lo, s0
	s_and_b32 s1, s5, s8
	s_and_saveexec_b32 s0, s1
	s_cbranch_execz .LBB297_160
.LBB297_183:
	v_cmp_ne_u32_e32 vcc_lo, 1, v60
	v_lshlrev_b64 v[0:1], 1, v[34:35]
	s_cbranch_vccnz .LBB297_185
; %bb.184:
	v_add_co_u32 v10, vcc_lo, v22, v0
	v_add_co_ci_u32_e64 v11, null, v23, v1, vcc_lo
	global_load_ushort v10, v[10:11], off
	s_waitcnt vmcnt(0)
	v_mul_f16_e32 v10, v42, v10
	s_branch .LBB297_186
.LBB297_185:
	v_mov_b32_e32 v10, 0
.LBB297_186:
	v_pk_max_f16 v11, v4, v4
	v_pk_max_f16 v12, v12, v12
	;; [unrolled: 1-line block ×4, first 2 shown]
	v_add_co_u32 v0, vcc_lo, v2, v0
	v_pk_min_f16 v11, v12, v11
	v_add_co_ci_u32_e64 v1, null, v3, v1, vcc_lo
	v_pk_min_f16 v12, v13, v14
	v_pk_add_f16 v11, v45, v11
	v_pk_add_f16 v11, v11, v12
	v_add_f16_sdwa v11, v11, v11 dst_sel:DWORD dst_unused:UNUSED_PAD src0_sel:DWORD src1_sel:WORD_1
	v_add_f16_e32 v10, v11, v10
	global_store_short v[0:1], v10, off
	s_or_b32 exec_lo, exec_lo, s0
	s_and_b32 s1, s6, s8
	s_and_saveexec_b32 s0, s1
	s_cbranch_execz .LBB297_161
.LBB297_187:
	v_cmp_ne_u32_e32 vcc_lo, 1, v60
	v_lshlrev_b64 v[0:1], 1, v[36:37]
	s_cbranch_vccnz .LBB297_189
; %bb.188:
	v_add_co_u32 v10, vcc_lo, v22, v0
	v_add_co_ci_u32_e64 v11, null, v23, v1, vcc_lo
	global_load_ushort v10, v[10:11], off
	s_waitcnt vmcnt(0)
	v_mul_f16_e32 v10, v42, v10
	s_branch .LBB297_190
.LBB297_189:
	v_mov_b32_e32 v10, 0
.LBB297_190:
	v_pk_max_f16 v11, v4, v4
	v_pk_max_f16 v6, v6, v6
	;; [unrolled: 1-line block ×4, first 2 shown]
	v_add_co_u32 v0, vcc_lo, v2, v0
	v_pk_min_f16 v6, v6, v11
	v_add_co_ci_u32_e64 v1, null, v3, v1, vcc_lo
	v_pk_min_f16 v7, v7, v12
	v_pk_add_f16 v6, v44, v6
	v_pk_add_f16 v6, v6, v7
	v_add_f16_sdwa v6, v6, v6 dst_sel:DWORD dst_unused:UNUSED_PAD src0_sel:DWORD src1_sel:WORD_1
	v_add_f16_e32 v6, v6, v10
	global_store_short v[0:1], v6, off
	s_or_b32 exec_lo, exec_lo, s0
	s_and_b32 s0, s7, s8
	s_and_saveexec_b32 s1, s0
	s_cbranch_execz .LBB297_162
.LBB297_191:
	v_cmp_ne_u32_e32 vcc_lo, 1, v60
	v_lshlrev_b64 v[0:1], 1, v[38:39]
	s_cbranch_vccnz .LBB297_193
; %bb.192:
	v_add_co_u32 v6, vcc_lo, v22, v0
	v_add_co_ci_u32_e64 v7, null, v23, v1, vcc_lo
	global_load_ushort v6, v[6:7], off
	s_waitcnt vmcnt(0)
	v_mul_f16_e32 v6, v42, v6
	s_branch .LBB297_194
.LBB297_193:
	v_mov_b32_e32 v6, 0
.LBB297_194:
	v_pk_max_f16 v4, v4, v4
	v_pk_max_f16 v7, v8, v8
	;; [unrolled: 1-line block ×4, first 2 shown]
	v_add_co_u32 v0, vcc_lo, v2, v0
	v_pk_min_f16 v4, v7, v4
	v_add_co_ci_u32_e64 v1, null, v3, v1, vcc_lo
	v_pk_min_f16 v5, v8, v5
	v_pk_add_f16 v4, v43, v4
	v_pk_add_f16 v4, v4, v5
	v_add_f16_sdwa v4, v4, v4 dst_sel:DWORD dst_unused:UNUSED_PAD src0_sel:DWORD src1_sel:WORD_1
	v_add_f16_e32 v4, v4, v6
	global_store_short v[0:1], v4, off
	s_endpgm
	.section	.rodata,"a",@progbits
	.p2align	6, 0x0
	.amdhsa_kernel _ZN12_GLOBAL__N_120geam_min_plus_kernelIDF16_Dv2_DF16_S1_Li8ELi32ELi64ELi128ELi4ELi64ELi4ELi64ELi4ELc78ELc84ELb0ELb1ELb0EPKDF16_S2_DF16_EEviiiT16_PT17_ilS6_ilS4_S6_ilPT18_ili26rocblas_geam_ex_operation_
		.amdhsa_group_segment_fixed_size 3072
		.amdhsa_private_segment_fixed_size 0
		.amdhsa_kernarg_size 136
		.amdhsa_user_sgpr_count 6
		.amdhsa_user_sgpr_private_segment_buffer 1
		.amdhsa_user_sgpr_dispatch_ptr 0
		.amdhsa_user_sgpr_queue_ptr 0
		.amdhsa_user_sgpr_kernarg_segment_ptr 1
		.amdhsa_user_sgpr_dispatch_id 0
		.amdhsa_user_sgpr_flat_scratch_init 0
		.amdhsa_user_sgpr_private_segment_size 0
		.amdhsa_wavefront_size32 1
		.amdhsa_uses_dynamic_stack 0
		.amdhsa_system_sgpr_private_segment_wavefront_offset 0
		.amdhsa_system_sgpr_workgroup_id_x 1
		.amdhsa_system_sgpr_workgroup_id_y 0
		.amdhsa_system_sgpr_workgroup_id_z 1
		.amdhsa_system_sgpr_workgroup_info 0
		.amdhsa_system_vgpr_workitem_id 1
		.amdhsa_next_free_vgpr 123
		.amdhsa_next_free_sgpr 28
		.amdhsa_reserve_vcc 1
		.amdhsa_reserve_flat_scratch 0
		.amdhsa_float_round_mode_32 0
		.amdhsa_float_round_mode_16_64 0
		.amdhsa_float_denorm_mode_32 3
		.amdhsa_float_denorm_mode_16_64 3
		.amdhsa_dx10_clamp 1
		.amdhsa_ieee_mode 1
		.amdhsa_fp16_overflow 0
		.amdhsa_workgroup_processor_mode 1
		.amdhsa_memory_ordered 1
		.amdhsa_forward_progress 1
		.amdhsa_shared_vgpr_count 0
		.amdhsa_exception_fp_ieee_invalid_op 0
		.amdhsa_exception_fp_denorm_src 0
		.amdhsa_exception_fp_ieee_div_zero 0
		.amdhsa_exception_fp_ieee_overflow 0
		.amdhsa_exception_fp_ieee_underflow 0
		.amdhsa_exception_fp_ieee_inexact 0
		.amdhsa_exception_int_div_zero 0
	.end_amdhsa_kernel
	.section	.text._ZN12_GLOBAL__N_120geam_min_plus_kernelIDF16_Dv2_DF16_S1_Li8ELi32ELi64ELi128ELi4ELi64ELi4ELi64ELi4ELc78ELc84ELb0ELb1ELb0EPKDF16_S2_DF16_EEviiiT16_PT17_ilS6_ilS4_S6_ilPT18_ili26rocblas_geam_ex_operation_,"axG",@progbits,_ZN12_GLOBAL__N_120geam_min_plus_kernelIDF16_Dv2_DF16_S1_Li8ELi32ELi64ELi128ELi4ELi64ELi4ELi64ELi4ELc78ELc84ELb0ELb1ELb0EPKDF16_S2_DF16_EEviiiT16_PT17_ilS6_ilS4_S6_ilPT18_ili26rocblas_geam_ex_operation_,comdat
.Lfunc_end297:
	.size	_ZN12_GLOBAL__N_120geam_min_plus_kernelIDF16_Dv2_DF16_S1_Li8ELi32ELi64ELi128ELi4ELi64ELi4ELi64ELi4ELc78ELc84ELb0ELb1ELb0EPKDF16_S2_DF16_EEviiiT16_PT17_ilS6_ilS4_S6_ilPT18_ili26rocblas_geam_ex_operation_, .Lfunc_end297-_ZN12_GLOBAL__N_120geam_min_plus_kernelIDF16_Dv2_DF16_S1_Li8ELi32ELi64ELi128ELi4ELi64ELi4ELi64ELi4ELc78ELc84ELb0ELb1ELb0EPKDF16_S2_DF16_EEviiiT16_PT17_ilS6_ilS4_S6_ilPT18_ili26rocblas_geam_ex_operation_
                                        ; -- End function
	.set _ZN12_GLOBAL__N_120geam_min_plus_kernelIDF16_Dv2_DF16_S1_Li8ELi32ELi64ELi128ELi4ELi64ELi4ELi64ELi4ELc78ELc84ELb0ELb1ELb0EPKDF16_S2_DF16_EEviiiT16_PT17_ilS6_ilS4_S6_ilPT18_ili26rocblas_geam_ex_operation_.num_vgpr, 123
	.set _ZN12_GLOBAL__N_120geam_min_plus_kernelIDF16_Dv2_DF16_S1_Li8ELi32ELi64ELi128ELi4ELi64ELi4ELi64ELi4ELc78ELc84ELb0ELb1ELb0EPKDF16_S2_DF16_EEviiiT16_PT17_ilS6_ilS4_S6_ilPT18_ili26rocblas_geam_ex_operation_.num_agpr, 0
	.set _ZN12_GLOBAL__N_120geam_min_plus_kernelIDF16_Dv2_DF16_S1_Li8ELi32ELi64ELi128ELi4ELi64ELi4ELi64ELi4ELc78ELc84ELb0ELb1ELb0EPKDF16_S2_DF16_EEviiiT16_PT17_ilS6_ilS4_S6_ilPT18_ili26rocblas_geam_ex_operation_.numbered_sgpr, 28
	.set _ZN12_GLOBAL__N_120geam_min_plus_kernelIDF16_Dv2_DF16_S1_Li8ELi32ELi64ELi128ELi4ELi64ELi4ELi64ELi4ELc78ELc84ELb0ELb1ELb0EPKDF16_S2_DF16_EEviiiT16_PT17_ilS6_ilS4_S6_ilPT18_ili26rocblas_geam_ex_operation_.num_named_barrier, 0
	.set _ZN12_GLOBAL__N_120geam_min_plus_kernelIDF16_Dv2_DF16_S1_Li8ELi32ELi64ELi128ELi4ELi64ELi4ELi64ELi4ELc78ELc84ELb0ELb1ELb0EPKDF16_S2_DF16_EEviiiT16_PT17_ilS6_ilS4_S6_ilPT18_ili26rocblas_geam_ex_operation_.private_seg_size, 0
	.set _ZN12_GLOBAL__N_120geam_min_plus_kernelIDF16_Dv2_DF16_S1_Li8ELi32ELi64ELi128ELi4ELi64ELi4ELi64ELi4ELc78ELc84ELb0ELb1ELb0EPKDF16_S2_DF16_EEviiiT16_PT17_ilS6_ilS4_S6_ilPT18_ili26rocblas_geam_ex_operation_.uses_vcc, 1
	.set _ZN12_GLOBAL__N_120geam_min_plus_kernelIDF16_Dv2_DF16_S1_Li8ELi32ELi64ELi128ELi4ELi64ELi4ELi64ELi4ELc78ELc84ELb0ELb1ELb0EPKDF16_S2_DF16_EEviiiT16_PT17_ilS6_ilS4_S6_ilPT18_ili26rocblas_geam_ex_operation_.uses_flat_scratch, 0
	.set _ZN12_GLOBAL__N_120geam_min_plus_kernelIDF16_Dv2_DF16_S1_Li8ELi32ELi64ELi128ELi4ELi64ELi4ELi64ELi4ELc78ELc84ELb0ELb1ELb0EPKDF16_S2_DF16_EEviiiT16_PT17_ilS6_ilS4_S6_ilPT18_ili26rocblas_geam_ex_operation_.has_dyn_sized_stack, 0
	.set _ZN12_GLOBAL__N_120geam_min_plus_kernelIDF16_Dv2_DF16_S1_Li8ELi32ELi64ELi128ELi4ELi64ELi4ELi64ELi4ELc78ELc84ELb0ELb1ELb0EPKDF16_S2_DF16_EEviiiT16_PT17_ilS6_ilS4_S6_ilPT18_ili26rocblas_geam_ex_operation_.has_recursion, 0
	.set _ZN12_GLOBAL__N_120geam_min_plus_kernelIDF16_Dv2_DF16_S1_Li8ELi32ELi64ELi128ELi4ELi64ELi4ELi64ELi4ELc78ELc84ELb0ELb1ELb0EPKDF16_S2_DF16_EEviiiT16_PT17_ilS6_ilS4_S6_ilPT18_ili26rocblas_geam_ex_operation_.has_indirect_call, 0
	.section	.AMDGPU.csdata,"",@progbits
; Kernel info:
; codeLenInByte = 12112
; TotalNumSgprs: 30
; NumVgprs: 123
; ScratchSize: 0
; MemoryBound: 0
; FloatMode: 240
; IeeeMode: 1
; LDSByteSize: 3072 bytes/workgroup (compile time only)
; SGPRBlocks: 0
; VGPRBlocks: 15
; NumSGPRsForWavesPerEU: 30
; NumVGPRsForWavesPerEU: 123
; Occupancy: 8
; WaveLimiterHint : 0
; COMPUTE_PGM_RSRC2:SCRATCH_EN: 0
; COMPUTE_PGM_RSRC2:USER_SGPR: 6
; COMPUTE_PGM_RSRC2:TRAP_HANDLER: 0
; COMPUTE_PGM_RSRC2:TGID_X_EN: 1
; COMPUTE_PGM_RSRC2:TGID_Y_EN: 0
; COMPUTE_PGM_RSRC2:TGID_Z_EN: 1
; COMPUTE_PGM_RSRC2:TIDIG_COMP_CNT: 1
	.section	.text._ZN12_GLOBAL__N_120geam_min_plus_kernelIDF16_Dv2_DF16_S1_Li8ELi32ELi64ELi128ELi4ELi64ELi4ELi64ELi4ELc78ELc84ELb1ELb1ELb0EDF16_KDF16_DF16_EEviiiT16_PT17_ilS5_ilS3_S5_ilPT18_ili26rocblas_geam_ex_operation_,"axG",@progbits,_ZN12_GLOBAL__N_120geam_min_plus_kernelIDF16_Dv2_DF16_S1_Li8ELi32ELi64ELi128ELi4ELi64ELi4ELi64ELi4ELc78ELc84ELb1ELb1ELb0EDF16_KDF16_DF16_EEviiiT16_PT17_ilS5_ilS3_S5_ilPT18_ili26rocblas_geam_ex_operation_,comdat
	.globl	_ZN12_GLOBAL__N_120geam_min_plus_kernelIDF16_Dv2_DF16_S1_Li8ELi32ELi64ELi128ELi4ELi64ELi4ELi64ELi4ELc78ELc84ELb1ELb1ELb0EDF16_KDF16_DF16_EEviiiT16_PT17_ilS5_ilS3_S5_ilPT18_ili26rocblas_geam_ex_operation_ ; -- Begin function _ZN12_GLOBAL__N_120geam_min_plus_kernelIDF16_Dv2_DF16_S1_Li8ELi32ELi64ELi128ELi4ELi64ELi4ELi64ELi4ELc78ELc84ELb1ELb1ELb0EDF16_KDF16_DF16_EEviiiT16_PT17_ilS5_ilS3_S5_ilPT18_ili26rocblas_geam_ex_operation_
	.p2align	8
	.type	_ZN12_GLOBAL__N_120geam_min_plus_kernelIDF16_Dv2_DF16_S1_Li8ELi32ELi64ELi128ELi4ELi64ELi4ELi64ELi4ELc78ELc84ELb1ELb1ELb0EDF16_KDF16_DF16_EEviiiT16_PT17_ilS5_ilS3_S5_ilPT18_ili26rocblas_geam_ex_operation_,@function
_ZN12_GLOBAL__N_120geam_min_plus_kernelIDF16_Dv2_DF16_S1_Li8ELi32ELi64ELi128ELi4ELi64ELi4ELi64ELi4ELc78ELc84ELb1ELb1ELb0EDF16_KDF16_DF16_EEviiiT16_PT17_ilS5_ilS3_S5_ilPT18_ili26rocblas_geam_ex_operation_: ; @_ZN12_GLOBAL__N_120geam_min_plus_kernelIDF16_Dv2_DF16_S1_Li8ELi32ELi64ELi128ELi4ELi64ELi4ELi64ELi4ELc78ELc84ELb1ELb1ELb0EDF16_KDF16_DF16_EEviiiT16_PT17_ilS5_ilS3_S5_ilPT18_ili26rocblas_geam_ex_operation_
; %bb.0:
	s_clause 0x1
	s_load_dwordx4 s[12:15], s[4:5], 0x0
	s_load_dwordx4 s[0:3], s[4:5], 0x20
	s_waitcnt lgkmcnt(0)
	v_cmp_eq_f16_e64 s8, s15, 0
	s_and_b32 vcc_lo, exec_lo, s8
	s_cbranch_vccnz .LBB298_37
; %bb.1:
	s_load_dwordx2 s[10:11], s[4:5], 0x10
	s_mul_i32 s1, s1, s7
	s_mul_hi_u32 s9, s0, s7
	s_mul_i32 s0, s0, s7
	s_add_i32 s1, s9, s1
	s_lshl_b64 s[0:1], s[0:1], 1
	s_waitcnt lgkmcnt(0)
	s_add_u32 s18, s10, s0
	s_addc_u32 s19, s11, s1
	s_andn2_b32 vcc_lo, exec_lo, s8
	s_mov_b32 s0, -1
	s_cbranch_vccnz .LBB298_3
.LBB298_2:
	s_mov_b32 s0, 0
.LBB298_3:
	s_mov_b64 s[16:17], 0
	s_andn2_b32 vcc_lo, exec_lo, s0
	s_mov_b64 s[20:21], 0
	s_cbranch_vccnz .LBB298_5
; %bb.4:
	s_load_dwordx2 s[0:1], s[4:5], 0x38
	s_waitcnt lgkmcnt(0)
	s_mul_i32 s1, s1, s7
	s_mul_hi_u32 s8, s0, s7
	s_mul_i32 s0, s0, s7
	s_add_i32 s1, s8, s1
	s_lshl_b64 s[0:1], s[0:1], 1
	s_add_u32 s20, s2, s0
	s_addc_u32 s21, s3, s1
.LBB298_5:
	s_clause 0x1
	s_load_dword s15, s[4:5], 0x40
	s_load_dwordx4 s[8:11], s[4:5], 0x58
	s_waitcnt lgkmcnt(0)
	v_cmp_eq_f16_e64 s0, s15, 0
	v_cmp_neq_f16_e64 s24, s15, 0
	s_and_b32 vcc_lo, exec_lo, s0
	s_cbranch_vccnz .LBB298_7
; %bb.6:
	s_load_dwordx2 s[0:1], s[4:5], 0x48
	s_mul_i32 s2, s9, s7
	s_mul_hi_u32 s3, s8, s7
	s_add_i32 s3, s3, s2
	s_mul_i32 s2, s8, s7
	s_lshl_b64 s[2:3], s[2:3], 1
	s_waitcnt lgkmcnt(0)
	s_add_u32 s16, s0, s2
	s_addc_u32 s17, s1, s3
.LBB298_7:
	s_add_i32 s0, s12, -1
	s_load_dword s22, s[4:5], 0x18
	s_ashr_i32 s1, s0, 31
	v_mov_b32_e32 v10, 0
	s_lshr_b32 s1, s1, 26
	v_mov_b32_e32 v11, 0
	s_add_i32 s0, s0, s1
	s_ashr_i32 s0, s0, 6
	s_add_i32 s2, s0, 1
	s_not_b32 s0, s0
	v_cvt_f32_u32_e32 v2, s2
	v_rcp_iflag_f32_e32 v2, v2
	s_waitcnt lgkmcnt(0)
	s_ashr_i32 s23, s22, 31
	v_mul_f32_e32 v2, 0x4f7ffffe, v2
	v_cvt_u32_f32_e32 v2, v2
	v_readfirstlane_b32 s1, v2
	v_lshl_add_u32 v2, v1, 3, v0
	s_mul_i32 s0, s0, s1
	v_and_b32_e32 v9, 63, v2
	s_mul_hi_u32 s0, s1, s0
	v_lshrrev_b32_e32 v34, 6, v2
	s_add_i32 s1, s1, s0
	s_mul_hi_u32 s0, s6, s1
	s_mul_i32 s1, s0, s2
	s_add_i32 s3, s0, 1
	s_sub_i32 s1, s6, s1
	s_sub_i32 s8, s1, s2
	s_cmp_ge_u32 s1, s2
	s_cselect_b32 s0, s3, s0
	s_cselect_b32 s1, s8, s1
	s_add_i32 s3, s0, 1
	s_cmp_ge_u32 s1, s2
	s_cselect_b32 s1, s3, s0
	s_mul_i32 s0, s1, s2
	v_cmp_le_i32_e64 s2, s14, v34
	s_sub_i32 s0, s6, s0
	s_lshl_b32 s6, s0, 6
	v_or_b32_e32 v2, s6, v9
	v_cmp_le_i32_e32 vcc_lo, s12, v2
	v_ashrrev_i32_e32 v3, 31, v2
	s_nor_b32 s0, s2, vcc_lo
	s_and_saveexec_b32 s3, s0
	s_cbranch_execz .LBB298_9
; %bb.8:
	v_mad_i64_i32 v[4:5], null, s22, v34, 0
	v_lshlrev_b64 v[6:7], 1, v[2:3]
	v_lshlrev_b64 v[4:5], 1, v[4:5]
	v_add_co_u32 v4, s0, s18, v4
	v_add_co_ci_u32_e64 v5, null, s19, v5, s0
	v_add_co_u32 v4, s0, v4, v6
	v_add_co_ci_u32_e64 v5, null, v5, v7, s0
	global_load_ushort v11, v[4:5], off
.LBB298_9:
	s_or_b32 exec_lo, exec_lo, s3
	s_load_dword s8, s[4:5], 0x30
	s_lshl_b32 s25, s1, 7
	v_or_b32_e32 v4, s25, v9
	v_cmp_le_i32_e64 s0, s13, v4
	s_waitcnt lgkmcnt(0)
	v_mad_i64_i32 v[5:6], null, v34, s8, 0
	s_ashr_i32 s9, s8, 31
	v_lshlrev_b64 v[5:6], 1, v[5:6]
	v_add_co_u32 v7, s1, s20, v5
	v_add_co_ci_u32_e64 v8, null, s21, v6, s1
	v_ashrrev_i32_e32 v5, 31, v4
	s_nor_b32 s1, s2, s0
	s_and_saveexec_b32 s3, s1
	s_cbranch_execz .LBB298_11
; %bb.10:
	v_lshlrev_b64 v[12:13], 1, v[4:5]
	v_add_co_u32 v12, s1, v7, v12
	v_add_co_ci_u32_e64 v13, null, v8, v13, s1
	global_load_ushort v10, v[12:13], off
.LBB298_11:
	s_or_b32 exec_lo, exec_lo, s3
	v_or_b32_e32 v6, 64, v4
	v_mov_b32_e32 v12, 0
	v_cmp_le_i32_e64 s1, s13, v6
	v_mov_b32_e32 v6, 0
	s_nor_b32 s2, s2, s1
	s_and_saveexec_b32 s3, s2
	s_cbranch_execz .LBB298_13
; %bb.12:
	v_lshlrev_b64 v[12:13], 1, v[4:5]
	v_add_co_u32 v7, s2, v7, v12
	v_add_co_ci_u32_e64 v8, null, v8, v13, s2
	global_load_ushort v12, v[7:8], off offset:128
.LBB298_13:
	s_or_b32 exec_lo, exec_lo, s3
	v_add_nc_u32_e32 v7, 4, v34
	v_cmp_le_i32_e64 s2, s14, v7
	s_nor_b32 s3, vcc_lo, s2
	s_and_saveexec_b32 s26, s3
	s_cbranch_execz .LBB298_15
; %bb.14:
	v_mad_u64_u32 v[13:14], null, s22, v7, 0
	v_mov_b32_e32 v6, v14
	v_mad_u64_u32 v[14:15], null, s23, v7, v[6:7]
	v_lshlrev_b64 v[15:16], 1, v[2:3]
	v_lshlrev_b64 v[13:14], 1, v[13:14]
	v_add_co_u32 v6, s3, s18, v13
	v_add_co_ci_u32_e64 v8, null, s19, v14, s3
	v_add_co_u32 v13, s3, v6, v15
	v_add_co_ci_u32_e64 v14, null, v8, v16, s3
	global_load_ushort v6, v[13:14], off
.LBB298_15:
	s_or_b32 exec_lo, exec_lo, s26
	v_mad_u64_u32 v[13:14], null, v7, s8, 0
	v_mov_b32_e32 v8, v14
	v_mad_u64_u32 v[7:8], null, v7, s9, v[8:9]
	v_mov_b32_e32 v8, 0
	v_mov_b32_e32 v14, v7
	v_mov_b32_e32 v7, 0
	v_lshlrev_b64 v[13:14], 1, v[13:14]
	v_add_co_u32 v13, s3, s20, v13
	v_add_co_ci_u32_e64 v14, null, s21, v14, s3
	s_nor_b32 s3, s0, s2
	s_and_saveexec_b32 s26, s3
	s_cbranch_execz .LBB298_17
; %bb.16:
	v_lshlrev_b64 v[15:16], 1, v[4:5]
	v_add_co_u32 v15, s3, v13, v15
	v_add_co_ci_u32_e64 v16, null, v14, v16, s3
	global_load_ushort v8, v[15:16], off
.LBB298_17:
	s_or_b32 exec_lo, exec_lo, s26
	s_nor_b32 s2, s1, s2
	s_and_saveexec_b32 s3, s2
	s_cbranch_execz .LBB298_19
; %bb.18:
	v_lshlrev_b64 v[15:16], 1, v[4:5]
	v_add_co_u32 v13, s2, v13, v15
	v_add_co_ci_u32_e64 v14, null, v14, v16, s2
	global_load_ushort v7, v[13:14], off offset:128
.LBB298_19:
	s_or_b32 exec_lo, exec_lo, s3
	v_lshlrev_b32_e32 v9, 3, v9
	v_lshlrev_b32_e32 v36, 3, v0
	;; [unrolled: 1-line block ×3, first 2 shown]
	s_mov_b32 s26, 0
	s_cmp_lt_i32 s14, 9
	v_lshl_add_u32 v37, v34, 1, v9
	v_add_nc_u32_e32 v29, 0x800, v36
	s_waitcnt vmcnt(0)
	ds_write_b16 v37, v11 offset:2048
	ds_write_b16 v37, v10
	ds_write_b16 v37, v12 offset:512
	s_waitcnt lgkmcnt(0)
	s_barrier
	buffer_gl0_inv
	ds_read2_b64 v[9:12], v35 offset1:32
	ds_read2_b64 v[13:16], v29 offset0:48 offset1:56
	ds_read2_b64 v[17:20], v35 offset0:64 offset1:96
	ds_read2_b64 v[21:24], v29 offset1:8
	ds_read2_b64 v[25:28], v29 offset0:16 offset1:24
	ds_read2_b64 v[29:32], v29 offset0:32 offset1:40
	ds_write_b16 v37, v6 offset:2560
	ds_write_b16 v37, v8 offset:1024
	;; [unrolled: 1-line block ×3, first 2 shown]
	s_waitcnt lgkmcnt(0)
	s_barrier
	buffer_gl0_inv
	v_pk_max_f16 v9, v9, v9
	v_pk_max_f16 v15, v15, v15
	;; [unrolled: 1-line block ×6, first 2 shown]
	v_pk_min_f16 v33, v15, v9
	v_pk_max_f16 v21, v21, v21
	v_pk_max_f16 v19, v19, v19
	;; [unrolled: 1-line block ×4, first 2 shown]
	v_pk_min_f16 v38, v15, v11
	v_pk_max_f16 v27, v27, v27
	v_pk_max_f16 v29, v29, v29
	;; [unrolled: 1-line block ×5, first 2 shown]
	v_pk_add_f16 v33, v33, 0
	v_pk_min_f16 v50, v16, v10
	v_pk_min_f16 v39, v15, v17
	;; [unrolled: 1-line block ×21, first 2 shown]
	v_pk_max_f16 v18, v18, v18
	v_pk_max_f16 v20, v20, v20
	v_pk_min_f16 v29, v29, v19
	v_pk_max_f16 v22, v22, v22
	v_pk_min_f16 v56, v31, v9
	v_pk_min_f16 v59, v31, v11
	;; [unrolled: 1-line block ×9, first 2 shown]
	v_pk_add_f16 v68, v33, v50
	v_pk_add_f16 v19, v38, 0
	v_pk_min_f16 v33, v16, v12
	v_pk_max_f16 v24, v24, v24
	v_pk_add_f16 v40, v40, 0
	v_pk_min_f16 v57, v22, v10
	v_pk_min_f16 v61, v22, v12
	v_pk_add_f16 v42, v42, 0
	v_pk_min_f16 v62, v22, v18
	v_pk_add_f16 v58, v19, v33
	v_pk_add_f16 v19, v21, 0
	v_pk_min_f16 v22, v22, v20
	v_pk_add_f16 v71, v40, v57
	v_pk_add_f16 v57, v42, v62
	v_pk_add_f16 v21, v43, 0
	v_pk_add_f16 v42, v49, 0
	v_pk_add_f16 v49, v19, v22
	v_pk_min_f16 v19, v24, v10
	v_pk_add_f16 v38, v39, 0
	v_pk_min_f16 v39, v16, v18
	v_pk_add_f16 v33, v44, 0
	v_pk_add_f16 v41, v41, 0
	;; [unrolled: 1-line block ×3, first 2 shown]
	v_pk_min_f16 v19, v24, v12
	v_pk_add_f16 v50, v38, v39
	v_pk_add_f16 v38, v45, 0
	;; [unrolled: 1-line block ×5, first 2 shown]
	v_pk_min_f16 v19, v24, v18
	v_pk_add_f16 v23, v23, 0
	v_pk_add_f16 v25, v25, 0
	v_pk_min_f16 v24, v24, v20
	v_pk_add_f16 v66, v41, v61
	v_pk_add_f16 v56, v38, v19
	v_pk_max_f16 v19, v26, v26
	v_pk_max_f16 v26, v28, v28
	v_pk_add_f16 v40, v47, 0
	v_pk_add_f16 v41, v48, 0
	;; [unrolled: 1-line block ×3, first 2 shown]
	v_pk_min_f16 v28, v19, v10
	v_pk_min_f16 v33, v19, v12
	;; [unrolled: 1-line block ×4, first 2 shown]
	v_pk_add_f16 v44, v52, 0
	v_pk_add_f16 v22, v27, 0
	v_pk_add_f16 v48, v23, v24
	v_pk_min_f16 v23, v26, v12
	v_pk_add_f16 v47, v25, v19
	v_pk_min_f16 v19, v26, v10
	v_pk_min_f16 v24, v26, v18
	;; [unrolled: 1-line block ×3, first 2 shown]
	v_pk_max_f16 v26, v30, v30
	v_pk_add_f16 v39, v46, 0
	v_pk_add_f16 v27, v53, 0
	;; [unrolled: 1-line block ×9, first 2 shown]
	v_pk_min_f16 v19, v26, v10
	v_pk_min_f16 v22, v26, v12
	;; [unrolled: 1-line block ×4, first 2 shown]
	v_pk_max_f16 v25, v32, v32
	v_pk_max_f16 v14, v14, v14
	v_pk_add_f16 v52, v59, 0
	v_pk_add_f16 v59, v60, 0
	;; [unrolled: 1-line block ×13, first 2 shown]
	v_pk_min_f16 v19, v25, v10
	v_pk_min_f16 v21, v25, v12
	;; [unrolled: 1-line block ×9, first 2 shown]
	v_pk_add_f16 v64, v40, v33
	v_pk_add_f16 v38, v29, v19
	;; [unrolled: 1-line block ×10, first 2 shown]
	s_cbranch_scc1 .LBB298_34
; %bb.20:
	v_add_nc_u32_e32 v6, v35, v0
	v_lshlrev_b64 v[2:3], 1, v[2:3]
	v_or_b32_e32 v59, 0x800, v37
	v_or_b32_e32 v67, 0x800, v36
	v_add_nc_u32_e32 v72, 0xa00, v37
	v_lshrrev_b32_e32 v6, 6, v6
	v_or_b32_e32 v73, 0x400, v37
	v_add_co_u32 v74, s2, s18, v2
	v_add_co_ci_u32_e64 v75, null, s19, v3, s2
	v_add_nc_u32_e32 v8, 12, v6
	v_add_nc_u32_e32 v12, 8, v6
	v_lshlrev_b64 v[2:3], 1, v[4:5]
	v_lshl_add_u32 v76, v0, 3, 0xa00
	v_add_nc_u32_e32 v77, 0x400, v35
	v_mad_i64_i32 v[6:7], null, v8, s8, 0
	v_mad_i64_i32 v[8:9], null, v8, s22, 0
	;; [unrolled: 1-line block ×4, first 2 shown]
	v_add_co_u32 v78, s2, s20, v2
	v_lshlrev_b64 v[26:27], 1, v[6:7]
	v_lshlrev_b64 v[28:29], 1, v[8:9]
	v_lshlrev_b64 v[30:31], 1, v[10:11]
	v_add_co_ci_u32_e64 v79, null, s21, v3, s2
	v_lshlrev_b64 v[32:33], 1, v[12:13]
	s_add_i32 s20, s14, -8
	s_lshl_b64 s[8:9], s[8:9], 4
	s_lshl_b64 s[18:19], s[22:23], 4
	s_branch .LBB298_22
.LBB298_21:                             ;   in Loop: Header=BB298_22 Depth=1
	s_or_b32 exec_lo, exec_lo, s3
	v_pk_max_f16 v4, v4, v4
	v_pk_max_f16 v22, v22, v22
	;; [unrolled: 1-line block ×7, first 2 shown]
	v_pk_min_f16 v83, v4, v22
	v_pk_min_f16 v84, v4, v24
	;; [unrolled: 1-line block ×3, first 2 shown]
	v_pk_max_f16 v20, v20, v20
	v_pk_max_f16 v12, v12, v12
	v_pk_min_f16 v92, v10, v22
	v_pk_min_f16 v93, v10, v24
	;; [unrolled: 1-line block ×4, first 2 shown]
	v_pk_max_f16 v6, v6, v6
	v_pk_max_f16 v23, v23, v23
	;; [unrolled: 1-line block ×15, first 2 shown]
	v_pk_min_f16 v86, v18, v22
	v_pk_min_f16 v87, v18, v24
	;; [unrolled: 1-line block ×55, first 2 shown]
	v_pk_add_f16 v3, v68, v83
	v_pk_add_f16 v5, v58, v84
	v_pk_add_f16 v15, v50, v85
	v_pk_add_f16 v10, v47, v10
	v_pk_min_f16 v19, v19, v17
	v_pk_min_f16 v21, v21, v17
	v_pk_add_f16 v17, v71, v86
	v_pk_add_f16 v20, v48, v20
	;; [unrolled: 1-line block ×15, first 2 shown]
	ds_read2_b64 v[2:5], v67 offset0:48 offset1:56
	ds_read2_b64 v[6:9], v35 offset1:32
	v_pk_add_f16 v69, v10, v11
	ds_read2_b64 v[10:13], v35 offset0:64 offset1:96
	v_pk_add_f16 v58, v65, v90
	v_pk_add_f16 v65, v17, v16
	ds_read2_b64 v[14:17], v67 offset1:8
	v_pk_add_f16 v18, v49, v18
	v_pk_add_f16 v50, v66, v87
	;; [unrolled: 1-line block ×8, first 2 shown]
	ds_read2_b64 v[18:21], v67 offset0:16 offset1:24
	v_pk_add_f16 v50, v50, v104
	v_pk_add_f16 v57, v57, v105
	;; [unrolled: 1-line block ×4, first 2 shown]
	s_waitcnt lgkmcnt(4)
	v_pk_max_f16 v4, v4, v4
	s_waitcnt lgkmcnt(3)
	v_pk_max_f16 v6, v6, v6
	v_pk_max_f16 v8, v8, v8
	s_waitcnt lgkmcnt(2)
	v_pk_max_f16 v10, v10, v10
	v_pk_add_f16 v64, v64, v93
	v_pk_add_f16 v56, v56, v108
	v_pk_min_f16 v22, v4, v6
	v_pk_min_f16 v23, v4, v8
	;; [unrolled: 1-line block ×3, first 2 shown]
	s_waitcnt lgkmcnt(1)
	v_pk_max_f16 v14, v14, v14
	v_pk_max_f16 v16, v16, v16
	v_pk_add_f16 v51, v51, v22
	v_pk_add_f16 v60, v60, v23
	v_pk_add_f16 v63, v63, v24
	v_pk_min_f16 v22, v14, v6
	v_pk_min_f16 v23, v14, v8
	;; [unrolled: 1-line block ×3, first 2 shown]
	s_waitcnt lgkmcnt(0)
	v_pk_max_f16 v18, v18, v18
	v_pk_add_f16 v48, v48, v109
	v_pk_add_f16 v65, v65, v22
	;; [unrolled: 1-line block ×4, first 2 shown]
	ds_read2_b64 v[22:25], v67 offset0:32 offset1:40
	v_pk_min_f16 v50, v16, v6
	v_pk_min_f16 v84, v16, v10
	v_pk_max_f16 v20, v20, v20
	v_pk_add_f16 v39, v39, v98
	v_pk_add_f16 v64, v64, v110
	;; [unrolled: 1-line block ×3, first 2 shown]
	v_pk_min_f16 v49, v18, v6
	v_pk_add_f16 v47, v47, v113
	v_pk_max_f16 v12, v12, v12
	v_pk_add_f16 v56, v56, v84
	v_pk_min_f16 v50, v18, v8
	v_pk_add_f16 v84, v48, v49
	v_pk_min_f16 v49, v20, v8
	v_pk_add_f16 v41, v41, v95
	v_pk_add_f16 v62, v62, v99
	;; [unrolled: 1-line block ×4, first 2 shown]
	v_pk_min_f16 v14, v14, v12
	v_pk_add_f16 v64, v64, v50
	s_waitcnt lgkmcnt(0)
	v_pk_max_f16 v22, v22, v22
	v_pk_min_f16 v48, v20, v6
	v_pk_min_f16 v50, v20, v10
	;; [unrolled: 1-line block ×3, first 2 shown]
	v_pk_add_f16 v87, v47, v49
	v_pk_min_f16 v47, v22, v6
	v_pk_add_f16 v58, v58, v107
	v_pk_add_f16 v41, v41, v112
	;; [unrolled: 1-line block ×5, first 2 shown]
	v_pk_min_f16 v66, v16, v8
	v_pk_add_f16 v20, v46, v20
	v_pk_min_f16 v46, v22, v8
	v_pk_max_f16 v24, v24, v24
	v_pk_add_f16 v39, v39, v47
	v_pk_min_f16 v47, v22, v10
	v_pk_min_f16 v22, v22, v12
	v_pk_max_f16 v2, v2, v2
	v_pk_max_f16 v5, v5, v5
	;; [unrolled: 1-line block ×3, first 2 shown]
	v_pk_add_f16 v55, v55, v94
	v_pk_add_f16 v54, v54, v97
	;; [unrolled: 1-line block ×4, first 2 shown]
	v_pk_min_f16 v16, v16, v12
	v_pk_add_f16 v86, v58, v66
	v_pk_min_f16 v58, v18, v10
	v_pk_min_f16 v18, v18, v12
	v_pk_add_f16 v41, v41, v48
	v_pk_add_f16 v62, v62, v46
	v_pk_min_f16 v46, v24, v6
	v_pk_min_f16 v48, v24, v8
	v_pk_add_f16 v22, v45, v22
	v_pk_min_f16 v45, v24, v10
	v_pk_min_f16 v24, v24, v12
	;; [unrolled: 1-line block ×6, first 2 shown]
	v_pk_max_f16 v9, v9, v9
	v_pk_min_f16 v4, v4, v12
	v_pk_max_f16 v11, v11, v11
	v_pk_min_f16 v12, v5, v7
	v_pk_add_f16 v55, v55, v111
	v_pk_add_f16 v54, v54, v114
	;; [unrolled: 1-line block ×4, first 2 shown]
	v_pk_min_f16 v40, v5, v9
	v_pk_add_f16 v4, v42, v4
	v_pk_min_f16 v42, v5, v11
	v_pk_max_f16 v15, v15, v15
	v_pk_add_f16 v68, v51, v12
	v_pk_max_f16 v12, v13, v13
	v_pk_add_f16 v61, v61, v102
	v_pk_add_f16 v55, v55, v58
	v_pk_add_f16 v54, v54, v50
	v_pk_add_f16 v58, v60, v40
	v_pk_add_f16 v50, v63, v42
	v_pk_min_f16 v13, v15, v7
	v_pk_min_f16 v40, v15, v9
	v_pk_min_f16 v42, v15, v11
	v_pk_min_f16 v15, v15, v12
	v_pk_max_f16 v17, v17, v17
	v_pk_add_f16 v53, v53, v100
	v_pk_add_f16 v61, v61, v121
	;; [unrolled: 1-line block ×5, first 2 shown]
	v_pk_min_f16 v13, v17, v7
	v_pk_min_f16 v14, v17, v9
	;; [unrolled: 1-line block ×4, first 2 shown]
	v_pk_max_f16 v19, v19, v19
	v_pk_add_f16 v38, v38, v101
	v_pk_add_f16 v53, v53, v118
	;; [unrolled: 1-line block ×9, first 2 shown]
	v_pk_min_f16 v13, v19, v7
	v_pk_min_f16 v14, v19, v9
	;; [unrolled: 1-line block ×4, first 2 shown]
	v_pk_max_f16 v17, v21, v21
	v_pk_add_f16 v52, v52, v103
	v_pk_add_f16 v38, v38, v120
	;; [unrolled: 1-line block ×7, first 2 shown]
	v_pk_min_f16 v13, v17, v7
	v_pk_min_f16 v14, v17, v9
	;; [unrolled: 1-line block ×4, first 2 shown]
	v_pk_max_f16 v17, v23, v23
	v_pk_add_f16 v52, v52, v122
	v_pk_add_f16 v44, v44, v123
	;; [unrolled: 1-line block ×8, first 2 shown]
	v_pk_min_f16 v13, v17, v7
	v_pk_min_f16 v14, v17, v9
	;; [unrolled: 1-line block ×4, first 2 shown]
	v_pk_max_f16 v17, v25, v25
	v_pk_max_f16 v3, v3, v3
	v_pk_add_f16 v52, v52, v45
	v_pk_add_f16 v24, v44, v24
	;; [unrolled: 1-line block ×7, first 2 shown]
	v_pk_min_f16 v13, v17, v7
	v_pk_min_f16 v14, v17, v9
	;; [unrolled: 1-line block ×9, first 2 shown]
	v_add_co_u32 v78, s2, v78, s8
	v_add_co_ci_u32_e64 v79, null, s9, v79, s2
	v_add_co_u32 v74, s2, v74, s18
	v_pk_add_f16 v66, v83, v40
	v_pk_add_f16 v57, v57, v42
	;; [unrolled: 1-line block ×11, first 2 shown]
	v_add_co_ci_u32_e64 v75, null, s19, v75, s2
	s_add_i32 s26, s26, 8
	s_waitcnt vmcnt(0)
	ds_write_b16 v72, v80
	ds_write_b16 v73, v82
	ds_write_b16 v73, v81 offset:512
	s_cmp_ge_i32 s26, s20
	s_waitcnt lgkmcnt(0)
	s_barrier
	buffer_gl0_inv
	s_cbranch_scc1 .LBB298_34
.LBB298_22:                             ; =>This Inner Loop Header: Depth=1
	v_add_nc_u32_e32 v81, s26, v34
	v_mov_b32_e32 v82, 0
	v_mov_b32_e32 v83, 0
	v_add_nc_u32_e32 v2, 8, v81
	v_cmp_le_i32_e64 s2, s14, v2
	s_nor_b32 s3, vcc_lo, s2
	s_and_saveexec_b32 s21, s3
	s_cbranch_execz .LBB298_24
; %bb.23:                               ;   in Loop: Header=BB298_22 Depth=1
	v_add_co_u32 v2, s3, v74, v30
	v_add_co_ci_u32_e64 v3, null, v75, v31, s3
	global_load_ushort v83, v[2:3], off
.LBB298_24:                             ;   in Loop: Header=BB298_22 Depth=1
	s_or_b32 exec_lo, exec_lo, s21
	s_nor_b32 s3, s0, s2
	s_and_saveexec_b32 s21, s3
	s_cbranch_execz .LBB298_26
; %bb.25:                               ;   in Loop: Header=BB298_22 Depth=1
	v_add_co_u32 v2, s3, v78, v32
	v_add_co_ci_u32_e64 v3, null, v79, v33, s3
	global_load_ushort v82, v[2:3], off
.LBB298_26:                             ;   in Loop: Header=BB298_22 Depth=1
	s_or_b32 exec_lo, exec_lo, s21
	v_mov_b32_e32 v80, 0
	v_mov_b32_e32 v84, 0
	s_nor_b32 s2, s1, s2
	s_and_saveexec_b32 s3, s2
	s_cbranch_execz .LBB298_28
; %bb.27:                               ;   in Loop: Header=BB298_22 Depth=1
	v_add_co_u32 v2, s2, v78, v32
	v_add_co_ci_u32_e64 v3, null, v79, v33, s2
	global_load_ushort v84, v[2:3], off offset:128
.LBB298_28:                             ;   in Loop: Header=BB298_22 Depth=1
	s_or_b32 exec_lo, exec_lo, s3
	ds_read2_b64 v[2:5], v76 offset0:48 offset1:56
	ds_read2_b64 v[14:17], v77 offset0:64 offset1:96
	ds_read2_b64 v[22:25], v77 offset1:32
	ds_read2_b64 v[18:21], v76 offset1:8
	ds_read2_b64 v[10:13], v76 offset0:16 offset1:24
	ds_read2_b64 v[6:9], v76 offset0:32 offset1:40
	v_add_nc_u32_e32 v81, 12, v81
	s_waitcnt vmcnt(0)
	ds_write_b16 v59, v83
	ds_write_b16 v37, v82
	ds_write_b16 v37, v84 offset:512
	s_waitcnt lgkmcnt(0)
	s_barrier
	v_cmp_le_i32_e64 s2, s14, v81
	buffer_gl0_inv
	s_nor_b32 s3, vcc_lo, s2
	s_and_saveexec_b32 s21, s3
	s_xor_b32 s21, exec_lo, s21
	s_cbranch_execz .LBB298_30
; %bb.29:                               ;   in Loop: Header=BB298_22 Depth=1
	v_add_co_u32 v80, s3, v74, v28
	v_add_co_ci_u32_e64 v81, null, v75, v29, s3
	global_load_ushort v80, v[80:81], off
.LBB298_30:                             ;   in Loop: Header=BB298_22 Depth=1
	s_or_b32 exec_lo, exec_lo, s21
	v_mov_b32_e32 v81, 0
	v_mov_b32_e32 v82, 0
	s_nor_b32 s3, s0, s2
	s_and_saveexec_b32 s21, s3
	s_cbranch_execz .LBB298_32
; %bb.31:                               ;   in Loop: Header=BB298_22 Depth=1
	v_add_co_u32 v82, s3, v78, v26
	v_add_co_ci_u32_e64 v83, null, v79, v27, s3
	global_load_ushort v82, v[82:83], off
.LBB298_32:                             ;   in Loop: Header=BB298_22 Depth=1
	s_or_b32 exec_lo, exec_lo, s21
	s_nor_b32 s2, s1, s2
	s_and_saveexec_b32 s3, s2
	s_cbranch_execz .LBB298_21
; %bb.33:                               ;   in Loop: Header=BB298_22 Depth=1
	v_add_co_u32 v83, s2, v78, v26
	v_add_co_ci_u32_e64 v84, null, v79, v27, s2
	global_load_ushort v81, v[83:84], off offset:128
	s_branch .LBB298_21
.LBB298_34:
	s_clause 0x2
	s_load_dwordx2 s[0:1], s[4:5], 0x70
	s_load_dword s14, s[4:5], 0x50
	s_load_dword s9, s[4:5], 0x68
	v_add_nc_u32_e32 v67, s25, v1
	v_add_nc_u32_e32 v10, 0x800, v36
	ds_read2_b64 v[2:5], v35 offset0:192 offset1:224
	ds_read2_b64 v[22:25], v35 offset0:128 offset1:160
	v_add_nc_u32_e32 v0, s6, v0
	ds_read2_b64 v[6:9], v10 offset0:112 offset1:120
	ds_read2_b64 v[18:21], v10 offset0:64 offset1:72
	;; [unrolled: 1-line block ×4, first 2 shown]
	v_cmp_gt_i32_e64 s8, s13, v67
	v_ashrrev_i32_e32 v1, 31, v0
	v_cndmask_b32_e64 v59, 0, 1, s24
	s_waitcnt lgkmcnt(0)
	s_mul_i32 s1, s1, s7
	v_mad_i64_i32 v[26:27], null, v67, s14, 0
	v_mad_i64_i32 v[28:29], null, v67, s9, 0
	s_mul_hi_u32 s2, s0, s7
	s_mul_i32 s0, s0, s7
	s_add_i32 s1, s2, s1
	s_lshl_b64 s[2:3], s[0:1], 1
	v_lshlrev_b64 v[26:27], 1, v[26:27]
	v_lshlrev_b64 v[28:29], 1, v[28:29]
	s_add_u32 s10, s10, s2
	v_cmp_gt_i32_e64 s0, s12, v0
	s_addc_u32 s11, s11, s3
	v_add_co_u32 v74, vcc_lo, s16, v26
	v_add_co_ci_u32_e64 v75, null, s17, v27, vcc_lo
	v_add_co_u32 v72, vcc_lo, s10, v28
	v_add_co_ci_u32_e64 v73, null, s11, v29, vcc_lo
	s_and_b32 s1, s0, s8
	s_and_saveexec_b32 s2, s1
	s_xor_b32 s1, exec_lo, s2
	s_cbranch_execz .LBB298_40
; %bb.35:
	v_lshlrev_b64 v[26:27], 1, v[0:1]
	s_andn2_b32 vcc_lo, exec_lo, s24
	s_cbranch_vccnz .LBB298_38
; %bb.36:
	v_add_co_u32 v28, vcc_lo, v74, v26
	v_add_co_ci_u32_e64 v29, null, v75, v27, vcc_lo
	global_load_ushort v28, v[28:29], off
	s_waitcnt vmcnt(0)
	v_mul_f16_e32 v28, s15, v28
	s_branch .LBB298_39
.LBB298_37:
	s_mov_b64 s[18:19], 0
	s_andn2_b32 vcc_lo, exec_lo, s8
	s_mov_b32 s0, -1
	s_cbranch_vccz .LBB298_2
	s_branch .LBB298_3
.LBB298_38:
	v_mov_b32_e32 v28, 0
.LBB298_39:
	v_pk_max_f16 v29, v22, v22
	v_pk_max_f16 v30, v18, v18
	;; [unrolled: 1-line block ×4, first 2 shown]
	v_add_co_u32 v26, vcc_lo, v72, v26
	v_pk_min_f16 v29, v30, v29
	v_add_co_ci_u32_e64 v27, null, v73, v27, vcc_lo
	v_pk_min_f16 v30, v32, v31
	v_pk_add_f16 v29, v71, v29
	v_pk_add_f16 v29, v29, v30
	v_add_f16_sdwa v29, v29, v29 dst_sel:DWORD dst_unused:UNUSED_PAD src0_sel:DWORD src1_sel:WORD_1
	v_add_f16_e32 v28, v29, v28
	global_store_short v[26:27], v28, off
.LBB298_40:
	s_or_b32 exec_lo, exec_lo, s1
	v_add_nc_u32_e32 v26, 8, v0
	v_cmp_gt_i32_e64 s1, s12, v26
	v_ashrrev_i32_e32 v27, 31, v26
	s_and_b32 s3, s1, s8
	s_and_saveexec_b32 s2, s3
	s_cbranch_execz .LBB298_45
; %bb.41:
	v_cmp_ne_u32_e32 vcc_lo, 1, v59
	v_lshlrev_b64 v[28:29], 1, v[26:27]
	s_cbranch_vccnz .LBB298_43
; %bb.42:
	v_add_co_u32 v30, vcc_lo, v74, v28
	v_add_co_ci_u32_e64 v31, null, v75, v29, vcc_lo
	global_load_ushort v30, v[30:31], off
	s_waitcnt vmcnt(0)
	v_mul_f16_e32 v30, s15, v30
	s_branch .LBB298_44
.LBB298_43:
	v_mov_b32_e32 v30, 0
.LBB298_44:
	v_pk_max_f16 v31, v22, v22
	v_pk_max_f16 v32, v20, v20
	v_pk_max_f16 v33, v23, v23
	v_pk_max_f16 v34, v21, v21
	v_add_co_u32 v28, vcc_lo, v72, v28
	v_pk_min_f16 v31, v32, v31
	v_add_co_ci_u32_e64 v29, null, v73, v29, vcc_lo
	v_pk_min_f16 v32, v34, v33
	v_pk_add_f16 v31, v70, v31
	v_pk_add_f16 v31, v31, v32
	v_add_f16_sdwa v31, v31, v31 dst_sel:DWORD dst_unused:UNUSED_PAD src0_sel:DWORD src1_sel:WORD_1
	v_add_f16_e32 v30, v31, v30
	global_store_short v[28:29], v30, off
.LBB298_45:
	s_or_b32 exec_lo, exec_lo, s2
	v_add_nc_u32_e32 v28, 16, v0
	v_cmp_gt_i32_e64 s2, s12, v28
	v_ashrrev_i32_e32 v29, 31, v28
	s_and_b32 s4, s2, s8
	s_and_saveexec_b32 s3, s4
	s_cbranch_execz .LBB298_50
; %bb.46:
	v_cmp_ne_u32_e32 vcc_lo, 1, v59
	v_lshlrev_b64 v[30:31], 1, v[28:29]
	s_cbranch_vccnz .LBB298_48
; %bb.47:
	v_add_co_u32 v32, vcc_lo, v74, v30
	v_add_co_ci_u32_e64 v33, null, v75, v31, vcc_lo
	global_load_ushort v32, v[32:33], off
	s_waitcnt vmcnt(0)
	v_mul_f16_e32 v32, s15, v32
	s_branch .LBB298_49
.LBB298_48:
	v_mov_b32_e32 v32, 0
.LBB298_49:
	v_pk_max_f16 v33, v22, v22
	v_pk_max_f16 v34, v14, v14
	v_pk_max_f16 v35, v23, v23
	v_pk_max_f16 v36, v15, v15
	v_add_co_u32 v30, vcc_lo, v72, v30
	v_pk_min_f16 v33, v34, v33
	v_add_co_ci_u32_e64 v31, null, v73, v31, vcc_lo
	v_pk_min_f16 v34, v36, v35
	v_pk_add_f16 v33, v69, v33
	v_pk_add_f16 v33, v33, v34
	v_add_f16_sdwa v33, v33, v33 dst_sel:DWORD dst_unused:UNUSED_PAD src0_sel:DWORD src1_sel:WORD_1
	v_add_f16_e32 v32, v33, v32
	global_store_short v[30:31], v32, off
.LBB298_50:
	;; [unrolled: 35-line block ×6, first 2 shown]
	s_or_b32 exec_lo, exec_lo, s7
	v_add_nc_u32_e32 v38, 56, v0
	v_cmp_gt_i32_e64 s7, s12, v38
	v_ashrrev_i32_e32 v39, 31, v38
	s_and_b32 s12, s7, s8
	s_and_saveexec_b32 s8, s12
	s_cbranch_execz .LBB298_75
; %bb.71:
	v_cmp_ne_u32_e32 vcc_lo, 1, v59
	v_lshlrev_b64 v[40:41], 1, v[38:39]
	s_cbranch_vccnz .LBB298_73
; %bb.72:
	v_add_co_u32 v69, vcc_lo, v74, v40
	v_add_co_ci_u32_e64 v70, null, v75, v41, vcc_lo
	global_load_ushort v69, v[69:70], off
	s_waitcnt vmcnt(0)
	v_mul_f16_e32 v69, s15, v69
	s_branch .LBB298_74
.LBB298_73:
	v_mov_b32_e32 v69, 0
.LBB298_74:
	v_pk_max_f16 v22, v22, v22
	v_pk_max_f16 v70, v8, v8
	;; [unrolled: 1-line block ×4, first 2 shown]
	v_pk_min_f16 v22, v70, v22
	v_pk_min_f16 v23, v71, v23
	v_pk_add_f16 v22, v68, v22
	v_pk_add_f16 v22, v22, v23
	v_add_f16_sdwa v22, v22, v22 dst_sel:DWORD dst_unused:UNUSED_PAD src0_sel:DWORD src1_sel:WORD_1
	v_add_f16_e32 v68, v22, v69
	v_add_co_u32 v22, vcc_lo, v72, v40
	v_add_co_ci_u32_e64 v23, null, v73, v41, vcc_lo
	global_store_short v[22:23], v68, off
.LBB298_75:
	s_or_b32 exec_lo, exec_lo, s8
	v_add_nc_u32_e32 v68, 32, v67
	v_mad_i64_i32 v[22:23], null, v68, s14, 0
	v_mad_i64_i32 v[40:41], null, v68, s9, 0
	v_cmp_gt_i32_e64 s8, s13, v68
	v_lshlrev_b64 v[22:23], 1, v[22:23]
	s_and_b32 s18, s0, s8
	v_lshlrev_b64 v[40:41], 1, v[40:41]
	v_add_co_u32 v68, vcc_lo, s16, v22
	v_add_co_ci_u32_e64 v69, null, s17, v23, vcc_lo
	v_add_co_u32 v40, vcc_lo, s10, v40
	v_add_co_ci_u32_e64 v41, null, s11, v41, vcc_lo
	s_and_saveexec_b32 s12, s18
	s_cbranch_execnz .LBB298_83
; %bb.76:
	s_or_b32 exec_lo, exec_lo, s12
	s_and_b32 s18, s1, s8
	s_and_saveexec_b32 s12, s18
	s_cbranch_execnz .LBB298_87
.LBB298_77:
	s_or_b32 exec_lo, exec_lo, s12
	s_and_b32 s18, s2, s8
	s_and_saveexec_b32 s12, s18
	s_cbranch_execnz .LBB298_91
.LBB298_78:
	s_or_b32 exec_lo, exec_lo, s12
	s_and_b32 s18, s3, s8
	s_and_saveexec_b32 s12, s18
	s_cbranch_execnz .LBB298_95
.LBB298_79:
	s_or_b32 exec_lo, exec_lo, s12
	s_and_b32 s18, s4, s8
	s_and_saveexec_b32 s12, s18
	s_cbranch_execnz .LBB298_99
.LBB298_80:
	s_or_b32 exec_lo, exec_lo, s12
	s_and_b32 s18, s5, s8
	s_and_saveexec_b32 s12, s18
	s_cbranch_execnz .LBB298_103
.LBB298_81:
	s_or_b32 exec_lo, exec_lo, s12
	s_and_b32 s18, s6, s8
	s_and_saveexec_b32 s12, s18
	s_cbranch_execnz .LBB298_107
.LBB298_82:
	s_or_b32 exec_lo, exec_lo, s12
	s_and_b32 s12, s7, s8
	s_and_saveexec_b32 s8, s12
	s_cbranch_execnz .LBB298_111
	s_branch .LBB298_115
.LBB298_83:
	v_cmp_ne_u32_e32 vcc_lo, 1, v59
	v_lshlrev_b64 v[22:23], 1, v[0:1]
	s_cbranch_vccnz .LBB298_85
; %bb.84:
	v_add_co_u32 v70, vcc_lo, v68, v22
	v_add_co_ci_u32_e64 v71, null, v69, v23, vcc_lo
	global_load_ushort v70, v[70:71], off
	s_waitcnt vmcnt(0)
	v_mul_f16_e32 v70, s15, v70
	s_branch .LBB298_86
.LBB298_85:
	v_mov_b32_e32 v70, 0
.LBB298_86:
	v_pk_max_f16 v71, v24, v24
	v_pk_max_f16 v72, v18, v18
	;; [unrolled: 1-line block ×4, first 2 shown]
	v_add_co_u32 v22, vcc_lo, v40, v22
	v_pk_min_f16 v71, v72, v71
	v_add_co_ci_u32_e64 v23, null, v41, v23, vcc_lo
	v_pk_min_f16 v72, v74, v73
	v_pk_add_f16 v66, v66, v71
	v_pk_add_f16 v66, v66, v72
	v_add_f16_sdwa v66, v66, v66 dst_sel:DWORD dst_unused:UNUSED_PAD src0_sel:DWORD src1_sel:WORD_1
	v_add_f16_e32 v66, v66, v70
	global_store_short v[22:23], v66, off
	s_or_b32 exec_lo, exec_lo, s12
	s_and_b32 s18, s1, s8
	s_and_saveexec_b32 s12, s18
	s_cbranch_execz .LBB298_77
.LBB298_87:
	v_cmp_ne_u32_e32 vcc_lo, 1, v59
	v_lshlrev_b64 v[22:23], 1, v[26:27]
	s_cbranch_vccnz .LBB298_89
; %bb.88:
	v_add_co_u32 v70, vcc_lo, v68, v22
	v_add_co_ci_u32_e64 v71, null, v69, v23, vcc_lo
	global_load_ushort v66, v[70:71], off
	s_waitcnt vmcnt(0)
	v_mul_f16_e32 v66, s15, v66
	s_branch .LBB298_90
.LBB298_89:
	v_mov_b32_e32 v66, 0
.LBB298_90:
	v_pk_max_f16 v70, v24, v24
	v_pk_max_f16 v71, v20, v20
	;; [unrolled: 1-line block ×4, first 2 shown]
	v_add_co_u32 v22, vcc_lo, v40, v22
	v_pk_min_f16 v70, v71, v70
	v_add_co_ci_u32_e64 v23, null, v41, v23, vcc_lo
	v_pk_min_f16 v71, v73, v72
	v_pk_add_f16 v65, v65, v70
	v_pk_add_f16 v65, v65, v71
	v_add_f16_sdwa v65, v65, v65 dst_sel:DWORD dst_unused:UNUSED_PAD src0_sel:DWORD src1_sel:WORD_1
	v_add_f16_e32 v65, v65, v66
	global_store_short v[22:23], v65, off
	s_or_b32 exec_lo, exec_lo, s12
	s_and_b32 s18, s2, s8
	s_and_saveexec_b32 s12, s18
	s_cbranch_execz .LBB298_78
.LBB298_91:
	v_cmp_ne_u32_e32 vcc_lo, 1, v59
	v_lshlrev_b64 v[22:23], 1, v[28:29]
	s_cbranch_vccnz .LBB298_93
; %bb.92:
	v_add_co_u32 v65, vcc_lo, v68, v22
	v_add_co_ci_u32_e64 v66, null, v69, v23, vcc_lo
	global_load_ushort v65, v[65:66], off
	s_waitcnt vmcnt(0)
	v_mul_f16_e32 v65, s15, v65
	s_branch .LBB298_94
.LBB298_93:
	v_mov_b32_e32 v65, 0
.LBB298_94:
	v_pk_max_f16 v66, v24, v24
	v_pk_max_f16 v70, v14, v14
	;; [unrolled: 1-line block ×4, first 2 shown]
	v_add_co_u32 v22, vcc_lo, v40, v22
	v_pk_min_f16 v66, v70, v66
	v_add_co_ci_u32_e64 v23, null, v41, v23, vcc_lo
	v_pk_min_f16 v70, v72, v71
	v_pk_add_f16 v64, v64, v66
	v_pk_add_f16 v64, v64, v70
	v_add_f16_sdwa v64, v64, v64 dst_sel:DWORD dst_unused:UNUSED_PAD src0_sel:DWORD src1_sel:WORD_1
	v_add_f16_e32 v64, v64, v65
	global_store_short v[22:23], v64, off
	s_or_b32 exec_lo, exec_lo, s12
	s_and_b32 s18, s3, s8
	s_and_saveexec_b32 s12, s18
	s_cbranch_execz .LBB298_79
.LBB298_95:
	v_cmp_ne_u32_e32 vcc_lo, 1, v59
	v_lshlrev_b64 v[22:23], 1, v[30:31]
	s_cbranch_vccnz .LBB298_97
; %bb.96:
	v_add_co_u32 v64, vcc_lo, v68, v22
	v_add_co_ci_u32_e64 v65, null, v69, v23, vcc_lo
	global_load_ushort v64, v[64:65], off
	s_waitcnt vmcnt(0)
	v_mul_f16_e32 v64, s15, v64
	s_branch .LBB298_98
.LBB298_97:
	v_mov_b32_e32 v64, 0
.LBB298_98:
	v_pk_max_f16 v65, v24, v24
	v_pk_max_f16 v66, v16, v16
	;; [unrolled: 1-line block ×4, first 2 shown]
	v_add_co_u32 v22, vcc_lo, v40, v22
	v_pk_min_f16 v65, v66, v65
	v_add_co_ci_u32_e64 v23, null, v41, v23, vcc_lo
	v_pk_min_f16 v66, v71, v70
	v_pk_add_f16 v63, v63, v65
	v_pk_add_f16 v63, v63, v66
	v_add_f16_sdwa v63, v63, v63 dst_sel:DWORD dst_unused:UNUSED_PAD src0_sel:DWORD src1_sel:WORD_1
	v_add_f16_e32 v63, v63, v64
	global_store_short v[22:23], v63, off
	s_or_b32 exec_lo, exec_lo, s12
	s_and_b32 s18, s4, s8
	s_and_saveexec_b32 s12, s18
	s_cbranch_execz .LBB298_80
.LBB298_99:
	v_cmp_ne_u32_e32 vcc_lo, 1, v59
	v_lshlrev_b64 v[22:23], 1, v[32:33]
	s_cbranch_vccnz .LBB298_101
; %bb.100:
	v_add_co_u32 v63, vcc_lo, v68, v22
	v_add_co_ci_u32_e64 v64, null, v69, v23, vcc_lo
	global_load_ushort v63, v[63:64], off
	s_waitcnt vmcnt(0)
	v_mul_f16_e32 v63, s15, v63
	s_branch .LBB298_102
.LBB298_101:
	v_mov_b32_e32 v63, 0
.LBB298_102:
	v_pk_max_f16 v64, v24, v24
	v_pk_max_f16 v65, v10, v10
	;; [unrolled: 1-line block ×4, first 2 shown]
	v_add_co_u32 v22, vcc_lo, v40, v22
	v_pk_min_f16 v64, v65, v64
	v_add_co_ci_u32_e64 v23, null, v41, v23, vcc_lo
	v_pk_min_f16 v65, v70, v66
	v_pk_add_f16 v62, v62, v64
	v_pk_add_f16 v62, v62, v65
	v_add_f16_sdwa v62, v62, v62 dst_sel:DWORD dst_unused:UNUSED_PAD src0_sel:DWORD src1_sel:WORD_1
	v_add_f16_e32 v62, v62, v63
	global_store_short v[22:23], v62, off
	s_or_b32 exec_lo, exec_lo, s12
	s_and_b32 s18, s5, s8
	s_and_saveexec_b32 s12, s18
	s_cbranch_execz .LBB298_81
.LBB298_103:
	v_cmp_ne_u32_e32 vcc_lo, 1, v59
	v_lshlrev_b64 v[22:23], 1, v[34:35]
	s_cbranch_vccnz .LBB298_105
; %bb.104:
	v_add_co_u32 v62, vcc_lo, v68, v22
	v_add_co_ci_u32_e64 v63, null, v69, v23, vcc_lo
	global_load_ushort v62, v[62:63], off
	s_waitcnt vmcnt(0)
	v_mul_f16_e32 v62, s15, v62
	s_branch .LBB298_106
.LBB298_105:
	v_mov_b32_e32 v62, 0
.LBB298_106:
	v_pk_max_f16 v63, v24, v24
	v_pk_max_f16 v64, v12, v12
	;; [unrolled: 1-line block ×4, first 2 shown]
	v_add_co_u32 v22, vcc_lo, v40, v22
	v_pk_min_f16 v63, v64, v63
	v_add_co_ci_u32_e64 v23, null, v41, v23, vcc_lo
	v_pk_min_f16 v64, v66, v65
	v_pk_add_f16 v61, v61, v63
	v_pk_add_f16 v61, v61, v64
	v_add_f16_sdwa v61, v61, v61 dst_sel:DWORD dst_unused:UNUSED_PAD src0_sel:DWORD src1_sel:WORD_1
	v_add_f16_e32 v61, v61, v62
	global_store_short v[22:23], v61, off
	s_or_b32 exec_lo, exec_lo, s12
	s_and_b32 s18, s6, s8
	s_and_saveexec_b32 s12, s18
	s_cbranch_execz .LBB298_82
.LBB298_107:
	v_cmp_ne_u32_e32 vcc_lo, 1, v59
	v_lshlrev_b64 v[22:23], 1, v[36:37]
	s_cbranch_vccnz .LBB298_109
; %bb.108:
	v_add_co_u32 v61, vcc_lo, v68, v22
	v_add_co_ci_u32_e64 v62, null, v69, v23, vcc_lo
	global_load_ushort v61, v[61:62], off
	s_waitcnt vmcnt(0)
	v_mul_f16_e32 v61, s15, v61
	s_branch .LBB298_110
.LBB298_109:
	v_mov_b32_e32 v61, 0
.LBB298_110:
	v_pk_max_f16 v62, v24, v24
	v_pk_max_f16 v63, v6, v6
	;; [unrolled: 1-line block ×4, first 2 shown]
	v_add_co_u32 v22, vcc_lo, v40, v22
	v_pk_min_f16 v62, v63, v62
	v_add_co_ci_u32_e64 v23, null, v41, v23, vcc_lo
	v_pk_min_f16 v63, v65, v64
	v_pk_add_f16 v60, v60, v62
	v_pk_add_f16 v60, v60, v63
	v_add_f16_sdwa v60, v60, v60 dst_sel:DWORD dst_unused:UNUSED_PAD src0_sel:DWORD src1_sel:WORD_1
	v_add_f16_e32 v60, v60, v61
	global_store_short v[22:23], v60, off
	s_or_b32 exec_lo, exec_lo, s12
	s_and_b32 s12, s7, s8
	s_and_saveexec_b32 s8, s12
	s_cbranch_execz .LBB298_115
.LBB298_111:
	v_cmp_ne_u32_e32 vcc_lo, 1, v59
	v_lshlrev_b64 v[22:23], 1, v[38:39]
	s_cbranch_vccnz .LBB298_113
; %bb.112:
	v_add_co_u32 v60, vcc_lo, v68, v22
	v_add_co_ci_u32_e64 v61, null, v69, v23, vcc_lo
	global_load_ushort v60, v[60:61], off
	s_waitcnt vmcnt(0)
	v_mul_f16_e32 v60, s15, v60
	s_branch .LBB298_114
.LBB298_113:
	v_mov_b32_e32 v60, 0
.LBB298_114:
	v_pk_max_f16 v24, v24, v24
	v_pk_max_f16 v61, v8, v8
	;; [unrolled: 1-line block ×4, first 2 shown]
	v_add_co_u32 v22, vcc_lo, v40, v22
	v_pk_min_f16 v24, v61, v24
	v_add_co_ci_u32_e64 v23, null, v41, v23, vcc_lo
	v_pk_min_f16 v25, v62, v25
	v_pk_add_f16 v24, v58, v24
	v_pk_add_f16 v24, v24, v25
	v_add_f16_sdwa v24, v24, v24 dst_sel:DWORD dst_unused:UNUSED_PAD src0_sel:DWORD src1_sel:WORD_1
	v_add_f16_e32 v24, v24, v60
	global_store_short v[22:23], v24, off
.LBB298_115:
	s_or_b32 exec_lo, exec_lo, s8
	v_add_nc_u32_e32 v40, 64, v67
	v_mad_i64_i32 v[22:23], null, v40, s14, 0
	v_mad_i64_i32 v[24:25], null, v40, s9, 0
	v_cmp_gt_i32_e64 s8, s13, v40
	v_lshlrev_b64 v[22:23], 1, v[22:23]
	s_and_b32 s18, s0, s8
	v_lshlrev_b64 v[24:25], 1, v[24:25]
	v_add_co_u32 v40, vcc_lo, s16, v22
	v_add_co_ci_u32_e64 v41, null, s17, v23, vcc_lo
	v_add_co_u32 v24, vcc_lo, s10, v24
	v_add_co_ci_u32_e64 v25, null, s11, v25, vcc_lo
	s_and_saveexec_b32 s12, s18
	s_cbranch_execnz .LBB298_123
; %bb.116:
	s_or_b32 exec_lo, exec_lo, s12
	s_and_b32 s18, s1, s8
	s_and_saveexec_b32 s12, s18
	s_cbranch_execnz .LBB298_127
.LBB298_117:
	s_or_b32 exec_lo, exec_lo, s12
	s_and_b32 s18, s2, s8
	s_and_saveexec_b32 s12, s18
	s_cbranch_execnz .LBB298_131
.LBB298_118:
	s_or_b32 exec_lo, exec_lo, s12
	s_and_b32 s18, s3, s8
	s_and_saveexec_b32 s12, s18
	s_cbranch_execnz .LBB298_135
.LBB298_119:
	s_or_b32 exec_lo, exec_lo, s12
	s_and_b32 s18, s4, s8
	s_and_saveexec_b32 s12, s18
	s_cbranch_execnz .LBB298_139
.LBB298_120:
	s_or_b32 exec_lo, exec_lo, s12
	s_and_b32 s18, s5, s8
	s_and_saveexec_b32 s12, s18
	s_cbranch_execnz .LBB298_143
.LBB298_121:
	s_or_b32 exec_lo, exec_lo, s12
	s_and_b32 s18, s6, s8
	s_and_saveexec_b32 s12, s18
	s_cbranch_execnz .LBB298_147
.LBB298_122:
	s_or_b32 exec_lo, exec_lo, s12
	s_and_b32 s12, s7, s8
	s_and_saveexec_b32 s8, s12
	s_cbranch_execnz .LBB298_151
	s_branch .LBB298_155
.LBB298_123:
	v_cmp_ne_u32_e32 vcc_lo, 1, v59
	v_lshlrev_b64 v[22:23], 1, v[0:1]
	s_cbranch_vccnz .LBB298_125
; %bb.124:
	v_add_co_u32 v60, vcc_lo, v40, v22
	v_add_co_ci_u32_e64 v61, null, v41, v23, vcc_lo
	global_load_ushort v58, v[60:61], off
	s_waitcnt vmcnt(0)
	v_mul_f16_e32 v58, s15, v58
	s_branch .LBB298_126
.LBB298_125:
	v_mov_b32_e32 v58, 0
.LBB298_126:
	v_pk_max_f16 v60, v2, v2
	v_pk_max_f16 v61, v18, v18
	v_pk_max_f16 v62, v3, v3
	v_pk_max_f16 v63, v19, v19
	v_add_co_u32 v22, vcc_lo, v24, v22
	v_pk_min_f16 v60, v61, v60
	v_add_co_ci_u32_e64 v23, null, v25, v23, vcc_lo
	v_pk_min_f16 v61, v63, v62
	v_pk_add_f16 v57, v57, v60
	v_pk_add_f16 v57, v57, v61
	v_add_f16_sdwa v57, v57, v57 dst_sel:DWORD dst_unused:UNUSED_PAD src0_sel:DWORD src1_sel:WORD_1
	v_add_f16_e32 v57, v57, v58
	global_store_short v[22:23], v57, off
	s_or_b32 exec_lo, exec_lo, s12
	s_and_b32 s18, s1, s8
	s_and_saveexec_b32 s12, s18
	s_cbranch_execz .LBB298_117
.LBB298_127:
	v_cmp_ne_u32_e32 vcc_lo, 1, v59
	v_lshlrev_b64 v[22:23], 1, v[26:27]
	s_cbranch_vccnz .LBB298_129
; %bb.128:
	v_add_co_u32 v57, vcc_lo, v40, v22
	v_add_co_ci_u32_e64 v58, null, v41, v23, vcc_lo
	global_load_ushort v57, v[57:58], off
	s_waitcnt vmcnt(0)
	v_mul_f16_e32 v57, s15, v57
	s_branch .LBB298_130
.LBB298_129:
	v_mov_b32_e32 v57, 0
.LBB298_130:
	v_pk_max_f16 v58, v2, v2
	v_pk_max_f16 v60, v20, v20
	;; [unrolled: 1-line block ×4, first 2 shown]
	v_add_co_u32 v22, vcc_lo, v24, v22
	v_pk_min_f16 v58, v60, v58
	v_add_co_ci_u32_e64 v23, null, v25, v23, vcc_lo
	v_pk_min_f16 v60, v62, v61
	v_pk_add_f16 v56, v56, v58
	v_pk_add_f16 v56, v56, v60
	v_add_f16_sdwa v56, v56, v56 dst_sel:DWORD dst_unused:UNUSED_PAD src0_sel:DWORD src1_sel:WORD_1
	v_add_f16_e32 v56, v56, v57
	global_store_short v[22:23], v56, off
	s_or_b32 exec_lo, exec_lo, s12
	s_and_b32 s18, s2, s8
	s_and_saveexec_b32 s12, s18
	s_cbranch_execz .LBB298_118
.LBB298_131:
	v_cmp_ne_u32_e32 vcc_lo, 1, v59
	v_lshlrev_b64 v[22:23], 1, v[28:29]
	s_cbranch_vccnz .LBB298_133
; %bb.132:
	v_add_co_u32 v56, vcc_lo, v40, v22
	v_add_co_ci_u32_e64 v57, null, v41, v23, vcc_lo
	global_load_ushort v56, v[56:57], off
	s_waitcnt vmcnt(0)
	v_mul_f16_e32 v56, s15, v56
	s_branch .LBB298_134
.LBB298_133:
	v_mov_b32_e32 v56, 0
.LBB298_134:
	v_pk_max_f16 v57, v2, v2
	v_pk_max_f16 v58, v14, v14
	v_pk_max_f16 v60, v3, v3
	v_pk_max_f16 v61, v15, v15
	v_add_co_u32 v22, vcc_lo, v24, v22
	v_pk_min_f16 v57, v58, v57
	v_add_co_ci_u32_e64 v23, null, v25, v23, vcc_lo
	v_pk_min_f16 v58, v61, v60
	v_pk_add_f16 v55, v55, v57
	v_pk_add_f16 v55, v55, v58
	v_add_f16_sdwa v55, v55, v55 dst_sel:DWORD dst_unused:UNUSED_PAD src0_sel:DWORD src1_sel:WORD_1
	v_add_f16_e32 v55, v55, v56
	global_store_short v[22:23], v55, off
	s_or_b32 exec_lo, exec_lo, s12
	s_and_b32 s18, s3, s8
	s_and_saveexec_b32 s12, s18
	s_cbranch_execz .LBB298_119
.LBB298_135:
	v_cmp_ne_u32_e32 vcc_lo, 1, v59
	v_lshlrev_b64 v[22:23], 1, v[30:31]
	s_cbranch_vccnz .LBB298_137
; %bb.136:
	v_add_co_u32 v55, vcc_lo, v40, v22
	v_add_co_ci_u32_e64 v56, null, v41, v23, vcc_lo
	global_load_ushort v55, v[55:56], off
	s_waitcnt vmcnt(0)
	v_mul_f16_e32 v55, s15, v55
	s_branch .LBB298_138
.LBB298_137:
	v_mov_b32_e32 v55, 0
.LBB298_138:
	v_pk_max_f16 v56, v2, v2
	v_pk_max_f16 v57, v16, v16
	;; [unrolled: 1-line block ×4, first 2 shown]
	v_add_co_u32 v22, vcc_lo, v24, v22
	v_pk_min_f16 v56, v57, v56
	v_add_co_ci_u32_e64 v23, null, v25, v23, vcc_lo
	v_pk_min_f16 v57, v60, v58
	v_pk_add_f16 v54, v54, v56
	v_pk_add_f16 v54, v54, v57
	v_add_f16_sdwa v54, v54, v54 dst_sel:DWORD dst_unused:UNUSED_PAD src0_sel:DWORD src1_sel:WORD_1
	v_add_f16_e32 v54, v54, v55
	global_store_short v[22:23], v54, off
	s_or_b32 exec_lo, exec_lo, s12
	s_and_b32 s18, s4, s8
	s_and_saveexec_b32 s12, s18
	s_cbranch_execz .LBB298_120
.LBB298_139:
	v_cmp_ne_u32_e32 vcc_lo, 1, v59
	v_lshlrev_b64 v[22:23], 1, v[32:33]
	s_cbranch_vccnz .LBB298_141
; %bb.140:
	v_add_co_u32 v54, vcc_lo, v40, v22
	v_add_co_ci_u32_e64 v55, null, v41, v23, vcc_lo
	global_load_ushort v54, v[54:55], off
	s_waitcnt vmcnt(0)
	v_mul_f16_e32 v54, s15, v54
	s_branch .LBB298_142
.LBB298_141:
	v_mov_b32_e32 v54, 0
.LBB298_142:
	v_pk_max_f16 v55, v2, v2
	v_pk_max_f16 v56, v10, v10
	;; [unrolled: 1-line block ×4, first 2 shown]
	v_add_co_u32 v22, vcc_lo, v24, v22
	v_pk_min_f16 v55, v56, v55
	v_add_co_ci_u32_e64 v23, null, v25, v23, vcc_lo
	v_pk_min_f16 v56, v58, v57
	v_pk_add_f16 v53, v53, v55
	v_pk_add_f16 v53, v53, v56
	v_add_f16_sdwa v53, v53, v53 dst_sel:DWORD dst_unused:UNUSED_PAD src0_sel:DWORD src1_sel:WORD_1
	v_add_f16_e32 v53, v53, v54
	global_store_short v[22:23], v53, off
	s_or_b32 exec_lo, exec_lo, s12
	s_and_b32 s18, s5, s8
	s_and_saveexec_b32 s12, s18
	s_cbranch_execz .LBB298_121
.LBB298_143:
	v_cmp_ne_u32_e32 vcc_lo, 1, v59
	v_lshlrev_b64 v[22:23], 1, v[34:35]
	s_cbranch_vccnz .LBB298_145
; %bb.144:
	v_add_co_u32 v53, vcc_lo, v40, v22
	v_add_co_ci_u32_e64 v54, null, v41, v23, vcc_lo
	global_load_ushort v53, v[53:54], off
	s_waitcnt vmcnt(0)
	v_mul_f16_e32 v53, s15, v53
	s_branch .LBB298_146
.LBB298_145:
	v_mov_b32_e32 v53, 0
.LBB298_146:
	v_pk_max_f16 v54, v2, v2
	v_pk_max_f16 v55, v12, v12
	;; [unrolled: 1-line block ×4, first 2 shown]
	v_add_co_u32 v22, vcc_lo, v24, v22
	v_pk_min_f16 v54, v55, v54
	v_add_co_ci_u32_e64 v23, null, v25, v23, vcc_lo
	v_pk_min_f16 v55, v57, v56
	v_pk_add_f16 v52, v52, v54
	v_pk_add_f16 v52, v52, v55
	v_add_f16_sdwa v52, v52, v52 dst_sel:DWORD dst_unused:UNUSED_PAD src0_sel:DWORD src1_sel:WORD_1
	v_add_f16_e32 v52, v52, v53
	global_store_short v[22:23], v52, off
	s_or_b32 exec_lo, exec_lo, s12
	s_and_b32 s18, s6, s8
	s_and_saveexec_b32 s12, s18
	s_cbranch_execz .LBB298_122
.LBB298_147:
	v_cmp_ne_u32_e32 vcc_lo, 1, v59
	v_lshlrev_b64 v[22:23], 1, v[36:37]
	s_cbranch_vccnz .LBB298_149
; %bb.148:
	v_add_co_u32 v52, vcc_lo, v40, v22
	v_add_co_ci_u32_e64 v53, null, v41, v23, vcc_lo
	global_load_ushort v52, v[52:53], off
	s_waitcnt vmcnt(0)
	v_mul_f16_e32 v52, s15, v52
	s_branch .LBB298_150
.LBB298_149:
	v_mov_b32_e32 v52, 0
.LBB298_150:
	v_pk_max_f16 v53, v2, v2
	v_pk_max_f16 v54, v6, v6
	;; [unrolled: 1-line block ×4, first 2 shown]
	v_add_co_u32 v22, vcc_lo, v24, v22
	v_pk_min_f16 v53, v54, v53
	v_add_co_ci_u32_e64 v23, null, v25, v23, vcc_lo
	v_pk_min_f16 v54, v56, v55
	v_pk_add_f16 v51, v51, v53
	v_pk_add_f16 v51, v51, v54
	v_add_f16_sdwa v51, v51, v51 dst_sel:DWORD dst_unused:UNUSED_PAD src0_sel:DWORD src1_sel:WORD_1
	v_add_f16_e32 v51, v51, v52
	global_store_short v[22:23], v51, off
	s_or_b32 exec_lo, exec_lo, s12
	s_and_b32 s12, s7, s8
	s_and_saveexec_b32 s8, s12
	s_cbranch_execz .LBB298_155
.LBB298_151:
	v_cmp_ne_u32_e32 vcc_lo, 1, v59
	v_lshlrev_b64 v[22:23], 1, v[38:39]
	s_cbranch_vccnz .LBB298_153
; %bb.152:
	v_add_co_u32 v40, vcc_lo, v40, v22
	v_add_co_ci_u32_e64 v41, null, v41, v23, vcc_lo
	global_load_ushort v40, v[40:41], off
	s_waitcnt vmcnt(0)
	v_mul_f16_e32 v40, s15, v40
	s_branch .LBB298_154
.LBB298_153:
	v_mov_b32_e32 v40, 0
.LBB298_154:
	v_pk_max_f16 v2, v2, v2
	v_pk_max_f16 v41, v8, v8
	;; [unrolled: 1-line block ×4, first 2 shown]
	v_pk_min_f16 v2, v41, v2
	v_pk_min_f16 v3, v51, v3
	v_pk_add_f16 v2, v50, v2
	v_pk_add_f16 v2, v2, v3
	v_add_f16_sdwa v2, v2, v2 dst_sel:DWORD dst_unused:UNUSED_PAD src0_sel:DWORD src1_sel:WORD_1
	v_add_f16_e32 v40, v2, v40
	v_add_co_u32 v2, vcc_lo, v24, v22
	v_add_co_ci_u32_e64 v3, null, v25, v23, vcc_lo
	global_store_short v[2:3], v40, off
.LBB298_155:
	s_or_b32 exec_lo, exec_lo, s8
	v_add_nc_u32_e32 v24, 0x60, v67
	v_mad_i64_i32 v[2:3], null, v24, s14, 0
	v_mad_i64_i32 v[22:23], null, v24, s9, 0
	v_cmp_gt_i32_e64 s8, s13, v24
	v_lshlrev_b64 v[2:3], 1, v[2:3]
	s_and_b32 s9, s0, s8
	v_lshlrev_b64 v[24:25], 1, v[22:23]
	v_add_co_u32 v22, vcc_lo, s16, v2
	v_add_co_ci_u32_e64 v23, null, s17, v3, vcc_lo
	v_add_co_u32 v2, vcc_lo, s10, v24
	v_add_co_ci_u32_e64 v3, null, s11, v25, vcc_lo
	s_and_saveexec_b32 s0, s9
	s_cbranch_execnz .LBB298_164
; %bb.156:
	s_or_b32 exec_lo, exec_lo, s0
	s_and_b32 s1, s1, s8
	s_and_saveexec_b32 s0, s1
	s_cbranch_execnz .LBB298_168
.LBB298_157:
	s_or_b32 exec_lo, exec_lo, s0
	s_and_b32 s1, s2, s8
	s_and_saveexec_b32 s0, s1
	s_cbranch_execnz .LBB298_172
.LBB298_158:
	s_or_b32 exec_lo, exec_lo, s0
	s_and_b32 s1, s3, s8
	s_and_saveexec_b32 s0, s1
	s_cbranch_execnz .LBB298_176
.LBB298_159:
	s_or_b32 exec_lo, exec_lo, s0
	s_and_b32 s1, s4, s8
	s_and_saveexec_b32 s0, s1
	s_cbranch_execnz .LBB298_180
.LBB298_160:
	s_or_b32 exec_lo, exec_lo, s0
	s_and_b32 s1, s5, s8
	s_and_saveexec_b32 s0, s1
	s_cbranch_execnz .LBB298_184
.LBB298_161:
	s_or_b32 exec_lo, exec_lo, s0
	s_and_b32 s1, s6, s8
	s_and_saveexec_b32 s0, s1
	s_cbranch_execnz .LBB298_188
.LBB298_162:
	s_or_b32 exec_lo, exec_lo, s0
	s_and_b32 s0, s7, s8
	s_and_saveexec_b32 s1, s0
	s_cbranch_execnz .LBB298_192
.LBB298_163:
	s_endpgm
.LBB298_164:
	v_cmp_ne_u32_e32 vcc_lo, 1, v59
	v_lshlrev_b64 v[0:1], 1, v[0:1]
	s_cbranch_vccnz .LBB298_166
; %bb.165:
	v_add_co_u32 v24, vcc_lo, v22, v0
	v_add_co_ci_u32_e64 v25, null, v23, v1, vcc_lo
	global_load_ushort v24, v[24:25], off
	s_waitcnt vmcnt(0)
	v_mul_f16_e32 v24, s15, v24
	s_branch .LBB298_167
.LBB298_166:
	v_mov_b32_e32 v24, 0
.LBB298_167:
	v_pk_max_f16 v25, v4, v4
	v_pk_max_f16 v18, v18, v18
	;; [unrolled: 1-line block ×4, first 2 shown]
	v_add_co_u32 v0, vcc_lo, v2, v0
	v_pk_min_f16 v18, v18, v25
	v_add_co_ci_u32_e64 v1, null, v3, v1, vcc_lo
	v_pk_min_f16 v19, v19, v40
	v_pk_add_f16 v18, v49, v18
	v_pk_add_f16 v18, v18, v19
	v_add_f16_sdwa v18, v18, v18 dst_sel:DWORD dst_unused:UNUSED_PAD src0_sel:DWORD src1_sel:WORD_1
	v_add_f16_e32 v18, v18, v24
	global_store_short v[0:1], v18, off
	s_or_b32 exec_lo, exec_lo, s0
	s_and_b32 s1, s1, s8
	s_and_saveexec_b32 s0, s1
	s_cbranch_execz .LBB298_157
.LBB298_168:
	v_cmp_ne_u32_e32 vcc_lo, 1, v59
	v_lshlrev_b64 v[0:1], 1, v[26:27]
	s_cbranch_vccnz .LBB298_170
; %bb.169:
	v_add_co_u32 v18, vcc_lo, v22, v0
	v_add_co_ci_u32_e64 v19, null, v23, v1, vcc_lo
	global_load_ushort v18, v[18:19], off
	s_waitcnt vmcnt(0)
	v_mul_f16_e32 v18, s15, v18
	s_branch .LBB298_171
.LBB298_170:
	v_mov_b32_e32 v18, 0
.LBB298_171:
	v_pk_max_f16 v19, v4, v4
	v_pk_max_f16 v20, v20, v20
	;; [unrolled: 1-line block ×4, first 2 shown]
	v_add_co_u32 v0, vcc_lo, v2, v0
	v_pk_min_f16 v19, v20, v19
	v_add_co_ci_u32_e64 v1, null, v3, v1, vcc_lo
	v_pk_min_f16 v20, v21, v24
	v_pk_add_f16 v19, v48, v19
	v_pk_add_f16 v19, v19, v20
	v_add_f16_sdwa v19, v19, v19 dst_sel:DWORD dst_unused:UNUSED_PAD src0_sel:DWORD src1_sel:WORD_1
	v_add_f16_e32 v18, v19, v18
	global_store_short v[0:1], v18, off
	s_or_b32 exec_lo, exec_lo, s0
	s_and_b32 s1, s2, s8
	s_and_saveexec_b32 s0, s1
	s_cbranch_execz .LBB298_158
.LBB298_172:
	v_cmp_ne_u32_e32 vcc_lo, 1, v59
	v_lshlrev_b64 v[0:1], 1, v[28:29]
	s_cbranch_vccnz .LBB298_174
; %bb.173:
	v_add_co_u32 v18, vcc_lo, v22, v0
	v_add_co_ci_u32_e64 v19, null, v23, v1, vcc_lo
	global_load_ushort v18, v[18:19], off
	s_waitcnt vmcnt(0)
	v_mul_f16_e32 v18, s15, v18
	s_branch .LBB298_175
.LBB298_174:
	v_mov_b32_e32 v18, 0
.LBB298_175:
	v_pk_max_f16 v19, v4, v4
	v_pk_max_f16 v14, v14, v14
	;; [unrolled: 1-line block ×4, first 2 shown]
	v_add_co_u32 v0, vcc_lo, v2, v0
	v_pk_min_f16 v14, v14, v19
	v_add_co_ci_u32_e64 v1, null, v3, v1, vcc_lo
	v_pk_min_f16 v15, v15, v20
	v_pk_add_f16 v14, v47, v14
	v_pk_add_f16 v14, v14, v15
	v_add_f16_sdwa v14, v14, v14 dst_sel:DWORD dst_unused:UNUSED_PAD src0_sel:DWORD src1_sel:WORD_1
	v_add_f16_e32 v14, v14, v18
	global_store_short v[0:1], v14, off
	s_or_b32 exec_lo, exec_lo, s0
	s_and_b32 s1, s3, s8
	s_and_saveexec_b32 s0, s1
	s_cbranch_execz .LBB298_159
.LBB298_176:
	v_cmp_ne_u32_e32 vcc_lo, 1, v59
	v_lshlrev_b64 v[0:1], 1, v[30:31]
	s_cbranch_vccnz .LBB298_178
; %bb.177:
	v_add_co_u32 v14, vcc_lo, v22, v0
	v_add_co_ci_u32_e64 v15, null, v23, v1, vcc_lo
	global_load_ushort v14, v[14:15], off
	s_waitcnt vmcnt(0)
	v_mul_f16_e32 v14, s15, v14
	s_branch .LBB298_179
.LBB298_178:
	v_mov_b32_e32 v14, 0
.LBB298_179:
	v_pk_max_f16 v15, v4, v4
	v_pk_max_f16 v16, v16, v16
	;; [unrolled: 1-line block ×4, first 2 shown]
	v_add_co_u32 v0, vcc_lo, v2, v0
	v_pk_min_f16 v15, v16, v15
	v_add_co_ci_u32_e64 v1, null, v3, v1, vcc_lo
	v_pk_min_f16 v16, v17, v18
	v_pk_add_f16 v15, v46, v15
	v_pk_add_f16 v15, v15, v16
	v_add_f16_sdwa v15, v15, v15 dst_sel:DWORD dst_unused:UNUSED_PAD src0_sel:DWORD src1_sel:WORD_1
	v_add_f16_e32 v14, v15, v14
	global_store_short v[0:1], v14, off
	s_or_b32 exec_lo, exec_lo, s0
	s_and_b32 s1, s4, s8
	s_and_saveexec_b32 s0, s1
	s_cbranch_execz .LBB298_160
.LBB298_180:
	v_cmp_ne_u32_e32 vcc_lo, 1, v59
	v_lshlrev_b64 v[0:1], 1, v[32:33]
	s_cbranch_vccnz .LBB298_182
; %bb.181:
	v_add_co_u32 v14, vcc_lo, v22, v0
	v_add_co_ci_u32_e64 v15, null, v23, v1, vcc_lo
	global_load_ushort v14, v[14:15], off
	s_waitcnt vmcnt(0)
	v_mul_f16_e32 v14, s15, v14
	s_branch .LBB298_183
.LBB298_182:
	v_mov_b32_e32 v14, 0
.LBB298_183:
	v_pk_max_f16 v15, v4, v4
	v_pk_max_f16 v10, v10, v10
	;; [unrolled: 1-line block ×4, first 2 shown]
	v_add_co_u32 v0, vcc_lo, v2, v0
	v_pk_min_f16 v10, v10, v15
	v_add_co_ci_u32_e64 v1, null, v3, v1, vcc_lo
	v_pk_min_f16 v11, v11, v16
	v_pk_add_f16 v10, v45, v10
	v_pk_add_f16 v10, v10, v11
	v_add_f16_sdwa v10, v10, v10 dst_sel:DWORD dst_unused:UNUSED_PAD src0_sel:DWORD src1_sel:WORD_1
	v_add_f16_e32 v10, v10, v14
	global_store_short v[0:1], v10, off
	s_or_b32 exec_lo, exec_lo, s0
	s_and_b32 s1, s5, s8
	s_and_saveexec_b32 s0, s1
	s_cbranch_execz .LBB298_161
.LBB298_184:
	v_cmp_ne_u32_e32 vcc_lo, 1, v59
	v_lshlrev_b64 v[0:1], 1, v[34:35]
	s_cbranch_vccnz .LBB298_186
; %bb.185:
	v_add_co_u32 v10, vcc_lo, v22, v0
	v_add_co_ci_u32_e64 v11, null, v23, v1, vcc_lo
	global_load_ushort v10, v[10:11], off
	s_waitcnt vmcnt(0)
	v_mul_f16_e32 v10, s15, v10
	s_branch .LBB298_187
.LBB298_186:
	v_mov_b32_e32 v10, 0
.LBB298_187:
	v_pk_max_f16 v11, v4, v4
	v_pk_max_f16 v12, v12, v12
	;; [unrolled: 1-line block ×4, first 2 shown]
	v_add_co_u32 v0, vcc_lo, v2, v0
	v_pk_min_f16 v11, v12, v11
	v_add_co_ci_u32_e64 v1, null, v3, v1, vcc_lo
	v_pk_min_f16 v12, v13, v14
	v_pk_add_f16 v11, v44, v11
	v_pk_add_f16 v11, v11, v12
	v_add_f16_sdwa v11, v11, v11 dst_sel:DWORD dst_unused:UNUSED_PAD src0_sel:DWORD src1_sel:WORD_1
	v_add_f16_e32 v10, v11, v10
	global_store_short v[0:1], v10, off
	s_or_b32 exec_lo, exec_lo, s0
	s_and_b32 s1, s6, s8
	s_and_saveexec_b32 s0, s1
	s_cbranch_execz .LBB298_162
.LBB298_188:
	v_cmp_ne_u32_e32 vcc_lo, 1, v59
	v_lshlrev_b64 v[0:1], 1, v[36:37]
	s_cbranch_vccnz .LBB298_190
; %bb.189:
	v_add_co_u32 v10, vcc_lo, v22, v0
	v_add_co_ci_u32_e64 v11, null, v23, v1, vcc_lo
	global_load_ushort v10, v[10:11], off
	s_waitcnt vmcnt(0)
	v_mul_f16_e32 v10, s15, v10
	s_branch .LBB298_191
.LBB298_190:
	v_mov_b32_e32 v10, 0
.LBB298_191:
	v_pk_max_f16 v11, v4, v4
	v_pk_max_f16 v6, v6, v6
	;; [unrolled: 1-line block ×4, first 2 shown]
	v_add_co_u32 v0, vcc_lo, v2, v0
	v_pk_min_f16 v6, v6, v11
	v_add_co_ci_u32_e64 v1, null, v3, v1, vcc_lo
	v_pk_min_f16 v7, v7, v12
	v_pk_add_f16 v6, v43, v6
	v_pk_add_f16 v6, v6, v7
	v_add_f16_sdwa v6, v6, v6 dst_sel:DWORD dst_unused:UNUSED_PAD src0_sel:DWORD src1_sel:WORD_1
	v_add_f16_e32 v6, v6, v10
	global_store_short v[0:1], v6, off
	s_or_b32 exec_lo, exec_lo, s0
	s_and_b32 s0, s7, s8
	s_and_saveexec_b32 s1, s0
	s_cbranch_execz .LBB298_163
.LBB298_192:
	v_cmp_ne_u32_e32 vcc_lo, 1, v59
	v_lshlrev_b64 v[0:1], 1, v[38:39]
	s_cbranch_vccnz .LBB298_194
; %bb.193:
	v_add_co_u32 v6, vcc_lo, v22, v0
	v_add_co_ci_u32_e64 v7, null, v23, v1, vcc_lo
	global_load_ushort v6, v[6:7], off
	s_waitcnt vmcnt(0)
	v_mul_f16_e32 v6, s15, v6
	s_branch .LBB298_195
.LBB298_194:
	v_mov_b32_e32 v6, 0
.LBB298_195:
	v_pk_max_f16 v4, v4, v4
	v_pk_max_f16 v7, v8, v8
	;; [unrolled: 1-line block ×4, first 2 shown]
	v_add_co_u32 v0, vcc_lo, v2, v0
	v_pk_min_f16 v4, v7, v4
	v_add_co_ci_u32_e64 v1, null, v3, v1, vcc_lo
	v_pk_min_f16 v5, v8, v5
	v_pk_add_f16 v4, v42, v4
	v_pk_add_f16 v4, v4, v5
	v_add_f16_sdwa v4, v4, v4 dst_sel:DWORD dst_unused:UNUSED_PAD src0_sel:DWORD src1_sel:WORD_1
	v_add_f16_e32 v4, v4, v6
	global_store_short v[0:1], v4, off
	s_endpgm
	.section	.rodata,"a",@progbits
	.p2align	6, 0x0
	.amdhsa_kernel _ZN12_GLOBAL__N_120geam_min_plus_kernelIDF16_Dv2_DF16_S1_Li8ELi32ELi64ELi128ELi4ELi64ELi4ELi64ELi4ELc78ELc84ELb1ELb1ELb0EDF16_KDF16_DF16_EEviiiT16_PT17_ilS5_ilS3_S5_ilPT18_ili26rocblas_geam_ex_operation_
		.amdhsa_group_segment_fixed_size 3072
		.amdhsa_private_segment_fixed_size 0
		.amdhsa_kernarg_size 128
		.amdhsa_user_sgpr_count 6
		.amdhsa_user_sgpr_private_segment_buffer 1
		.amdhsa_user_sgpr_dispatch_ptr 0
		.amdhsa_user_sgpr_queue_ptr 0
		.amdhsa_user_sgpr_kernarg_segment_ptr 1
		.amdhsa_user_sgpr_dispatch_id 0
		.amdhsa_user_sgpr_flat_scratch_init 0
		.amdhsa_user_sgpr_private_segment_size 0
		.amdhsa_wavefront_size32 1
		.amdhsa_uses_dynamic_stack 0
		.amdhsa_system_sgpr_private_segment_wavefront_offset 0
		.amdhsa_system_sgpr_workgroup_id_x 1
		.amdhsa_system_sgpr_workgroup_id_y 0
		.amdhsa_system_sgpr_workgroup_id_z 1
		.amdhsa_system_sgpr_workgroup_info 0
		.amdhsa_system_vgpr_workitem_id 1
		.amdhsa_next_free_vgpr 127
		.amdhsa_next_free_sgpr 27
		.amdhsa_reserve_vcc 1
		.amdhsa_reserve_flat_scratch 0
		.amdhsa_float_round_mode_32 0
		.amdhsa_float_round_mode_16_64 0
		.amdhsa_float_denorm_mode_32 3
		.amdhsa_float_denorm_mode_16_64 3
		.amdhsa_dx10_clamp 1
		.amdhsa_ieee_mode 1
		.amdhsa_fp16_overflow 0
		.amdhsa_workgroup_processor_mode 1
		.amdhsa_memory_ordered 1
		.amdhsa_forward_progress 1
		.amdhsa_shared_vgpr_count 0
		.amdhsa_exception_fp_ieee_invalid_op 0
		.amdhsa_exception_fp_denorm_src 0
		.amdhsa_exception_fp_ieee_div_zero 0
		.amdhsa_exception_fp_ieee_overflow 0
		.amdhsa_exception_fp_ieee_underflow 0
		.amdhsa_exception_fp_ieee_inexact 0
		.amdhsa_exception_int_div_zero 0
	.end_amdhsa_kernel
	.section	.text._ZN12_GLOBAL__N_120geam_min_plus_kernelIDF16_Dv2_DF16_S1_Li8ELi32ELi64ELi128ELi4ELi64ELi4ELi64ELi4ELc78ELc84ELb1ELb1ELb0EDF16_KDF16_DF16_EEviiiT16_PT17_ilS5_ilS3_S5_ilPT18_ili26rocblas_geam_ex_operation_,"axG",@progbits,_ZN12_GLOBAL__N_120geam_min_plus_kernelIDF16_Dv2_DF16_S1_Li8ELi32ELi64ELi128ELi4ELi64ELi4ELi64ELi4ELc78ELc84ELb1ELb1ELb0EDF16_KDF16_DF16_EEviiiT16_PT17_ilS5_ilS3_S5_ilPT18_ili26rocblas_geam_ex_operation_,comdat
.Lfunc_end298:
	.size	_ZN12_GLOBAL__N_120geam_min_plus_kernelIDF16_Dv2_DF16_S1_Li8ELi32ELi64ELi128ELi4ELi64ELi4ELi64ELi4ELc78ELc84ELb1ELb1ELb0EDF16_KDF16_DF16_EEviiiT16_PT17_ilS5_ilS3_S5_ilPT18_ili26rocblas_geam_ex_operation_, .Lfunc_end298-_ZN12_GLOBAL__N_120geam_min_plus_kernelIDF16_Dv2_DF16_S1_Li8ELi32ELi64ELi128ELi4ELi64ELi4ELi64ELi4ELc78ELc84ELb1ELb1ELb0EDF16_KDF16_DF16_EEviiiT16_PT17_ilS5_ilS3_S5_ilPT18_ili26rocblas_geam_ex_operation_
                                        ; -- End function
	.set _ZN12_GLOBAL__N_120geam_min_plus_kernelIDF16_Dv2_DF16_S1_Li8ELi32ELi64ELi128ELi4ELi64ELi4ELi64ELi4ELc78ELc84ELb1ELb1ELb0EDF16_KDF16_DF16_EEviiiT16_PT17_ilS5_ilS3_S5_ilPT18_ili26rocblas_geam_ex_operation_.num_vgpr, 127
	.set _ZN12_GLOBAL__N_120geam_min_plus_kernelIDF16_Dv2_DF16_S1_Li8ELi32ELi64ELi128ELi4ELi64ELi4ELi64ELi4ELc78ELc84ELb1ELb1ELb0EDF16_KDF16_DF16_EEviiiT16_PT17_ilS5_ilS3_S5_ilPT18_ili26rocblas_geam_ex_operation_.num_agpr, 0
	.set _ZN12_GLOBAL__N_120geam_min_plus_kernelIDF16_Dv2_DF16_S1_Li8ELi32ELi64ELi128ELi4ELi64ELi4ELi64ELi4ELc78ELc84ELb1ELb1ELb0EDF16_KDF16_DF16_EEviiiT16_PT17_ilS5_ilS3_S5_ilPT18_ili26rocblas_geam_ex_operation_.numbered_sgpr, 27
	.set _ZN12_GLOBAL__N_120geam_min_plus_kernelIDF16_Dv2_DF16_S1_Li8ELi32ELi64ELi128ELi4ELi64ELi4ELi64ELi4ELc78ELc84ELb1ELb1ELb0EDF16_KDF16_DF16_EEviiiT16_PT17_ilS5_ilS3_S5_ilPT18_ili26rocblas_geam_ex_operation_.num_named_barrier, 0
	.set _ZN12_GLOBAL__N_120geam_min_plus_kernelIDF16_Dv2_DF16_S1_Li8ELi32ELi64ELi128ELi4ELi64ELi4ELi64ELi4ELc78ELc84ELb1ELb1ELb0EDF16_KDF16_DF16_EEviiiT16_PT17_ilS5_ilS3_S5_ilPT18_ili26rocblas_geam_ex_operation_.private_seg_size, 0
	.set _ZN12_GLOBAL__N_120geam_min_plus_kernelIDF16_Dv2_DF16_S1_Li8ELi32ELi64ELi128ELi4ELi64ELi4ELi64ELi4ELc78ELc84ELb1ELb1ELb0EDF16_KDF16_DF16_EEviiiT16_PT17_ilS5_ilS3_S5_ilPT18_ili26rocblas_geam_ex_operation_.uses_vcc, 1
	.set _ZN12_GLOBAL__N_120geam_min_plus_kernelIDF16_Dv2_DF16_S1_Li8ELi32ELi64ELi128ELi4ELi64ELi4ELi64ELi4ELc78ELc84ELb1ELb1ELb0EDF16_KDF16_DF16_EEviiiT16_PT17_ilS5_ilS3_S5_ilPT18_ili26rocblas_geam_ex_operation_.uses_flat_scratch, 0
	.set _ZN12_GLOBAL__N_120geam_min_plus_kernelIDF16_Dv2_DF16_S1_Li8ELi32ELi64ELi128ELi4ELi64ELi4ELi64ELi4ELc78ELc84ELb1ELb1ELb0EDF16_KDF16_DF16_EEviiiT16_PT17_ilS5_ilS3_S5_ilPT18_ili26rocblas_geam_ex_operation_.has_dyn_sized_stack, 0
	.set _ZN12_GLOBAL__N_120geam_min_plus_kernelIDF16_Dv2_DF16_S1_Li8ELi32ELi64ELi128ELi4ELi64ELi4ELi64ELi4ELc78ELc84ELb1ELb1ELb0EDF16_KDF16_DF16_EEviiiT16_PT17_ilS5_ilS3_S5_ilPT18_ili26rocblas_geam_ex_operation_.has_recursion, 0
	.set _ZN12_GLOBAL__N_120geam_min_plus_kernelIDF16_Dv2_DF16_S1_Li8ELi32ELi64ELi128ELi4ELi64ELi4ELi64ELi4ELc78ELc84ELb1ELb1ELb0EDF16_KDF16_DF16_EEviiiT16_PT17_ilS5_ilS3_S5_ilPT18_ili26rocblas_geam_ex_operation_.has_indirect_call, 0
	.section	.AMDGPU.csdata,"",@progbits
; Kernel info:
; codeLenInByte = 11944
; TotalNumSgprs: 29
; NumVgprs: 127
; ScratchSize: 0
; MemoryBound: 0
; FloatMode: 240
; IeeeMode: 1
; LDSByteSize: 3072 bytes/workgroup (compile time only)
; SGPRBlocks: 0
; VGPRBlocks: 15
; NumSGPRsForWavesPerEU: 29
; NumVGPRsForWavesPerEU: 127
; Occupancy: 8
; WaveLimiterHint : 0
; COMPUTE_PGM_RSRC2:SCRATCH_EN: 0
; COMPUTE_PGM_RSRC2:USER_SGPR: 6
; COMPUTE_PGM_RSRC2:TRAP_HANDLER: 0
; COMPUTE_PGM_RSRC2:TGID_X_EN: 1
; COMPUTE_PGM_RSRC2:TGID_Y_EN: 0
; COMPUTE_PGM_RSRC2:TGID_Z_EN: 1
; COMPUTE_PGM_RSRC2:TIDIG_COMP_CNT: 1
	.section	.text._ZN12_GLOBAL__N_120geam_min_plus_kernelIDF16_Dv2_DF16_S1_Li8ELi32ELi64ELi128ELi4ELi64ELi4ELi64ELi4ELc78ELc84ELb0ELb1ELb0EDF16_KDF16_DF16_EEviiiT16_PT17_ilS5_ilS3_S5_ilPT18_ili26rocblas_geam_ex_operation_,"axG",@progbits,_ZN12_GLOBAL__N_120geam_min_plus_kernelIDF16_Dv2_DF16_S1_Li8ELi32ELi64ELi128ELi4ELi64ELi4ELi64ELi4ELc78ELc84ELb0ELb1ELb0EDF16_KDF16_DF16_EEviiiT16_PT17_ilS5_ilS3_S5_ilPT18_ili26rocblas_geam_ex_operation_,comdat
	.globl	_ZN12_GLOBAL__N_120geam_min_plus_kernelIDF16_Dv2_DF16_S1_Li8ELi32ELi64ELi128ELi4ELi64ELi4ELi64ELi4ELc78ELc84ELb0ELb1ELb0EDF16_KDF16_DF16_EEviiiT16_PT17_ilS5_ilS3_S5_ilPT18_ili26rocblas_geam_ex_operation_ ; -- Begin function _ZN12_GLOBAL__N_120geam_min_plus_kernelIDF16_Dv2_DF16_S1_Li8ELi32ELi64ELi128ELi4ELi64ELi4ELi64ELi4ELc78ELc84ELb0ELb1ELb0EDF16_KDF16_DF16_EEviiiT16_PT17_ilS5_ilS3_S5_ilPT18_ili26rocblas_geam_ex_operation_
	.p2align	8
	.type	_ZN12_GLOBAL__N_120geam_min_plus_kernelIDF16_Dv2_DF16_S1_Li8ELi32ELi64ELi128ELi4ELi64ELi4ELi64ELi4ELc78ELc84ELb0ELb1ELb0EDF16_KDF16_DF16_EEviiiT16_PT17_ilS5_ilS3_S5_ilPT18_ili26rocblas_geam_ex_operation_,@function
_ZN12_GLOBAL__N_120geam_min_plus_kernelIDF16_Dv2_DF16_S1_Li8ELi32ELi64ELi128ELi4ELi64ELi4ELi64ELi4ELc78ELc84ELb0ELb1ELb0EDF16_KDF16_DF16_EEviiiT16_PT17_ilS5_ilS3_S5_ilPT18_ili26rocblas_geam_ex_operation_: ; @_ZN12_GLOBAL__N_120geam_min_plus_kernelIDF16_Dv2_DF16_S1_Li8ELi32ELi64ELi128ELi4ELi64ELi4ELi64ELi4ELc78ELc84ELb0ELb1ELb0EDF16_KDF16_DF16_EEviiiT16_PT17_ilS5_ilS3_S5_ilPT18_ili26rocblas_geam_ex_operation_
; %bb.0:
	s_clause 0x1
	s_load_dwordx4 s[12:15], s[4:5], 0x0
	s_load_dwordx4 s[0:3], s[4:5], 0x20
	s_waitcnt lgkmcnt(0)
	v_cmp_eq_f16_e64 s8, s15, 0
	v_cmp_neq_f16_e64 s24, s15, 0
	s_and_b32 vcc_lo, exec_lo, s8
	s_cbranch_vccnz .LBB299_37
; %bb.1:
	s_load_dwordx2 s[10:11], s[4:5], 0x10
	s_mul_i32 s1, s1, s7
	s_mul_hi_u32 s9, s0, s7
	s_mul_i32 s0, s0, s7
	s_add_i32 s1, s9, s1
	s_lshl_b64 s[0:1], s[0:1], 1
	s_waitcnt lgkmcnt(0)
	s_add_u32 s20, s10, s0
	s_addc_u32 s21, s11, s1
	s_andn2_b32 vcc_lo, exec_lo, s8
	s_mov_b32 s0, -1
	s_cbranch_vccnz .LBB299_3
.LBB299_2:
	s_mov_b32 s0, 0
.LBB299_3:
	s_mov_b64 s[16:17], 0
	s_andn2_b32 vcc_lo, exec_lo, s0
	s_mov_b64 s[18:19], 0
	s_cbranch_vccnz .LBB299_5
; %bb.4:
	s_load_dwordx2 s[0:1], s[4:5], 0x38
	s_waitcnt lgkmcnt(0)
	s_mul_i32 s1, s1, s7
	s_mul_hi_u32 s8, s0, s7
	s_mul_i32 s0, s0, s7
	s_add_i32 s1, s8, s1
	s_lshl_b64 s[0:1], s[0:1], 1
	s_add_u32 s18, s2, s0
	s_addc_u32 s19, s3, s1
.LBB299_5:
	s_clause 0x1
	s_load_dword s22, s[4:5], 0x40
	s_load_dwordx4 s[8:11], s[4:5], 0x58
	s_waitcnt lgkmcnt(0)
	v_cmp_eq_f16_e64 s0, s22, 0
	v_cmp_neq_f16_e64 s23, s22, 0
	s_and_b32 vcc_lo, exec_lo, s0
	s_cbranch_vccnz .LBB299_7
; %bb.6:
	s_load_dwordx2 s[0:1], s[4:5], 0x48
	s_mul_i32 s2, s9, s7
	s_mul_hi_u32 s3, s8, s7
	s_add_i32 s3, s3, s2
	s_mul_i32 s2, s8, s7
	s_lshl_b64 s[2:3], s[2:3], 1
	s_waitcnt lgkmcnt(0)
	s_add_u32 s16, s0, s2
	s_addc_u32 s17, s1, s3
.LBB299_7:
	s_add_i32 s0, s12, -1
	s_load_dword s8, s[4:5], 0x18
	s_ashr_i32 s1, s0, 31
	v_lshl_add_u32 v3, v1, 3, v0
	s_lshr_b32 s1, s1, 26
	v_mov_b32_e32 v10, 0
	s_add_i32 s0, s0, s1
	v_mov_b32_e32 v11, 0
	s_ashr_i32 s0, s0, 6
	v_and_b32_e32 v9, 63, v3
	s_add_i32 s2, s0, 1
	s_not_b32 s0, s0
	v_cvt_f32_u32_e32 v2, s2
	v_lshrrev_b32_e32 v32, 6, v3
	v_rcp_iflag_f32_e32 v2, v2
	s_waitcnt lgkmcnt(0)
	s_ashr_i32 s9, s8, 31
	v_mul_f32_e32 v2, 0x4f7ffffe, v2
	v_cvt_u32_f32_e32 v2, v2
	v_readfirstlane_b32 s1, v2
	s_mul_i32 s0, s0, s1
	s_mul_hi_u32 s0, s1, s0
	s_add_i32 s1, s1, s0
	s_mul_hi_u32 s0, s6, s1
	s_mul_i32 s1, s0, s2
	s_add_i32 s3, s0, 1
	s_sub_i32 s1, s6, s1
	s_sub_i32 s25, s1, s2
	s_cmp_ge_u32 s1, s2
	s_cselect_b32 s0, s3, s0
	s_cselect_b32 s1, s25, s1
	s_add_i32 s3, s0, 1
	s_cmp_ge_u32 s1, s2
	s_cselect_b32 s1, s3, s0
	s_mul_i32 s0, s1, s2
	s_sub_i32 s0, s6, s0
	s_lshl_b32 s6, s0, 6
	v_cmp_gt_i32_e64 s0, s14, v32
	v_or_b32_e32 v2, s6, v9
	v_cmp_gt_i32_e32 vcc_lo, s12, v2
	v_ashrrev_i32_e32 v3, 31, v2
	s_and_b32 s0, s0, vcc_lo
	s_and_b32 s0, s24, s0
	s_and_saveexec_b32 s2, s0
	s_cbranch_execz .LBB299_9
; %bb.8:
	v_mad_i64_i32 v[4:5], null, s8, v32, 0
	v_lshlrev_b64 v[6:7], 1, v[2:3]
	v_lshlrev_b64 v[4:5], 1, v[4:5]
	v_add_co_u32 v4, s0, s20, v4
	v_add_co_ci_u32_e64 v5, null, s21, v5, s0
	v_add_co_u32 v4, s0, v4, v6
	v_add_co_ci_u32_e64 v5, null, v5, v7, s0
	global_load_ushort v4, v[4:5], off
	s_waitcnt vmcnt(0)
	v_mul_f16_e32 v11, s15, v4
.LBB299_9:
	s_or_b32 exec_lo, exec_lo, s2
	s_load_dword s26, s[4:5], 0x30
	s_add_i32 s27, s14, -1
	s_lshl_b32 s25, s1, 7
	v_min_i32_e32 v4, s27, v32
	v_cmp_le_i32_e64 s2, s14, v32
	s_xor_b32 s28, s24, -1
	s_waitcnt lgkmcnt(0)
	v_mad_i64_i32 v[5:6], null, s26, v4, 0
	v_or_b32_e32 v4, s25, v9
	v_cmp_le_i32_e64 s0, s13, v4
	v_lshlrev_b64 v[5:6], 1, v[5:6]
	s_or_b32 s3, s2, s0
	v_add_co_u32 v7, s1, s18, v5
	v_add_co_ci_u32_e64 v8, null, s19, v6, s1
	v_ashrrev_i32_e32 v5, 31, v4
	s_nor_b32 s1, s3, s28
	s_and_saveexec_b32 s3, s1
	s_cbranch_execz .LBB299_11
; %bb.10:
	v_lshlrev_b64 v[12:13], 1, v[4:5]
	v_add_co_u32 v12, s1, v7, v12
	v_add_co_ci_u32_e64 v13, null, v8, v13, s1
	global_load_ushort v6, v[12:13], off
	s_waitcnt vmcnt(0)
	v_mul_f16_e32 v10, s15, v6
.LBB299_11:
	s_or_b32 exec_lo, exec_lo, s3
	v_or_b32_e32 v6, 64, v4
	v_mov_b32_e32 v12, 0
	v_cmp_le_i32_e64 s1, s13, v6
	v_mov_b32_e32 v6, 0
	s_or_b32 s2, s2, s1
	s_nor_b32 s2, s2, s28
	s_and_saveexec_b32 s3, s2
	s_cbranch_execz .LBB299_13
; %bb.12:
	v_lshlrev_b64 v[12:13], 1, v[4:5]
	v_add_co_u32 v7, s2, v7, v12
	v_add_co_ci_u32_e64 v8, null, v8, v13, s2
	global_load_ushort v7, v[7:8], off offset:128
	s_waitcnt vmcnt(0)
	v_mul_f16_e32 v12, s15, v7
.LBB299_13:
	s_or_b32 exec_lo, exec_lo, s3
	v_add_nc_u32_e32 v7, 4, v32
	v_cmp_gt_i32_e64 s2, s14, v7
	s_and_b32 s2, vcc_lo, s2
	s_and_b32 s2, s24, s2
	s_and_saveexec_b32 s3, s2
	s_cbranch_execz .LBB299_15
; %bb.14:
	v_mad_u64_u32 v[13:14], null, s8, v7, 0
	v_mov_b32_e32 v6, v14
	v_mad_u64_u32 v[14:15], null, s9, v7, v[6:7]
	v_lshlrev_b64 v[15:16], 1, v[2:3]
	v_lshlrev_b64 v[13:14], 1, v[13:14]
	v_add_co_u32 v6, s2, s20, v13
	v_add_co_ci_u32_e64 v8, null, s21, v14, s2
	v_add_co_u32 v13, s2, v6, v15
	v_add_co_ci_u32_e64 v14, null, v8, v16, s2
	global_load_ushort v6, v[13:14], off
	s_waitcnt vmcnt(0)
	v_mul_f16_e32 v6, s15, v6
.LBB299_15:
	s_or_b32 exec_lo, exec_lo, s3
	v_min_i32_e32 v8, s27, v7
	v_cmp_le_i32_e64 s2, s14, v7
	v_mov_b32_e32 v7, 0
	v_mad_i64_i32 v[13:14], null, s26, v8, 0
	v_mov_b32_e32 v8, 0
	v_lshlrev_b64 v[13:14], 1, v[13:14]
	v_add_co_u32 v13, s3, s18, v13
	v_add_co_ci_u32_e64 v14, null, s19, v14, s3
	s_or_b32 s3, s0, s2
	s_nor_b32 s3, s3, s28
	s_and_saveexec_b32 s29, s3
	s_cbranch_execz .LBB299_17
; %bb.16:
	v_lshlrev_b64 v[15:16], 1, v[4:5]
	v_add_co_u32 v15, s3, v13, v15
	v_add_co_ci_u32_e64 v16, null, v14, v16, s3
	global_load_ushort v8, v[15:16], off
	s_waitcnt vmcnt(0)
	v_mul_f16_e32 v8, s15, v8
.LBB299_17:
	s_or_b32 exec_lo, exec_lo, s29
	s_or_b32 s2, s1, s2
	s_nor_b32 s2, s2, s28
	s_and_saveexec_b32 s3, s2
	s_cbranch_execz .LBB299_19
; %bb.18:
	v_lshlrev_b64 v[15:16], 1, v[4:5]
	v_add_co_u32 v13, s2, v13, v15
	v_add_co_ci_u32_e64 v14, null, v14, v16, s2
	global_load_ushort v7, v[13:14], off offset:128
	s_waitcnt vmcnt(0)
	v_mul_f16_e32 v7, s15, v7
.LBB299_19:
	s_or_b32 exec_lo, exec_lo, s3
	v_lshlrev_b32_e32 v9, 3, v9
	v_lshlrev_b32_e32 v34, 3, v0
	;; [unrolled: 1-line block ×3, first 2 shown]
	s_mov_b32 s29, 0
	s_cmp_lt_i32 s14, 9
	v_lshl_add_u32 v35, v32, 1, v9
	v_add_nc_u32_e32 v29, 0x800, v34
	ds_write_b16 v35, v11 offset:2048
	ds_write_b16 v35, v10
	ds_write_b16 v35, v12 offset:512
	s_waitcnt lgkmcnt(0)
	s_barrier
	buffer_gl0_inv
	ds_read2_b64 v[9:12], v33 offset1:32
	ds_read2_b64 v[13:16], v29 offset0:48 offset1:56
	ds_read2_b64 v[17:20], v33 offset0:64 offset1:96
	ds_read2_b64 v[21:24], v29 offset1:8
	ds_read2_b64 v[25:28], v29 offset0:16 offset1:24
	ds_read2_b64 v[37:40], v29 offset0:32 offset1:40
	ds_write_b16 v35, v6 offset:2560
	ds_write_b16 v35, v8 offset:1024
	;; [unrolled: 1-line block ×3, first 2 shown]
	s_waitcnt lgkmcnt(0)
	s_barrier
	buffer_gl0_inv
	v_pk_max_f16 v9, v9, v9
	v_pk_max_f16 v15, v15, v15
	;; [unrolled: 1-line block ×6, first 2 shown]
	v_pk_min_f16 v29, v15, v9
	v_pk_max_f16 v21, v21, v21
	v_pk_max_f16 v19, v19, v19
	;; [unrolled: 1-line block ×4, first 2 shown]
	v_pk_min_f16 v30, v15, v11
	v_pk_max_f16 v27, v27, v27
	v_pk_max_f16 v37, v37, v37
	;; [unrolled: 1-line block ×5, first 2 shown]
	v_pk_add_f16 v29, v29, 0
	v_pk_min_f16 v50, v16, v10
	v_pk_min_f16 v31, v15, v17
	;; [unrolled: 1-line block ×21, first 2 shown]
	v_pk_max_f16 v18, v18, v18
	v_pk_max_f16 v20, v20, v20
	v_pk_min_f16 v37, v37, v19
	v_pk_max_f16 v22, v22, v22
	v_pk_min_f16 v56, v39, v9
	v_pk_min_f16 v59, v39, v11
	;; [unrolled: 1-line block ×9, first 2 shown]
	v_pk_add_f16 v67, v29, v50
	v_pk_add_f16 v19, v30, 0
	v_pk_min_f16 v29, v16, v12
	v_pk_max_f16 v24, v24, v24
	v_pk_min_f16 v57, v22, v10
	v_pk_min_f16 v61, v22, v12
	;; [unrolled: 1-line block ×3, first 2 shown]
	v_pk_add_f16 v58, v19, v29
	v_pk_add_f16 v19, v21, 0
	v_pk_min_f16 v22, v22, v20
	v_pk_add_f16 v41, v41, 0
	v_pk_add_f16 v21, v43, 0
	;; [unrolled: 1-line block ×5, first 2 shown]
	v_pk_min_f16 v19, v24, v10
	v_pk_min_f16 v31, v16, v18
	v_pk_add_f16 v66, v41, v61
	v_pk_add_f16 v29, v44, 0
	v_pk_add_f16 v61, v56, 0
	v_pk_add_f16 v41, v21, v19
	v_pk_min_f16 v19, v24, v12
	v_pk_add_f16 v50, v30, v31
	v_pk_add_f16 v30, v45, 0
	;; [unrolled: 1-line block ×5, first 2 shown]
	v_pk_min_f16 v19, v24, v18
	v_pk_add_f16 v23, v23, 0
	v_pk_add_f16 v25, v25, 0
	;; [unrolled: 1-line block ×3, first 2 shown]
	v_pk_min_f16 v24, v24, v20
	v_pk_add_f16 v56, v30, v19
	v_pk_max_f16 v19, v26, v26
	v_pk_max_f16 v26, v28, v28
	v_pk_add_f16 v69, v36, v57
	v_pk_add_f16 v57, v42, v62
	;; [unrolled: 1-line block ×3, first 2 shown]
	v_pk_min_f16 v28, v19, v10
	v_pk_min_f16 v30, v19, v12
	;; [unrolled: 1-line block ×4, first 2 shown]
	v_pk_add_f16 v42, v48, 0
	v_pk_add_f16 v44, v51, 0
	;; [unrolled: 1-line block ×6, first 2 shown]
	v_pk_min_f16 v19, v26, v10
	v_pk_min_f16 v23, v26, v12
	;; [unrolled: 1-line block ×4, first 2 shown]
	v_pk_max_f16 v26, v38, v38
	v_pk_add_f16 v31, v46, 0
	v_pk_add_f16 v27, v53, 0
	;; [unrolled: 1-line block ×9, first 2 shown]
	v_pk_min_f16 v19, v26, v10
	v_pk_min_f16 v22, v26, v12
	;; [unrolled: 1-line block ×4, first 2 shown]
	v_pk_max_f16 v25, v40, v40
	v_pk_max_f16 v14, v14, v14
	v_pk_add_f16 v59, v59, 0
	v_pk_add_f16 v60, v60, 0
	;; [unrolled: 1-line block ×13, first 2 shown]
	v_pk_min_f16 v19, v25, v10
	v_pk_min_f16 v21, v25, v12
	;; [unrolled: 1-line block ×9, first 2 shown]
	v_pk_add_f16 v39, v31, v28
	v_pk_add_f16 v38, v61, v19
	;; [unrolled: 1-line block ×10, first 2 shown]
	s_cbranch_scc1 .LBB299_34
; %bb.20:
	v_add_nc_u32_e32 v6, v33, v0
	v_lshlrev_b64 v[2:3], 1, v[2:3]
	v_lshlrev_b64 v[30:31], 1, v[4:5]
	v_or_b32_e32 v59, 0x800, v35
	v_or_b32_e32 v68, 0x800, v34
	v_lshrrev_b32_e32 v6, 6, v6
	v_add_nc_u32_e32 v70, 0xa00, v35
	v_add_co_u32 v73, s2, s20, v2
	v_or_b32_e32 v71, 0x400, v35
	v_add_nc_u32_e32 v7, 12, v6
	v_add_nc_u32_e32 v8, 8, v6
	v_lshl_add_u32 v72, v0, 3, 0xa00
	v_add_co_ci_u32_e64 v74, null, s21, v3, s2
	v_mad_i64_i32 v[6:7], null, v7, s8, 0
	v_mad_i64_i32 v[8:9], null, v8, s8, 0
	v_add_nc_u32_e32 v75, 0x400, v33
	s_add_i32 s20, s14, -8
	s_lshl_b64 s[8:9], s[8:9], 4
	v_lshlrev_b64 v[26:27], 1, v[6:7]
	v_lshlrev_b64 v[28:29], 1, v[8:9]
	s_branch .LBB299_22
.LBB299_21:                             ;   in Loop: Header=BB299_22 Depth=1
	s_or_b32 exec_lo, exec_lo, s3
	v_pk_max_f16 v4, v4, v4
	v_pk_max_f16 v22, v22, v22
	;; [unrolled: 1-line block ×7, first 2 shown]
	v_pk_min_f16 v79, v4, v22
	v_pk_min_f16 v80, v4, v24
	;; [unrolled: 1-line block ×3, first 2 shown]
	v_pk_max_f16 v16, v16, v16
	v_pk_min_f16 v88, v10, v22
	v_pk_max_f16 v12, v12, v12
	v_pk_min_f16 v89, v10, v24
	v_pk_min_f16 v90, v10, v18
	;; [unrolled: 1-line block ×3, first 2 shown]
	v_pk_max_f16 v6, v6, v6
	v_pk_max_f16 v23, v23, v23
	v_pk_max_f16 v25, v25, v25
	v_pk_max_f16 v19, v19, v19
	v_pk_max_f16 v21, v21, v21
	v_pk_max_f16 v8, v8, v8
	v_pk_max_f16 v2, v2, v2
	v_pk_max_f16 v15, v15, v15
	v_pk_max_f16 v17, v17, v17
	v_pk_max_f16 v11, v11, v11
	v_pk_max_f16 v13, v13, v13
	v_pk_max_f16 v5, v5, v5
	v_pk_max_f16 v7, v7, v7
	v_pk_max_f16 v9, v9, v9
	v_pk_max_f16 v3, v3, v3
	v_pk_min_f16 v82, v14, v22
	v_pk_min_f16 v83, v14, v24
	;; [unrolled: 1-line block ×57, first 2 shown]
	v_pk_add_f16 v3, v67, v79
	v_pk_add_f16 v5, v58, v80
	;; [unrolled: 1-line block ×17, first 2 shown]
	ds_read2_b64 v[2:5], v68 offset0:48 offset1:56
	ds_read2_b64 v[6:9], v33 offset1:32
	v_pk_add_f16 v65, v10, v11
	ds_read2_b64 v[10:13], v33 offset0:64 offset1:96
	v_pk_add_f16 v48, v64, v89
	v_pk_add_f16 v47, v63, v92
	v_pk_add_f16 v63, v14, v15
	v_pk_add_f16 v64, v16, v17
	ds_read2_b64 v[14:17], v68 offset1:8
	v_pk_add_f16 v58, v69, v82
	v_pk_add_f16 v66, v66, v83
	;; [unrolled: 1-line block ×10, first 2 shown]
	ds_read2_b64 v[18:21], v68 offset0:16 offset1:24
	s_waitcnt lgkmcnt(4)
	v_pk_max_f16 v4, v4, v4
	s_waitcnt lgkmcnt(3)
	v_pk_max_f16 v6, v6, v6
	v_pk_max_f16 v8, v8, v8
	s_waitcnt lgkmcnt(2)
	v_pk_max_f16 v10, v10, v10
	v_pk_add_f16 v57, v57, v101
	v_pk_max_f16 v12, v12, v12
	v_pk_min_f16 v22, v4, v6
	v_pk_min_f16 v23, v4, v8
	;; [unrolled: 1-line block ×3, first 2 shown]
	s_waitcnt lgkmcnt(1)
	v_pk_max_f16 v14, v14, v14
	v_pk_max_f16 v16, v16, v16
	v_pk_add_f16 v43, v43, v22
	v_pk_add_f16 v51, v51, v23
	v_pk_add_f16 v50, v50, v24
	v_pk_min_f16 v22, v14, v6
	v_pk_min_f16 v23, v14, v8
	;; [unrolled: 1-line block ×4, first 2 shown]
	v_pk_add_f16 v41, v41, v85
	v_pk_add_f16 v79, v58, v22
	;; [unrolled: 1-line block ×4, first 2 shown]
	ds_read2_b64 v[22:25], v68 offset0:32 offset1:40
	v_pk_add_f16 v39, v39, v88
	v_pk_add_f16 v49, v49, v103
	;; [unrolled: 1-line block ×3, first 2 shown]
	v_pk_min_f16 v63, v16, v8
	s_waitcnt lgkmcnt(1)
	v_pk_max_f16 v18, v18, v18
	v_pk_add_f16 v56, v56, v87
	v_pk_add_f16 v41, v41, v102
	;; [unrolled: 1-line block ×3, first 2 shown]
	v_pk_min_f16 v58, v16, v6
	v_pk_add_f16 v63, v49, v63
	v_pk_min_f16 v49, v18, v6
	v_pk_max_f16 v20, v20, v20
	v_pk_add_f16 v36, v36, v94
	v_pk_add_f16 v56, v56, v104
	;; [unrolled: 1-line block ×4, first 2 shown]
	v_pk_min_f16 v80, v16, v10
	v_pk_add_f16 v41, v41, v58
	v_pk_min_f16 v58, v18, v8
	v_pk_add_f16 v39, v39, v49
	v_pk_min_f16 v49, v20, v8
	s_waitcnt lgkmcnt(0)
	v_pk_max_f16 v22, v22, v22
	v_pk_add_f16 v37, v37, v91
	v_pk_add_f16 v62, v62, v95
	;; [unrolled: 1-line block ×6, first 2 shown]
	v_pk_min_f16 v48, v20, v6
	v_pk_min_f16 v58, v20, v10
	;; [unrolled: 1-line block ×3, first 2 shown]
	v_pk_add_f16 v81, v47, v49
	v_pk_min_f16 v47, v22, v6
	v_pk_add_f16 v37, v37, v108
	v_pk_add_f16 v62, v62, v113
	;; [unrolled: 1-line block ×3, first 2 shown]
	v_pk_min_f16 v16, v16, v12
	v_pk_add_f16 v20, v46, v20
	v_pk_min_f16 v46, v22, v8
	v_pk_max_f16 v24, v24, v24
	v_pk_add_f16 v36, v36, v47
	v_pk_min_f16 v47, v22, v10
	v_pk_min_f16 v22, v22, v12
	v_pk_max_f16 v2, v2, v2
	v_pk_max_f16 v5, v5, v5
	;; [unrolled: 1-line block ×3, first 2 shown]
	v_pk_add_f16 v54, v54, v93
	v_pk_add_f16 v40, v40, v120
	;; [unrolled: 1-line block ×3, first 2 shown]
	v_pk_min_f16 v64, v18, v10
	v_pk_min_f16 v18, v18, v12
	v_pk_add_f16 v37, v37, v48
	v_pk_add_f16 v62, v62, v46
	v_pk_min_f16 v46, v24, v6
	v_pk_min_f16 v48, v24, v8
	v_pk_add_f16 v22, v45, v22
	v_pk_min_f16 v45, v24, v10
	v_pk_min_f16 v24, v24, v12
	;; [unrolled: 1-line block ×6, first 2 shown]
	v_pk_max_f16 v9, v9, v9
	v_pk_min_f16 v4, v4, v12
	v_pk_max_f16 v11, v11, v11
	v_pk_min_f16 v12, v5, v7
	v_pk_add_f16 v54, v54, v110
	v_pk_add_f16 v8, v67, v8
	;; [unrolled: 1-line block ×3, first 2 shown]
	v_pk_min_f16 v40, v5, v9
	v_pk_add_f16 v4, v42, v4
	v_pk_min_f16 v42, v5, v11
	v_pk_max_f16 v15, v15, v15
	v_pk_add_f16 v67, v43, v12
	v_pk_max_f16 v12, v13, v13
	v_pk_add_f16 v55, v55, v90
	v_pk_add_f16 v61, v61, v98
	;; [unrolled: 1-line block ×5, first 2 shown]
	v_pk_min_f16 v13, v15, v7
	v_pk_min_f16 v40, v15, v9
	;; [unrolled: 1-line block ×4, first 2 shown]
	v_pk_max_f16 v17, v17, v17
	v_pk_add_f16 v53, v53, v96
	v_pk_add_f16 v55, v55, v107
	;; [unrolled: 1-line block ×6, first 2 shown]
	v_pk_min_f16 v13, v17, v7
	v_pk_min_f16 v14, v17, v9
	;; [unrolled: 1-line block ×4, first 2 shown]
	v_pk_max_f16 v19, v19, v19
	v_pk_add_f16 v38, v38, v97
	v_pk_add_f16 v53, v53, v114
	;; [unrolled: 1-line block ×9, first 2 shown]
	v_pk_min_f16 v13, v19, v7
	v_pk_min_f16 v14, v19, v9
	;; [unrolled: 1-line block ×4, first 2 shown]
	v_pk_max_f16 v17, v21, v21
	v_pk_add_f16 v52, v52, v99
	v_pk_add_f16 v38, v38, v116
	;; [unrolled: 1-line block ×7, first 2 shown]
	v_pk_min_f16 v13, v17, v7
	v_pk_min_f16 v14, v17, v9
	;; [unrolled: 1-line block ×4, first 2 shown]
	v_pk_max_f16 v17, v23, v23
	v_pk_add_f16 v52, v52, v118
	v_pk_add_f16 v44, v44, v119
	;; [unrolled: 1-line block ×7, first 2 shown]
	v_pk_min_f16 v13, v17, v7
	v_pk_min_f16 v14, v17, v9
	;; [unrolled: 1-line block ×4, first 2 shown]
	v_pk_max_f16 v17, v25, v25
	v_pk_max_f16 v3, v3, v3
	v_pk_add_f16 v52, v52, v45
	v_pk_add_f16 v24, v44, v24
	;; [unrolled: 1-line block ×7, first 2 shown]
	v_pk_min_f16 v13, v17, v7
	v_pk_min_f16 v14, v17, v9
	;; [unrolled: 1-line block ×9, first 2 shown]
	v_add_co_u32 v73, s2, v73, s8
	v_pk_add_f16 v66, v60, v40
	v_pk_add_f16 v57, v57, v42
	;; [unrolled: 1-line block ×11, first 2 shown]
	v_add_co_ci_u32_e64 v74, null, s9, v74, s2
	s_add_i32 s29, s29, 8
	ds_write_b16 v70, v76
	ds_write_b16 v71, v78
	ds_write_b16 v71, v77 offset:512
	s_cmp_ge_i32 s29, s20
	s_waitcnt lgkmcnt(0)
	s_barrier
	buffer_gl0_inv
	s_cbranch_scc1 .LBB299_34
.LBB299_22:                             ; =>This Inner Loop Header: Depth=1
	v_add_nc_u32_e32 v77, s29, v32
	v_mov_b32_e32 v78, 0
	v_mov_b32_e32 v79, 0
	v_add_nc_u32_e32 v2, 8, v77
	v_cmp_gt_i32_e64 s2, s14, v2
	s_and_b32 s2, vcc_lo, s2
	s_and_b32 s2, s24, s2
	s_and_saveexec_b32 s3, s2
	s_cbranch_execz .LBB299_24
; %bb.23:                               ;   in Loop: Header=BB299_22 Depth=1
	v_add_co_u32 v3, s2, v73, v28
	v_add_co_ci_u32_e64 v4, null, v74, v29, s2
	global_load_ushort v3, v[3:4], off
	s_waitcnt vmcnt(0)
	v_mul_f16_e32 v79, s15, v3
.LBB299_24:                             ;   in Loop: Header=BB299_22 Depth=1
	s_or_b32 exec_lo, exec_lo, s3
	v_min_i32_e32 v3, s27, v2
	v_cmp_le_i32_e64 s2, s14, v2
	v_mad_i64_i32 v[3:4], null, v3, s26, 0
	v_lshlrev_b64 v[3:4], 1, v[3:4]
	v_add_co_u32 v2, s3, s18, v3
	v_add_co_ci_u32_e64 v3, null, s19, v4, s3
	s_or_b32 s3, s0, s2
	s_nor_b32 s3, s3, s28
	s_and_saveexec_b32 s21, s3
	s_cbranch_execz .LBB299_26
; %bb.25:                               ;   in Loop: Header=BB299_22 Depth=1
	v_add_co_u32 v4, s3, v2, v30
	v_add_co_ci_u32_e64 v5, null, v3, v31, s3
	global_load_ushort v4, v[4:5], off
	s_waitcnt vmcnt(0)
	v_mul_f16_e32 v78, s15, v4
.LBB299_26:                             ;   in Loop: Header=BB299_22 Depth=1
	s_or_b32 exec_lo, exec_lo, s21
	v_mov_b32_e32 v76, 0
	v_mov_b32_e32 v80, 0
	s_or_b32 s2, s1, s2
	s_nor_b32 s2, s2, s28
	s_and_saveexec_b32 s3, s2
	s_cbranch_execz .LBB299_28
; %bb.27:                               ;   in Loop: Header=BB299_22 Depth=1
	v_add_co_u32 v2, s2, v2, v30
	v_add_co_ci_u32_e64 v3, null, v3, v31, s2
	global_load_ushort v2, v[2:3], off offset:128
	s_waitcnt vmcnt(0)
	v_mul_f16_e32 v80, s15, v2
.LBB299_28:                             ;   in Loop: Header=BB299_22 Depth=1
	s_or_b32 exec_lo, exec_lo, s3
	ds_read2_b64 v[2:5], v72 offset0:48 offset1:56
	ds_read2_b64 v[18:21], v75 offset0:64 offset1:96
	ds_read2_b64 v[22:25], v75 offset1:32
	ds_read2_b64 v[14:17], v72 offset1:8
	ds_read2_b64 v[10:13], v72 offset0:16 offset1:24
	ds_read2_b64 v[6:9], v72 offset0:32 offset1:40
	v_add_nc_u32_e32 v77, 12, v77
	ds_write_b16 v59, v79
	ds_write_b16 v35, v78
	ds_write_b16 v35, v80 offset:512
	s_waitcnt lgkmcnt(0)
	s_barrier
	buffer_gl0_inv
	v_cmp_gt_i32_e64 s2, s14, v77
	s_and_b32 s2, vcc_lo, s2
	s_and_b32 s2, s24, s2
	s_and_saveexec_b32 s3, s2
	s_xor_b32 s3, exec_lo, s3
	s_cbranch_execz .LBB299_30
; %bb.29:                               ;   in Loop: Header=BB299_22 Depth=1
	v_add_co_u32 v78, s2, v73, v26
	v_add_co_ci_u32_e64 v79, null, v74, v27, s2
	global_load_ushort v76, v[78:79], off
	s_waitcnt vmcnt(0)
	v_mul_f16_e32 v76, s15, v76
.LBB299_30:                             ;   in Loop: Header=BB299_22 Depth=1
	s_or_b32 exec_lo, exec_lo, s3
	v_min_i32_e32 v78, s27, v77
	v_cmp_le_i32_e64 s2, s14, v77
	v_mov_b32_e32 v77, 0
	v_mad_i64_i32 v[78:79], null, v78, s26, 0
	v_lshlrev_b64 v[79:80], 1, v[78:79]
	v_mov_b32_e32 v78, 0
	v_add_co_u32 v79, s3, s18, v79
	v_add_co_ci_u32_e64 v80, null, s19, v80, s3
	s_or_b32 s3, s0, s2
	s_nor_b32 s3, s3, s28
	s_and_saveexec_b32 s21, s3
	s_cbranch_execz .LBB299_32
; %bb.31:                               ;   in Loop: Header=BB299_22 Depth=1
	v_add_co_u32 v81, s3, v79, v30
	v_add_co_ci_u32_e64 v82, null, v80, v31, s3
	global_load_ushort v78, v[81:82], off
	s_waitcnt vmcnt(0)
	v_mul_f16_e32 v78, s15, v78
.LBB299_32:                             ;   in Loop: Header=BB299_22 Depth=1
	s_or_b32 exec_lo, exec_lo, s21
	s_or_b32 s2, s1, s2
	s_nor_b32 s2, s2, s28
	s_and_saveexec_b32 s3, s2
	s_cbranch_execz .LBB299_21
; %bb.33:                               ;   in Loop: Header=BB299_22 Depth=1
	v_add_co_u32 v79, s2, v79, v30
	v_add_co_ci_u32_e64 v80, null, v80, v31, s2
	global_load_ushort v77, v[79:80], off offset:128
	s_waitcnt vmcnt(0)
	v_mul_f16_e32 v77, s15, v77
	s_branch .LBB299_21
.LBB299_34:
	s_clause 0x2
	s_load_dwordx2 s[0:1], s[4:5], 0x70
	s_load_dword s14, s[4:5], 0x50
	s_load_dword s9, s[4:5], 0x68
	v_add_nc_u32_e32 v68, s25, v1
	v_add_nc_u32_e32 v10, 0x800, v34
	ds_read2_b64 v[2:5], v33 offset0:192 offset1:224
	ds_read2_b64 v[22:25], v33 offset0:128 offset1:160
	v_add_nc_u32_e32 v0, s6, v0
	ds_read2_b64 v[6:9], v10 offset0:112 offset1:120
	ds_read2_b64 v[18:21], v10 offset0:64 offset1:72
	;; [unrolled: 1-line block ×4, first 2 shown]
	v_cmp_gt_i32_e64 s8, s13, v68
	v_ashrrev_i32_e32 v1, 31, v0
	v_cndmask_b32_e64 v59, 0, 1, s23
	s_waitcnt lgkmcnt(0)
	s_mul_i32 s1, s1, s7
	v_mad_i64_i32 v[26:27], null, v68, s14, 0
	v_mad_i64_i32 v[28:29], null, v68, s9, 0
	s_mul_hi_u32 s2, s0, s7
	s_mul_i32 s0, s0, s7
	s_add_i32 s1, s2, s1
	s_lshl_b64 s[2:3], s[0:1], 1
	v_lshlrev_b64 v[26:27], 1, v[26:27]
	v_lshlrev_b64 v[28:29], 1, v[28:29]
	s_add_u32 s10, s10, s2
	v_cmp_gt_i32_e64 s0, s12, v0
	s_addc_u32 s11, s11, s3
	v_add_co_u32 v72, vcc_lo, s16, v26
	v_add_co_ci_u32_e64 v73, null, s17, v27, vcc_lo
	v_add_co_u32 v70, vcc_lo, s10, v28
	v_add_co_ci_u32_e64 v71, null, s11, v29, vcc_lo
	s_and_b32 s1, s0, s8
	s_and_saveexec_b32 s2, s1
	s_xor_b32 s1, exec_lo, s2
	s_cbranch_execz .LBB299_40
; %bb.35:
	v_lshlrev_b64 v[26:27], 1, v[0:1]
	s_andn2_b32 vcc_lo, exec_lo, s23
	s_cbranch_vccnz .LBB299_38
; %bb.36:
	v_add_co_u32 v28, vcc_lo, v72, v26
	v_add_co_ci_u32_e64 v29, null, v73, v27, vcc_lo
	global_load_ushort v28, v[28:29], off
	s_waitcnt vmcnt(0)
	v_mul_f16_e32 v28, s22, v28
	s_branch .LBB299_39
.LBB299_37:
	s_mov_b64 s[20:21], 0
	s_andn2_b32 vcc_lo, exec_lo, s8
	s_mov_b32 s0, -1
	s_cbranch_vccz .LBB299_2
	s_branch .LBB299_3
.LBB299_38:
	v_mov_b32_e32 v28, 0
.LBB299_39:
	v_pk_max_f16 v29, v22, v22
	v_pk_max_f16 v30, v18, v18
	;; [unrolled: 1-line block ×4, first 2 shown]
	v_add_co_u32 v26, vcc_lo, v70, v26
	v_pk_min_f16 v29, v30, v29
	v_add_co_ci_u32_e64 v27, null, v71, v27, vcc_lo
	v_pk_min_f16 v30, v32, v31
	v_pk_add_f16 v29, v69, v29
	v_pk_add_f16 v29, v29, v30
	v_add_f16_sdwa v29, v29, v29 dst_sel:DWORD dst_unused:UNUSED_PAD src0_sel:DWORD src1_sel:WORD_1
	v_add_f16_e32 v28, v29, v28
	global_store_short v[26:27], v28, off
.LBB299_40:
	s_or_b32 exec_lo, exec_lo, s1
	v_add_nc_u32_e32 v26, 8, v0
	v_cmp_gt_i32_e64 s1, s12, v26
	v_ashrrev_i32_e32 v27, 31, v26
	s_and_b32 s3, s1, s8
	s_and_saveexec_b32 s2, s3
	s_cbranch_execz .LBB299_45
; %bb.41:
	v_cmp_ne_u32_e32 vcc_lo, 1, v59
	v_lshlrev_b64 v[28:29], 1, v[26:27]
	s_cbranch_vccnz .LBB299_43
; %bb.42:
	v_add_co_u32 v30, vcc_lo, v72, v28
	v_add_co_ci_u32_e64 v31, null, v73, v29, vcc_lo
	global_load_ushort v30, v[30:31], off
	s_waitcnt vmcnt(0)
	v_mul_f16_e32 v30, s22, v30
	s_branch .LBB299_44
.LBB299_43:
	v_mov_b32_e32 v30, 0
.LBB299_44:
	v_pk_max_f16 v31, v22, v22
	v_pk_max_f16 v32, v20, v20
	v_pk_max_f16 v33, v23, v23
	v_pk_max_f16 v34, v21, v21
	v_add_co_u32 v28, vcc_lo, v70, v28
	v_pk_min_f16 v31, v32, v31
	v_add_co_ci_u32_e64 v29, null, v71, v29, vcc_lo
	v_pk_min_f16 v32, v34, v33
	v_pk_add_f16 v31, v41, v31
	v_pk_add_f16 v31, v31, v32
	v_add_f16_sdwa v31, v31, v31 dst_sel:DWORD dst_unused:UNUSED_PAD src0_sel:DWORD src1_sel:WORD_1
	v_add_f16_e32 v30, v31, v30
	global_store_short v[28:29], v30, off
.LBB299_45:
	s_or_b32 exec_lo, exec_lo, s2
	v_add_nc_u32_e32 v28, 16, v0
	v_cmp_gt_i32_e64 s2, s12, v28
	v_ashrrev_i32_e32 v29, 31, v28
	s_and_b32 s4, s2, s8
	s_and_saveexec_b32 s3, s4
	s_cbranch_execz .LBB299_50
; %bb.46:
	v_cmp_ne_u32_e32 vcc_lo, 1, v59
	v_lshlrev_b64 v[30:31], 1, v[28:29]
	s_cbranch_vccnz .LBB299_48
; %bb.47:
	v_add_co_u32 v32, vcc_lo, v72, v30
	v_add_co_ci_u32_e64 v33, null, v73, v31, vcc_lo
	global_load_ushort v32, v[32:33], off
	s_waitcnt vmcnt(0)
	v_mul_f16_e32 v32, s22, v32
	s_branch .LBB299_49
.LBB299_48:
	v_mov_b32_e32 v32, 0
.LBB299_49:
	v_pk_max_f16 v33, v22, v22
	v_pk_max_f16 v34, v14, v14
	v_pk_max_f16 v35, v23, v23
	v_pk_max_f16 v41, v15, v15
	v_add_co_u32 v30, vcc_lo, v70, v30
	v_pk_min_f16 v33, v34, v33
	v_add_co_ci_u32_e64 v31, null, v71, v31, vcc_lo
	v_pk_min_f16 v34, v41, v35
	v_pk_add_f16 v33, v39, v33
	v_pk_add_f16 v33, v33, v34
	v_add_f16_sdwa v33, v33, v33 dst_sel:DWORD dst_unused:UNUSED_PAD src0_sel:DWORD src1_sel:WORD_1
	v_add_f16_e32 v32, v33, v32
	global_store_short v[30:31], v32, off
.LBB299_50:
	;; [unrolled: 35-line block ×6, first 2 shown]
	s_or_b32 exec_lo, exec_lo, s7
	v_add_nc_u32_e32 v38, 56, v0
	v_cmp_gt_i32_e64 s7, s12, v38
	v_ashrrev_i32_e32 v39, 31, v38
	s_and_b32 s12, s7, s8
	s_and_saveexec_b32 s8, s12
	s_cbranch_execz .LBB299_75
; %bb.71:
	v_cmp_ne_u32_e32 vcc_lo, 1, v59
	v_lshlrev_b64 v[40:41], 1, v[38:39]
	s_cbranch_vccnz .LBB299_73
; %bb.72:
	v_add_co_u32 v72, vcc_lo, v72, v40
	v_add_co_ci_u32_e64 v73, null, v73, v41, vcc_lo
	global_load_ushort v69, v[72:73], off
	s_waitcnt vmcnt(0)
	v_mul_f16_e32 v69, s22, v69
	s_branch .LBB299_74
.LBB299_73:
	v_mov_b32_e32 v69, 0
.LBB299_74:
	v_pk_max_f16 v22, v22, v22
	v_pk_max_f16 v72, v8, v8
	;; [unrolled: 1-line block ×4, first 2 shown]
	v_pk_min_f16 v22, v72, v22
	v_pk_min_f16 v23, v73, v23
	v_pk_add_f16 v22, v67, v22
	v_pk_add_f16 v22, v22, v23
	v_add_f16_sdwa v22, v22, v22 dst_sel:DWORD dst_unused:UNUSED_PAD src0_sel:DWORD src1_sel:WORD_1
	v_add_f16_e32 v67, v22, v69
	v_add_co_u32 v22, vcc_lo, v70, v40
	v_add_co_ci_u32_e64 v23, null, v71, v41, vcc_lo
	global_store_short v[22:23], v67, off
.LBB299_75:
	s_or_b32 exec_lo, exec_lo, s8
	v_add_nc_u32_e32 v67, 32, v68
	v_mad_i64_i32 v[22:23], null, v67, s14, 0
	v_mad_i64_i32 v[40:41], null, v67, s9, 0
	v_cmp_gt_i32_e64 s8, s13, v67
	v_lshlrev_b64 v[22:23], 1, v[22:23]
	s_and_b32 s15, s0, s8
	v_lshlrev_b64 v[40:41], 1, v[40:41]
	v_add_co_u32 v67, vcc_lo, s16, v22
	v_add_co_ci_u32_e64 v69, null, s17, v23, vcc_lo
	v_add_co_u32 v40, vcc_lo, s10, v40
	v_add_co_ci_u32_e64 v41, null, s11, v41, vcc_lo
	s_and_saveexec_b32 s12, s15
	s_cbranch_execnz .LBB299_83
; %bb.76:
	s_or_b32 exec_lo, exec_lo, s12
	s_and_b32 s15, s1, s8
	s_and_saveexec_b32 s12, s15
	s_cbranch_execnz .LBB299_87
.LBB299_77:
	s_or_b32 exec_lo, exec_lo, s12
	s_and_b32 s15, s2, s8
	s_and_saveexec_b32 s12, s15
	s_cbranch_execnz .LBB299_91
.LBB299_78:
	s_or_b32 exec_lo, exec_lo, s12
	s_and_b32 s15, s3, s8
	s_and_saveexec_b32 s12, s15
	s_cbranch_execnz .LBB299_95
.LBB299_79:
	s_or_b32 exec_lo, exec_lo, s12
	s_and_b32 s15, s4, s8
	s_and_saveexec_b32 s12, s15
	s_cbranch_execnz .LBB299_99
.LBB299_80:
	s_or_b32 exec_lo, exec_lo, s12
	s_and_b32 s15, s5, s8
	s_and_saveexec_b32 s12, s15
	s_cbranch_execnz .LBB299_103
.LBB299_81:
	s_or_b32 exec_lo, exec_lo, s12
	s_and_b32 s15, s6, s8
	s_and_saveexec_b32 s12, s15
	s_cbranch_execnz .LBB299_107
.LBB299_82:
	s_or_b32 exec_lo, exec_lo, s12
	s_and_b32 s12, s7, s8
	s_and_saveexec_b32 s8, s12
	s_cbranch_execnz .LBB299_111
	s_branch .LBB299_115
.LBB299_83:
	v_cmp_ne_u32_e32 vcc_lo, 1, v59
	v_lshlrev_b64 v[22:23], 1, v[0:1]
	s_cbranch_vccnz .LBB299_85
; %bb.84:
	v_add_co_u32 v70, vcc_lo, v67, v22
	v_add_co_ci_u32_e64 v71, null, v69, v23, vcc_lo
	global_load_ushort v70, v[70:71], off
	s_waitcnt vmcnt(0)
	v_mul_f16_e32 v70, s22, v70
	s_branch .LBB299_86
.LBB299_85:
	v_mov_b32_e32 v70, 0
.LBB299_86:
	v_pk_max_f16 v71, v24, v24
	v_pk_max_f16 v72, v18, v18
	;; [unrolled: 1-line block ×4, first 2 shown]
	v_add_co_u32 v22, vcc_lo, v40, v22
	v_pk_min_f16 v71, v72, v71
	v_add_co_ci_u32_e64 v23, null, v41, v23, vcc_lo
	v_pk_min_f16 v72, v74, v73
	v_pk_add_f16 v66, v66, v71
	v_pk_add_f16 v66, v66, v72
	v_add_f16_sdwa v66, v66, v66 dst_sel:DWORD dst_unused:UNUSED_PAD src0_sel:DWORD src1_sel:WORD_1
	v_add_f16_e32 v66, v66, v70
	global_store_short v[22:23], v66, off
	s_or_b32 exec_lo, exec_lo, s12
	s_and_b32 s15, s1, s8
	s_and_saveexec_b32 s12, s15
	s_cbranch_execz .LBB299_77
.LBB299_87:
	v_cmp_ne_u32_e32 vcc_lo, 1, v59
	v_lshlrev_b64 v[22:23], 1, v[26:27]
	s_cbranch_vccnz .LBB299_89
; %bb.88:
	v_add_co_u32 v70, vcc_lo, v67, v22
	v_add_co_ci_u32_e64 v71, null, v69, v23, vcc_lo
	global_load_ushort v66, v[70:71], off
	s_waitcnt vmcnt(0)
	v_mul_f16_e32 v66, s22, v66
	s_branch .LBB299_90
.LBB299_89:
	v_mov_b32_e32 v66, 0
.LBB299_90:
	v_pk_max_f16 v70, v24, v24
	v_pk_max_f16 v71, v20, v20
	;; [unrolled: 1-line block ×4, first 2 shown]
	v_add_co_u32 v22, vcc_lo, v40, v22
	v_pk_min_f16 v70, v71, v70
	v_add_co_ci_u32_e64 v23, null, v41, v23, vcc_lo
	v_pk_min_f16 v71, v73, v72
	v_pk_add_f16 v65, v65, v70
	v_pk_add_f16 v65, v65, v71
	v_add_f16_sdwa v65, v65, v65 dst_sel:DWORD dst_unused:UNUSED_PAD src0_sel:DWORD src1_sel:WORD_1
	v_add_f16_e32 v65, v65, v66
	global_store_short v[22:23], v65, off
	s_or_b32 exec_lo, exec_lo, s12
	s_and_b32 s15, s2, s8
	s_and_saveexec_b32 s12, s15
	s_cbranch_execz .LBB299_78
.LBB299_91:
	v_cmp_ne_u32_e32 vcc_lo, 1, v59
	v_lshlrev_b64 v[22:23], 1, v[28:29]
	s_cbranch_vccnz .LBB299_93
; %bb.92:
	v_add_co_u32 v65, vcc_lo, v67, v22
	v_add_co_ci_u32_e64 v66, null, v69, v23, vcc_lo
	global_load_ushort v65, v[65:66], off
	s_waitcnt vmcnt(0)
	v_mul_f16_e32 v65, s22, v65
	s_branch .LBB299_94
.LBB299_93:
	v_mov_b32_e32 v65, 0
.LBB299_94:
	v_pk_max_f16 v66, v24, v24
	v_pk_max_f16 v70, v14, v14
	v_pk_max_f16 v71, v25, v25
	v_pk_max_f16 v72, v15, v15
	v_add_co_u32 v22, vcc_lo, v40, v22
	v_pk_min_f16 v66, v70, v66
	v_add_co_ci_u32_e64 v23, null, v41, v23, vcc_lo
	v_pk_min_f16 v70, v72, v71
	v_pk_add_f16 v64, v64, v66
	v_pk_add_f16 v64, v64, v70
	v_add_f16_sdwa v64, v64, v64 dst_sel:DWORD dst_unused:UNUSED_PAD src0_sel:DWORD src1_sel:WORD_1
	v_add_f16_e32 v64, v64, v65
	global_store_short v[22:23], v64, off
	s_or_b32 exec_lo, exec_lo, s12
	s_and_b32 s15, s3, s8
	s_and_saveexec_b32 s12, s15
	s_cbranch_execz .LBB299_79
.LBB299_95:
	v_cmp_ne_u32_e32 vcc_lo, 1, v59
	v_lshlrev_b64 v[22:23], 1, v[30:31]
	s_cbranch_vccnz .LBB299_97
; %bb.96:
	v_add_co_u32 v64, vcc_lo, v67, v22
	v_add_co_ci_u32_e64 v65, null, v69, v23, vcc_lo
	global_load_ushort v64, v[64:65], off
	s_waitcnt vmcnt(0)
	v_mul_f16_e32 v64, s22, v64
	s_branch .LBB299_98
.LBB299_97:
	v_mov_b32_e32 v64, 0
.LBB299_98:
	v_pk_max_f16 v65, v24, v24
	v_pk_max_f16 v66, v16, v16
	;; [unrolled: 1-line block ×4, first 2 shown]
	v_add_co_u32 v22, vcc_lo, v40, v22
	v_pk_min_f16 v65, v66, v65
	v_add_co_ci_u32_e64 v23, null, v41, v23, vcc_lo
	v_pk_min_f16 v66, v71, v70
	v_pk_add_f16 v63, v63, v65
	v_pk_add_f16 v63, v63, v66
	v_add_f16_sdwa v63, v63, v63 dst_sel:DWORD dst_unused:UNUSED_PAD src0_sel:DWORD src1_sel:WORD_1
	v_add_f16_e32 v63, v63, v64
	global_store_short v[22:23], v63, off
	s_or_b32 exec_lo, exec_lo, s12
	s_and_b32 s15, s4, s8
	s_and_saveexec_b32 s12, s15
	s_cbranch_execz .LBB299_80
.LBB299_99:
	v_cmp_ne_u32_e32 vcc_lo, 1, v59
	v_lshlrev_b64 v[22:23], 1, v[32:33]
	s_cbranch_vccnz .LBB299_101
; %bb.100:
	v_add_co_u32 v63, vcc_lo, v67, v22
	v_add_co_ci_u32_e64 v64, null, v69, v23, vcc_lo
	global_load_ushort v63, v[63:64], off
	s_waitcnt vmcnt(0)
	v_mul_f16_e32 v63, s22, v63
	s_branch .LBB299_102
.LBB299_101:
	v_mov_b32_e32 v63, 0
.LBB299_102:
	v_pk_max_f16 v64, v24, v24
	v_pk_max_f16 v65, v10, v10
	;; [unrolled: 1-line block ×4, first 2 shown]
	v_add_co_u32 v22, vcc_lo, v40, v22
	v_pk_min_f16 v64, v65, v64
	v_add_co_ci_u32_e64 v23, null, v41, v23, vcc_lo
	v_pk_min_f16 v65, v70, v66
	v_pk_add_f16 v62, v62, v64
	v_pk_add_f16 v62, v62, v65
	v_add_f16_sdwa v62, v62, v62 dst_sel:DWORD dst_unused:UNUSED_PAD src0_sel:DWORD src1_sel:WORD_1
	v_add_f16_e32 v62, v62, v63
	global_store_short v[22:23], v62, off
	s_or_b32 exec_lo, exec_lo, s12
	s_and_b32 s15, s5, s8
	s_and_saveexec_b32 s12, s15
	s_cbranch_execz .LBB299_81
.LBB299_103:
	v_cmp_ne_u32_e32 vcc_lo, 1, v59
	v_lshlrev_b64 v[22:23], 1, v[34:35]
	s_cbranch_vccnz .LBB299_105
; %bb.104:
	v_add_co_u32 v62, vcc_lo, v67, v22
	v_add_co_ci_u32_e64 v63, null, v69, v23, vcc_lo
	global_load_ushort v62, v[62:63], off
	s_waitcnt vmcnt(0)
	v_mul_f16_e32 v62, s22, v62
	s_branch .LBB299_106
.LBB299_105:
	v_mov_b32_e32 v62, 0
.LBB299_106:
	v_pk_max_f16 v63, v24, v24
	v_pk_max_f16 v64, v12, v12
	;; [unrolled: 1-line block ×4, first 2 shown]
	v_add_co_u32 v22, vcc_lo, v40, v22
	v_pk_min_f16 v63, v64, v63
	v_add_co_ci_u32_e64 v23, null, v41, v23, vcc_lo
	v_pk_min_f16 v64, v66, v65
	v_pk_add_f16 v61, v61, v63
	v_pk_add_f16 v61, v61, v64
	v_add_f16_sdwa v61, v61, v61 dst_sel:DWORD dst_unused:UNUSED_PAD src0_sel:DWORD src1_sel:WORD_1
	v_add_f16_e32 v61, v61, v62
	global_store_short v[22:23], v61, off
	s_or_b32 exec_lo, exec_lo, s12
	s_and_b32 s15, s6, s8
	s_and_saveexec_b32 s12, s15
	s_cbranch_execz .LBB299_82
.LBB299_107:
	v_cmp_ne_u32_e32 vcc_lo, 1, v59
	v_lshlrev_b64 v[22:23], 1, v[36:37]
	s_cbranch_vccnz .LBB299_109
; %bb.108:
	v_add_co_u32 v61, vcc_lo, v67, v22
	v_add_co_ci_u32_e64 v62, null, v69, v23, vcc_lo
	global_load_ushort v61, v[61:62], off
	s_waitcnt vmcnt(0)
	v_mul_f16_e32 v61, s22, v61
	s_branch .LBB299_110
.LBB299_109:
	v_mov_b32_e32 v61, 0
.LBB299_110:
	v_pk_max_f16 v62, v24, v24
	v_pk_max_f16 v63, v6, v6
	;; [unrolled: 1-line block ×4, first 2 shown]
	v_add_co_u32 v22, vcc_lo, v40, v22
	v_pk_min_f16 v62, v63, v62
	v_add_co_ci_u32_e64 v23, null, v41, v23, vcc_lo
	v_pk_min_f16 v63, v65, v64
	v_pk_add_f16 v60, v60, v62
	v_pk_add_f16 v60, v60, v63
	v_add_f16_sdwa v60, v60, v60 dst_sel:DWORD dst_unused:UNUSED_PAD src0_sel:DWORD src1_sel:WORD_1
	v_add_f16_e32 v60, v60, v61
	global_store_short v[22:23], v60, off
	s_or_b32 exec_lo, exec_lo, s12
	s_and_b32 s12, s7, s8
	s_and_saveexec_b32 s8, s12
	s_cbranch_execz .LBB299_115
.LBB299_111:
	v_cmp_ne_u32_e32 vcc_lo, 1, v59
	v_lshlrev_b64 v[22:23], 1, v[38:39]
	s_cbranch_vccnz .LBB299_113
; %bb.112:
	v_add_co_u32 v60, vcc_lo, v67, v22
	v_add_co_ci_u32_e64 v61, null, v69, v23, vcc_lo
	global_load_ushort v60, v[60:61], off
	s_waitcnt vmcnt(0)
	v_mul_f16_e32 v60, s22, v60
	s_branch .LBB299_114
.LBB299_113:
	v_mov_b32_e32 v60, 0
.LBB299_114:
	v_pk_max_f16 v24, v24, v24
	v_pk_max_f16 v61, v8, v8
	;; [unrolled: 1-line block ×4, first 2 shown]
	v_add_co_u32 v22, vcc_lo, v40, v22
	v_pk_min_f16 v24, v61, v24
	v_add_co_ci_u32_e64 v23, null, v41, v23, vcc_lo
	v_pk_min_f16 v25, v62, v25
	v_pk_add_f16 v24, v58, v24
	v_pk_add_f16 v24, v24, v25
	v_add_f16_sdwa v24, v24, v24 dst_sel:DWORD dst_unused:UNUSED_PAD src0_sel:DWORD src1_sel:WORD_1
	v_add_f16_e32 v24, v24, v60
	global_store_short v[22:23], v24, off
.LBB299_115:
	s_or_b32 exec_lo, exec_lo, s8
	v_add_nc_u32_e32 v40, 64, v68
	v_mad_i64_i32 v[22:23], null, v40, s14, 0
	v_mad_i64_i32 v[24:25], null, v40, s9, 0
	v_cmp_gt_i32_e64 s8, s13, v40
	v_lshlrev_b64 v[22:23], 1, v[22:23]
	s_and_b32 s15, s0, s8
	v_lshlrev_b64 v[24:25], 1, v[24:25]
	v_add_co_u32 v40, vcc_lo, s16, v22
	v_add_co_ci_u32_e64 v41, null, s17, v23, vcc_lo
	v_add_co_u32 v24, vcc_lo, s10, v24
	v_add_co_ci_u32_e64 v25, null, s11, v25, vcc_lo
	s_and_saveexec_b32 s12, s15
	s_cbranch_execnz .LBB299_123
; %bb.116:
	s_or_b32 exec_lo, exec_lo, s12
	s_and_b32 s15, s1, s8
	s_and_saveexec_b32 s12, s15
	s_cbranch_execnz .LBB299_127
.LBB299_117:
	s_or_b32 exec_lo, exec_lo, s12
	s_and_b32 s15, s2, s8
	s_and_saveexec_b32 s12, s15
	s_cbranch_execnz .LBB299_131
.LBB299_118:
	s_or_b32 exec_lo, exec_lo, s12
	s_and_b32 s15, s3, s8
	s_and_saveexec_b32 s12, s15
	s_cbranch_execnz .LBB299_135
.LBB299_119:
	s_or_b32 exec_lo, exec_lo, s12
	s_and_b32 s15, s4, s8
	s_and_saveexec_b32 s12, s15
	s_cbranch_execnz .LBB299_139
.LBB299_120:
	s_or_b32 exec_lo, exec_lo, s12
	s_and_b32 s15, s5, s8
	s_and_saveexec_b32 s12, s15
	s_cbranch_execnz .LBB299_143
.LBB299_121:
	s_or_b32 exec_lo, exec_lo, s12
	s_and_b32 s15, s6, s8
	s_and_saveexec_b32 s12, s15
	s_cbranch_execnz .LBB299_147
.LBB299_122:
	s_or_b32 exec_lo, exec_lo, s12
	s_and_b32 s12, s7, s8
	s_and_saveexec_b32 s8, s12
	s_cbranch_execnz .LBB299_151
	s_branch .LBB299_155
.LBB299_123:
	v_cmp_ne_u32_e32 vcc_lo, 1, v59
	v_lshlrev_b64 v[22:23], 1, v[0:1]
	s_cbranch_vccnz .LBB299_125
; %bb.124:
	v_add_co_u32 v60, vcc_lo, v40, v22
	v_add_co_ci_u32_e64 v61, null, v41, v23, vcc_lo
	global_load_ushort v58, v[60:61], off
	s_waitcnt vmcnt(0)
	v_mul_f16_e32 v58, s22, v58
	s_branch .LBB299_126
.LBB299_125:
	v_mov_b32_e32 v58, 0
.LBB299_126:
	v_pk_max_f16 v60, v2, v2
	v_pk_max_f16 v61, v18, v18
	;; [unrolled: 1-line block ×4, first 2 shown]
	v_add_co_u32 v22, vcc_lo, v24, v22
	v_pk_min_f16 v60, v61, v60
	v_add_co_ci_u32_e64 v23, null, v25, v23, vcc_lo
	v_pk_min_f16 v61, v63, v62
	v_pk_add_f16 v57, v57, v60
	v_pk_add_f16 v57, v57, v61
	v_add_f16_sdwa v57, v57, v57 dst_sel:DWORD dst_unused:UNUSED_PAD src0_sel:DWORD src1_sel:WORD_1
	v_add_f16_e32 v57, v57, v58
	global_store_short v[22:23], v57, off
	s_or_b32 exec_lo, exec_lo, s12
	s_and_b32 s15, s1, s8
	s_and_saveexec_b32 s12, s15
	s_cbranch_execz .LBB299_117
.LBB299_127:
	v_cmp_ne_u32_e32 vcc_lo, 1, v59
	v_lshlrev_b64 v[22:23], 1, v[26:27]
	s_cbranch_vccnz .LBB299_129
; %bb.128:
	v_add_co_u32 v57, vcc_lo, v40, v22
	v_add_co_ci_u32_e64 v58, null, v41, v23, vcc_lo
	global_load_ushort v57, v[57:58], off
	s_waitcnt vmcnt(0)
	v_mul_f16_e32 v57, s22, v57
	s_branch .LBB299_130
.LBB299_129:
	v_mov_b32_e32 v57, 0
.LBB299_130:
	v_pk_max_f16 v58, v2, v2
	v_pk_max_f16 v60, v20, v20
	;; [unrolled: 1-line block ×4, first 2 shown]
	v_add_co_u32 v22, vcc_lo, v24, v22
	v_pk_min_f16 v58, v60, v58
	v_add_co_ci_u32_e64 v23, null, v25, v23, vcc_lo
	v_pk_min_f16 v60, v62, v61
	v_pk_add_f16 v56, v56, v58
	v_pk_add_f16 v56, v56, v60
	v_add_f16_sdwa v56, v56, v56 dst_sel:DWORD dst_unused:UNUSED_PAD src0_sel:DWORD src1_sel:WORD_1
	v_add_f16_e32 v56, v56, v57
	global_store_short v[22:23], v56, off
	s_or_b32 exec_lo, exec_lo, s12
	s_and_b32 s15, s2, s8
	s_and_saveexec_b32 s12, s15
	s_cbranch_execz .LBB299_118
.LBB299_131:
	v_cmp_ne_u32_e32 vcc_lo, 1, v59
	v_lshlrev_b64 v[22:23], 1, v[28:29]
	s_cbranch_vccnz .LBB299_133
; %bb.132:
	v_add_co_u32 v56, vcc_lo, v40, v22
	v_add_co_ci_u32_e64 v57, null, v41, v23, vcc_lo
	global_load_ushort v56, v[56:57], off
	s_waitcnt vmcnt(0)
	v_mul_f16_e32 v56, s22, v56
	s_branch .LBB299_134
.LBB299_133:
	v_mov_b32_e32 v56, 0
.LBB299_134:
	v_pk_max_f16 v57, v2, v2
	v_pk_max_f16 v58, v14, v14
	;; [unrolled: 1-line block ×4, first 2 shown]
	v_add_co_u32 v22, vcc_lo, v24, v22
	v_pk_min_f16 v57, v58, v57
	v_add_co_ci_u32_e64 v23, null, v25, v23, vcc_lo
	v_pk_min_f16 v58, v61, v60
	v_pk_add_f16 v55, v55, v57
	v_pk_add_f16 v55, v55, v58
	v_add_f16_sdwa v55, v55, v55 dst_sel:DWORD dst_unused:UNUSED_PAD src0_sel:DWORD src1_sel:WORD_1
	v_add_f16_e32 v55, v55, v56
	global_store_short v[22:23], v55, off
	s_or_b32 exec_lo, exec_lo, s12
	s_and_b32 s15, s3, s8
	s_and_saveexec_b32 s12, s15
	s_cbranch_execz .LBB299_119
.LBB299_135:
	v_cmp_ne_u32_e32 vcc_lo, 1, v59
	v_lshlrev_b64 v[22:23], 1, v[30:31]
	s_cbranch_vccnz .LBB299_137
; %bb.136:
	v_add_co_u32 v55, vcc_lo, v40, v22
	v_add_co_ci_u32_e64 v56, null, v41, v23, vcc_lo
	global_load_ushort v55, v[55:56], off
	s_waitcnt vmcnt(0)
	v_mul_f16_e32 v55, s22, v55
	s_branch .LBB299_138
.LBB299_137:
	v_mov_b32_e32 v55, 0
.LBB299_138:
	v_pk_max_f16 v56, v2, v2
	v_pk_max_f16 v57, v16, v16
	;; [unrolled: 1-line block ×4, first 2 shown]
	v_add_co_u32 v22, vcc_lo, v24, v22
	v_pk_min_f16 v56, v57, v56
	v_add_co_ci_u32_e64 v23, null, v25, v23, vcc_lo
	v_pk_min_f16 v57, v60, v58
	v_pk_add_f16 v54, v54, v56
	v_pk_add_f16 v54, v54, v57
	v_add_f16_sdwa v54, v54, v54 dst_sel:DWORD dst_unused:UNUSED_PAD src0_sel:DWORD src1_sel:WORD_1
	v_add_f16_e32 v54, v54, v55
	global_store_short v[22:23], v54, off
	s_or_b32 exec_lo, exec_lo, s12
	s_and_b32 s15, s4, s8
	s_and_saveexec_b32 s12, s15
	s_cbranch_execz .LBB299_120
.LBB299_139:
	v_cmp_ne_u32_e32 vcc_lo, 1, v59
	v_lshlrev_b64 v[22:23], 1, v[32:33]
	s_cbranch_vccnz .LBB299_141
; %bb.140:
	v_add_co_u32 v54, vcc_lo, v40, v22
	v_add_co_ci_u32_e64 v55, null, v41, v23, vcc_lo
	global_load_ushort v54, v[54:55], off
	s_waitcnt vmcnt(0)
	v_mul_f16_e32 v54, s22, v54
	s_branch .LBB299_142
.LBB299_141:
	v_mov_b32_e32 v54, 0
.LBB299_142:
	v_pk_max_f16 v55, v2, v2
	v_pk_max_f16 v56, v10, v10
	;; [unrolled: 1-line block ×4, first 2 shown]
	v_add_co_u32 v22, vcc_lo, v24, v22
	v_pk_min_f16 v55, v56, v55
	v_add_co_ci_u32_e64 v23, null, v25, v23, vcc_lo
	v_pk_min_f16 v56, v58, v57
	v_pk_add_f16 v53, v53, v55
	v_pk_add_f16 v53, v53, v56
	v_add_f16_sdwa v53, v53, v53 dst_sel:DWORD dst_unused:UNUSED_PAD src0_sel:DWORD src1_sel:WORD_1
	v_add_f16_e32 v53, v53, v54
	global_store_short v[22:23], v53, off
	s_or_b32 exec_lo, exec_lo, s12
	s_and_b32 s15, s5, s8
	s_and_saveexec_b32 s12, s15
	s_cbranch_execz .LBB299_121
.LBB299_143:
	v_cmp_ne_u32_e32 vcc_lo, 1, v59
	v_lshlrev_b64 v[22:23], 1, v[34:35]
	s_cbranch_vccnz .LBB299_145
; %bb.144:
	v_add_co_u32 v53, vcc_lo, v40, v22
	v_add_co_ci_u32_e64 v54, null, v41, v23, vcc_lo
	global_load_ushort v53, v[53:54], off
	s_waitcnt vmcnt(0)
	v_mul_f16_e32 v53, s22, v53
	s_branch .LBB299_146
.LBB299_145:
	v_mov_b32_e32 v53, 0
.LBB299_146:
	v_pk_max_f16 v54, v2, v2
	v_pk_max_f16 v55, v12, v12
	v_pk_max_f16 v56, v3, v3
	v_pk_max_f16 v57, v13, v13
	v_add_co_u32 v22, vcc_lo, v24, v22
	v_pk_min_f16 v54, v55, v54
	v_add_co_ci_u32_e64 v23, null, v25, v23, vcc_lo
	v_pk_min_f16 v55, v57, v56
	v_pk_add_f16 v52, v52, v54
	v_pk_add_f16 v52, v52, v55
	v_add_f16_sdwa v52, v52, v52 dst_sel:DWORD dst_unused:UNUSED_PAD src0_sel:DWORD src1_sel:WORD_1
	v_add_f16_e32 v52, v52, v53
	global_store_short v[22:23], v52, off
	s_or_b32 exec_lo, exec_lo, s12
	s_and_b32 s15, s6, s8
	s_and_saveexec_b32 s12, s15
	s_cbranch_execz .LBB299_122
.LBB299_147:
	v_cmp_ne_u32_e32 vcc_lo, 1, v59
	v_lshlrev_b64 v[22:23], 1, v[36:37]
	s_cbranch_vccnz .LBB299_149
; %bb.148:
	v_add_co_u32 v52, vcc_lo, v40, v22
	v_add_co_ci_u32_e64 v53, null, v41, v23, vcc_lo
	global_load_ushort v52, v[52:53], off
	s_waitcnt vmcnt(0)
	v_mul_f16_e32 v52, s22, v52
	s_branch .LBB299_150
.LBB299_149:
	v_mov_b32_e32 v52, 0
.LBB299_150:
	v_pk_max_f16 v53, v2, v2
	v_pk_max_f16 v54, v6, v6
	;; [unrolled: 1-line block ×4, first 2 shown]
	v_add_co_u32 v22, vcc_lo, v24, v22
	v_pk_min_f16 v53, v54, v53
	v_add_co_ci_u32_e64 v23, null, v25, v23, vcc_lo
	v_pk_min_f16 v54, v56, v55
	v_pk_add_f16 v51, v51, v53
	v_pk_add_f16 v51, v51, v54
	v_add_f16_sdwa v51, v51, v51 dst_sel:DWORD dst_unused:UNUSED_PAD src0_sel:DWORD src1_sel:WORD_1
	v_add_f16_e32 v51, v51, v52
	global_store_short v[22:23], v51, off
	s_or_b32 exec_lo, exec_lo, s12
	s_and_b32 s12, s7, s8
	s_and_saveexec_b32 s8, s12
	s_cbranch_execz .LBB299_155
.LBB299_151:
	v_cmp_ne_u32_e32 vcc_lo, 1, v59
	v_lshlrev_b64 v[22:23], 1, v[38:39]
	s_cbranch_vccnz .LBB299_153
; %bb.152:
	v_add_co_u32 v40, vcc_lo, v40, v22
	v_add_co_ci_u32_e64 v41, null, v41, v23, vcc_lo
	global_load_ushort v40, v[40:41], off
	s_waitcnt vmcnt(0)
	v_mul_f16_e32 v40, s22, v40
	s_branch .LBB299_154
.LBB299_153:
	v_mov_b32_e32 v40, 0
.LBB299_154:
	v_pk_max_f16 v2, v2, v2
	v_pk_max_f16 v41, v8, v8
	;; [unrolled: 1-line block ×4, first 2 shown]
	v_pk_min_f16 v2, v41, v2
	v_pk_min_f16 v3, v51, v3
	v_pk_add_f16 v2, v50, v2
	v_pk_add_f16 v2, v2, v3
	v_add_f16_sdwa v2, v2, v2 dst_sel:DWORD dst_unused:UNUSED_PAD src0_sel:DWORD src1_sel:WORD_1
	v_add_f16_e32 v40, v2, v40
	v_add_co_u32 v2, vcc_lo, v24, v22
	v_add_co_ci_u32_e64 v3, null, v25, v23, vcc_lo
	global_store_short v[2:3], v40, off
.LBB299_155:
	s_or_b32 exec_lo, exec_lo, s8
	v_add_nc_u32_e32 v24, 0x60, v68
	v_mad_i64_i32 v[2:3], null, v24, s14, 0
	v_mad_i64_i32 v[22:23], null, v24, s9, 0
	v_cmp_gt_i32_e64 s8, s13, v24
	v_lshlrev_b64 v[2:3], 1, v[2:3]
	s_and_b32 s9, s0, s8
	v_lshlrev_b64 v[24:25], 1, v[22:23]
	v_add_co_u32 v22, vcc_lo, s16, v2
	v_add_co_ci_u32_e64 v23, null, s17, v3, vcc_lo
	v_add_co_u32 v2, vcc_lo, s10, v24
	v_add_co_ci_u32_e64 v3, null, s11, v25, vcc_lo
	s_and_saveexec_b32 s0, s9
	s_cbranch_execnz .LBB299_164
; %bb.156:
	s_or_b32 exec_lo, exec_lo, s0
	s_and_b32 s1, s1, s8
	s_and_saveexec_b32 s0, s1
	s_cbranch_execnz .LBB299_168
.LBB299_157:
	s_or_b32 exec_lo, exec_lo, s0
	s_and_b32 s1, s2, s8
	s_and_saveexec_b32 s0, s1
	s_cbranch_execnz .LBB299_172
.LBB299_158:
	s_or_b32 exec_lo, exec_lo, s0
	s_and_b32 s1, s3, s8
	s_and_saveexec_b32 s0, s1
	s_cbranch_execnz .LBB299_176
.LBB299_159:
	s_or_b32 exec_lo, exec_lo, s0
	s_and_b32 s1, s4, s8
	s_and_saveexec_b32 s0, s1
	s_cbranch_execnz .LBB299_180
.LBB299_160:
	s_or_b32 exec_lo, exec_lo, s0
	s_and_b32 s1, s5, s8
	s_and_saveexec_b32 s0, s1
	s_cbranch_execnz .LBB299_184
.LBB299_161:
	s_or_b32 exec_lo, exec_lo, s0
	s_and_b32 s1, s6, s8
	s_and_saveexec_b32 s0, s1
	s_cbranch_execnz .LBB299_188
.LBB299_162:
	s_or_b32 exec_lo, exec_lo, s0
	s_and_b32 s0, s7, s8
	s_and_saveexec_b32 s1, s0
	s_cbranch_execnz .LBB299_192
.LBB299_163:
	s_endpgm
.LBB299_164:
	v_cmp_ne_u32_e32 vcc_lo, 1, v59
	v_lshlrev_b64 v[0:1], 1, v[0:1]
	s_cbranch_vccnz .LBB299_166
; %bb.165:
	v_add_co_u32 v24, vcc_lo, v22, v0
	v_add_co_ci_u32_e64 v25, null, v23, v1, vcc_lo
	global_load_ushort v24, v[24:25], off
	s_waitcnt vmcnt(0)
	v_mul_f16_e32 v24, s22, v24
	s_branch .LBB299_167
.LBB299_166:
	v_mov_b32_e32 v24, 0
.LBB299_167:
	v_pk_max_f16 v25, v4, v4
	v_pk_max_f16 v18, v18, v18
	;; [unrolled: 1-line block ×4, first 2 shown]
	v_add_co_u32 v0, vcc_lo, v2, v0
	v_pk_min_f16 v18, v18, v25
	v_add_co_ci_u32_e64 v1, null, v3, v1, vcc_lo
	v_pk_min_f16 v19, v19, v40
	v_pk_add_f16 v18, v49, v18
	v_pk_add_f16 v18, v18, v19
	v_add_f16_sdwa v18, v18, v18 dst_sel:DWORD dst_unused:UNUSED_PAD src0_sel:DWORD src1_sel:WORD_1
	v_add_f16_e32 v18, v18, v24
	global_store_short v[0:1], v18, off
	s_or_b32 exec_lo, exec_lo, s0
	s_and_b32 s1, s1, s8
	s_and_saveexec_b32 s0, s1
	s_cbranch_execz .LBB299_157
.LBB299_168:
	v_cmp_ne_u32_e32 vcc_lo, 1, v59
	v_lshlrev_b64 v[0:1], 1, v[26:27]
	s_cbranch_vccnz .LBB299_170
; %bb.169:
	v_add_co_u32 v18, vcc_lo, v22, v0
	v_add_co_ci_u32_e64 v19, null, v23, v1, vcc_lo
	global_load_ushort v18, v[18:19], off
	s_waitcnt vmcnt(0)
	v_mul_f16_e32 v18, s22, v18
	s_branch .LBB299_171
.LBB299_170:
	v_mov_b32_e32 v18, 0
.LBB299_171:
	v_pk_max_f16 v19, v4, v4
	v_pk_max_f16 v20, v20, v20
	;; [unrolled: 1-line block ×4, first 2 shown]
	v_add_co_u32 v0, vcc_lo, v2, v0
	v_pk_min_f16 v19, v20, v19
	v_add_co_ci_u32_e64 v1, null, v3, v1, vcc_lo
	v_pk_min_f16 v20, v21, v24
	v_pk_add_f16 v19, v48, v19
	v_pk_add_f16 v19, v19, v20
	v_add_f16_sdwa v19, v19, v19 dst_sel:DWORD dst_unused:UNUSED_PAD src0_sel:DWORD src1_sel:WORD_1
	v_add_f16_e32 v18, v19, v18
	global_store_short v[0:1], v18, off
	s_or_b32 exec_lo, exec_lo, s0
	s_and_b32 s1, s2, s8
	s_and_saveexec_b32 s0, s1
	s_cbranch_execz .LBB299_158
.LBB299_172:
	v_cmp_ne_u32_e32 vcc_lo, 1, v59
	v_lshlrev_b64 v[0:1], 1, v[28:29]
	s_cbranch_vccnz .LBB299_174
; %bb.173:
	v_add_co_u32 v18, vcc_lo, v22, v0
	v_add_co_ci_u32_e64 v19, null, v23, v1, vcc_lo
	global_load_ushort v18, v[18:19], off
	s_waitcnt vmcnt(0)
	v_mul_f16_e32 v18, s22, v18
	s_branch .LBB299_175
.LBB299_174:
	v_mov_b32_e32 v18, 0
.LBB299_175:
	v_pk_max_f16 v19, v4, v4
	v_pk_max_f16 v14, v14, v14
	;; [unrolled: 1-line block ×4, first 2 shown]
	v_add_co_u32 v0, vcc_lo, v2, v0
	v_pk_min_f16 v14, v14, v19
	v_add_co_ci_u32_e64 v1, null, v3, v1, vcc_lo
	v_pk_min_f16 v15, v15, v20
	v_pk_add_f16 v14, v47, v14
	v_pk_add_f16 v14, v14, v15
	v_add_f16_sdwa v14, v14, v14 dst_sel:DWORD dst_unused:UNUSED_PAD src0_sel:DWORD src1_sel:WORD_1
	v_add_f16_e32 v14, v14, v18
	global_store_short v[0:1], v14, off
	s_or_b32 exec_lo, exec_lo, s0
	s_and_b32 s1, s3, s8
	s_and_saveexec_b32 s0, s1
	s_cbranch_execz .LBB299_159
.LBB299_176:
	v_cmp_ne_u32_e32 vcc_lo, 1, v59
	v_lshlrev_b64 v[0:1], 1, v[30:31]
	s_cbranch_vccnz .LBB299_178
; %bb.177:
	v_add_co_u32 v14, vcc_lo, v22, v0
	v_add_co_ci_u32_e64 v15, null, v23, v1, vcc_lo
	global_load_ushort v14, v[14:15], off
	s_waitcnt vmcnt(0)
	v_mul_f16_e32 v14, s22, v14
	s_branch .LBB299_179
.LBB299_178:
	v_mov_b32_e32 v14, 0
.LBB299_179:
	v_pk_max_f16 v15, v4, v4
	v_pk_max_f16 v16, v16, v16
	;; [unrolled: 1-line block ×4, first 2 shown]
	v_add_co_u32 v0, vcc_lo, v2, v0
	v_pk_min_f16 v15, v16, v15
	v_add_co_ci_u32_e64 v1, null, v3, v1, vcc_lo
	v_pk_min_f16 v16, v17, v18
	v_pk_add_f16 v15, v46, v15
	v_pk_add_f16 v15, v15, v16
	v_add_f16_sdwa v15, v15, v15 dst_sel:DWORD dst_unused:UNUSED_PAD src0_sel:DWORD src1_sel:WORD_1
	v_add_f16_e32 v14, v15, v14
	global_store_short v[0:1], v14, off
	s_or_b32 exec_lo, exec_lo, s0
	s_and_b32 s1, s4, s8
	s_and_saveexec_b32 s0, s1
	s_cbranch_execz .LBB299_160
.LBB299_180:
	v_cmp_ne_u32_e32 vcc_lo, 1, v59
	v_lshlrev_b64 v[0:1], 1, v[32:33]
	s_cbranch_vccnz .LBB299_182
; %bb.181:
	v_add_co_u32 v14, vcc_lo, v22, v0
	v_add_co_ci_u32_e64 v15, null, v23, v1, vcc_lo
	global_load_ushort v14, v[14:15], off
	s_waitcnt vmcnt(0)
	v_mul_f16_e32 v14, s22, v14
	s_branch .LBB299_183
.LBB299_182:
	v_mov_b32_e32 v14, 0
.LBB299_183:
	v_pk_max_f16 v15, v4, v4
	v_pk_max_f16 v10, v10, v10
	;; [unrolled: 1-line block ×4, first 2 shown]
	v_add_co_u32 v0, vcc_lo, v2, v0
	v_pk_min_f16 v10, v10, v15
	v_add_co_ci_u32_e64 v1, null, v3, v1, vcc_lo
	v_pk_min_f16 v11, v11, v16
	v_pk_add_f16 v10, v45, v10
	v_pk_add_f16 v10, v10, v11
	v_add_f16_sdwa v10, v10, v10 dst_sel:DWORD dst_unused:UNUSED_PAD src0_sel:DWORD src1_sel:WORD_1
	v_add_f16_e32 v10, v10, v14
	global_store_short v[0:1], v10, off
	s_or_b32 exec_lo, exec_lo, s0
	s_and_b32 s1, s5, s8
	s_and_saveexec_b32 s0, s1
	s_cbranch_execz .LBB299_161
.LBB299_184:
	v_cmp_ne_u32_e32 vcc_lo, 1, v59
	v_lshlrev_b64 v[0:1], 1, v[34:35]
	s_cbranch_vccnz .LBB299_186
; %bb.185:
	v_add_co_u32 v10, vcc_lo, v22, v0
	v_add_co_ci_u32_e64 v11, null, v23, v1, vcc_lo
	global_load_ushort v10, v[10:11], off
	s_waitcnt vmcnt(0)
	v_mul_f16_e32 v10, s22, v10
	s_branch .LBB299_187
.LBB299_186:
	v_mov_b32_e32 v10, 0
.LBB299_187:
	v_pk_max_f16 v11, v4, v4
	v_pk_max_f16 v12, v12, v12
	;; [unrolled: 1-line block ×4, first 2 shown]
	v_add_co_u32 v0, vcc_lo, v2, v0
	v_pk_min_f16 v11, v12, v11
	v_add_co_ci_u32_e64 v1, null, v3, v1, vcc_lo
	v_pk_min_f16 v12, v13, v14
	v_pk_add_f16 v11, v44, v11
	v_pk_add_f16 v11, v11, v12
	v_add_f16_sdwa v11, v11, v11 dst_sel:DWORD dst_unused:UNUSED_PAD src0_sel:DWORD src1_sel:WORD_1
	v_add_f16_e32 v10, v11, v10
	global_store_short v[0:1], v10, off
	s_or_b32 exec_lo, exec_lo, s0
	s_and_b32 s1, s6, s8
	s_and_saveexec_b32 s0, s1
	s_cbranch_execz .LBB299_162
.LBB299_188:
	v_cmp_ne_u32_e32 vcc_lo, 1, v59
	v_lshlrev_b64 v[0:1], 1, v[36:37]
	s_cbranch_vccnz .LBB299_190
; %bb.189:
	v_add_co_u32 v10, vcc_lo, v22, v0
	v_add_co_ci_u32_e64 v11, null, v23, v1, vcc_lo
	global_load_ushort v10, v[10:11], off
	s_waitcnt vmcnt(0)
	v_mul_f16_e32 v10, s22, v10
	s_branch .LBB299_191
.LBB299_190:
	v_mov_b32_e32 v10, 0
.LBB299_191:
	v_pk_max_f16 v11, v4, v4
	v_pk_max_f16 v6, v6, v6
	;; [unrolled: 1-line block ×4, first 2 shown]
	v_add_co_u32 v0, vcc_lo, v2, v0
	v_pk_min_f16 v6, v6, v11
	v_add_co_ci_u32_e64 v1, null, v3, v1, vcc_lo
	v_pk_min_f16 v7, v7, v12
	v_pk_add_f16 v6, v43, v6
	v_pk_add_f16 v6, v6, v7
	v_add_f16_sdwa v6, v6, v6 dst_sel:DWORD dst_unused:UNUSED_PAD src0_sel:DWORD src1_sel:WORD_1
	v_add_f16_e32 v6, v6, v10
	global_store_short v[0:1], v6, off
	s_or_b32 exec_lo, exec_lo, s0
	s_and_b32 s0, s7, s8
	s_and_saveexec_b32 s1, s0
	s_cbranch_execz .LBB299_163
.LBB299_192:
	v_cmp_ne_u32_e32 vcc_lo, 1, v59
	v_lshlrev_b64 v[0:1], 1, v[38:39]
	s_cbranch_vccnz .LBB299_194
; %bb.193:
	v_add_co_u32 v6, vcc_lo, v22, v0
	v_add_co_ci_u32_e64 v7, null, v23, v1, vcc_lo
	global_load_ushort v6, v[6:7], off
	s_waitcnt vmcnt(0)
	v_mul_f16_e32 v6, s22, v6
	s_branch .LBB299_195
.LBB299_194:
	v_mov_b32_e32 v6, 0
.LBB299_195:
	v_pk_max_f16 v4, v4, v4
	v_pk_max_f16 v7, v8, v8
	;; [unrolled: 1-line block ×4, first 2 shown]
	v_add_co_u32 v0, vcc_lo, v2, v0
	v_pk_min_f16 v4, v7, v4
	v_add_co_ci_u32_e64 v1, null, v3, v1, vcc_lo
	v_pk_min_f16 v5, v8, v5
	v_pk_add_f16 v4, v42, v4
	v_pk_add_f16 v4, v4, v5
	v_add_f16_sdwa v4, v4, v4 dst_sel:DWORD dst_unused:UNUSED_PAD src0_sel:DWORD src1_sel:WORD_1
	v_add_f16_e32 v4, v4, v6
	global_store_short v[0:1], v4, off
	s_endpgm
	.section	.rodata,"a",@progbits
	.p2align	6, 0x0
	.amdhsa_kernel _ZN12_GLOBAL__N_120geam_min_plus_kernelIDF16_Dv2_DF16_S1_Li8ELi32ELi64ELi128ELi4ELi64ELi4ELi64ELi4ELc78ELc84ELb0ELb1ELb0EDF16_KDF16_DF16_EEviiiT16_PT17_ilS5_ilS3_S5_ilPT18_ili26rocblas_geam_ex_operation_
		.amdhsa_group_segment_fixed_size 3072
		.amdhsa_private_segment_fixed_size 0
		.amdhsa_kernarg_size 128
		.amdhsa_user_sgpr_count 6
		.amdhsa_user_sgpr_private_segment_buffer 1
		.amdhsa_user_sgpr_dispatch_ptr 0
		.amdhsa_user_sgpr_queue_ptr 0
		.amdhsa_user_sgpr_kernarg_segment_ptr 1
		.amdhsa_user_sgpr_dispatch_id 0
		.amdhsa_user_sgpr_flat_scratch_init 0
		.amdhsa_user_sgpr_private_segment_size 0
		.amdhsa_wavefront_size32 1
		.amdhsa_uses_dynamic_stack 0
		.amdhsa_system_sgpr_private_segment_wavefront_offset 0
		.amdhsa_system_sgpr_workgroup_id_x 1
		.amdhsa_system_sgpr_workgroup_id_y 0
		.amdhsa_system_sgpr_workgroup_id_z 1
		.amdhsa_system_sgpr_workgroup_info 0
		.amdhsa_system_vgpr_workitem_id 1
		.amdhsa_next_free_vgpr 121
		.amdhsa_next_free_sgpr 30
		.amdhsa_reserve_vcc 1
		.amdhsa_reserve_flat_scratch 0
		.amdhsa_float_round_mode_32 0
		.amdhsa_float_round_mode_16_64 0
		.amdhsa_float_denorm_mode_32 3
		.amdhsa_float_denorm_mode_16_64 3
		.amdhsa_dx10_clamp 1
		.amdhsa_ieee_mode 1
		.amdhsa_fp16_overflow 0
		.amdhsa_workgroup_processor_mode 1
		.amdhsa_memory_ordered 1
		.amdhsa_forward_progress 1
		.amdhsa_shared_vgpr_count 0
		.amdhsa_exception_fp_ieee_invalid_op 0
		.amdhsa_exception_fp_denorm_src 0
		.amdhsa_exception_fp_ieee_div_zero 0
		.amdhsa_exception_fp_ieee_overflow 0
		.amdhsa_exception_fp_ieee_underflow 0
		.amdhsa_exception_fp_ieee_inexact 0
		.amdhsa_exception_int_div_zero 0
	.end_amdhsa_kernel
	.section	.text._ZN12_GLOBAL__N_120geam_min_plus_kernelIDF16_Dv2_DF16_S1_Li8ELi32ELi64ELi128ELi4ELi64ELi4ELi64ELi4ELc78ELc84ELb0ELb1ELb0EDF16_KDF16_DF16_EEviiiT16_PT17_ilS5_ilS3_S5_ilPT18_ili26rocblas_geam_ex_operation_,"axG",@progbits,_ZN12_GLOBAL__N_120geam_min_plus_kernelIDF16_Dv2_DF16_S1_Li8ELi32ELi64ELi128ELi4ELi64ELi4ELi64ELi4ELc78ELc84ELb0ELb1ELb0EDF16_KDF16_DF16_EEviiiT16_PT17_ilS5_ilS3_S5_ilPT18_ili26rocblas_geam_ex_operation_,comdat
.Lfunc_end299:
	.size	_ZN12_GLOBAL__N_120geam_min_plus_kernelIDF16_Dv2_DF16_S1_Li8ELi32ELi64ELi128ELi4ELi64ELi4ELi64ELi4ELc78ELc84ELb0ELb1ELb0EDF16_KDF16_DF16_EEviiiT16_PT17_ilS5_ilS3_S5_ilPT18_ili26rocblas_geam_ex_operation_, .Lfunc_end299-_ZN12_GLOBAL__N_120geam_min_plus_kernelIDF16_Dv2_DF16_S1_Li8ELi32ELi64ELi128ELi4ELi64ELi4ELi64ELi4ELc78ELc84ELb0ELb1ELb0EDF16_KDF16_DF16_EEviiiT16_PT17_ilS5_ilS3_S5_ilPT18_ili26rocblas_geam_ex_operation_
                                        ; -- End function
	.set _ZN12_GLOBAL__N_120geam_min_plus_kernelIDF16_Dv2_DF16_S1_Li8ELi32ELi64ELi128ELi4ELi64ELi4ELi64ELi4ELc78ELc84ELb0ELb1ELb0EDF16_KDF16_DF16_EEviiiT16_PT17_ilS5_ilS3_S5_ilPT18_ili26rocblas_geam_ex_operation_.num_vgpr, 121
	.set _ZN12_GLOBAL__N_120geam_min_plus_kernelIDF16_Dv2_DF16_S1_Li8ELi32ELi64ELi128ELi4ELi64ELi4ELi64ELi4ELc78ELc84ELb0ELb1ELb0EDF16_KDF16_DF16_EEviiiT16_PT17_ilS5_ilS3_S5_ilPT18_ili26rocblas_geam_ex_operation_.num_agpr, 0
	.set _ZN12_GLOBAL__N_120geam_min_plus_kernelIDF16_Dv2_DF16_S1_Li8ELi32ELi64ELi128ELi4ELi64ELi4ELi64ELi4ELc78ELc84ELb0ELb1ELb0EDF16_KDF16_DF16_EEviiiT16_PT17_ilS5_ilS3_S5_ilPT18_ili26rocblas_geam_ex_operation_.numbered_sgpr, 30
	.set _ZN12_GLOBAL__N_120geam_min_plus_kernelIDF16_Dv2_DF16_S1_Li8ELi32ELi64ELi128ELi4ELi64ELi4ELi64ELi4ELc78ELc84ELb0ELb1ELb0EDF16_KDF16_DF16_EEviiiT16_PT17_ilS5_ilS3_S5_ilPT18_ili26rocblas_geam_ex_operation_.num_named_barrier, 0
	.set _ZN12_GLOBAL__N_120geam_min_plus_kernelIDF16_Dv2_DF16_S1_Li8ELi32ELi64ELi128ELi4ELi64ELi4ELi64ELi4ELc78ELc84ELb0ELb1ELb0EDF16_KDF16_DF16_EEviiiT16_PT17_ilS5_ilS3_S5_ilPT18_ili26rocblas_geam_ex_operation_.private_seg_size, 0
	.set _ZN12_GLOBAL__N_120geam_min_plus_kernelIDF16_Dv2_DF16_S1_Li8ELi32ELi64ELi128ELi4ELi64ELi4ELi64ELi4ELc78ELc84ELb0ELb1ELb0EDF16_KDF16_DF16_EEviiiT16_PT17_ilS5_ilS3_S5_ilPT18_ili26rocblas_geam_ex_operation_.uses_vcc, 1
	.set _ZN12_GLOBAL__N_120geam_min_plus_kernelIDF16_Dv2_DF16_S1_Li8ELi32ELi64ELi128ELi4ELi64ELi4ELi64ELi4ELc78ELc84ELb0ELb1ELb0EDF16_KDF16_DF16_EEviiiT16_PT17_ilS5_ilS3_S5_ilPT18_ili26rocblas_geam_ex_operation_.uses_flat_scratch, 0
	.set _ZN12_GLOBAL__N_120geam_min_plus_kernelIDF16_Dv2_DF16_S1_Li8ELi32ELi64ELi128ELi4ELi64ELi4ELi64ELi4ELc78ELc84ELb0ELb1ELb0EDF16_KDF16_DF16_EEviiiT16_PT17_ilS5_ilS3_S5_ilPT18_ili26rocblas_geam_ex_operation_.has_dyn_sized_stack, 0
	.set _ZN12_GLOBAL__N_120geam_min_plus_kernelIDF16_Dv2_DF16_S1_Li8ELi32ELi64ELi128ELi4ELi64ELi4ELi64ELi4ELc78ELc84ELb0ELb1ELb0EDF16_KDF16_DF16_EEviiiT16_PT17_ilS5_ilS3_S5_ilPT18_ili26rocblas_geam_ex_operation_.has_recursion, 0
	.set _ZN12_GLOBAL__N_120geam_min_plus_kernelIDF16_Dv2_DF16_S1_Li8ELi32ELi64ELi128ELi4ELi64ELi4ELi64ELi4ELc78ELc84ELb0ELb1ELb0EDF16_KDF16_DF16_EEviiiT16_PT17_ilS5_ilS3_S5_ilPT18_ili26rocblas_geam_ex_operation_.has_indirect_call, 0
	.section	.AMDGPU.csdata,"",@progbits
; Kernel info:
; codeLenInByte = 12116
; TotalNumSgprs: 32
; NumVgprs: 121
; ScratchSize: 0
; MemoryBound: 0
; FloatMode: 240
; IeeeMode: 1
; LDSByteSize: 3072 bytes/workgroup (compile time only)
; SGPRBlocks: 0
; VGPRBlocks: 15
; NumSGPRsForWavesPerEU: 32
; NumVGPRsForWavesPerEU: 121
; Occupancy: 8
; WaveLimiterHint : 0
; COMPUTE_PGM_RSRC2:SCRATCH_EN: 0
; COMPUTE_PGM_RSRC2:USER_SGPR: 6
; COMPUTE_PGM_RSRC2:TRAP_HANDLER: 0
; COMPUTE_PGM_RSRC2:TGID_X_EN: 1
; COMPUTE_PGM_RSRC2:TGID_Y_EN: 0
; COMPUTE_PGM_RSRC2:TGID_Z_EN: 1
; COMPUTE_PGM_RSRC2:TIDIG_COMP_CNT: 1
	.section	.text._ZN12_GLOBAL__N_120geam_min_plus_kernelIDF16_Dv2_DF16_S1_Li8ELi32ELi64ELi128ELi4ELi4ELi64ELi64ELi4ELc84ELc84ELb0ELb0ELb0EPKDF16_S2_DF16_EEviiiT16_PT17_ilS6_ilS4_S6_ilPT18_ili26rocblas_geam_ex_operation_,"axG",@progbits,_ZN12_GLOBAL__N_120geam_min_plus_kernelIDF16_Dv2_DF16_S1_Li8ELi32ELi64ELi128ELi4ELi4ELi64ELi64ELi4ELc84ELc84ELb0ELb0ELb0EPKDF16_S2_DF16_EEviiiT16_PT17_ilS6_ilS4_S6_ilPT18_ili26rocblas_geam_ex_operation_,comdat
	.globl	_ZN12_GLOBAL__N_120geam_min_plus_kernelIDF16_Dv2_DF16_S1_Li8ELi32ELi64ELi128ELi4ELi4ELi64ELi64ELi4ELc84ELc84ELb0ELb0ELb0EPKDF16_S2_DF16_EEviiiT16_PT17_ilS6_ilS4_S6_ilPT18_ili26rocblas_geam_ex_operation_ ; -- Begin function _ZN12_GLOBAL__N_120geam_min_plus_kernelIDF16_Dv2_DF16_S1_Li8ELi32ELi64ELi128ELi4ELi4ELi64ELi64ELi4ELc84ELc84ELb0ELb0ELb0EPKDF16_S2_DF16_EEviiiT16_PT17_ilS6_ilS4_S6_ilPT18_ili26rocblas_geam_ex_operation_
	.p2align	8
	.type	_ZN12_GLOBAL__N_120geam_min_plus_kernelIDF16_Dv2_DF16_S1_Li8ELi32ELi64ELi128ELi4ELi4ELi64ELi64ELi4ELc84ELc84ELb0ELb0ELb0EPKDF16_S2_DF16_EEviiiT16_PT17_ilS6_ilS4_S6_ilPT18_ili26rocblas_geam_ex_operation_,@function
_ZN12_GLOBAL__N_120geam_min_plus_kernelIDF16_Dv2_DF16_S1_Li8ELi32ELi64ELi128ELi4ELi4ELi64ELi64ELi4ELc84ELc84ELb0ELb0ELb0EPKDF16_S2_DF16_EEviiiT16_PT17_ilS6_ilS4_S6_ilPT18_ili26rocblas_geam_ex_operation_: ; @_ZN12_GLOBAL__N_120geam_min_plus_kernelIDF16_Dv2_DF16_S1_Li8ELi32ELi64ELi128ELi4ELi4ELi64ELi64ELi4ELc84ELc84ELb0ELb0ELb0EPKDF16_S2_DF16_EEviiiT16_PT17_ilS6_ilS4_S6_ilPT18_ili26rocblas_geam_ex_operation_
; %bb.0:
	s_clause 0x1
	s_load_dwordx4 s[12:15], s[4:5], 0x10
	s_load_dwordx4 s[8:11], s[4:5], 0x28
	s_mov_b32 s20, s7
	s_mov_b32 s21, 0
	v_mov_b32_e32 v2, 0
	s_lshl_b64 s[0:1], s[20:21], 1
	s_waitcnt lgkmcnt(0)
	s_add_u32 s2, s12, s0
	s_addc_u32 s3, s13, s1
	s_mov_b64 s[12:13], 0
	global_load_ushort v33, v2, s[2:3]
	s_clause 0x1
	s_load_dwordx4 s[16:19], s[4:5], 0x40
	s_load_dwordx2 s[22:23], s[4:5], 0x50
	s_waitcnt lgkmcnt(0)
	s_add_u32 s24, s18, s0
	s_addc_u32 s25, s19, s1
	s_mov_b64 s[18:19], 0
	s_waitcnt vmcnt(0)
	v_cmp_eq_f16_e32 vcc_lo, 0, v33
	v_cmp_neq_f16_e64 s2, 0, v33
	s_and_b32 s0, exec_lo, vcc_lo
	s_mov_b32 vcc_lo, s0
	s_cbranch_vccnz .LBB300_2
; %bb.1:
	s_mul_i32 s1, s9, s20
	s_mul_hi_u32 s3, s8, s20
	s_mul_i32 s8, s8, s20
	s_add_i32 s9, s3, s1
	s_lshl_b64 s[8:9], s[8:9], 1
	s_add_u32 s18, s14, s8
	s_addc_u32 s19, s15, s9
.LBB300_2:
	global_load_ushort v32, v2, s[24:25]
	v_cndmask_b32_e64 v2, 0, 1, s2
	s_andn2_b32 vcc_lo, exec_lo, s2
	v_cmp_ne_u32_e64 s1, 1, v2
	s_cbranch_vccnz .LBB300_4
; %bb.3:
	s_mul_i32 s2, s17, s20
	s_mul_hi_u32 s3, s16, s20
	s_add_i32 s3, s3, s2
	s_mul_i32 s2, s16, s20
	s_lshl_b64 s[2:3], s[2:3], 1
	s_add_u32 s12, s10, s2
	s_addc_u32 s13, s11, s3
.LBB300_4:
	s_load_dwordx4 s[8:11], s[4:5], 0x60
	s_waitcnt vmcnt(0)
	v_cmp_eq_f16_e32 vcc_lo, 0, v32
	s_cbranch_vccnz .LBB300_6
; %bb.5:
	s_waitcnt lgkmcnt(0)
	s_mul_i32 s2, s9, s20
	s_mul_hi_u32 s3, s8, s20
	s_add_i32 s3, s3, s2
	s_mul_i32 s2, s8, s20
	s_lshl_b64 s[2:3], s[2:3], 1
	s_add_u32 s8, s22, s2
	s_addc_u32 s9, s23, s3
	s_branch .LBB300_7
.LBB300_6:
	s_waitcnt lgkmcnt(0)
	s_mov_b64 s[8:9], 0
.LBB300_7:
	s_clause 0x2
	s_load_dword s3, s[4:5], 0x0
	s_load_dword s7, s[4:5], 0x20
	;; [unrolled: 1-line block ×3, first 2 shown]
	v_lshl_add_u32 v3, v1, 3, v0
	v_and_b32_e32 v4, 3, v0
	v_mov_b32_e32 v10, 0
	v_and_b32_e32 v6, 63, v3
	v_lshrrev_b32_e32 v7, 2, v3
	v_lshrrev_b32_e32 v5, 6, v3
	v_lshlrev_b32_e32 v4, 1, v4
	s_waitcnt lgkmcnt(0)
	s_add_i32 s3, s3, -1
	s_ashr_i32 s14, s3, 31
	s_lshr_b32 s14, s14, 26
	s_add_i32 s3, s3, s14
	s_ashr_i32 s3, s3, 6
	s_add_i32 s14, s3, 1
	s_not_b32 s3, s3
	v_cvt_f32_u32_e32 v2, s14
	v_rcp_iflag_f32_e32 v2, v2
	v_mul_f32_e32 v2, 0x4f7ffffe, v2
	v_cvt_u32_f32_e32 v2, v2
	v_readfirstlane_b32 s15, v2
	s_mul_i32 s3, s3, s15
	s_mul_hi_u32 s3, s15, s3
	s_add_i32 s15, s15, s3
	s_ashr_i32 s3, s2, 31
	s_mul_hi_u32 s15, s6, s15
	s_mul_i32 s16, s15, s14
	s_add_i32 s17, s15, 1
	s_sub_i32 s16, s6, s16
	s_sub_i32 s21, s16, s14
	s_cmp_ge_u32 s16, s14
	s_cselect_b32 s15, s17, s15
	s_cselect_b32 s16, s21, s16
	s_add_i32 s17, s15, 1
	s_cmp_ge_u32 s16, s14
	s_cselect_b32 s15, s17, s15
	s_and_b32 vcc_lo, exec_lo, s1
	s_mul_i32 s16, s15, s14
	s_lshl_b32 s14, s15, 7
	s_sub_i32 s15, s6, s16
	v_or_b32_e32 v2, s14, v6
	s_lshl_b32 s15, s15, 6
	v_add_nc_u32_e32 v11, s15, v7
	v_ashrrev_i32_e32 v3, 31, v2
	s_cbranch_vccnz .LBB300_10
; %bb.8:
	v_mad_i64_i32 v[8:9], null, s2, v5, 0
	v_mad_i64_i32 v[12:13], null, v11, s7, 0
	v_lshlrev_b64 v[14:15], 1, v[2:3]
	v_lshlrev_b64 v[8:9], 1, v[8:9]
	;; [unrolled: 1-line block ×3, first 2 shown]
	v_add_co_u32 v8, vcc_lo, s12, v8
	v_add_co_ci_u32_e64 v9, null, s13, v9, vcc_lo
	v_add_co_u32 v12, vcc_lo, s18, v12
	v_add_co_ci_u32_e64 v13, null, s19, v13, vcc_lo
	;; [unrolled: 2-line block ×4, first 2 shown]
	global_load_ushort v14, v[8:9], off
	global_load_ushort v12, v[12:13], off
	global_load_ushort v9, v[8:9], off offset:128
	s_waitcnt vmcnt(2)
	v_mul_f16_e32 v8, v33, v14
	s_waitcnt vmcnt(1)
	v_mul_f16_e32 v12, v33, v12
	;; [unrolled: 2-line block ×3, first 2 shown]
	v_pack_b32_f16 v8, v8, 0
	s_and_b32 vcc_lo, exec_lo, s1
	s_cbranch_vccnz .LBB300_11
.LBB300_9:
	v_add_nc_u32_e32 v10, 4, v5
	v_lshlrev_b64 v[2:3], 1, v[2:3]
	v_mad_i64_i32 v[13:14], null, s2, v10, 0
	v_mad_i64_i32 v[10:11], null, v11, s7, 0
	v_lshlrev_b64 v[13:14], 1, v[13:14]
	v_lshlrev_b64 v[10:11], 1, v[10:11]
	v_add_co_u32 v13, vcc_lo, s12, v13
	v_add_co_ci_u32_e64 v14, null, s13, v14, vcc_lo
	v_add_co_u32 v10, vcc_lo, s18, v10
	v_add_co_ci_u32_e64 v11, null, s19, v11, vcc_lo
	;; [unrolled: 2-line block ×4, first 2 shown]
	global_load_ushort v13, v[2:3], off
	global_load_ushort v10, v[10:11], off offset:8
	global_load_ushort v2, v[2:3], off offset:128
	s_waitcnt vmcnt(2)
	v_mul_f16_e32 v3, v33, v13
	s_waitcnt vmcnt(1)
	v_mul_f16_e32 v10, v33, v10
	;; [unrolled: 2-line block ×3, first 2 shown]
	v_pack_b32_f16 v3, v3, 0
	s_branch .LBB300_12
.LBB300_10:
	v_mov_b32_e32 v8, 0
	v_mov_b32_e32 v12, 0
	;; [unrolled: 1-line block ×3, first 2 shown]
	s_and_b32 vcc_lo, exec_lo, s1
	s_cbranch_vccz .LBB300_9
.LBB300_11:
	v_mov_b32_e32 v3, 0
	v_mov_b32_e32 v11, 0
.LBB300_12:
	v_lshlrev_b32_e32 v13, 3, v6
	v_lshlrev_b32_e32 v35, 3, v0
	v_lshl_or_b32 v2, v7, 3, v4
	v_lshlrev_b32_e32 v34, 3, v1
	s_load_dword s1, s[4:5], 0x8
	v_lshl_add_u32 v36, v5, 1, v13
	v_add_nc_u32_e32 v37, 0x800, v35
	ds_write_b16 v2, v12 offset:2048
	ds_write_b16 v36, v8
	ds_write_b16 v36, v9 offset:512
	s_waitcnt lgkmcnt(0)
	s_barrier
	buffer_gl0_inv
	ds_read2_b64 v[12:15], v34 offset1:32
	ds_read2_b64 v[16:19], v37 offset0:48 offset1:56
	ds_read2_b64 v[20:23], v34 offset0:64 offset1:96
	ds_read2_b64 v[24:27], v37 offset1:8
	ds_read2_b64 v[28:31], v37 offset0:16 offset1:24
	ds_read2_b64 v[37:40], v37 offset0:32 offset1:40
	ds_write_b16 v2, v10 offset:2560
	ds_write_b16 v36, v3 offset:1024
	;; [unrolled: 1-line block ×3, first 2 shown]
	s_waitcnt lgkmcnt(0)
	s_barrier
	buffer_gl0_inv
	s_cmp_lt_i32 s1, 9
	v_pk_max_f16 v12, v12, v12
	v_pk_max_f16 v18, v18, v18
	;; [unrolled: 1-line block ×9, first 2 shown]
	v_pk_min_f16 v41, v18, v12
	v_pk_max_f16 v13, v13, v13
	v_pk_max_f16 v15, v15, v15
	;; [unrolled: 1-line block ×7, first 2 shown]
	v_pk_min_f16 v38, v18, v14
	v_pk_min_f16 v42, v24, v12
	;; [unrolled: 1-line block ×15, first 2 shown]
	v_pk_max_f16 v21, v21, v21
	v_pk_max_f16 v23, v23, v23
	v_pk_min_f16 v56, v30, v20
	v_pk_min_f16 v30, v30, v22
	v_pk_min_f16 v57, v37, v12
	v_pk_max_f16 v25, v25, v25
	v_pk_min_f16 v58, v37, v14
	v_pk_min_f16 v59, v37, v20
	v_pk_min_f16 v60, v37, v22
	;; [unrolled: 4-line block ×3, first 2 shown]
	v_pk_min_f16 v66, v39, v22
	v_pk_min_f16 v12, v16, v12
	v_pk_min_f16 v14, v16, v14
	v_pk_add_f16 v37, v41, 0
	v_pk_min_f16 v39, v19, v13
	v_pk_min_f16 v40, v18, v20
	;; [unrolled: 1-line block ×5, first 2 shown]
	v_pk_add_f16 v22, v38, 0
	v_pk_min_f16 v38, v19, v15
	v_pk_max_f16 v27, v27, v27
	v_pk_max_f16 v29, v29, v29
	v_pk_add_f16 v37, v37, v39
	v_pk_add_f16 v39, v40, 0
	v_pk_min_f16 v40, v19, v21
	v_pk_add_f16 v41, v42, 0
	v_pk_min_f16 v42, v25, v13
	;; [unrolled: 2-line block ×4, first 2 shown]
	v_pk_add_f16 v38, v22, v38
	v_pk_add_f16 v22, v24, 0
	v_pk_min_f16 v24, v25, v23
	v_pk_max_f16 v31, v31, v31
	v_pk_add_f16 v39, v39, v40
	v_pk_add_f16 v44, v41, v42
	;; [unrolled: 1-line block ×5, first 2 shown]
	v_pk_min_f16 v40, v27, v13
	v_pk_add_f16 v41, v48, 0
	v_pk_min_f16 v42, v27, v15
	v_pk_add_f16 v43, v49, 0
	;; [unrolled: 2-line block ×4, first 2 shown]
	v_pk_add_f16 v22, v51, 0
	v_pk_min_f16 v24, v29, v13
	v_pk_add_f16 v40, v25, v40
	v_pk_add_f16 v41, v41, v42
	;; [unrolled: 1-line block ×5, first 2 shown]
	v_pk_min_f16 v26, v29, v15
	v_pk_add_f16 v47, v22, v24
	v_pk_add_f16 v22, v54, 0
	v_pk_min_f16 v24, v31, v13
	v_pk_add_f16 v27, v53, 0
	v_pk_add_f16 v48, v25, v26
	;; [unrolled: 1-line block ×3, first 2 shown]
	v_pk_min_f16 v49, v29, v21
	v_pk_add_f16 v52, v22, v24
	v_pk_min_f16 v22, v31, v15
	v_pk_add_f16 v26, v56, 0
	v_pk_add_f16 v28, v28, 0
	v_pk_min_f16 v29, v29, v23
	v_pk_add_f16 v49, v27, v49
	;; [unrolled: 3-line block ×3, first 2 shown]
	v_pk_add_f16 v24, v57, 0
	v_pk_add_f16 v51, v28, v29
	;; [unrolled: 1-line block ×4, first 2 shown]
	v_pk_min_f16 v22, v31, v23
	v_pk_min_f16 v26, v61, v13
	v_pk_add_f16 v29, v59, 0
	v_pk_add_f16 v30, v60, 0
	v_pk_max_f16 v17, v17, v17
	v_pk_add_f16 v55, v27, v22
	v_pk_add_f16 v56, v24, v26
	v_pk_min_f16 v22, v61, v15
	v_pk_min_f16 v24, v61, v21
	v_pk_min_f16 v26, v61, v23
	v_pk_add_f16 v25, v63, 0
	v_pk_add_f16 v60, v64, 0
	;; [unrolled: 1-line block ×12, first 2 shown]
	v_pk_min_f16 v22, v62, v13
	v_pk_min_f16 v24, v62, v15
	v_pk_min_f16 v26, v62, v21
	v_pk_min_f16 v27, v62, v23
	v_pk_min_f16 v13, v17, v13
	v_pk_min_f16 v15, v17, v15
	v_pk_min_f16 v21, v17, v21
	v_pk_min_f16 v17, v17, v23
	v_pk_min_f16 v19, v19, v23
	v_pk_add_f16 v68, v25, v22
	v_pk_add_f16 v69, v60, v24
	;; [unrolled: 1-line block ×9, first 2 shown]
	s_cbranch_scc1 .LBB300_23
; %bb.13:
	v_lshl_add_u32 v7, s6, 6, v7
	s_lshl_b32 s6, s16, 6
	v_add_nc_u32_e32 v62, 0x800, v2
	v_add_nc_u32_e32 v65, 0xa00, v2
	v_perm_b32 v2, v9, v8, 0x5040100
	v_subrev_nc_u32_e32 v7, s6, v7
	v_add_nc_u32_e32 v6, s14, v6
	v_perm_b32 v82, v11, v3, 0x5040100
	v_add_nc_u32_e32 v3, 12, v5
	v_add_nc_u32_e32 v5, 8, v5
	v_mad_i64_i32 v[12:13], null, s7, v7, 0
	v_ashrrev_i32_e32 v7, 31, v6
	v_mad_i64_i32 v[10:11], null, v3, s2, 0
	v_or_b32_e32 v63, 0x800, v35
	v_or_b32_e32 v67, 0x400, v36
	v_lshl_add_u32 v70, v0, 3, 0xa00
	v_lshlrev_b64 v[8:9], 1, v[12:13]
	v_lshl_add_u32 v71, v1, 3, 0x400
	s_add_i32 s1, s1, -8
	v_lshlrev_b64 v[28:29], 1, v[10:11]
	s_mov_b32 s6, 0
	v_add_co_u32 v8, vcc_lo, v8, v4
	v_add_co_ci_u32_e64 v9, null, 0, v9, vcc_lo
	v_mad_i64_i32 v[3:4], null, v5, s2, 0
	v_add_co_u32 v8, vcc_lo, s18, v8
	v_lshlrev_b64 v[5:6], 1, v[6:7]
	v_add_co_ci_u32_e64 v9, null, s19, v9, vcc_lo
	v_add_co_u32 v26, vcc_lo, v8, 16
	v_lshlrev_b64 v[30:31], 1, v[3:4]
	v_add_co_ci_u32_e64 v27, null, 0, v9, vcc_lo
	v_add_co_u32 v5, vcc_lo, s12, v5
	v_add_co_ci_u32_e64 v6, null, s13, v6, vcc_lo
	s_lshl_b64 s[2:3], s[2:3], 4
	v_add_co_u32 v75, vcc_lo, 0x80, v5
	v_add_co_ci_u32_e64 v76, null, 0, v6, vcc_lo
	s_branch .LBB300_15
.LBB300_14:                             ;   in Loop: Header=BB300_15 Depth=1
	v_pk_max_f16 v4, v4, v4
	v_pk_max_f16 v22, v22, v22
	;; [unrolled: 1-line block ×7, first 2 shown]
	v_pk_min_f16 v82, v4, v22
	v_pk_min_f16 v83, v4, v24
	v_pk_max_f16 v16, v16, v16
	v_pk_max_f16 v12, v12, v12
	v_pk_min_f16 v91, v10, v22
	v_pk_min_f16 v92, v10, v24
	v_pk_min_f16 v93, v10, v18
	v_pk_min_f16 v10, v10, v20
	v_pk_max_f16 v23, v23, v23
	v_pk_max_f16 v25, v25, v25
	;; [unrolled: 1-line block ×15, first 2 shown]
	v_pk_min_f16 v84, v4, v18
	v_pk_min_f16 v85, v14, v22
	;; [unrolled: 1-line block ×58, first 2 shown]
	v_pk_add_f16 v3, v37, v82
	v_pk_add_f16 v5, v38, v83
	;; [unrolled: 1-line block ×23, first 2 shown]
	ds_read2_b64 v[3:6], v63 offset0:48 offset1:56
	ds_read2_b64 v[7:10], v34 offset1:32
	v_pk_add_f16 v43, v47, v91
	v_pk_add_f16 v47, v52, v94
	;; [unrolled: 1-line block ×10, first 2 shown]
	ds_read2_b64 v[11:14], v34 offset0:64 offset1:96
	ds_read2_b64 v[15:18], v63 offset1:8
	v_pk_add_f16 v22, v72, v22
	v_pk_add_f16 v24, v73, v24
	;; [unrolled: 1-line block ×6, first 2 shown]
	s_waitcnt lgkmcnt(3)
	v_pk_max_f16 v5, v5, v5
	s_waitcnt lgkmcnt(2)
	v_pk_max_f16 v7, v7, v7
	v_pk_max_f16 v9, v9, v9
	v_pk_add_f16 v24, v24, v25
	v_pk_add_f16 v25, v59, v19
	;; [unrolled: 1-line block ×3, first 2 shown]
	v_pk_min_f16 v53, v5, v7
	v_pk_min_f16 v54, v5, v9
	ds_read2_b64 v[19:22], v63 offset0:16 offset1:24
	v_pk_add_f16 v39, v39, v103
	v_pk_add_f16 v44, v44, v104
	;; [unrolled: 1-line block ×3, first 2 shown]
	s_waitcnt lgkmcnt(2)
	v_pk_max_f16 v11, v11, v11
	s_waitcnt lgkmcnt(1)
	v_pk_max_f16 v15, v15, v15
	v_pk_add_f16 v61, v61, v53
	v_pk_add_f16 v64, v64, v54
	;; [unrolled: 1-line block ×3, first 2 shown]
	v_pk_min_f16 v55, v5, v11
	v_pk_min_f16 v53, v15, v9
	;; [unrolled: 1-line block ×3, first 2 shown]
	v_pk_add_f16 v59, v2, v123
	v_perm_b32 v2, v81, v80, 0x5040100
	v_pk_add_f16 v80, v37, v55
	v_pk_add_f16 v83, v39, v53
	;; [unrolled: 1-line block ×3, first 2 shown]
	ds_read2_b64 v[53:56], v63 offset0:32 offset1:40
	v_pk_add_f16 v40, v40, v88
	v_pk_add_f16 v41, v41, v89
	;; [unrolled: 1-line block ×3, first 2 shown]
	v_pk_min_f16 v37, v15, v7
	v_pk_max_f16 v17, v17, v17
	v_pk_add_f16 v40, v40, v105
	v_pk_add_f16 v41, v41, v106
	;; [unrolled: 1-line block ×3, first 2 shown]
	v_pk_max_f16 v13, v13, v13
	v_pk_add_f16 v81, v38, v37
	v_pk_min_f16 v37, v17, v7
	v_pk_min_f16 v38, v17, v9
	;; [unrolled: 1-line block ×3, first 2 shown]
	s_waitcnt lgkmcnt(1)
	v_pk_max_f16 v19, v19, v19
	v_pk_add_f16 v43, v43, v108
	v_pk_add_f16 v45, v45, v109
	;; [unrolled: 1-line block ×3, first 2 shown]
	v_pk_min_f16 v15, v15, v13
	v_pk_min_f16 v17, v17, v13
	v_pk_add_f16 v40, v40, v37
	v_pk_add_f16 v41, v41, v38
	v_pk_add_f16 v42, v42, v39
	v_pk_min_f16 v37, v19, v7
	v_pk_min_f16 v38, v19, v9
	;; [unrolled: 1-line block ×3, first 2 shown]
	v_pk_max_f16 v21, v21, v21
	v_pk_add_f16 v47, v47, v111
	v_pk_add_f16 v48, v48, v112
	;; [unrolled: 1-line block ×5, first 2 shown]
	v_pk_min_f16 v19, v19, v13
	v_pk_add_f16 v66, v43, v37
	v_pk_add_f16 v68, v45, v38
	v_pk_add_f16 v85, v46, v39
	v_pk_min_f16 v37, v21, v7
	v_pk_min_f16 v38, v21, v9
	s_waitcnt lgkmcnt(0)
	v_pk_max_f16 v39, v53, v53
	v_pk_min_f16 v43, v21, v11
	v_pk_add_f16 v51, v51, v115
	v_pk_add_f16 v52, v52, v116
	;; [unrolled: 1-line block ×5, first 2 shown]
	v_pk_min_f16 v37, v39, v7
	v_pk_add_f16 v86, v49, v43
	v_pk_min_f16 v38, v39, v9
	v_pk_max_f16 v43, v55, v55
	v_pk_max_f16 v3, v3, v3
	v_pk_add_f16 v87, v51, v37
	v_pk_min_f16 v37, v39, v11
	v_pk_add_f16 v88, v52, v38
	v_pk_min_f16 v38, v43, v7
	v_pk_max_f16 v6, v6, v6
	v_pk_max_f16 v8, v8, v8
	v_pk_add_f16 v57, v57, v121
	v_pk_min_f16 v21, v21, v13
	v_pk_min_f16 v39, v39, v13
	;; [unrolled: 1-line block ×3, first 2 shown]
	v_pk_add_f16 v72, v72, v37
	v_pk_add_f16 v74, v74, v38
	v_pk_min_f16 v37, v43, v11
	v_pk_min_f16 v38, v43, v13
	;; [unrolled: 1-line block ×6, first 2 shown]
	v_pk_max_f16 v10, v10, v10
	v_pk_min_f16 v5, v5, v13
	v_pk_max_f16 v12, v12, v12
	v_pk_min_f16 v13, v6, v8
	v_pk_add_f16 v58, v58, v122
	v_pk_add_f16 v89, v57, v37
	;; [unrolled: 1-line block ×4, first 2 shown]
	v_pk_min_f16 v23, v6, v10
	v_pk_min_f16 v24, v6, v12
	v_pk_max_f16 v16, v16, v16
	v_pk_add_f16 v37, v61, v13
	v_pk_max_f16 v13, v14, v14
	v_pk_add_f16 v50, v50, v114
	v_pk_add_f16 v73, v73, v39
	;; [unrolled: 1-line block ×5, first 2 shown]
	v_pk_min_f16 v14, v16, v8
	v_pk_min_f16 v23, v16, v10
	v_pk_min_f16 v24, v16, v12
	v_pk_min_f16 v16, v16, v13
	v_pk_max_f16 v18, v18, v18
	v_pk_add_f16 v21, v50, v21
	v_pk_add_f16 v82, v82, v44
	v_pk_add_f16 v44, v81, v14
	v_pk_add_f16 v50, v15, v16
	v_pk_min_f16 v14, v18, v8
	v_pk_min_f16 v15, v18, v10
	v_pk_min_f16 v16, v18, v12
	v_pk_min_f16 v18, v18, v13
	v_pk_max_f16 v20, v20, v20
	v_pk_add_f16 v40, v40, v14
	v_pk_add_f16 v41, v41, v15
	v_pk_add_f16 v42, v42, v16
	v_pk_add_f16 v43, v17, v18
	;; [unrolled: 9-line block ×4, first 2 shown]
	v_pk_min_f16 v14, v18, v8
	v_pk_min_f16 v15, v18, v10
	;; [unrolled: 1-line block ×4, first 2 shown]
	v_pk_max_f16 v18, v56, v56
	v_pk_max_f16 v4, v4, v4
	v_pk_add_f16 v11, v25, v11
	v_pk_add_f16 v3, v59, v3
	;; [unrolled: 1-line block ×7, first 2 shown]
	v_pk_min_f16 v14, v18, v8
	v_pk_min_f16 v15, v18, v10
	;; [unrolled: 1-line block ×9, first 2 shown]
	v_add_co_u32 v26, vcc_lo, v26, 16
	v_add_co_ci_u32_e64 v27, null, 0, v27, vcc_lo
	v_add_co_u32 v75, vcc_lo, v75, s2
	v_pk_add_f16 v45, v83, v23
	v_pk_add_f16 v46, v84, v24
	;; [unrolled: 1-line block ×11, first 2 shown]
	v_perm_b32 v82, v79, v77, 0x5040100
	v_add_co_ci_u32_e64 v76, null, s3, v76, vcc_lo
	s_add_i32 s6, s6, 8
	ds_write_b16 v65, v78
	ds_write_b16 v67, v77
	ds_write_b16 v67, v79 offset:512
	s_cmp_ge_i32 s6, s1
	s_waitcnt lgkmcnt(0)
	s_barrier
	buffer_gl0_inv
	s_cbranch_scc1 .LBB300_23
.LBB300_15:                             ; =>This Inner Loop Header: Depth=1
	s_mov_b32 s7, -1
	s_mov_b32 vcc_lo, s0
                                        ; implicit-def: $vgpr80
	s_cbranch_vccz .LBB300_17
; %bb.16:                               ;   in Loop: Header=BB300_15 Depth=1
	v_and_b32_e32 v80, 0xffff0000, v2
	s_mov_b32 s7, 0
.LBB300_17:                             ;   in Loop: Header=BB300_15 Depth=1
	v_mov_b32_e32 v77, 0
	v_mov_b32_e32 v81, 0
	s_andn2_b32 vcc_lo, exec_lo, s7
	s_cbranch_vccnz .LBB300_19
; %bb.18:                               ;   in Loop: Header=BB300_15 Depth=1
	v_add_co_u32 v3, vcc_lo, v75, v30
	v_add_co_ci_u32_e64 v4, null, v76, v31, vcc_lo
	global_load_ushort v5, v[3:4], off offset:-128
	global_load_ushort v6, v[26:27], off
	global_load_ushort v3, v[3:4], off
	s_waitcnt vmcnt(2)
	v_mul_f16_e32 v4, v33, v5
	s_waitcnt vmcnt(1)
	v_mul_f16_e32 v77, v33, v6
	;; [unrolled: 2-line block ×3, first 2 shown]
	v_bfi_b32 v80, 0xffff, v4, v2
.LBB300_19:                             ;   in Loop: Header=BB300_15 Depth=1
	ds_read2_b64 v[2:5], v70 offset0:48 offset1:56
	ds_read2_b64 v[18:21], v71 offset0:64 offset1:96
	ds_read2_b64 v[22:25], v71 offset1:32
	ds_read2_b64 v[14:17], v70 offset1:8
	ds_read2_b64 v[10:13], v70 offset0:16 offset1:24
	ds_read2_b64 v[6:9], v70 offset0:32 offset1:40
	s_mov_b32 s7, -1
	s_mov_b32 vcc_lo, s0
	ds_write_b16 v62, v77
	ds_write_b16 v36, v80
	ds_write_b16 v36, v81 offset:512
	s_waitcnt lgkmcnt(0)
	s_barrier
	buffer_gl0_inv
                                        ; implicit-def: $vgpr77
	s_cbranch_vccz .LBB300_21
; %bb.20:                               ;   in Loop: Header=BB300_15 Depth=1
	v_and_b32_e32 v77, 0xffff0000, v82
	s_mov_b32 s7, 0
.LBB300_21:                             ;   in Loop: Header=BB300_15 Depth=1
	v_mov_b32_e32 v78, 0
	v_mov_b32_e32 v79, 0
	s_andn2_b32 vcc_lo, exec_lo, s7
	s_cbranch_vccnz .LBB300_14
; %bb.22:                               ;   in Loop: Header=BB300_15 Depth=1
	v_add_co_u32 v77, vcc_lo, v75, v28
	v_add_co_ci_u32_e64 v78, null, v76, v29, vcc_lo
	global_load_ushort v79, v[77:78], off offset:-128
	global_load_ushort v83, v[26:27], off offset:8
	global_load_ushort v84, v[77:78], off
	s_waitcnt vmcnt(2)
	v_mul_f16_e32 v77, v33, v79
	s_waitcnt vmcnt(1)
	v_mul_f16_e32 v78, v33, v83
	;; [unrolled: 2-line block ×3, first 2 shown]
	v_bfi_b32 v77, 0xffff, v77, v82
	s_branch .LBB300_14
.LBB300_23:
	v_add_nc_u32_e32 v18, 0x800, v35
	s_load_dwordx2 s[2:3], s[4:5], 0x78
	v_cmp_neq_f16_e64 s0, 0, v32
	ds_read2_b64 v[2:5], v34 offset0:128 offset1:160
	ds_read2_b64 v[6:9], v34 offset0:192 offset1:224
	;; [unrolled: 1-line block ×4, first 2 shown]
	s_clause 0x1
	s_load_dword s6, s[4:5], 0x58
	s_load_dword s7, s[4:5], 0x70
	ds_read2_b64 v[26:29], v18 offset0:80 offset1:88
	v_add_nc_u32_e32 v1, s14, v1
	s_mov_b64 s[4:5], 15
	s_waitcnt lgkmcnt(0)
	v_pk_max_f16 v2, v2, v2
	v_pk_max_f16 v4, v4, v4
	v_pk_max_f16 v12, v12, v12
	v_pk_max_f16 v16, v16, v16
	v_pk_max_f16 v6, v6, v6
	v_pk_max_f16 v8, v8, v8
	v_pk_max_f16 v26, v26, v26
	v_pk_min_f16 v19, v12, v2
	v_pk_min_f16 v20, v12, v4
	v_pk_max_f16 v14, v14, v14
	v_pk_min_f16 v21, v12, v6
	v_pk_min_f16 v25, v16, v2
	v_pk_add_f16 v19, v37, v19
	v_pk_add_f16 v20, v38, v20
	ds_read2_b64 v[35:38], v18 offset0:96 offset1:104
	v_pk_min_f16 v18, v16, v4
	v_pk_min_f16 v33, v26, v4
	;; [unrolled: 1-line block ×3, first 2 shown]
	v_pk_max_f16 v28, v28, v28
	v_pk_min_f16 v22, v14, v2
	v_pk_add_f16 v31, v41, v18
	v_pk_min_f16 v18, v26, v2
	v_pk_min_f16 v26, v26, v8
	v_pk_add_f16 v21, v39, v21
	v_pk_min_f16 v30, v16, v6
	v_pk_min_f16 v16, v16, v8
	v_pk_add_f16 v25, v40, v25
	v_pk_add_f16 v39, v47, v18
	v_pk_add_f16 v40, v51, v26
	v_pk_min_f16 v18, v28, v2
	v_pk_min_f16 v26, v28, v4
	;; [unrolled: 1-line block ×5, first 2 shown]
	s_waitcnt lgkmcnt(0)
	v_pk_max_f16 v35, v35, v35
	v_pk_add_f16 v22, v44, v22
	v_pk_add_f16 v16, v43, v16
	;; [unrolled: 1-line block ×4, first 2 shown]
	v_pk_min_f16 v26, v35, v4
	v_pk_max_f16 v28, v37, v37
	v_pk_min_f16 v23, v14, v4
	v_pk_add_f16 v24, v46, v24
	v_pk_add_f16 v30, v42, v30
	;; [unrolled: 1-line block ×3, first 2 shown]
	v_pk_min_f16 v18, v35, v2
	v_pk_add_f16 v46, v59, v26
	v_pk_min_f16 v26, v28, v2
	v_pk_add_f16 v23, v45, v23
	v_pk_add_f16 v34, v49, v34
	;; [unrolled: 1-line block ×3, first 2 shown]
	v_pk_min_f16 v18, v35, v6
	v_pk_max_f16 v10, v10, v10
	v_pk_add_f16 v49, v68, v26
	v_pk_min_f16 v26, v28, v8
	v_pk_max_f16 v3, v3, v3
	v_pk_max_f16 v13, v13, v13
	;; [unrolled: 1-line block ×4, first 2 shown]
	v_pk_min_f16 v14, v14, v8
	v_pk_min_f16 v35, v35, v8
	;; [unrolled: 1-line block ×3, first 2 shown]
	v_pk_add_f16 v47, v57, v18
	v_pk_min_f16 v18, v28, v6
	v_pk_min_f16 v2, v10, v2
	;; [unrolled: 1-line block ×4, first 2 shown]
	v_pk_add_f16 v52, v61, v26
	v_pk_min_f16 v10, v10, v8
	v_pk_min_f16 v8, v12, v8
	;; [unrolled: 1-line block ×5, first 2 shown]
	v_pk_max_f16 v15, v15, v15
	v_pk_max_f16 v9, v9, v9
	v_pk_add_f16 v14, v50, v14
	v_pk_add_f16 v51, v60, v18
	;; [unrolled: 1-line block ×5, first 2 shown]
	v_pk_min_f16 v12, v15, v3
	v_pk_min_f16 v26, v15, v5
	;; [unrolled: 1-line block ×4, first 2 shown]
	v_pk_max_f16 v17, v17, v17
	v_pk_add_f16 v33, v48, v33
	v_pk_add_f16 v48, v58, v35
	;; [unrolled: 1-line block ×6, first 2 shown]
	v_pk_min_f16 v12, v17, v3
	v_pk_min_f16 v14, v17, v5
	v_pk_min_f16 v15, v17, v7
	v_pk_min_f16 v17, v17, v9
	v_pk_max_f16 v35, v27, v27
	v_pk_add_f16 v25, v25, v12
	v_pk_add_f16 v26, v31, v14
	v_pk_add_f16 v27, v30, v15
	v_pk_add_f16 v28, v16, v17
	v_pk_min_f16 v12, v35, v3
	v_pk_min_f16 v14, v35, v5
	v_pk_min_f16 v15, v35, v7
	v_pk_min_f16 v16, v35, v9
	v_pk_max_f16 v17, v29, v29
	v_pk_add_f16 v29, v39, v12
	v_pk_add_f16 v30, v33, v14
	v_pk_add_f16 v31, v34, v15
	v_pk_add_f16 v33, v40, v16
	;; [unrolled: 9-line block ×3, first 2 shown]
	v_pk_add_f16 v37, v44, v16
	v_pk_min_f16 v12, v17, v3
	v_pk_min_f16 v14, v17, v5
	v_pk_max_f16 v16, v38, v38
	v_pk_max_f16 v11, v11, v11
	v_pk_add_f16 v2, v72, v2
	v_pk_add_f16 v4, v73, v4
	;; [unrolled: 1-line block ×3, first 2 shown]
	v_pk_min_f16 v15, v17, v7
	v_pk_add_f16 v38, v45, v12
	v_pk_add_f16 v39, v46, v14
	v_pk_min_f16 v12, v16, v3
	v_pk_min_f16 v14, v16, v5
	;; [unrolled: 1-line block ×4, first 2 shown]
	v_pk_add_f16 v6, v74, v6
	v_pk_add_f16 v10, v66, v10
	;; [unrolled: 1-line block ×3, first 2 shown]
	v_pk_min_f16 v17, v17, v9
	v_pk_add_f16 v40, v47, v15
	v_pk_min_f16 v15, v16, v7
	v_pk_add_f16 v42, v49, v12
	;; [unrolled: 2-line block ×3, first 2 shown]
	v_pk_min_f16 v3, v11, v7
	v_add_nc_u32_e32 v2, s15, v0
	v_pk_add_f16 v0, v4, v5
	v_pk_min_f16 v5, v11, v9
	v_pk_min_f16 v7, v13, v9
	v_pk_add_f16 v41, v48, v17
	v_pk_add_f16 v43, v50, v14
	;; [unrolled: 1-line block ×4, first 2 shown]
	v_add_nc_u32_e32 v4, 8, v2
	v_add_nc_u32_e32 v6, 16, v2
	v_pk_add_f16 v48, v10, v5
	v_pk_add_f16 v49, v8, v7
	v_add_nc_u32_e32 v8, 24, v2
	v_add_nc_u32_e32 v10, 32, v2
	;; [unrolled: 1-line block ×5, first 2 shown]
	v_pk_add_f16 v44, v51, v15
	v_ashrrev_i32_e32 v3, 31, v2
	v_ashrrev_i32_e32 v5, 31, v4
	;; [unrolled: 1-line block ×8, first 2 shown]
	s_mul_i32 s1, s3, s20
	s_mul_hi_u32 s3, s2, s20
	s_mul_i32 s2, s2, s20
	s_add_i32 s3, s3, s1
	v_lshlrev_b64 v[2:3], 1, v[2:3]
	v_lshlrev_b64 v[4:5], 1, v[4:5]
	;; [unrolled: 1-line block ×8, first 2 shown]
	s_lshl_b64 s[2:3], s[2:3], 1
	s_add_u32 s10, s10, s2
	s_addc_u32 s3, s11, s3
	s_branch .LBB300_25
.LBB300_24:                             ;   in Loop: Header=BB300_25 Depth=1
	s_add_i32 s1, s4, -1
	v_add_nc_u32_e32 v1, 32, v1
	s_cmp_eq_u32 s1, 1
	s_cselect_b32 vcc_lo, -1, 0
	s_cmp_eq_u32 s1, 2
	v_cndmask_b32_e32 v82, v21, v50, vcc_lo
	s_cselect_b32 vcc_lo, -1, 0
	s_cmp_eq_u32 s1, 3
	v_cndmask_b32_e32 v82, v82, v25, vcc_lo
	;; [unrolled: 3-line block ×62, first 2 shown]
	s_cselect_b32 vcc_lo, -1, 0
	s_cmp_eq_u32 s4, 1
	s_cselect_b32 s1, -1, 0
	s_cmp_eq_u32 s4, 2
	v_cndmask_b32_e64 v50, v21, v50, s1
	s_cselect_b32 s1, -1, 0
	s_cmp_eq_u32 s4, 3
	v_cndmask_b32_e64 v50, v50, v25, s1
	;; [unrolled: 3-line block ×3, first 2 shown]
	s_cselect_b32 s1, -1, 0
	s_cmp_eq_u32 s4, 5
	v_cndmask_b32_e32 v51, v82, v81, vcc_lo
	v_cndmask_b32_e64 v50, v50, v29, s1
	s_cselect_b32 s1, -1, 0
	s_cmp_eq_u32 s4, 6
	v_cndmask_b32_e64 v50, v50, v52, s1
	s_cselect_b32 s1, -1, 0
	s_cmp_eq_u32 s4, 7
	;; [unrolled: 3-line block ×58, first 2 shown]
	s_cselect_b32 vcc_lo, -1, 0
	v_cndmask_b32_e64 v50, v50, v49, s1
	s_add_u32 s4, s4, 16
	s_addc_u32 s5, s5, 0
	s_cmpk_lg_i32 s4, 0x4f
	v_cndmask_b32_e32 v50, v50, v81, vcc_lo
	v_add_f16_e32 v52, v51, v50
	v_add_co_u32 v50, vcc_lo, v84, v16
	v_add_co_ci_u32_e64 v51, null, v85, v17, vcc_lo
	v_add_f16_e32 v52, v52, v86
	global_store_short v[50:51], v52, off
	s_cbranch_scc0 .LBB300_41
.LBB300_25:                             ; =>This Inner Loop Header: Depth=1
	v_mad_i64_i32 v[50:51], null, v1, s6, 0
	v_cndmask_b32_e64 v52, 0, 1, s0
	v_mov_b32_e32 v86, 0
	v_mov_b32_e32 v87, 0
	v_cmp_ne_u32_e64 s1, 1, v52
	v_lshlrev_b64 v[50:51], 1, v[50:51]
	v_add_co_u32 v82, vcc_lo, s8, v50
	v_add_co_ci_u32_e64 v83, null, s9, v51, vcc_lo
	s_andn2_b32 vcc_lo, exec_lo, s0
	s_cbranch_vccnz .LBB300_27
; %bb.26:                               ;   in Loop: Header=BB300_25 Depth=1
	v_add_co_u32 v50, vcc_lo, v82, v2
	v_add_co_ci_u32_e64 v51, null, v83, v3, vcc_lo
	global_load_ushort v50, v[50:51], off
	s_waitcnt vmcnt(0)
	v_mul_f16_e32 v87, v32, v50
.LBB300_27:                             ;   in Loop: Header=BB300_25 Depth=1
	s_add_i32 s2, s4, -15
	v_lshrrev_b32_e32 v50, 16, v21
	s_cmp_eq_u32 s2, 1
	v_lshrrev_b32_e32 v51, 16, v25
	s_cselect_b32 vcc_lo, -1, 0
	s_cmp_eq_u32 s2, 2
	v_cndmask_b32_e32 v52, v21, v50, vcc_lo
	s_cselect_b32 vcc_lo, -1, 0
	s_cmp_eq_u32 s2, 3
	v_cndmask_b32_e32 v52, v52, v25, vcc_lo
	;; [unrolled: 3-line block ×3, first 2 shown]
	s_cselect_b32 vcc_lo, -1, 0
	v_lshrrev_b32_e32 v52, 16, v29
	s_cmp_eq_u32 s2, 5
	v_cndmask_b32_e32 v53, v53, v29, vcc_lo
	s_cselect_b32 vcc_lo, -1, 0
	s_cmp_eq_u32 s2, 6
	v_cndmask_b32_e32 v54, v53, v52, vcc_lo
	s_cselect_b32 vcc_lo, -1, 0
	v_lshrrev_b32_e32 v53, 16, v34
	s_cmp_eq_u32 s2, 7
	v_cndmask_b32_e32 v54, v54, v34, vcc_lo
	s_cselect_b32 vcc_lo, -1, 0
	s_cmp_eq_u32 s2, 8
	v_cndmask_b32_e32 v55, v54, v53, vcc_lo
	;; [unrolled: 7-line block ×29, first 2 shown]
	s_cselect_b32 vcc_lo, -1, 0
	s_cmp_eq_u32 s2, 63
	v_lshrrev_b32_e32 v81, 16, v49
	v_cndmask_b32_e32 v88, v84, v49, vcc_lo
	s_cselect_b32 vcc_lo, -1, 0
	s_add_i32 s11, s4, -14
	s_cmp_eq_u32 s11, 1
	v_cndmask_b32_e32 v88, v88, v81, vcc_lo
	s_cselect_b32 s2, -1, 0
	s_cmp_eq_u32 s11, 2
	v_cndmask_b32_e64 v84, v21, v50, s2
	s_cselect_b32 s2, -1, 0
	s_cmp_eq_u32 s11, 3
	v_cndmask_b32_e64 v84, v84, v25, s2
	;; [unrolled: 3-line block ×61, first 2 shown]
	v_mad_i64_i32 v[84:85], null, v1, s7, 0
	s_cselect_b32 s2, -1, 0
	s_cmp_eq_u32 s11, 63
	v_cndmask_b32_e64 v89, v89, v49, s2
	s_cselect_b32 vcc_lo, -1, 0
	v_lshlrev_b64 v[84:85], 1, v[84:85]
	v_cndmask_b32_e32 v89, v89, v81, vcc_lo
	v_add_co_u32 v84, vcc_lo, s10, v84
	v_add_f16_e32 v88, v88, v89
	v_add_co_ci_u32_e64 v85, null, s3, v85, vcc_lo
	v_add_f16_e32 v89, v88, v87
	v_add_co_u32 v87, vcc_lo, v84, v2
	v_add_co_ci_u32_e64 v88, null, v85, v3, vcc_lo
	s_and_b32 vcc_lo, exec_lo, s1
	global_store_short v[87:88], v89, off
	s_cbranch_vccnz .LBB300_29
; %bb.28:                               ;   in Loop: Header=BB300_25 Depth=1
	v_add_co_u32 v86, vcc_lo, v82, v4
	v_add_co_ci_u32_e64 v87, null, v83, v5, vcc_lo
	global_load_ushort v86, v[86:87], off
	s_waitcnt vmcnt(0)
	v_mul_f16_e32 v86, v32, v86
.LBB300_29:                             ;   in Loop: Header=BB300_25 Depth=1
	s_add_i32 s2, s4, -13
	s_cmp_eq_u32 s2, 1
	s_cselect_b32 vcc_lo, -1, 0
	s_cmp_eq_u32 s2, 2
	v_cndmask_b32_e32 v87, v21, v50, vcc_lo
	s_cselect_b32 vcc_lo, -1, 0
	s_cmp_eq_u32 s2, 3
	v_cndmask_b32_e32 v87, v87, v25, vcc_lo
	;; [unrolled: 3-line block ×62, first 2 shown]
	s_cselect_b32 vcc_lo, -1, 0
	s_add_i32 s11, s4, -12
	s_cmp_eq_u32 s11, 1
	v_cndmask_b32_e32 v87, v87, v81, vcc_lo
	s_cselect_b32 s2, -1, 0
	s_cmp_eq_u32 s11, 2
	v_cndmask_b32_e64 v88, v21, v50, s2
	s_cselect_b32 s2, -1, 0
	s_cmp_eq_u32 s11, 3
	v_cndmask_b32_e64 v88, v88, v25, s2
	;; [unrolled: 3-line block ×61, first 2 shown]
	s_cselect_b32 s2, -1, 0
	s_cmp_eq_u32 s11, 63
	s_cselect_b32 vcc_lo, -1, 0
	v_cndmask_b32_e64 v88, v88, v49, s2
	v_cndmask_b32_e32 v88, v88, v81, vcc_lo
	v_add_f16_e32 v87, v87, v88
	v_add_co_u32 v88, vcc_lo, v84, v4
	v_add_co_ci_u32_e64 v89, null, v85, v5, vcc_lo
	v_add_f16_e32 v90, v87, v86
	v_mov_b32_e32 v86, 0
	v_mov_b32_e32 v87, 0
	s_and_b32 vcc_lo, exec_lo, s1
	global_store_short v[88:89], v90, off
	s_cbranch_vccnz .LBB300_31
; %bb.30:                               ;   in Loop: Header=BB300_25 Depth=1
	v_add_co_u32 v87, vcc_lo, v82, v6
	v_add_co_ci_u32_e64 v88, null, v83, v7, vcc_lo
	global_load_ushort v87, v[87:88], off
	s_waitcnt vmcnt(0)
	v_mul_f16_e32 v87, v32, v87
.LBB300_31:                             ;   in Loop: Header=BB300_25 Depth=1
	s_add_i32 s2, s4, -11
	s_cmp_eq_u32 s2, 1
	s_cselect_b32 vcc_lo, -1, 0
	s_cmp_eq_u32 s2, 2
	v_cndmask_b32_e32 v88, v21, v50, vcc_lo
	s_cselect_b32 vcc_lo, -1, 0
	s_cmp_eq_u32 s2, 3
	v_cndmask_b32_e32 v88, v88, v25, vcc_lo
	;; [unrolled: 3-line block ×62, first 2 shown]
	s_cselect_b32 vcc_lo, -1, 0
	s_add_i32 s11, s4, -10
	s_cmp_eq_u32 s11, 1
	v_cndmask_b32_e32 v88, v88, v81, vcc_lo
	s_cselect_b32 s2, -1, 0
	s_cmp_eq_u32 s11, 2
	v_cndmask_b32_e64 v89, v21, v50, s2
	s_cselect_b32 s2, -1, 0
	s_cmp_eq_u32 s11, 3
	v_cndmask_b32_e64 v89, v89, v25, s2
	s_cselect_b32 s2, -1, 0
	s_cmp_eq_u32 s11, 4
	v_cndmask_b32_e64 v89, v89, v51, s2
	s_cselect_b32 s2, -1, 0
	s_cmp_eq_u32 s11, 5
	v_cndmask_b32_e64 v89, v89, v29, s2
	s_cselect_b32 s2, -1, 0
	s_cmp_eq_u32 s11, 6
	v_cndmask_b32_e64 v89, v89, v52, s2
	s_cselect_b32 s2, -1, 0
	s_cmp_eq_u32 s11, 7
	v_cndmask_b32_e64 v89, v89, v34, s2
	s_cselect_b32 s2, -1, 0
	s_cmp_eq_u32 s11, 8
	v_cndmask_b32_e64 v89, v89, v53, s2
	s_cselect_b32 s2, -1, 0
	s_cmp_eq_u32 s11, 9
	v_cndmask_b32_e64 v89, v89, v38, s2
	s_cselect_b32 s2, -1, 0
	s_cmp_eq_u32 s11, 10
	v_cndmask_b32_e64 v89, v89, v54, s2
	s_cselect_b32 s2, -1, 0
	s_cmp_eq_u32 s11, 11
	v_cndmask_b32_e64 v89, v89, v42, s2
	s_cselect_b32 s2, -1, 0
	s_cmp_eq_u32 s11, 12
	v_cndmask_b32_e64 v89, v89, v55, s2
	s_cselect_b32 s2, -1, 0
	s_cmp_eq_u32 s11, 13
	v_cndmask_b32_e64 v89, v89, v46, s2
	s_cselect_b32 s2, -1, 0
	s_cmp_eq_u32 s11, 14
	v_cndmask_b32_e64 v89, v89, v56, s2
	s_cselect_b32 s2, -1, 0
	s_cmp_eq_u32 s11, 15
	v_cndmask_b32_e64 v89, v89, v18, s2
	s_cselect_b32 s2, -1, 0
	s_cmp_eq_u32 s11, 16
	v_cndmask_b32_e64 v89, v89, v57, s2
	s_cselect_b32 s2, -1, 0
	s_cmp_eq_u32 s11, 17
	v_cndmask_b32_e64 v89, v89, v22, s2
	s_cselect_b32 s2, -1, 0
	s_cmp_eq_u32 s11, 18
	v_cndmask_b32_e64 v89, v89, v58, s2
	s_cselect_b32 s2, -1, 0
	s_cmp_eq_u32 s11, 19
	v_cndmask_b32_e64 v89, v89, v26, s2
	s_cselect_b32 s2, -1, 0
	s_cmp_eq_u32 s11, 20
	v_cndmask_b32_e64 v89, v89, v59, s2
	s_cselect_b32 s2, -1, 0
	s_cmp_eq_u32 s11, 21
	v_cndmask_b32_e64 v89, v89, v30, s2
	s_cselect_b32 s2, -1, 0
	s_cmp_eq_u32 s11, 22
	v_cndmask_b32_e64 v89, v89, v60, s2
	s_cselect_b32 s2, -1, 0
	s_cmp_eq_u32 s11, 23
	v_cndmask_b32_e64 v89, v89, v35, s2
	s_cselect_b32 s2, -1, 0
	s_cmp_eq_u32 s11, 24
	v_cndmask_b32_e64 v89, v89, v61, s2
	s_cselect_b32 s2, -1, 0
	s_cmp_eq_u32 s11, 25
	v_cndmask_b32_e64 v89, v89, v39, s2
	s_cselect_b32 s2, -1, 0
	s_cmp_eq_u32 s11, 26
	v_cndmask_b32_e64 v89, v89, v62, s2
	s_cselect_b32 s2, -1, 0
	s_cmp_eq_u32 s11, 27
	v_cndmask_b32_e64 v89, v89, v43, s2
	s_cselect_b32 s2, -1, 0
	s_cmp_eq_u32 s11, 28
	v_cndmask_b32_e64 v89, v89, v63, s2
	s_cselect_b32 s2, -1, 0
	s_cmp_eq_u32 s11, 29
	v_cndmask_b32_e64 v89, v89, v0, s2
	s_cselect_b32 s2, -1, 0
	s_cmp_eq_u32 s11, 30
	v_cndmask_b32_e64 v89, v89, v64, s2
	s_cselect_b32 s2, -1, 0
	s_cmp_eq_u32 s11, 31
	v_cndmask_b32_e64 v89, v89, v19, s2
	s_cselect_b32 s2, -1, 0
	s_cmp_eq_u32 s11, 32
	v_cndmask_b32_e64 v89, v89, v65, s2
	s_cselect_b32 s2, -1, 0
	s_cmp_eq_u32 s11, 33
	v_cndmask_b32_e64 v89, v89, v23, s2
	s_cselect_b32 s2, -1, 0
	s_cmp_eq_u32 s11, 34
	v_cndmask_b32_e64 v89, v89, v66, s2
	s_cselect_b32 s2, -1, 0
	s_cmp_eq_u32 s11, 35
	v_cndmask_b32_e64 v89, v89, v27, s2
	s_cselect_b32 s2, -1, 0
	s_cmp_eq_u32 s11, 36
	v_cndmask_b32_e64 v89, v89, v67, s2
	s_cselect_b32 s2, -1, 0
	s_cmp_eq_u32 s11, 37
	v_cndmask_b32_e64 v89, v89, v31, s2
	s_cselect_b32 s2, -1, 0
	s_cmp_eq_u32 s11, 38
	v_cndmask_b32_e64 v89, v89, v68, s2
	s_cselect_b32 s2, -1, 0
	s_cmp_eq_u32 s11, 39
	v_cndmask_b32_e64 v89, v89, v36, s2
	s_cselect_b32 s2, -1, 0
	s_cmp_eq_u32 s11, 40
	v_cndmask_b32_e64 v89, v89, v69, s2
	s_cselect_b32 s2, -1, 0
	s_cmp_eq_u32 s11, 41
	v_cndmask_b32_e64 v89, v89, v40, s2
	s_cselect_b32 s2, -1, 0
	s_cmp_eq_u32 s11, 42
	v_cndmask_b32_e64 v89, v89, v70, s2
	s_cselect_b32 s2, -1, 0
	s_cmp_eq_u32 s11, 43
	v_cndmask_b32_e64 v89, v89, v44, s2
	s_cselect_b32 s2, -1, 0
	s_cmp_eq_u32 s11, 44
	v_cndmask_b32_e64 v89, v89, v71, s2
	s_cselect_b32 s2, -1, 0
	s_cmp_eq_u32 s11, 45
	v_cndmask_b32_e64 v89, v89, v47, s2
	s_cselect_b32 s2, -1, 0
	s_cmp_eq_u32 s11, 46
	v_cndmask_b32_e64 v89, v89, v72, s2
	s_cselect_b32 s2, -1, 0
	s_cmp_eq_u32 s11, 47
	v_cndmask_b32_e64 v89, v89, v20, s2
	s_cselect_b32 s2, -1, 0
	s_cmp_eq_u32 s11, 48
	v_cndmask_b32_e64 v89, v89, v73, s2
	s_cselect_b32 s2, -1, 0
	s_cmp_eq_u32 s11, 49
	v_cndmask_b32_e64 v89, v89, v24, s2
	s_cselect_b32 s2, -1, 0
	s_cmp_eq_u32 s11, 50
	v_cndmask_b32_e64 v89, v89, v74, s2
	s_cselect_b32 s2, -1, 0
	s_cmp_eq_u32 s11, 51
	v_cndmask_b32_e64 v89, v89, v28, s2
	s_cselect_b32 s2, -1, 0
	s_cmp_eq_u32 s11, 52
	v_cndmask_b32_e64 v89, v89, v75, s2
	s_cselect_b32 s2, -1, 0
	s_cmp_eq_u32 s11, 53
	v_cndmask_b32_e64 v89, v89, v33, s2
	s_cselect_b32 s2, -1, 0
	s_cmp_eq_u32 s11, 54
	v_cndmask_b32_e64 v89, v89, v76, s2
	s_cselect_b32 s2, -1, 0
	s_cmp_eq_u32 s11, 55
	v_cndmask_b32_e64 v89, v89, v37, s2
	s_cselect_b32 s2, -1, 0
	s_cmp_eq_u32 s11, 56
	v_cndmask_b32_e64 v89, v89, v77, s2
	s_cselect_b32 s2, -1, 0
	s_cmp_eq_u32 s11, 57
	v_cndmask_b32_e64 v89, v89, v41, s2
	s_cselect_b32 s2, -1, 0
	s_cmp_eq_u32 s11, 58
	v_cndmask_b32_e64 v89, v89, v78, s2
	s_cselect_b32 s2, -1, 0
	s_cmp_eq_u32 s11, 59
	v_cndmask_b32_e64 v89, v89, v45, s2
	s_cselect_b32 s2, -1, 0
	s_cmp_eq_u32 s11, 60
	v_cndmask_b32_e64 v89, v89, v79, s2
	s_cselect_b32 s2, -1, 0
	s_cmp_eq_u32 s11, 61
	v_cndmask_b32_e64 v89, v89, v48, s2
	s_cselect_b32 s2, -1, 0
	s_cmp_eq_u32 s11, 62
	v_cndmask_b32_e64 v89, v89, v80, s2
	s_cselect_b32 s2, -1, 0
	s_cmp_eq_u32 s11, 63
	s_cselect_b32 vcc_lo, -1, 0
	v_cndmask_b32_e64 v89, v89, v49, s2
	v_cndmask_b32_e32 v89, v89, v81, vcc_lo
	v_add_f16_e32 v88, v88, v89
	v_add_f16_e32 v89, v88, v87
	v_add_co_u32 v87, vcc_lo, v84, v6
	v_add_co_ci_u32_e64 v88, null, v85, v7, vcc_lo
	s_and_b32 vcc_lo, exec_lo, s1
	global_store_short v[87:88], v89, off
	s_cbranch_vccnz .LBB300_33
; %bb.32:                               ;   in Loop: Header=BB300_25 Depth=1
	v_add_co_u32 v86, vcc_lo, v82, v8
	v_add_co_ci_u32_e64 v87, null, v83, v9, vcc_lo
	global_load_ushort v86, v[86:87], off
	s_waitcnt vmcnt(0)
	v_mul_f16_e32 v86, v32, v86
.LBB300_33:                             ;   in Loop: Header=BB300_25 Depth=1
	s_add_i32 s2, s4, -9
	s_cmp_eq_u32 s2, 1
	s_cselect_b32 vcc_lo, -1, 0
	s_cmp_eq_u32 s2, 2
	v_cndmask_b32_e32 v87, v21, v50, vcc_lo
	s_cselect_b32 vcc_lo, -1, 0
	s_cmp_eq_u32 s2, 3
	v_cndmask_b32_e32 v87, v87, v25, vcc_lo
	;; [unrolled: 3-line block ×62, first 2 shown]
	s_cselect_b32 vcc_lo, -1, 0
	s_add_i32 s11, s4, -8
	s_cmp_eq_u32 s11, 1
	v_cndmask_b32_e32 v87, v87, v81, vcc_lo
	s_cselect_b32 s2, -1, 0
	s_cmp_eq_u32 s11, 2
	v_cndmask_b32_e64 v88, v21, v50, s2
	s_cselect_b32 s2, -1, 0
	s_cmp_eq_u32 s11, 3
	v_cndmask_b32_e64 v88, v88, v25, s2
	;; [unrolled: 3-line block ×61, first 2 shown]
	s_cselect_b32 s2, -1, 0
	s_cmp_eq_u32 s11, 63
	s_cselect_b32 vcc_lo, -1, 0
	v_cndmask_b32_e64 v88, v88, v49, s2
	v_cndmask_b32_e32 v88, v88, v81, vcc_lo
	v_add_f16_e32 v87, v87, v88
	v_add_co_u32 v88, vcc_lo, v84, v8
	v_add_co_ci_u32_e64 v89, null, v85, v9, vcc_lo
	v_add_f16_e32 v90, v87, v86
	v_mov_b32_e32 v86, 0
	v_mov_b32_e32 v87, 0
	s_and_b32 vcc_lo, exec_lo, s1
	global_store_short v[88:89], v90, off
	s_cbranch_vccnz .LBB300_35
; %bb.34:                               ;   in Loop: Header=BB300_25 Depth=1
	v_add_co_u32 v87, vcc_lo, v82, v10
	v_add_co_ci_u32_e64 v88, null, v83, v11, vcc_lo
	global_load_ushort v87, v[87:88], off
	s_waitcnt vmcnt(0)
	v_mul_f16_e32 v87, v32, v87
.LBB300_35:                             ;   in Loop: Header=BB300_25 Depth=1
	s_add_i32 s2, s4, -7
	s_cmp_eq_u32 s2, 1
	s_cselect_b32 vcc_lo, -1, 0
	s_cmp_eq_u32 s2, 2
	v_cndmask_b32_e32 v88, v21, v50, vcc_lo
	s_cselect_b32 vcc_lo, -1, 0
	s_cmp_eq_u32 s2, 3
	v_cndmask_b32_e32 v88, v88, v25, vcc_lo
	;; [unrolled: 3-line block ×62, first 2 shown]
	s_cselect_b32 vcc_lo, -1, 0
	s_add_i32 s11, s4, -6
	s_cmp_eq_u32 s11, 1
	v_cndmask_b32_e32 v88, v88, v81, vcc_lo
	s_cselect_b32 s2, -1, 0
	s_cmp_eq_u32 s11, 2
	v_cndmask_b32_e64 v89, v21, v50, s2
	s_cselect_b32 s2, -1, 0
	s_cmp_eq_u32 s11, 3
	v_cndmask_b32_e64 v89, v89, v25, s2
	;; [unrolled: 3-line block ×61, first 2 shown]
	s_cselect_b32 s2, -1, 0
	s_cmp_eq_u32 s11, 63
	s_cselect_b32 vcc_lo, -1, 0
	v_cndmask_b32_e64 v89, v89, v49, s2
	v_cndmask_b32_e32 v89, v89, v81, vcc_lo
	v_add_f16_e32 v88, v88, v89
	v_add_f16_e32 v89, v88, v87
	v_add_co_u32 v87, vcc_lo, v84, v10
	v_add_co_ci_u32_e64 v88, null, v85, v11, vcc_lo
	s_and_b32 vcc_lo, exec_lo, s1
	global_store_short v[87:88], v89, off
	s_cbranch_vccnz .LBB300_37
; %bb.36:                               ;   in Loop: Header=BB300_25 Depth=1
	v_add_co_u32 v86, vcc_lo, v82, v12
	v_add_co_ci_u32_e64 v87, null, v83, v13, vcc_lo
	global_load_ushort v86, v[86:87], off
	s_waitcnt vmcnt(0)
	v_mul_f16_e32 v86, v32, v86
.LBB300_37:                             ;   in Loop: Header=BB300_25 Depth=1
	s_add_i32 s2, s4, -5
	s_cmp_eq_u32 s2, 1
	s_cselect_b32 vcc_lo, -1, 0
	s_cmp_eq_u32 s2, 2
	v_cndmask_b32_e32 v87, v21, v50, vcc_lo
	s_cselect_b32 vcc_lo, -1, 0
	s_cmp_eq_u32 s2, 3
	v_cndmask_b32_e32 v87, v87, v25, vcc_lo
	;; [unrolled: 3-line block ×62, first 2 shown]
	s_cselect_b32 vcc_lo, -1, 0
	s_add_i32 s11, s4, -4
	s_cmp_eq_u32 s11, 1
	v_cndmask_b32_e32 v87, v87, v81, vcc_lo
	s_cselect_b32 s2, -1, 0
	s_cmp_eq_u32 s11, 2
	v_cndmask_b32_e64 v88, v21, v50, s2
	s_cselect_b32 s2, -1, 0
	s_cmp_eq_u32 s11, 3
	v_cndmask_b32_e64 v88, v88, v25, s2
	;; [unrolled: 3-line block ×61, first 2 shown]
	s_cselect_b32 s2, -1, 0
	s_cmp_eq_u32 s11, 63
	s_cselect_b32 vcc_lo, -1, 0
	v_cndmask_b32_e64 v88, v88, v49, s2
	v_cndmask_b32_e32 v88, v88, v81, vcc_lo
	v_add_f16_e32 v87, v87, v88
	v_add_co_u32 v88, vcc_lo, v84, v12
	v_add_co_ci_u32_e64 v89, null, v85, v13, vcc_lo
	v_add_f16_e32 v90, v87, v86
	v_mov_b32_e32 v86, 0
	v_mov_b32_e32 v87, 0
	s_and_b32 vcc_lo, exec_lo, s1
	global_store_short v[88:89], v90, off
	s_cbranch_vccnz .LBB300_39
; %bb.38:                               ;   in Loop: Header=BB300_25 Depth=1
	v_add_co_u32 v87, vcc_lo, v82, v14
	v_add_co_ci_u32_e64 v88, null, v83, v15, vcc_lo
	global_load_ushort v87, v[87:88], off
	s_waitcnt vmcnt(0)
	v_mul_f16_e32 v87, v32, v87
.LBB300_39:                             ;   in Loop: Header=BB300_25 Depth=1
	s_add_i32 s2, s4, -3
	s_cmp_eq_u32 s2, 1
	s_cselect_b32 vcc_lo, -1, 0
	s_cmp_eq_u32 s2, 2
	v_cndmask_b32_e32 v88, v21, v50, vcc_lo
	s_cselect_b32 vcc_lo, -1, 0
	s_cmp_eq_u32 s2, 3
	v_cndmask_b32_e32 v88, v88, v25, vcc_lo
	;; [unrolled: 3-line block ×62, first 2 shown]
	s_cselect_b32 vcc_lo, -1, 0
	s_add_i32 s11, s4, -2
	s_cmp_eq_u32 s11, 1
	v_cndmask_b32_e32 v88, v88, v81, vcc_lo
	s_cselect_b32 s2, -1, 0
	s_cmp_eq_u32 s11, 2
	v_cndmask_b32_e64 v89, v21, v50, s2
	s_cselect_b32 s2, -1, 0
	s_cmp_eq_u32 s11, 3
	v_cndmask_b32_e64 v89, v89, v25, s2
	;; [unrolled: 3-line block ×61, first 2 shown]
	s_cselect_b32 s2, -1, 0
	s_cmp_eq_u32 s11, 63
	s_cselect_b32 vcc_lo, -1, 0
	v_cndmask_b32_e64 v89, v89, v49, s2
	v_cndmask_b32_e32 v89, v89, v81, vcc_lo
	v_add_f16_e32 v88, v88, v89
	v_add_f16_e32 v89, v88, v87
	v_add_co_u32 v87, vcc_lo, v84, v14
	v_add_co_ci_u32_e64 v88, null, v85, v15, vcc_lo
	s_and_b32 vcc_lo, exec_lo, s1
	global_store_short v[87:88], v89, off
	s_cbranch_vccnz .LBB300_24
; %bb.40:                               ;   in Loop: Header=BB300_25 Depth=1
	v_add_co_u32 v82, vcc_lo, v82, v16
	v_add_co_ci_u32_e64 v83, null, v83, v17, vcc_lo
	global_load_ushort v82, v[82:83], off
	s_waitcnt vmcnt(0)
	v_mul_f16_e32 v86, v32, v82
	s_branch .LBB300_24
.LBB300_41:
	s_endpgm
	.section	.rodata,"a",@progbits
	.p2align	6, 0x0
	.amdhsa_kernel _ZN12_GLOBAL__N_120geam_min_plus_kernelIDF16_Dv2_DF16_S1_Li8ELi32ELi64ELi128ELi4ELi4ELi64ELi64ELi4ELc84ELc84ELb0ELb0ELb0EPKDF16_S2_DF16_EEviiiT16_PT17_ilS6_ilS4_S6_ilPT18_ili26rocblas_geam_ex_operation_
		.amdhsa_group_segment_fixed_size 3072
		.amdhsa_private_segment_fixed_size 0
		.amdhsa_kernarg_size 136
		.amdhsa_user_sgpr_count 6
		.amdhsa_user_sgpr_private_segment_buffer 1
		.amdhsa_user_sgpr_dispatch_ptr 0
		.amdhsa_user_sgpr_queue_ptr 0
		.amdhsa_user_sgpr_kernarg_segment_ptr 1
		.amdhsa_user_sgpr_dispatch_id 0
		.amdhsa_user_sgpr_flat_scratch_init 0
		.amdhsa_user_sgpr_private_segment_size 0
		.amdhsa_wavefront_size32 1
		.amdhsa_uses_dynamic_stack 0
		.amdhsa_system_sgpr_private_segment_wavefront_offset 0
		.amdhsa_system_sgpr_workgroup_id_x 1
		.amdhsa_system_sgpr_workgroup_id_y 0
		.amdhsa_system_sgpr_workgroup_id_z 1
		.amdhsa_system_sgpr_workgroup_info 0
		.amdhsa_system_vgpr_workitem_id 1
		.amdhsa_next_free_vgpr 124
		.amdhsa_next_free_sgpr 26
		.amdhsa_reserve_vcc 1
		.amdhsa_reserve_flat_scratch 0
		.amdhsa_float_round_mode_32 0
		.amdhsa_float_round_mode_16_64 0
		.amdhsa_float_denorm_mode_32 3
		.amdhsa_float_denorm_mode_16_64 3
		.amdhsa_dx10_clamp 1
		.amdhsa_ieee_mode 1
		.amdhsa_fp16_overflow 0
		.amdhsa_workgroup_processor_mode 1
		.amdhsa_memory_ordered 1
		.amdhsa_forward_progress 1
		.amdhsa_shared_vgpr_count 0
		.amdhsa_exception_fp_ieee_invalid_op 0
		.amdhsa_exception_fp_denorm_src 0
		.amdhsa_exception_fp_ieee_div_zero 0
		.amdhsa_exception_fp_ieee_overflow 0
		.amdhsa_exception_fp_ieee_underflow 0
		.amdhsa_exception_fp_ieee_inexact 0
		.amdhsa_exception_int_div_zero 0
	.end_amdhsa_kernel
	.section	.text._ZN12_GLOBAL__N_120geam_min_plus_kernelIDF16_Dv2_DF16_S1_Li8ELi32ELi64ELi128ELi4ELi4ELi64ELi64ELi4ELc84ELc84ELb0ELb0ELb0EPKDF16_S2_DF16_EEviiiT16_PT17_ilS6_ilS4_S6_ilPT18_ili26rocblas_geam_ex_operation_,"axG",@progbits,_ZN12_GLOBAL__N_120geam_min_plus_kernelIDF16_Dv2_DF16_S1_Li8ELi32ELi64ELi128ELi4ELi4ELi64ELi64ELi4ELc84ELc84ELb0ELb0ELb0EPKDF16_S2_DF16_EEviiiT16_PT17_ilS6_ilS4_S6_ilPT18_ili26rocblas_geam_ex_operation_,comdat
.Lfunc_end300:
	.size	_ZN12_GLOBAL__N_120geam_min_plus_kernelIDF16_Dv2_DF16_S1_Li8ELi32ELi64ELi128ELi4ELi4ELi64ELi64ELi4ELc84ELc84ELb0ELb0ELb0EPKDF16_S2_DF16_EEviiiT16_PT17_ilS6_ilS4_S6_ilPT18_ili26rocblas_geam_ex_operation_, .Lfunc_end300-_ZN12_GLOBAL__N_120geam_min_plus_kernelIDF16_Dv2_DF16_S1_Li8ELi32ELi64ELi128ELi4ELi4ELi64ELi64ELi4ELc84ELc84ELb0ELb0ELb0EPKDF16_S2_DF16_EEviiiT16_PT17_ilS6_ilS4_S6_ilPT18_ili26rocblas_geam_ex_operation_
                                        ; -- End function
	.set _ZN12_GLOBAL__N_120geam_min_plus_kernelIDF16_Dv2_DF16_S1_Li8ELi32ELi64ELi128ELi4ELi4ELi64ELi64ELi4ELc84ELc84ELb0ELb0ELb0EPKDF16_S2_DF16_EEviiiT16_PT17_ilS6_ilS4_S6_ilPT18_ili26rocblas_geam_ex_operation_.num_vgpr, 124
	.set _ZN12_GLOBAL__N_120geam_min_plus_kernelIDF16_Dv2_DF16_S1_Li8ELi32ELi64ELi128ELi4ELi4ELi64ELi64ELi4ELc84ELc84ELb0ELb0ELb0EPKDF16_S2_DF16_EEviiiT16_PT17_ilS6_ilS4_S6_ilPT18_ili26rocblas_geam_ex_operation_.num_agpr, 0
	.set _ZN12_GLOBAL__N_120geam_min_plus_kernelIDF16_Dv2_DF16_S1_Li8ELi32ELi64ELi128ELi4ELi4ELi64ELi64ELi4ELc84ELc84ELb0ELb0ELb0EPKDF16_S2_DF16_EEviiiT16_PT17_ilS6_ilS4_S6_ilPT18_ili26rocblas_geam_ex_operation_.numbered_sgpr, 26
	.set _ZN12_GLOBAL__N_120geam_min_plus_kernelIDF16_Dv2_DF16_S1_Li8ELi32ELi64ELi128ELi4ELi4ELi64ELi64ELi4ELc84ELc84ELb0ELb0ELb0EPKDF16_S2_DF16_EEviiiT16_PT17_ilS6_ilS4_S6_ilPT18_ili26rocblas_geam_ex_operation_.num_named_barrier, 0
	.set _ZN12_GLOBAL__N_120geam_min_plus_kernelIDF16_Dv2_DF16_S1_Li8ELi32ELi64ELi128ELi4ELi4ELi64ELi64ELi4ELc84ELc84ELb0ELb0ELb0EPKDF16_S2_DF16_EEviiiT16_PT17_ilS6_ilS4_S6_ilPT18_ili26rocblas_geam_ex_operation_.private_seg_size, 0
	.set _ZN12_GLOBAL__N_120geam_min_plus_kernelIDF16_Dv2_DF16_S1_Li8ELi32ELi64ELi128ELi4ELi4ELi64ELi64ELi4ELc84ELc84ELb0ELb0ELb0EPKDF16_S2_DF16_EEviiiT16_PT17_ilS6_ilS4_S6_ilPT18_ili26rocblas_geam_ex_operation_.uses_vcc, 1
	.set _ZN12_GLOBAL__N_120geam_min_plus_kernelIDF16_Dv2_DF16_S1_Li8ELi32ELi64ELi128ELi4ELi4ELi64ELi64ELi4ELc84ELc84ELb0ELb0ELb0EPKDF16_S2_DF16_EEviiiT16_PT17_ilS6_ilS4_S6_ilPT18_ili26rocblas_geam_ex_operation_.uses_flat_scratch, 0
	.set _ZN12_GLOBAL__N_120geam_min_plus_kernelIDF16_Dv2_DF16_S1_Li8ELi32ELi64ELi128ELi4ELi4ELi64ELi64ELi4ELc84ELc84ELb0ELb0ELb0EPKDF16_S2_DF16_EEviiiT16_PT17_ilS6_ilS4_S6_ilPT18_ili26rocblas_geam_ex_operation_.has_dyn_sized_stack, 0
	.set _ZN12_GLOBAL__N_120geam_min_plus_kernelIDF16_Dv2_DF16_S1_Li8ELi32ELi64ELi128ELi4ELi4ELi64ELi64ELi4ELc84ELc84ELb0ELb0ELb0EPKDF16_S2_DF16_EEviiiT16_PT17_ilS6_ilS4_S6_ilPT18_ili26rocblas_geam_ex_operation_.has_recursion, 0
	.set _ZN12_GLOBAL__N_120geam_min_plus_kernelIDF16_Dv2_DF16_S1_Li8ELi32ELi64ELi128ELi4ELi4ELi64ELi64ELi4ELc84ELc84ELb0ELb0ELb0EPKDF16_S2_DF16_EEviiiT16_PT17_ilS6_ilS4_S6_ilPT18_ili26rocblas_geam_ex_operation_.has_indirect_call, 0
	.section	.AMDGPU.csdata,"",@progbits
; Kernel info:
; codeLenInByte = 21920
; TotalNumSgprs: 28
; NumVgprs: 124
; ScratchSize: 0
; MemoryBound: 0
; FloatMode: 240
; IeeeMode: 1
; LDSByteSize: 3072 bytes/workgroup (compile time only)
; SGPRBlocks: 0
; VGPRBlocks: 15
; NumSGPRsForWavesPerEU: 28
; NumVGPRsForWavesPerEU: 124
; Occupancy: 8
; WaveLimiterHint : 1
; COMPUTE_PGM_RSRC2:SCRATCH_EN: 0
; COMPUTE_PGM_RSRC2:USER_SGPR: 6
; COMPUTE_PGM_RSRC2:TRAP_HANDLER: 0
; COMPUTE_PGM_RSRC2:TGID_X_EN: 1
; COMPUTE_PGM_RSRC2:TGID_Y_EN: 0
; COMPUTE_PGM_RSRC2:TGID_Z_EN: 1
; COMPUTE_PGM_RSRC2:TIDIG_COMP_CNT: 1
	.section	.text._ZN12_GLOBAL__N_120geam_min_plus_kernelIDF16_Dv2_DF16_S1_Li8ELi32ELi64ELi128ELi4ELi4ELi64ELi64ELi4ELc84ELc84ELb1ELb0ELb0EDF16_KDF16_DF16_EEviiiT16_PT17_ilS5_ilS3_S5_ilPT18_ili26rocblas_geam_ex_operation_,"axG",@progbits,_ZN12_GLOBAL__N_120geam_min_plus_kernelIDF16_Dv2_DF16_S1_Li8ELi32ELi64ELi128ELi4ELi4ELi64ELi64ELi4ELc84ELc84ELb1ELb0ELb0EDF16_KDF16_DF16_EEviiiT16_PT17_ilS5_ilS3_S5_ilPT18_ili26rocblas_geam_ex_operation_,comdat
	.globl	_ZN12_GLOBAL__N_120geam_min_plus_kernelIDF16_Dv2_DF16_S1_Li8ELi32ELi64ELi128ELi4ELi4ELi64ELi64ELi4ELc84ELc84ELb1ELb0ELb0EDF16_KDF16_DF16_EEviiiT16_PT17_ilS5_ilS3_S5_ilPT18_ili26rocblas_geam_ex_operation_ ; -- Begin function _ZN12_GLOBAL__N_120geam_min_plus_kernelIDF16_Dv2_DF16_S1_Li8ELi32ELi64ELi128ELi4ELi4ELi64ELi64ELi4ELc84ELc84ELb1ELb0ELb0EDF16_KDF16_DF16_EEviiiT16_PT17_ilS5_ilS3_S5_ilPT18_ili26rocblas_geam_ex_operation_
	.p2align	8
	.type	_ZN12_GLOBAL__N_120geam_min_plus_kernelIDF16_Dv2_DF16_S1_Li8ELi32ELi64ELi128ELi4ELi4ELi64ELi64ELi4ELc84ELc84ELb1ELb0ELb0EDF16_KDF16_DF16_EEviiiT16_PT17_ilS5_ilS3_S5_ilPT18_ili26rocblas_geam_ex_operation_,@function
_ZN12_GLOBAL__N_120geam_min_plus_kernelIDF16_Dv2_DF16_S1_Li8ELi32ELi64ELi128ELi4ELi4ELi64ELi64ELi4ELc84ELc84ELb1ELb0ELb0EDF16_KDF16_DF16_EEviiiT16_PT17_ilS5_ilS3_S5_ilPT18_ili26rocblas_geam_ex_operation_: ; @_ZN12_GLOBAL__N_120geam_min_plus_kernelIDF16_Dv2_DF16_S1_Li8ELi32ELi64ELi128ELi4ELi4ELi64ELi64ELi4ELc84ELc84ELb1ELb0ELb0EDF16_KDF16_DF16_EEviiiT16_PT17_ilS5_ilS3_S5_ilPT18_ili26rocblas_geam_ex_operation_
; %bb.0:
	s_clause 0x1
	s_load_dwordx2 s[10:11], s[4:5], 0x8
	s_load_dwordx4 s[0:3], s[4:5], 0x20
	s_waitcnt lgkmcnt(0)
	v_cmp_eq_f16_e64 s8, s11, 0
	s_and_b32 vcc_lo, exec_lo, s8
	s_cbranch_vccnz .LBB301_29
; %bb.1:
	s_load_dwordx2 s[12:13], s[4:5], 0x10
	s_mul_i32 s1, s1, s7
	s_mul_hi_u32 s9, s0, s7
	s_mul_i32 s0, s0, s7
	s_add_i32 s1, s9, s1
	s_lshl_b64 s[0:1], s[0:1], 1
	s_waitcnt lgkmcnt(0)
	s_add_u32 s12, s12, s0
	s_addc_u32 s13, s13, s1
	s_andn2_b32 vcc_lo, exec_lo, s8
	s_mov_b32 s0, -1
	s_cbranch_vccnz .LBB301_3
.LBB301_2:
	s_mov_b32 s0, 0
.LBB301_3:
	s_mov_b64 s[8:9], 0
	s_andn2_b32 vcc_lo, exec_lo, s0
	s_mov_b64 s[14:15], 0
	s_cbranch_vccnz .LBB301_5
; %bb.4:
	s_load_dwordx2 s[0:1], s[4:5], 0x38
	s_waitcnt lgkmcnt(0)
	s_mul_i32 s1, s1, s7
	s_mul_hi_u32 s11, s0, s7
	s_mul_i32 s0, s0, s7
	s_add_i32 s1, s11, s1
	s_lshl_b64 s[0:1], s[0:1], 1
	s_add_u32 s14, s2, s0
	s_addc_u32 s15, s3, s1
.LBB301_5:
	s_clause 0x1
	s_load_dword s11, s[4:5], 0x40
	s_load_dwordx4 s[0:3], s[4:5], 0x58
	s_waitcnt lgkmcnt(0)
	v_cmp_eq_f16_e64 s16, s11, 0
	s_and_b32 vcc_lo, exec_lo, s16
	s_cbranch_vccnz .LBB301_7
; %bb.6:
	s_load_dwordx2 s[8:9], s[4:5], 0x48
	s_mul_i32 s1, s1, s7
	s_mul_hi_u32 s16, s0, s7
	s_mul_i32 s0, s0, s7
	s_add_i32 s1, s16, s1
	s_lshl_b64 s[0:1], s[0:1], 1
	s_waitcnt lgkmcnt(0)
	s_add_u32 s8, s8, s0
	s_addc_u32 s9, s9, s1
.LBB301_7:
	s_clause 0x2
	s_load_dword s1, s[4:5], 0x0
	s_load_dword s18, s[4:5], 0x18
	;; [unrolled: 1-line block ×3, first 2 shown]
	v_lshlrev_b32_e32 v16, 3, v1
	v_and_b32_e32 v7, 3, v0
	v_add_nc_u32_e32 v4, v16, v0
	v_lshlrev_b32_e32 v7, 1, v7
	v_lshrrev_b32_e32 v14, 2, v4
	v_lshrrev_b32_e32 v6, 6, v4
	v_and_b32_e32 v15, 63, v4
	v_add_nc_u32_e32 v12, 4, v6
	s_waitcnt lgkmcnt(0)
	s_add_i32 s1, s1, -1
	s_ashr_i32 s16, s1, 31
	s_lshr_b32 s16, s16, 26
	s_add_i32 s1, s1, s16
	s_ashr_i32 s1, s1, 6
	s_add_i32 s16, s1, 1
	s_not_b32 s1, s1
	v_cvt_f32_u32_e32 v2, s16
	v_rcp_iflag_f32_e32 v2, v2
	v_mul_f32_e32 v2, 0x4f7ffffe, v2
	v_cvt_u32_f32_e32 v2, v2
	v_readfirstlane_b32 s17, v2
	v_mad_i64_i32 v[2:3], null, s0, v6, 0
	s_mul_i32 s1, s1, s17
	s_mul_hi_u32 s1, s17, s1
	v_lshlrev_b64 v[2:3], 1, v[2:3]
	s_add_i32 s17, s17, s1
	s_mul_hi_u32 s1, s6, s17
	s_mul_i32 s17, s1, s16
	s_add_i32 s19, s1, 1
	s_sub_i32 s17, s6, s17
	v_add_co_u32 v10, vcc_lo, s14, v2
	s_sub_i32 s20, s17, s16
	s_cmp_ge_u32 s17, s16
	v_add_co_ci_u32_e64 v11, null, s15, v3, vcc_lo
	s_cselect_b32 s1, s19, s1
	s_cselect_b32 s17, s20, s17
	s_add_i32 s19, s1, 1
	s_cmp_ge_u32 s17, s16
	s_cselect_b32 s1, s19, s1
	s_mul_i32 s16, s1, s16
	s_sub_i32 s6, s6, s16
	s_lshl_b32 s16, s1, 7
	s_lshl_b32 s17, s6, 6
	v_or_b32_e32 v8, s16, v15
	v_add_nc_u32_e32 v5, s17, v14
	s_cmp_lt_i32 s10, 9
	v_ashrrev_i32_e32 v9, 31, v8
	v_mad_i64_i32 v[4:5], null, v5, s18, 0
	v_lshlrev_b64 v[2:3], 1, v[8:9]
	v_lshlrev_b64 v[4:5], 1, v[4:5]
	v_add_co_u32 v13, vcc_lo, s12, v4
	v_add_co_ci_u32_e64 v17, null, s13, v5, vcc_lo
	v_add_co_u32 v8, vcc_lo, v10, v2
	v_add_co_ci_u32_e64 v9, null, v11, v3, vcc_lo
	v_add_co_u32 v10, vcc_lo, v13, v7
	v_mad_i64_i32 v[12:13], null, s0, v12, 0
	v_add_co_ci_u32_e64 v11, null, 0, v17, vcc_lo
	s_clause 0x1
	global_load_ushort v19, v[8:9], off
	global_load_ushort v20, v[8:9], off offset:128
	global_load_ushort v21, v[10:11], off
	v_lshlrev_b32_e32 v17, 3, v0
	v_lshlrev_b64 v[8:9], 1, v[12:13]
	v_add_co_u32 v8, vcc_lo, s14, v8
	v_add_co_ci_u32_e64 v9, null, s15, v9, vcc_lo
	v_add_co_u32 v8, vcc_lo, v8, v2
	v_add_co_ci_u32_e64 v9, null, v9, v3, vcc_lo
	global_load_ushort v13, v[10:11], off offset:8
	s_clause 0x1
	global_load_ushort v39, v[8:9], off
	global_load_ushort v51, v[8:9], off offset:128
	v_lshlrev_b32_e32 v8, 3, v15
	v_lshl_add_u32 v18, v6, 1, v8
	v_lshl_or_b32 v8, v14, 3, v7
	v_add_nc_u32_e32 v14, 0x800, v17
	s_waitcnt vmcnt(5)
	ds_write_b16 v18, v19
	s_waitcnt vmcnt(4)
	ds_write_b16 v18, v20 offset:512
	s_waitcnt vmcnt(3)
	ds_write_b16 v8, v21 offset:2048
	s_waitcnt vmcnt(0) lgkmcnt(0)
	s_barrier
	buffer_gl0_inv
	ds_read2_b64 v[9:12], v16 offset1:32
	ds_read2_b64 v[19:22], v14 offset0:48 offset1:56
	ds_read2_b64 v[23:26], v16 offset0:64 offset1:96
	ds_read2_b64 v[27:30], v14 offset1:8
	ds_read2_b64 v[31:34], v14 offset0:16 offset1:24
	ds_read2_b64 v[35:38], v14 offset0:32 offset1:40
	ds_write_b16 v8, v13 offset:2560
	ds_write_b16 v18, v39 offset:1024
	s_waitcnt lgkmcnt(7)
	v_pk_max_f16 v9, v9, v9
	s_waitcnt lgkmcnt(6)
	v_pk_max_f16 v13, v21, v21
	v_pk_max_f16 v11, v11, v11
	s_waitcnt lgkmcnt(5)
	v_pk_max_f16 v14, v23, v23
	s_waitcnt lgkmcnt(4)
	v_pk_max_f16 v15, v27, v27
	v_pk_max_f16 v21, v25, v25
	;; [unrolled: 1-line block ×3, first 2 shown]
	s_waitcnt lgkmcnt(3)
	v_pk_max_f16 v25, v31, v31
	v_pk_max_f16 v27, v33, v33
	s_waitcnt lgkmcnt(2)
	v_pk_max_f16 v29, v35, v35
	v_pk_max_f16 v31, v37, v37
	;; [unrolled: 1-line block ×15, first 2 shown]
	v_pk_min_f16 v36, v13, v9
	v_pk_min_f16 v37, v13, v11
	;; [unrolled: 1-line block ×64, first 2 shown]
	v_pk_add_f16 v22, v36, 0
	v_pk_add_f16 v24, v37, 0
	;; [unrolled: 1-line block ×64, first 2 shown]
	ds_write_b16 v18, v51 offset:1536
	s_waitcnt lgkmcnt(0)
	s_barrier
	buffer_gl0_inv
	s_cbranch_scc1 .LBB301_10
; %bb.8:
	v_add_nc_u32_e32 v51, 0x800, v8
	v_add_nc_u32_e32 v53, 0xa00, v8
	;; [unrolled: 1-line block ×4, first 2 shown]
	v_add_co_u32 v9, vcc_lo, v4, v7
	v_add_co_ci_u32_e64 v10, null, 0, v5, vcc_lo
	v_mad_i64_i32 v[4:5], null, v8, s0, 0
	v_mad_i64_i32 v[6:7], null, v6, s0, 0
	v_add_co_u32 v57, vcc_lo, s14, v2
	v_add_co_ci_u32_e64 v58, null, s15, v3, vcc_lo
	v_add_co_u32 v2, vcc_lo, s12, v9
	v_add_co_ci_u32_e64 v3, null, s13, v10, vcc_lo
	v_lshlrev_b64 v[10:11], 1, v[4:5]
	v_add_co_u32 v14, vcc_lo, v2, 16
	v_lshlrev_b64 v[12:13], 1, v[6:7]
	v_or_b32_e32 v52, 0x800, v17
	v_or_b32_e32 v54, 0x400, v18
	v_lshl_add_u32 v55, v0, 3, 0xa00
	v_add_nc_u32_e32 v56, 0x400, v16
	v_add_co_ci_u32_e64 v15, null, 0, v3, vcc_lo
	s_ashr_i32 s1, s0, 31
	s_add_i32 s6, s10, -8
	s_lshl_b64 s[0:1], s[0:1], 4
	s_mov_b32 s10, 0
.LBB301_9:                              ; =>This Inner Loop Header: Depth=1
	v_add_co_u32 v2, vcc_lo, v57, v12
	v_add_co_ci_u32_e64 v3, null, v58, v13, vcc_lo
	v_add_co_u32 v75, vcc_lo, v57, v10
	global_load_ushort v77, v[14:15], off
	s_clause 0x1
	global_load_ushort v78, v[2:3], off
	global_load_ushort v79, v[2:3], off offset:128
	v_add_co_ci_u32_e64 v76, null, v58, v11, vcc_lo
	ds_read2_b64 v[2:5], v56 offset1:32
	ds_read2_b64 v[59:62], v55 offset1:8
	ds_read2_b64 v[63:66], v55 offset0:16 offset1:24
	ds_read2_b64 v[67:70], v55 offset0:32 offset1:40
	;; [unrolled: 1-line block ×4, first 2 shown]
	v_add_co_u32 v57, vcc_lo, v57, s0
	v_add_co_ci_u32_e64 v58, null, s1, v58, vcc_lo
	s_add_i32 s10, s10, 8
	s_waitcnt vmcnt(2)
	ds_write_b16 v51, v77
	s_waitcnt vmcnt(1)
	ds_write_b16 v18, v78
	s_waitcnt vmcnt(0)
	ds_write_b16 v18, v79 offset:512
	s_waitcnt lgkmcnt(0)
	s_barrier
	buffer_gl0_inv
	global_load_ushort v77, v[14:15], off offset:8
	s_clause 0x1
	global_load_ushort v78, v[75:76], off
	global_load_ushort v75, v[75:76], off offset:128
	v_pk_max_f16 v2, v2, v2
	v_pk_max_f16 v59, v59, v59
	;; [unrolled: 1-line block ×24, first 2 shown]
	v_pk_min_f16 v76, v59, v2
	v_pk_min_f16 v79, v61, v2
	;; [unrolled: 1-line block ×64, first 2 shown]
	v_pk_add_f16 v50, v50, v76
	v_pk_add_f16 v34, v34, v83
	;; [unrolled: 1-line block ×44, first 2 shown]
	ds_read2_b64 v[2:5], v16 offset1:32
	ds_read2_b64 v[6:9], v16 offset0:64 offset1:96
	ds_read2_b64 v[19:22], v52 offset1:8
	ds_read2_b64 v[23:26], v52 offset0:16 offset1:24
	ds_read2_b64 v[27:30], v52 offset0:32 offset1:40
	;; [unrolled: 1-line block ×3, first 2 shown]
	v_pk_add_f16 v44, v44, v79
	v_pk_add_f16 v42, v42, v80
	;; [unrolled: 1-line block ×14, first 2 shown]
	s_waitcnt lgkmcnt(5)
	v_pk_max_f16 v2, v2, v2
	v_pk_max_f16 v4, v4, v4
	s_waitcnt lgkmcnt(4)
	v_pk_max_f16 v6, v6, v6
	v_pk_max_f16 v8, v8, v8
	;; [unrolled: 3-line block ×6, first 2 shown]
	v_pk_add_f16 v40, v40, v106
	v_pk_add_f16 v39, v39, v107
	;; [unrolled: 1-line block ×6, first 2 shown]
	v_pk_max_f16 v3, v3, v3
	v_pk_max_f16 v5, v5, v5
	;; [unrolled: 1-line block ×12, first 2 shown]
	v_pk_min_f16 v76, v19, v2
	v_pk_min_f16 v79, v19, v4
	;; [unrolled: 1-line block ×64, first 2 shown]
	v_pk_add_f16 v32, v50, v96
	v_pk_add_f16 v34, v65, v97
	;; [unrolled: 1-line block ×32, first 2 shown]
	v_add_co_u32 v14, vcc_lo, v14, 16
	v_add_co_ci_u32_e64 v15, null, 0, v15, vcc_lo
	v_pk_add_f16 v48, v32, v30
	v_pk_add_f16 v46, v34, v117
	;; [unrolled: 1-line block ×32, first 2 shown]
	s_cmp_ge_i32 s10, s6
	s_waitcnt vmcnt(2)
	ds_write_b16 v53, v77
	s_waitcnt vmcnt(1)
	ds_write_b16 v54, v78
	s_waitcnt vmcnt(0)
	ds_write_b16 v54, v75 offset:512
	s_waitcnt lgkmcnt(0)
	s_barrier
	buffer_gl0_inv
	s_cbranch_scc0 .LBB301_9
.LBB301_10:
	v_add_nc_u32_e32 v18, 0x800, v17
	s_load_dwordx2 s[0:1], s[4:5], 0x70
	v_cmp_neq_f16_e64 s6, s11, 0
	ds_read2_b64 v[2:5], v16 offset0:128 offset1:160
	ds_read2_b64 v[6:9], v16 offset0:192 offset1:224
	;; [unrolled: 1-line block ×4, first 2 shown]
	s_clause 0x1
	s_load_dword s10, s[4:5], 0x50
	s_load_dword s4, s[4:5], 0x68
	ds_read2_b64 v[51:54], v18 offset0:80 offset1:88
	v_add_nc_u32_e32 v1, s16, v1
	s_waitcnt lgkmcnt(0)
	v_pk_max_f16 v2, v2, v2
	v_pk_max_f16 v4, v4, v4
	;; [unrolled: 1-line block ×8, first 2 shown]
	v_pk_min_f16 v55, v12, v2
	v_pk_min_f16 v56, v12, v4
	;; [unrolled: 1-line block ×7, first 2 shown]
	v_pk_add_f16 v55, v48, v55
	v_pk_add_f16 v56, v46, v56
	;; [unrolled: 1-line block ×5, first 2 shown]
	ds_read2_b64 v[45:48], v18 offset0:96 offset1:104
	v_pk_min_f16 v18, v16, v4
	v_pk_min_f16 v61, v16, v2
	v_pk_add_f16 v50, v50, v58
	v_pk_min_f16 v58, v16, v6
	v_pk_min_f16 v16, v16, v8
	v_pk_add_f16 v40, v40, v18
	v_pk_min_f16 v18, v51, v2
	v_pk_max_f16 v53, v53, v53
	v_pk_add_f16 v36, v36, v58
	v_pk_add_f16 v16, v33, v16
	v_pk_min_f16 v33, v51, v4
	v_pk_min_f16 v58, v51, v6
	;; [unrolled: 1-line block ×3, first 2 shown]
	v_pk_add_f16 v42, v42, v18
	v_pk_min_f16 v18, v53, v2
	v_pk_add_f16 v33, v39, v33
	v_pk_max_f16 v10, v10, v10
	v_pk_add_f16 v39, v30, v51
	v_pk_min_f16 v30, v53, v4
	s_waitcnt lgkmcnt(0)
	v_pk_max_f16 v45, v45, v45
	v_pk_min_f16 v51, v53, v6
	v_pk_min_f16 v53, v53, v8
	v_pk_add_f16 v41, v41, v18
	v_pk_add_f16 v37, v37, v30
	v_pk_min_f16 v18, v45, v2
	v_pk_add_f16 v51, v32, v51
	v_pk_add_f16 v53, v27, v53
	v_pk_min_f16 v27, v45, v4
	v_pk_max_f16 v30, v47, v47
	v_pk_add_f16 v38, v38, v18
	v_pk_min_f16 v18, v45, v6
	v_pk_min_f16 v32, v45, v8
	v_pk_max_f16 v3, v3, v3
	v_pk_max_f16 v13, v13, v13
	v_pk_add_f16 v35, v35, v58
	v_pk_add_f16 v45, v31, v27
	v_pk_min_f16 v27, v30, v2
	v_pk_min_f16 v31, v30, v4
	v_pk_add_f16 v47, v26, v18
	v_pk_add_f16 v58, v24, v32
	v_pk_min_f16 v18, v30, v6
	v_pk_min_f16 v24, v30, v8
	;; [unrolled: 1-line block ×6, first 2 shown]
	v_pk_max_f16 v5, v5, v5
	v_pk_min_f16 v8, v12, v8
	v_pk_max_f16 v7, v7, v7
	v_pk_min_f16 v12, v13, v3
	v_pk_max_f16 v15, v15, v15
	v_pk_max_f16 v9, v9, v9
	v_pk_add_f16 v44, v44, v61
	v_pk_add_f16 v61, v22, v18
	v_pk_add_f16 v62, v21, v24
	v_pk_add_f16 v6, v23, v6
	v_pk_add_f16 v10, v20, v10
	v_pk_min_f16 v20, v13, v5
	v_pk_min_f16 v21, v13, v7
	v_pk_add_f16 v18, v55, v12
	v_pk_min_f16 v12, v15, v3
	v_pk_min_f16 v22, v15, v5
	;; [unrolled: 1-line block ×4, first 2 shown]
	v_pk_max_f16 v17, v17, v17
	v_pk_add_f16 v2, v29, v2
	v_pk_add_f16 v8, v19, v8
	v_pk_add_f16 v19, v56, v20
	v_pk_add_f16 v20, v43, v21
	v_pk_add_f16 v21, v50, v12
	v_pk_add_f16 v24, v14, v15
	v_pk_min_f16 v12, v17, v3
	v_pk_min_f16 v14, v17, v5
	;; [unrolled: 1-line block ×4, first 2 shown]
	v_pk_max_f16 v29, v52, v52
	v_pk_add_f16 v49, v49, v59
	v_pk_add_f16 v59, v34, v27
	;; [unrolled: 1-line block ×8, first 2 shown]
	v_pk_min_f16 v12, v29, v3
	v_pk_min_f16 v14, v29, v5
	;; [unrolled: 1-line block ×4, first 2 shown]
	v_pk_max_f16 v17, v54, v54
	v_pk_add_f16 v29, v42, v12
	v_pk_add_f16 v30, v33, v14
	;; [unrolled: 1-line block ×4, first 2 shown]
	v_pk_min_f16 v12, v17, v3
	v_pk_min_f16 v14, v17, v5
	;; [unrolled: 1-line block ×4, first 2 shown]
	v_pk_max_f16 v17, v46, v46
	v_pk_add_f16 v33, v41, v12
	v_pk_add_f16 v34, v37, v14
	v_pk_max_f16 v11, v11, v11
	v_pk_add_f16 v36, v53, v16
	v_pk_min_f16 v12, v17, v3
	v_pk_min_f16 v14, v17, v5
	v_pk_max_f16 v16, v48, v48
	v_pk_add_f16 v35, v51, v15
	v_pk_min_f16 v15, v17, v7
	v_pk_add_f16 v37, v38, v12
	v_pk_add_f16 v38, v45, v14
	v_pk_min_f16 v12, v16, v3
	v_pk_min_f16 v14, v16, v5
	;; [unrolled: 1-line block ×4, first 2 shown]
	v_pk_add_f16 v39, v47, v15
	v_pk_min_f16 v15, v16, v7
	v_pk_add_f16 v41, v59, v12
	v_pk_min_f16 v12, v16, v9
	;; [unrolled: 2-line block ×3, first 2 shown]
	v_add_nc_u32_e32 v2, s17, v0
	v_pk_add_f16 v0, v4, v5
	v_pk_min_f16 v5, v11, v9
	v_pk_min_f16 v7, v13, v9
	;; [unrolled: 1-line block ×3, first 2 shown]
	v_pk_add_f16 v42, v60, v14
	v_pk_add_f16 v44, v62, v12
	;; [unrolled: 1-line block ×3, first 2 shown]
	v_add_nc_u32_e32 v4, 8, v2
	v_add_nc_u32_e32 v6, 16, v2
	v_pk_add_f16 v47, v10, v5
	v_pk_add_f16 v48, v8, v7
	v_add_nc_u32_e32 v8, 24, v2
	v_add_nc_u32_e32 v10, 32, v2
	;; [unrolled: 1-line block ×5, first 2 shown]
	v_pk_add_f16 v40, v58, v17
	v_pk_add_f16 v43, v61, v15
	v_ashrrev_i32_e32 v3, 31, v2
	v_ashrrev_i32_e32 v5, 31, v4
	;; [unrolled: 1-line block ×8, first 2 shown]
	s_mul_i32 s1, s1, s7
	s_mul_hi_u32 s5, s0, s7
	s_mul_i32 s0, s0, s7
	s_add_i32 s1, s5, s1
	v_lshlrev_b64 v[2:3], 1, v[2:3]
	v_lshlrev_b64 v[4:5], 1, v[4:5]
	;; [unrolled: 1-line block ×8, first 2 shown]
	s_lshl_b64 s[0:1], s[0:1], 1
	v_pk_add_f16 v22, v49, v22
	v_pk_add_f16 v23, v57, v23
	s_add_u32 s5, s2, s0
	s_addc_u32 s7, s3, s1
	s_mov_b64 s[2:3], 15
	s_branch .LBB301_12
.LBB301_11:                             ;   in Loop: Header=BB301_12 Depth=1
	s_add_i32 s0, s2, -1
	v_add_nc_u32_e32 v1, 32, v1
	s_cmp_eq_u32 s0, 1
	s_cselect_b32 vcc_lo, -1, 0
	s_cmp_eq_u32 s0, 2
	v_cndmask_b32_e32 v81, v21, v49, vcc_lo
	s_cselect_b32 vcc_lo, -1, 0
	s_cmp_eq_u32 s0, 3
	v_cndmask_b32_e32 v81, v81, v25, vcc_lo
	;; [unrolled: 3-line block ×62, first 2 shown]
	s_cselect_b32 vcc_lo, -1, 0
	s_cmp_eq_u32 s2, 1
	s_cselect_b32 s0, -1, 0
	s_cmp_eq_u32 s2, 2
	v_cndmask_b32_e64 v49, v21, v49, s0
	s_cselect_b32 s0, -1, 0
	s_cmp_eq_u32 s2, 3
	v_cndmask_b32_e64 v49, v49, v25, s0
	;; [unrolled: 3-line block ×3, first 2 shown]
	s_cselect_b32 s0, -1, 0
	s_cmp_eq_u32 s2, 5
	v_cndmask_b32_e32 v50, v81, v80, vcc_lo
	v_cndmask_b32_e64 v49, v49, v29, s0
	s_cselect_b32 s0, -1, 0
	s_cmp_eq_u32 s2, 6
	v_cndmask_b32_e64 v49, v49, v51, s0
	s_cselect_b32 s0, -1, 0
	s_cmp_eq_u32 s2, 7
	v_cndmask_b32_e64 v49, v49, v33, s0
	s_cselect_b32 s0, -1, 0
	s_cmp_eq_u32 s2, 8
	v_cndmask_b32_e64 v49, v49, v52, s0
	s_cselect_b32 s0, -1, 0
	s_cmp_eq_u32 s2, 9
	v_cndmask_b32_e64 v49, v49, v37, s0
	s_cselect_b32 s0, -1, 0
	s_cmp_eq_u32 s2, 10
	v_cndmask_b32_e64 v49, v49, v53, s0
	s_cselect_b32 s0, -1, 0
	s_cmp_eq_u32 s2, 11
	v_cndmask_b32_e64 v49, v49, v41, s0
	s_cselect_b32 s0, -1, 0
	s_cmp_eq_u32 s2, 12
	v_cndmask_b32_e64 v49, v49, v54, s0
	s_cselect_b32 s0, -1, 0
	s_cmp_eq_u32 s2, 13
	v_cndmask_b32_e64 v49, v49, v45, s0
	s_cselect_b32 s0, -1, 0
	s_cmp_eq_u32 s2, 14
	v_cndmask_b32_e64 v49, v49, v55, s0
	s_cselect_b32 s0, -1, 0
	s_cmp_eq_u32 s2, 15
	v_cndmask_b32_e64 v49, v49, v18, s0
	s_cselect_b32 s0, -1, 0
	s_cmp_eq_u32 s2, 16
	v_cndmask_b32_e64 v49, v49, v56, s0
	s_cselect_b32 s0, -1, 0
	s_cmp_eq_u32 s2, 17
	v_cndmask_b32_e64 v49, v49, v22, s0
	s_cselect_b32 s0, -1, 0
	s_cmp_eq_u32 s2, 18
	v_cndmask_b32_e64 v49, v49, v57, s0
	s_cselect_b32 s0, -1, 0
	s_cmp_eq_u32 s2, 19
	v_cndmask_b32_e64 v49, v49, v26, s0
	s_cselect_b32 s0, -1, 0
	s_cmp_eq_u32 s2, 20
	v_cndmask_b32_e64 v49, v49, v58, s0
	s_cselect_b32 s0, -1, 0
	s_cmp_eq_u32 s2, 21
	v_cndmask_b32_e64 v49, v49, v30, s0
	s_cselect_b32 s0, -1, 0
	s_cmp_eq_u32 s2, 22
	v_cndmask_b32_e64 v49, v49, v59, s0
	s_cselect_b32 s0, -1, 0
	s_cmp_eq_u32 s2, 23
	v_cndmask_b32_e64 v49, v49, v34, s0
	s_cselect_b32 s0, -1, 0
	s_cmp_eq_u32 s2, 24
	v_cndmask_b32_e64 v49, v49, v60, s0
	s_cselect_b32 s0, -1, 0
	s_cmp_eq_u32 s2, 25
	v_cndmask_b32_e64 v49, v49, v38, s0
	s_cselect_b32 s0, -1, 0
	s_cmp_eq_u32 s2, 26
	v_cndmask_b32_e64 v49, v49, v61, s0
	s_cselect_b32 s0, -1, 0
	s_cmp_eq_u32 s2, 27
	v_cndmask_b32_e64 v49, v49, v42, s0
	s_cselect_b32 s0, -1, 0
	s_cmp_eq_u32 s2, 28
	v_cndmask_b32_e64 v49, v49, v62, s0
	s_cselect_b32 s0, -1, 0
	s_cmp_eq_u32 s2, 29
	v_cndmask_b32_e64 v49, v49, v0, s0
	s_cselect_b32 s0, -1, 0
	s_cmp_eq_u32 s2, 30
	v_cndmask_b32_e64 v49, v49, v63, s0
	s_cselect_b32 s0, -1, 0
	s_cmp_eq_u32 s2, 31
	v_cndmask_b32_e64 v49, v49, v19, s0
	s_cselect_b32 s0, -1, 0
	s_cmp_eq_u32 s2, 32
	v_cndmask_b32_e64 v49, v49, v64, s0
	s_cselect_b32 s0, -1, 0
	s_cmp_eq_u32 s2, 33
	v_cndmask_b32_e64 v49, v49, v23, s0
	s_cselect_b32 s0, -1, 0
	s_cmp_eq_u32 s2, 34
	v_cndmask_b32_e64 v49, v49, v65, s0
	s_cselect_b32 s0, -1, 0
	s_cmp_eq_u32 s2, 35
	v_cndmask_b32_e64 v49, v49, v27, s0
	s_cselect_b32 s0, -1, 0
	s_cmp_eq_u32 s2, 36
	v_cndmask_b32_e64 v49, v49, v66, s0
	s_cselect_b32 s0, -1, 0
	s_cmp_eq_u32 s2, 37
	v_cndmask_b32_e64 v49, v49, v31, s0
	s_cselect_b32 s0, -1, 0
	s_cmp_eq_u32 s2, 38
	v_cndmask_b32_e64 v49, v49, v67, s0
	s_cselect_b32 s0, -1, 0
	s_cmp_eq_u32 s2, 39
	v_cndmask_b32_e64 v49, v49, v35, s0
	s_cselect_b32 s0, -1, 0
	s_cmp_eq_u32 s2, 40
	v_cndmask_b32_e64 v49, v49, v68, s0
	s_cselect_b32 s0, -1, 0
	s_cmp_eq_u32 s2, 41
	v_cndmask_b32_e64 v49, v49, v39, s0
	s_cselect_b32 s0, -1, 0
	s_cmp_eq_u32 s2, 42
	v_cndmask_b32_e64 v49, v49, v69, s0
	s_cselect_b32 s0, -1, 0
	s_cmp_eq_u32 s2, 43
	v_cndmask_b32_e64 v49, v49, v43, s0
	s_cselect_b32 s0, -1, 0
	s_cmp_eq_u32 s2, 44
	v_cndmask_b32_e64 v49, v49, v70, s0
	s_cselect_b32 s0, -1, 0
	s_cmp_eq_u32 s2, 45
	v_cndmask_b32_e64 v49, v49, v46, s0
	s_cselect_b32 s0, -1, 0
	s_cmp_eq_u32 s2, 46
	v_cndmask_b32_e64 v49, v49, v71, s0
	s_cselect_b32 s0, -1, 0
	s_cmp_eq_u32 s2, 47
	v_cndmask_b32_e64 v49, v49, v20, s0
	s_cselect_b32 s0, -1, 0
	s_cmp_eq_u32 s2, 48
	v_cndmask_b32_e64 v49, v49, v72, s0
	s_cselect_b32 s0, -1, 0
	s_cmp_eq_u32 s2, 49
	v_cndmask_b32_e64 v49, v49, v24, s0
	s_cselect_b32 s0, -1, 0
	s_cmp_eq_u32 s2, 50
	v_cndmask_b32_e64 v49, v49, v73, s0
	s_cselect_b32 s0, -1, 0
	s_cmp_eq_u32 s2, 51
	v_cndmask_b32_e64 v49, v49, v28, s0
	s_cselect_b32 s0, -1, 0
	s_cmp_eq_u32 s2, 52
	v_cndmask_b32_e64 v49, v49, v74, s0
	s_cselect_b32 s0, -1, 0
	s_cmp_eq_u32 s2, 53
	v_cndmask_b32_e64 v49, v49, v32, s0
	s_cselect_b32 s0, -1, 0
	s_cmp_eq_u32 s2, 54
	v_cndmask_b32_e64 v49, v49, v75, s0
	s_cselect_b32 s0, -1, 0
	s_cmp_eq_u32 s2, 55
	v_cndmask_b32_e64 v49, v49, v36, s0
	s_cselect_b32 s0, -1, 0
	s_cmp_eq_u32 s2, 56
	v_cndmask_b32_e64 v49, v49, v76, s0
	s_cselect_b32 s0, -1, 0
	s_cmp_eq_u32 s2, 57
	v_cndmask_b32_e64 v49, v49, v40, s0
	s_cselect_b32 s0, -1, 0
	s_cmp_eq_u32 s2, 58
	v_cndmask_b32_e64 v49, v49, v77, s0
	s_cselect_b32 s0, -1, 0
	s_cmp_eq_u32 s2, 59
	v_cndmask_b32_e64 v49, v49, v44, s0
	s_cselect_b32 s0, -1, 0
	s_cmp_eq_u32 s2, 60
	v_cndmask_b32_e64 v49, v49, v78, s0
	s_cselect_b32 s0, -1, 0
	s_cmp_eq_u32 s2, 61
	v_cndmask_b32_e64 v49, v49, v47, s0
	s_cselect_b32 s0, -1, 0
	s_cmp_eq_u32 s2, 62
	v_cndmask_b32_e64 v49, v49, v79, s0
	s_cselect_b32 s0, -1, 0
	s_cmp_eq_u32 s2, 63
	s_cselect_b32 vcc_lo, -1, 0
	v_cndmask_b32_e64 v49, v49, v48, s0
	s_add_u32 s2, s2, 16
	s_addc_u32 s3, s3, 0
	s_cmpk_lg_i32 s2, 0x4f
	v_cndmask_b32_e32 v49, v49, v80, vcc_lo
	v_add_f16_e32 v51, v50, v49
	v_add_co_u32 v49, vcc_lo, v83, v16
	v_add_co_ci_u32_e64 v50, null, v84, v17, vcc_lo
	v_add_f16_e32 v51, v51, v85
	global_store_short v[49:50], v51, off
	s_cbranch_scc0 .LBB301_28
.LBB301_12:                             ; =>This Inner Loop Header: Depth=1
	v_mad_i64_i32 v[49:50], null, v1, s10, 0
	v_cndmask_b32_e64 v51, 0, 1, s6
	v_mov_b32_e32 v85, 0
	v_mov_b32_e32 v86, 0
	v_cmp_ne_u32_e64 s0, 1, v51
	v_lshlrev_b64 v[49:50], 1, v[49:50]
	v_add_co_u32 v81, vcc_lo, s8, v49
	v_add_co_ci_u32_e64 v82, null, s9, v50, vcc_lo
	s_andn2_b32 vcc_lo, exec_lo, s6
	s_cbranch_vccnz .LBB301_14
; %bb.13:                               ;   in Loop: Header=BB301_12 Depth=1
	v_add_co_u32 v49, vcc_lo, v81, v2
	v_add_co_ci_u32_e64 v50, null, v82, v3, vcc_lo
	global_load_ushort v49, v[49:50], off
	s_waitcnt vmcnt(0)
	v_mul_f16_e32 v86, s11, v49
.LBB301_14:                             ;   in Loop: Header=BB301_12 Depth=1
	s_add_i32 s1, s2, -15
	v_lshrrev_b32_e32 v49, 16, v21
	s_cmp_eq_u32 s1, 1
	v_lshrrev_b32_e32 v50, 16, v25
	s_cselect_b32 vcc_lo, -1, 0
	s_cmp_eq_u32 s1, 2
	v_cndmask_b32_e32 v51, v21, v49, vcc_lo
	s_cselect_b32 vcc_lo, -1, 0
	s_cmp_eq_u32 s1, 3
	v_cndmask_b32_e32 v51, v51, v25, vcc_lo
	;; [unrolled: 3-line block ×3, first 2 shown]
	s_cselect_b32 vcc_lo, -1, 0
	v_lshrrev_b32_e32 v51, 16, v29
	s_cmp_eq_u32 s1, 5
	v_cndmask_b32_e32 v52, v52, v29, vcc_lo
	s_cselect_b32 vcc_lo, -1, 0
	s_cmp_eq_u32 s1, 6
	v_cndmask_b32_e32 v53, v52, v51, vcc_lo
	s_cselect_b32 vcc_lo, -1, 0
	v_lshrrev_b32_e32 v52, 16, v33
	s_cmp_eq_u32 s1, 7
	v_cndmask_b32_e32 v53, v53, v33, vcc_lo
	s_cselect_b32 vcc_lo, -1, 0
	s_cmp_eq_u32 s1, 8
	v_cndmask_b32_e32 v54, v53, v52, vcc_lo
	;; [unrolled: 7-line block ×29, first 2 shown]
	s_cselect_b32 vcc_lo, -1, 0
	s_cmp_eq_u32 s1, 63
	v_lshrrev_b32_e32 v80, 16, v48
	v_cndmask_b32_e32 v87, v83, v48, vcc_lo
	s_cselect_b32 vcc_lo, -1, 0
	s_add_i32 s12, s2, -14
	s_cmp_eq_u32 s12, 1
	v_cndmask_b32_e32 v87, v87, v80, vcc_lo
	s_cselect_b32 s1, -1, 0
	s_cmp_eq_u32 s12, 2
	v_cndmask_b32_e64 v83, v21, v49, s1
	s_cselect_b32 s1, -1, 0
	s_cmp_eq_u32 s12, 3
	v_cndmask_b32_e64 v83, v83, v25, s1
	;; [unrolled: 3-line block ×61, first 2 shown]
	v_mad_i64_i32 v[83:84], null, v1, s4, 0
	s_cselect_b32 s1, -1, 0
	s_cmp_eq_u32 s12, 63
	v_cndmask_b32_e64 v88, v88, v48, s1
	s_cselect_b32 vcc_lo, -1, 0
	v_lshlrev_b64 v[83:84], 1, v[83:84]
	v_cndmask_b32_e32 v88, v88, v80, vcc_lo
	v_add_co_u32 v83, vcc_lo, s5, v83
	v_add_f16_e32 v87, v87, v88
	v_add_co_ci_u32_e64 v84, null, s7, v84, vcc_lo
	v_add_f16_e32 v88, v87, v86
	v_add_co_u32 v86, vcc_lo, v83, v2
	v_add_co_ci_u32_e64 v87, null, v84, v3, vcc_lo
	s_and_b32 vcc_lo, exec_lo, s0
	global_store_short v[86:87], v88, off
	s_cbranch_vccnz .LBB301_16
; %bb.15:                               ;   in Loop: Header=BB301_12 Depth=1
	v_add_co_u32 v85, vcc_lo, v81, v4
	v_add_co_ci_u32_e64 v86, null, v82, v5, vcc_lo
	global_load_ushort v85, v[85:86], off
	s_waitcnt vmcnt(0)
	v_mul_f16_e32 v85, s11, v85
.LBB301_16:                             ;   in Loop: Header=BB301_12 Depth=1
	s_add_i32 s1, s2, -13
	s_cmp_eq_u32 s1, 1
	s_cselect_b32 vcc_lo, -1, 0
	s_cmp_eq_u32 s1, 2
	v_cndmask_b32_e32 v86, v21, v49, vcc_lo
	s_cselect_b32 vcc_lo, -1, 0
	s_cmp_eq_u32 s1, 3
	v_cndmask_b32_e32 v86, v86, v25, vcc_lo
	;; [unrolled: 3-line block ×62, first 2 shown]
	s_cselect_b32 vcc_lo, -1, 0
	s_add_i32 s12, s2, -12
	s_cmp_eq_u32 s12, 1
	v_cndmask_b32_e32 v86, v86, v80, vcc_lo
	s_cselect_b32 s1, -1, 0
	s_cmp_eq_u32 s12, 2
	v_cndmask_b32_e64 v87, v21, v49, s1
	s_cselect_b32 s1, -1, 0
	s_cmp_eq_u32 s12, 3
	v_cndmask_b32_e64 v87, v87, v25, s1
	;; [unrolled: 3-line block ×61, first 2 shown]
	s_cselect_b32 s1, -1, 0
	s_cmp_eq_u32 s12, 63
	s_cselect_b32 vcc_lo, -1, 0
	v_cndmask_b32_e64 v87, v87, v48, s1
	v_cndmask_b32_e32 v87, v87, v80, vcc_lo
	v_add_f16_e32 v86, v86, v87
	v_add_co_u32 v87, vcc_lo, v83, v4
	v_add_co_ci_u32_e64 v88, null, v84, v5, vcc_lo
	v_add_f16_e32 v89, v86, v85
	v_mov_b32_e32 v85, 0
	v_mov_b32_e32 v86, 0
	s_and_b32 vcc_lo, exec_lo, s0
	global_store_short v[87:88], v89, off
	s_cbranch_vccnz .LBB301_18
; %bb.17:                               ;   in Loop: Header=BB301_12 Depth=1
	v_add_co_u32 v86, vcc_lo, v81, v6
	v_add_co_ci_u32_e64 v87, null, v82, v7, vcc_lo
	global_load_ushort v86, v[86:87], off
	s_waitcnt vmcnt(0)
	v_mul_f16_e32 v86, s11, v86
.LBB301_18:                             ;   in Loop: Header=BB301_12 Depth=1
	s_add_i32 s1, s2, -11
	s_cmp_eq_u32 s1, 1
	s_cselect_b32 vcc_lo, -1, 0
	s_cmp_eq_u32 s1, 2
	v_cndmask_b32_e32 v87, v21, v49, vcc_lo
	s_cselect_b32 vcc_lo, -1, 0
	s_cmp_eq_u32 s1, 3
	v_cndmask_b32_e32 v87, v87, v25, vcc_lo
	;; [unrolled: 3-line block ×62, first 2 shown]
	s_cselect_b32 vcc_lo, -1, 0
	s_add_i32 s12, s2, -10
	s_cmp_eq_u32 s12, 1
	v_cndmask_b32_e32 v87, v87, v80, vcc_lo
	s_cselect_b32 s1, -1, 0
	s_cmp_eq_u32 s12, 2
	v_cndmask_b32_e64 v88, v21, v49, s1
	s_cselect_b32 s1, -1, 0
	s_cmp_eq_u32 s12, 3
	v_cndmask_b32_e64 v88, v88, v25, s1
	;; [unrolled: 3-line block ×61, first 2 shown]
	s_cselect_b32 s1, -1, 0
	s_cmp_eq_u32 s12, 63
	s_cselect_b32 vcc_lo, -1, 0
	v_cndmask_b32_e64 v88, v88, v48, s1
	v_cndmask_b32_e32 v88, v88, v80, vcc_lo
	v_add_f16_e32 v87, v87, v88
	v_add_f16_e32 v88, v87, v86
	v_add_co_u32 v86, vcc_lo, v83, v6
	v_add_co_ci_u32_e64 v87, null, v84, v7, vcc_lo
	s_and_b32 vcc_lo, exec_lo, s0
	global_store_short v[86:87], v88, off
	s_cbranch_vccnz .LBB301_20
; %bb.19:                               ;   in Loop: Header=BB301_12 Depth=1
	v_add_co_u32 v85, vcc_lo, v81, v8
	v_add_co_ci_u32_e64 v86, null, v82, v9, vcc_lo
	global_load_ushort v85, v[85:86], off
	s_waitcnt vmcnt(0)
	v_mul_f16_e32 v85, s11, v85
.LBB301_20:                             ;   in Loop: Header=BB301_12 Depth=1
	s_add_i32 s1, s2, -9
	s_cmp_eq_u32 s1, 1
	s_cselect_b32 vcc_lo, -1, 0
	s_cmp_eq_u32 s1, 2
	v_cndmask_b32_e32 v86, v21, v49, vcc_lo
	s_cselect_b32 vcc_lo, -1, 0
	s_cmp_eq_u32 s1, 3
	v_cndmask_b32_e32 v86, v86, v25, vcc_lo
	;; [unrolled: 3-line block ×62, first 2 shown]
	s_cselect_b32 vcc_lo, -1, 0
	s_add_i32 s12, s2, -8
	s_cmp_eq_u32 s12, 1
	v_cndmask_b32_e32 v86, v86, v80, vcc_lo
	s_cselect_b32 s1, -1, 0
	s_cmp_eq_u32 s12, 2
	v_cndmask_b32_e64 v87, v21, v49, s1
	s_cselect_b32 s1, -1, 0
	s_cmp_eq_u32 s12, 3
	v_cndmask_b32_e64 v87, v87, v25, s1
	;; [unrolled: 3-line block ×61, first 2 shown]
	s_cselect_b32 s1, -1, 0
	s_cmp_eq_u32 s12, 63
	s_cselect_b32 vcc_lo, -1, 0
	v_cndmask_b32_e64 v87, v87, v48, s1
	v_cndmask_b32_e32 v87, v87, v80, vcc_lo
	v_add_f16_e32 v86, v86, v87
	v_add_co_u32 v87, vcc_lo, v83, v8
	v_add_co_ci_u32_e64 v88, null, v84, v9, vcc_lo
	v_add_f16_e32 v89, v86, v85
	v_mov_b32_e32 v85, 0
	v_mov_b32_e32 v86, 0
	s_and_b32 vcc_lo, exec_lo, s0
	global_store_short v[87:88], v89, off
	s_cbranch_vccnz .LBB301_22
; %bb.21:                               ;   in Loop: Header=BB301_12 Depth=1
	v_add_co_u32 v86, vcc_lo, v81, v10
	v_add_co_ci_u32_e64 v87, null, v82, v11, vcc_lo
	global_load_ushort v86, v[86:87], off
	s_waitcnt vmcnt(0)
	v_mul_f16_e32 v86, s11, v86
.LBB301_22:                             ;   in Loop: Header=BB301_12 Depth=1
	s_add_i32 s1, s2, -7
	s_cmp_eq_u32 s1, 1
	s_cselect_b32 vcc_lo, -1, 0
	s_cmp_eq_u32 s1, 2
	v_cndmask_b32_e32 v87, v21, v49, vcc_lo
	s_cselect_b32 vcc_lo, -1, 0
	s_cmp_eq_u32 s1, 3
	v_cndmask_b32_e32 v87, v87, v25, vcc_lo
	;; [unrolled: 3-line block ×62, first 2 shown]
	s_cselect_b32 vcc_lo, -1, 0
	s_add_i32 s12, s2, -6
	s_cmp_eq_u32 s12, 1
	v_cndmask_b32_e32 v87, v87, v80, vcc_lo
	s_cselect_b32 s1, -1, 0
	s_cmp_eq_u32 s12, 2
	v_cndmask_b32_e64 v88, v21, v49, s1
	s_cselect_b32 s1, -1, 0
	s_cmp_eq_u32 s12, 3
	v_cndmask_b32_e64 v88, v88, v25, s1
	;; [unrolled: 3-line block ×61, first 2 shown]
	s_cselect_b32 s1, -1, 0
	s_cmp_eq_u32 s12, 63
	s_cselect_b32 vcc_lo, -1, 0
	v_cndmask_b32_e64 v88, v88, v48, s1
	v_cndmask_b32_e32 v88, v88, v80, vcc_lo
	v_add_f16_e32 v87, v87, v88
	v_add_f16_e32 v88, v87, v86
	v_add_co_u32 v86, vcc_lo, v83, v10
	v_add_co_ci_u32_e64 v87, null, v84, v11, vcc_lo
	s_and_b32 vcc_lo, exec_lo, s0
	global_store_short v[86:87], v88, off
	s_cbranch_vccnz .LBB301_24
; %bb.23:                               ;   in Loop: Header=BB301_12 Depth=1
	v_add_co_u32 v85, vcc_lo, v81, v12
	v_add_co_ci_u32_e64 v86, null, v82, v13, vcc_lo
	global_load_ushort v85, v[85:86], off
	s_waitcnt vmcnt(0)
	v_mul_f16_e32 v85, s11, v85
.LBB301_24:                             ;   in Loop: Header=BB301_12 Depth=1
	s_add_i32 s1, s2, -5
	s_cmp_eq_u32 s1, 1
	s_cselect_b32 vcc_lo, -1, 0
	s_cmp_eq_u32 s1, 2
	v_cndmask_b32_e32 v86, v21, v49, vcc_lo
	s_cselect_b32 vcc_lo, -1, 0
	s_cmp_eq_u32 s1, 3
	v_cndmask_b32_e32 v86, v86, v25, vcc_lo
	;; [unrolled: 3-line block ×62, first 2 shown]
	s_cselect_b32 vcc_lo, -1, 0
	s_add_i32 s12, s2, -4
	s_cmp_eq_u32 s12, 1
	v_cndmask_b32_e32 v86, v86, v80, vcc_lo
	s_cselect_b32 s1, -1, 0
	s_cmp_eq_u32 s12, 2
	v_cndmask_b32_e64 v87, v21, v49, s1
	s_cselect_b32 s1, -1, 0
	s_cmp_eq_u32 s12, 3
	v_cndmask_b32_e64 v87, v87, v25, s1
	;; [unrolled: 3-line block ×61, first 2 shown]
	s_cselect_b32 s1, -1, 0
	s_cmp_eq_u32 s12, 63
	s_cselect_b32 vcc_lo, -1, 0
	v_cndmask_b32_e64 v87, v87, v48, s1
	v_cndmask_b32_e32 v87, v87, v80, vcc_lo
	v_add_f16_e32 v86, v86, v87
	v_add_co_u32 v87, vcc_lo, v83, v12
	v_add_co_ci_u32_e64 v88, null, v84, v13, vcc_lo
	v_add_f16_e32 v89, v86, v85
	v_mov_b32_e32 v85, 0
	v_mov_b32_e32 v86, 0
	s_and_b32 vcc_lo, exec_lo, s0
	global_store_short v[87:88], v89, off
	s_cbranch_vccnz .LBB301_26
; %bb.25:                               ;   in Loop: Header=BB301_12 Depth=1
	v_add_co_u32 v86, vcc_lo, v81, v14
	v_add_co_ci_u32_e64 v87, null, v82, v15, vcc_lo
	global_load_ushort v86, v[86:87], off
	s_waitcnt vmcnt(0)
	v_mul_f16_e32 v86, s11, v86
.LBB301_26:                             ;   in Loop: Header=BB301_12 Depth=1
	s_add_i32 s1, s2, -3
	s_cmp_eq_u32 s1, 1
	s_cselect_b32 vcc_lo, -1, 0
	s_cmp_eq_u32 s1, 2
	v_cndmask_b32_e32 v87, v21, v49, vcc_lo
	s_cselect_b32 vcc_lo, -1, 0
	s_cmp_eq_u32 s1, 3
	v_cndmask_b32_e32 v87, v87, v25, vcc_lo
	;; [unrolled: 3-line block ×62, first 2 shown]
	s_cselect_b32 vcc_lo, -1, 0
	s_add_i32 s12, s2, -2
	s_cmp_eq_u32 s12, 1
	v_cndmask_b32_e32 v87, v87, v80, vcc_lo
	s_cselect_b32 s1, -1, 0
	s_cmp_eq_u32 s12, 2
	v_cndmask_b32_e64 v88, v21, v49, s1
	s_cselect_b32 s1, -1, 0
	s_cmp_eq_u32 s12, 3
	v_cndmask_b32_e64 v88, v88, v25, s1
	;; [unrolled: 3-line block ×61, first 2 shown]
	s_cselect_b32 s1, -1, 0
	s_cmp_eq_u32 s12, 63
	s_cselect_b32 vcc_lo, -1, 0
	v_cndmask_b32_e64 v88, v88, v48, s1
	v_cndmask_b32_e32 v88, v88, v80, vcc_lo
	v_add_f16_e32 v87, v87, v88
	v_add_f16_e32 v88, v87, v86
	v_add_co_u32 v86, vcc_lo, v83, v14
	v_add_co_ci_u32_e64 v87, null, v84, v15, vcc_lo
	s_and_b32 vcc_lo, exec_lo, s0
	global_store_short v[86:87], v88, off
	s_cbranch_vccnz .LBB301_11
; %bb.27:                               ;   in Loop: Header=BB301_12 Depth=1
	v_add_co_u32 v81, vcc_lo, v81, v16
	v_add_co_ci_u32_e64 v82, null, v82, v17, vcc_lo
	global_load_ushort v81, v[81:82], off
	s_waitcnt vmcnt(0)
	v_mul_f16_e32 v85, s11, v81
	s_branch .LBB301_11
.LBB301_28:
	s_endpgm
.LBB301_29:
	s_mov_b64 s[12:13], 0
	s_andn2_b32 vcc_lo, exec_lo, s8
	s_mov_b32 s0, -1
	s_cbranch_vccz .LBB301_2
	s_branch .LBB301_3
	.section	.rodata,"a",@progbits
	.p2align	6, 0x0
	.amdhsa_kernel _ZN12_GLOBAL__N_120geam_min_plus_kernelIDF16_Dv2_DF16_S1_Li8ELi32ELi64ELi128ELi4ELi4ELi64ELi64ELi4ELc84ELc84ELb1ELb0ELb0EDF16_KDF16_DF16_EEviiiT16_PT17_ilS5_ilS3_S5_ilPT18_ili26rocblas_geam_ex_operation_
		.amdhsa_group_segment_fixed_size 3072
		.amdhsa_private_segment_fixed_size 0
		.amdhsa_kernarg_size 128
		.amdhsa_user_sgpr_count 6
		.amdhsa_user_sgpr_private_segment_buffer 1
		.amdhsa_user_sgpr_dispatch_ptr 0
		.amdhsa_user_sgpr_queue_ptr 0
		.amdhsa_user_sgpr_kernarg_segment_ptr 1
		.amdhsa_user_sgpr_dispatch_id 0
		.amdhsa_user_sgpr_flat_scratch_init 0
		.amdhsa_user_sgpr_private_segment_size 0
		.amdhsa_wavefront_size32 1
		.amdhsa_uses_dynamic_stack 0
		.amdhsa_system_sgpr_private_segment_wavefront_offset 0
		.amdhsa_system_sgpr_workgroup_id_x 1
		.amdhsa_system_sgpr_workgroup_id_y 0
		.amdhsa_system_sgpr_workgroup_id_z 1
		.amdhsa_system_sgpr_workgroup_info 0
		.amdhsa_system_vgpr_workitem_id 1
		.amdhsa_next_free_vgpr 120
		.amdhsa_next_free_sgpr 21
		.amdhsa_reserve_vcc 1
		.amdhsa_reserve_flat_scratch 0
		.amdhsa_float_round_mode_32 0
		.amdhsa_float_round_mode_16_64 0
		.amdhsa_float_denorm_mode_32 3
		.amdhsa_float_denorm_mode_16_64 3
		.amdhsa_dx10_clamp 1
		.amdhsa_ieee_mode 1
		.amdhsa_fp16_overflow 0
		.amdhsa_workgroup_processor_mode 1
		.amdhsa_memory_ordered 1
		.amdhsa_forward_progress 1
		.amdhsa_shared_vgpr_count 0
		.amdhsa_exception_fp_ieee_invalid_op 0
		.amdhsa_exception_fp_denorm_src 0
		.amdhsa_exception_fp_ieee_div_zero 0
		.amdhsa_exception_fp_ieee_overflow 0
		.amdhsa_exception_fp_ieee_underflow 0
		.amdhsa_exception_fp_ieee_inexact 0
		.amdhsa_exception_int_div_zero 0
	.end_amdhsa_kernel
	.section	.text._ZN12_GLOBAL__N_120geam_min_plus_kernelIDF16_Dv2_DF16_S1_Li8ELi32ELi64ELi128ELi4ELi4ELi64ELi64ELi4ELc84ELc84ELb1ELb0ELb0EDF16_KDF16_DF16_EEviiiT16_PT17_ilS5_ilS3_S5_ilPT18_ili26rocblas_geam_ex_operation_,"axG",@progbits,_ZN12_GLOBAL__N_120geam_min_plus_kernelIDF16_Dv2_DF16_S1_Li8ELi32ELi64ELi128ELi4ELi4ELi64ELi64ELi4ELc84ELc84ELb1ELb0ELb0EDF16_KDF16_DF16_EEviiiT16_PT17_ilS5_ilS3_S5_ilPT18_ili26rocblas_geam_ex_operation_,comdat
.Lfunc_end301:
	.size	_ZN12_GLOBAL__N_120geam_min_plus_kernelIDF16_Dv2_DF16_S1_Li8ELi32ELi64ELi128ELi4ELi4ELi64ELi64ELi4ELc84ELc84ELb1ELb0ELb0EDF16_KDF16_DF16_EEviiiT16_PT17_ilS5_ilS3_S5_ilPT18_ili26rocblas_geam_ex_operation_, .Lfunc_end301-_ZN12_GLOBAL__N_120geam_min_plus_kernelIDF16_Dv2_DF16_S1_Li8ELi32ELi64ELi128ELi4ELi4ELi64ELi64ELi4ELc84ELc84ELb1ELb0ELb0EDF16_KDF16_DF16_EEviiiT16_PT17_ilS5_ilS3_S5_ilPT18_ili26rocblas_geam_ex_operation_
                                        ; -- End function
	.set _ZN12_GLOBAL__N_120geam_min_plus_kernelIDF16_Dv2_DF16_S1_Li8ELi32ELi64ELi128ELi4ELi4ELi64ELi64ELi4ELc84ELc84ELb1ELb0ELb0EDF16_KDF16_DF16_EEviiiT16_PT17_ilS5_ilS3_S5_ilPT18_ili26rocblas_geam_ex_operation_.num_vgpr, 120
	.set _ZN12_GLOBAL__N_120geam_min_plus_kernelIDF16_Dv2_DF16_S1_Li8ELi32ELi64ELi128ELi4ELi4ELi64ELi64ELi4ELc84ELc84ELb1ELb0ELb0EDF16_KDF16_DF16_EEviiiT16_PT17_ilS5_ilS3_S5_ilPT18_ili26rocblas_geam_ex_operation_.num_agpr, 0
	.set _ZN12_GLOBAL__N_120geam_min_plus_kernelIDF16_Dv2_DF16_S1_Li8ELi32ELi64ELi128ELi4ELi4ELi64ELi64ELi4ELc84ELc84ELb1ELb0ELb0EDF16_KDF16_DF16_EEviiiT16_PT17_ilS5_ilS3_S5_ilPT18_ili26rocblas_geam_ex_operation_.numbered_sgpr, 21
	.set _ZN12_GLOBAL__N_120geam_min_plus_kernelIDF16_Dv2_DF16_S1_Li8ELi32ELi64ELi128ELi4ELi4ELi64ELi64ELi4ELc84ELc84ELb1ELb0ELb0EDF16_KDF16_DF16_EEviiiT16_PT17_ilS5_ilS3_S5_ilPT18_ili26rocblas_geam_ex_operation_.num_named_barrier, 0
	.set _ZN12_GLOBAL__N_120geam_min_plus_kernelIDF16_Dv2_DF16_S1_Li8ELi32ELi64ELi128ELi4ELi4ELi64ELi64ELi4ELc84ELc84ELb1ELb0ELb0EDF16_KDF16_DF16_EEviiiT16_PT17_ilS5_ilS3_S5_ilPT18_ili26rocblas_geam_ex_operation_.private_seg_size, 0
	.set _ZN12_GLOBAL__N_120geam_min_plus_kernelIDF16_Dv2_DF16_S1_Li8ELi32ELi64ELi128ELi4ELi4ELi64ELi64ELi4ELc84ELc84ELb1ELb0ELb0EDF16_KDF16_DF16_EEviiiT16_PT17_ilS5_ilS3_S5_ilPT18_ili26rocblas_geam_ex_operation_.uses_vcc, 1
	.set _ZN12_GLOBAL__N_120geam_min_plus_kernelIDF16_Dv2_DF16_S1_Li8ELi32ELi64ELi128ELi4ELi4ELi64ELi64ELi4ELc84ELc84ELb1ELb0ELb0EDF16_KDF16_DF16_EEviiiT16_PT17_ilS5_ilS3_S5_ilPT18_ili26rocblas_geam_ex_operation_.uses_flat_scratch, 0
	.set _ZN12_GLOBAL__N_120geam_min_plus_kernelIDF16_Dv2_DF16_S1_Li8ELi32ELi64ELi128ELi4ELi4ELi64ELi64ELi4ELc84ELc84ELb1ELb0ELb0EDF16_KDF16_DF16_EEviiiT16_PT17_ilS5_ilS3_S5_ilPT18_ili26rocblas_geam_ex_operation_.has_dyn_sized_stack, 0
	.set _ZN12_GLOBAL__N_120geam_min_plus_kernelIDF16_Dv2_DF16_S1_Li8ELi32ELi64ELi128ELi4ELi4ELi64ELi64ELi4ELc84ELc84ELb1ELb0ELb0EDF16_KDF16_DF16_EEviiiT16_PT17_ilS5_ilS3_S5_ilPT18_ili26rocblas_geam_ex_operation_.has_recursion, 0
	.set _ZN12_GLOBAL__N_120geam_min_plus_kernelIDF16_Dv2_DF16_S1_Li8ELi32ELi64ELi128ELi4ELi4ELi64ELi64ELi4ELc84ELc84ELb1ELb0ELb0EDF16_KDF16_DF16_EEviiiT16_PT17_ilS5_ilS3_S5_ilPT18_ili26rocblas_geam_ex_operation_.has_indirect_call, 0
	.section	.AMDGPU.csdata,"",@progbits
; Kernel info:
; codeLenInByte = 21508
; TotalNumSgprs: 23
; NumVgprs: 120
; ScratchSize: 0
; MemoryBound: 0
; FloatMode: 240
; IeeeMode: 1
; LDSByteSize: 3072 bytes/workgroup (compile time only)
; SGPRBlocks: 0
; VGPRBlocks: 14
; NumSGPRsForWavesPerEU: 23
; NumVGPRsForWavesPerEU: 120
; Occupancy: 8
; WaveLimiterHint : 1
; COMPUTE_PGM_RSRC2:SCRATCH_EN: 0
; COMPUTE_PGM_RSRC2:USER_SGPR: 6
; COMPUTE_PGM_RSRC2:TRAP_HANDLER: 0
; COMPUTE_PGM_RSRC2:TGID_X_EN: 1
; COMPUTE_PGM_RSRC2:TGID_Y_EN: 0
; COMPUTE_PGM_RSRC2:TGID_Z_EN: 1
; COMPUTE_PGM_RSRC2:TIDIG_COMP_CNT: 1
	.section	.text._ZN12_GLOBAL__N_120geam_min_plus_kernelIDF16_Dv2_DF16_S1_Li8ELi32ELi64ELi128ELi4ELi4ELi64ELi64ELi4ELc84ELc84ELb0ELb0ELb0EDF16_KDF16_DF16_EEviiiT16_PT17_ilS5_ilS3_S5_ilPT18_ili26rocblas_geam_ex_operation_,"axG",@progbits,_ZN12_GLOBAL__N_120geam_min_plus_kernelIDF16_Dv2_DF16_S1_Li8ELi32ELi64ELi128ELi4ELi4ELi64ELi64ELi4ELc84ELc84ELb0ELb0ELb0EDF16_KDF16_DF16_EEviiiT16_PT17_ilS5_ilS3_S5_ilPT18_ili26rocblas_geam_ex_operation_,comdat
	.globl	_ZN12_GLOBAL__N_120geam_min_plus_kernelIDF16_Dv2_DF16_S1_Li8ELi32ELi64ELi128ELi4ELi4ELi64ELi64ELi4ELc84ELc84ELb0ELb0ELb0EDF16_KDF16_DF16_EEviiiT16_PT17_ilS5_ilS3_S5_ilPT18_ili26rocblas_geam_ex_operation_ ; -- Begin function _ZN12_GLOBAL__N_120geam_min_plus_kernelIDF16_Dv2_DF16_S1_Li8ELi32ELi64ELi128ELi4ELi4ELi64ELi64ELi4ELc84ELc84ELb0ELb0ELb0EDF16_KDF16_DF16_EEviiiT16_PT17_ilS5_ilS3_S5_ilPT18_ili26rocblas_geam_ex_operation_
	.p2align	8
	.type	_ZN12_GLOBAL__N_120geam_min_plus_kernelIDF16_Dv2_DF16_S1_Li8ELi32ELi64ELi128ELi4ELi4ELi64ELi64ELi4ELc84ELc84ELb0ELb0ELb0EDF16_KDF16_DF16_EEviiiT16_PT17_ilS5_ilS3_S5_ilPT18_ili26rocblas_geam_ex_operation_,@function
_ZN12_GLOBAL__N_120geam_min_plus_kernelIDF16_Dv2_DF16_S1_Li8ELi32ELi64ELi128ELi4ELi4ELi64ELi64ELi4ELc84ELc84ELb0ELb0ELb0EDF16_KDF16_DF16_EEviiiT16_PT17_ilS5_ilS3_S5_ilPT18_ili26rocblas_geam_ex_operation_: ; @_ZN12_GLOBAL__N_120geam_min_plus_kernelIDF16_Dv2_DF16_S1_Li8ELi32ELi64ELi128ELi4ELi4ELi64ELi64ELi4ELc84ELc84ELb0ELb0ELb0EDF16_KDF16_DF16_EEviiiT16_PT17_ilS5_ilS3_S5_ilPT18_ili26rocblas_geam_ex_operation_
; %bb.0:
	s_clause 0x1
	s_load_dwordx2 s[12:13], s[4:5], 0x8
	s_load_dwordx4 s[8:11], s[4:5], 0x20
	s_waitcnt lgkmcnt(0)
	v_cmp_eq_f16_e64 s1, s13, 0
	s_and_b32 s0, exec_lo, s1
	s_mov_b32 vcc_lo, s0
	s_cbranch_vccnz .LBB302_10
; %bb.1:
	s_load_dwordx2 s[2:3], s[4:5], 0x10
	s_mul_i32 s9, s9, s7
	s_mul_hi_u32 s14, s8, s7
	s_mul_i32 s8, s8, s7
	s_add_i32 s9, s14, s9
	s_lshl_b64 s[8:9], s[8:9], 1
	s_waitcnt lgkmcnt(0)
	s_add_u32 s14, s2, s8
	s_addc_u32 s15, s3, s9
	s_andn2_b32 vcc_lo, exec_lo, s1
	s_mov_b32 s1, -1
	s_cbranch_vccnz .LBB302_3
.LBB302_2:
	s_mov_b32 s1, 0
.LBB302_3:
	s_mov_b64 s[2:3], 0
	s_andn2_b32 vcc_lo, exec_lo, s1
	s_mov_b64 s[16:17], 0
	s_cbranch_vccnz .LBB302_5
; %bb.4:
	s_load_dwordx2 s[8:9], s[4:5], 0x38
	s_waitcnt lgkmcnt(0)
	s_mul_i32 s1, s9, s7
	s_mul_hi_u32 s9, s8, s7
	s_mul_i32 s8, s8, s7
	s_add_i32 s9, s9, s1
	s_lshl_b64 s[8:9], s[8:9], 1
	s_add_u32 s16, s10, s8
	s_addc_u32 s17, s11, s9
.LBB302_5:
	s_clause 0x1
	s_load_dword s18, s[4:5], 0x40
	s_load_dwordx4 s[8:11], s[4:5], 0x58
	v_cmp_neq_f16_e64 s23, s13, 0
	s_waitcnt lgkmcnt(0)
	v_cmp_eq_f16_e64 s1, s18, 0
	s_and_b32 vcc_lo, exec_lo, s1
	s_cbranch_vccnz .LBB302_7
; %bb.6:
	s_load_dwordx2 s[2:3], s[4:5], 0x48
	s_mul_i32 s1, s9, s7
	s_mul_hi_u32 s9, s8, s7
	s_mul_i32 s8, s8, s7
	s_add_i32 s9, s9, s1
	s_lshl_b64 s[8:9], s[8:9], 1
	s_waitcnt lgkmcnt(0)
	s_add_u32 s2, s2, s8
	s_addc_u32 s3, s3, s9
.LBB302_7:
	s_clause 0x2
	s_load_dword s1, s[4:5], 0x0
	s_load_dword s21, s[4:5], 0x18
	;; [unrolled: 1-line block ×3, first 2 shown]
	v_and_b32_e32 v3, 3, v0
	v_cndmask_b32_e64 v5, 0, 1, s23
	v_mov_b32_e32 v8, 0
	s_waitcnt lgkmcnt(0)
	s_add_i32 s1, s1, -1
	s_ashr_i32 s9, s1, 31
	s_lshr_b32 s9, s9, 26
	s_add_i32 s1, s1, s9
	s_ashr_i32 s1, s1, 6
	s_add_i32 s19, s1, 1
	s_not_b32 s1, s1
	v_cvt_f32_u32_e32 v2, s19
	v_rcp_iflag_f32_e32 v2, v2
	v_mul_f32_e32 v2, 0x4f7ffffe, v2
	v_cvt_u32_f32_e32 v2, v2
	v_readfirstlane_b32 s9, v2
	v_lshl_add_u32 v2, v1, 3, v0
	s_mul_i32 s1, s1, s9
	v_and_b32_e32 v6, 63, v2
	s_mul_hi_u32 s1, s9, s1
	v_lshrrev_b32_e32 v7, 2, v2
	s_add_i32 s9, s9, s1
	v_lshrrev_b32_e32 v4, 6, v2
	s_mul_hi_u32 s1, s6, s9
	s_ashr_i32 s9, s8, 31
	s_mul_i32 s20, s1, s19
	s_add_i32 s22, s1, 1
	s_sub_i32 s20, s6, s20
	s_sub_i32 s24, s20, s19
	s_cmp_ge_u32 s20, s19
	s_cselect_b32 s1, s22, s1
	s_cselect_b32 s20, s24, s20
	s_add_i32 s22, s1, 1
	s_cmp_ge_u32 s20, s19
	s_cselect_b32 s1, s22, s1
	s_andn2_b32 vcc_lo, exec_lo, s23
	s_mul_i32 s22, s1, s19
	s_lshl_b32 s19, s1, 7
	s_sub_i32 s1, s6, s22
	v_or_b32_e32 v2, s19, v6
	s_lshl_b32 s20, s1, 6
	v_cmp_ne_u32_e64 s1, 1, v5
	v_add_nc_u32_e32 v11, s20, v7
	v_lshlrev_b32_e32 v5, 1, v3
	v_ashrrev_i32_e32 v3, 31, v2
	s_cbranch_vccnz .LBB302_11
; %bb.8:
	v_mad_i64_i32 v[9:10], null, s8, v4, 0
	v_mad_i64_i32 v[12:13], null, v11, s21, 0
	v_lshlrev_b64 v[14:15], 1, v[2:3]
	v_lshlrev_b64 v[9:10], 1, v[9:10]
	;; [unrolled: 1-line block ×3, first 2 shown]
	v_add_co_u32 v9, vcc_lo, s16, v9
	v_add_co_ci_u32_e64 v10, null, s17, v10, vcc_lo
	v_add_co_u32 v12, vcc_lo, s14, v12
	v_add_co_ci_u32_e64 v13, null, s15, v13, vcc_lo
	;; [unrolled: 2-line block ×4, first 2 shown]
	global_load_ushort v14, v[9:10], off
	global_load_ushort v12, v[12:13], off
	global_load_ushort v10, v[9:10], off offset:128
	s_waitcnt vmcnt(2)
	v_mul_f16_e32 v9, s13, v14
	s_waitcnt vmcnt(1)
	v_mul_f16_e32 v12, s13, v12
	s_waitcnt vmcnt(0)
	v_mul_f16_e32 v10, s13, v10
	v_pack_b32_f16 v9, v9, 0
	s_and_b32 vcc_lo, exec_lo, s1
	s_cbranch_vccnz .LBB302_12
.LBB302_9:
	v_add_nc_u32_e32 v8, 4, v4
	v_mad_i64_i32 v[15:16], null, v11, s21, 0
	v_lshlrev_b64 v[2:3], 1, v[2:3]
	v_mad_i64_i32 v[13:14], null, s8, v8, 0
	v_lshlrev_b64 v[15:16], 1, v[15:16]
	v_lshlrev_b64 v[13:14], 1, v[13:14]
	v_add_co_u32 v8, vcc_lo, s16, v13
	v_add_co_ci_u32_e64 v11, null, s17, v14, vcc_lo
	v_add_co_u32 v13, vcc_lo, s14, v15
	v_add_co_ci_u32_e64 v14, null, s15, v16, vcc_lo
	v_add_co_u32 v2, vcc_lo, v8, v2
	v_add_co_ci_u32_e64 v3, null, v11, v3, vcc_lo
	v_add_co_u32 v13, vcc_lo, v13, v5
	v_add_co_ci_u32_e64 v14, null, 0, v14, vcc_lo
	global_load_ushort v8, v[2:3], off
	global_load_ushort v11, v[13:14], off offset:8
	global_load_ushort v2, v[2:3], off offset:128
	s_waitcnt vmcnt(2)
	v_mul_f16_e32 v3, s13, v8
	s_waitcnt vmcnt(1)
	v_mul_f16_e32 v8, s13, v11
	;; [unrolled: 2-line block ×3, first 2 shown]
	v_pack_b32_f16 v3, v3, 0
	s_branch .LBB302_13
.LBB302_10:
	s_mov_b64 s[14:15], 0
	s_andn2_b32 vcc_lo, exec_lo, s1
	s_mov_b32 s1, -1
	s_cbranch_vccz .LBB302_2
	s_branch .LBB302_3
.LBB302_11:
	v_mov_b32_e32 v9, 0
	v_mov_b32_e32 v12, 0
	;; [unrolled: 1-line block ×3, first 2 shown]
	s_and_b32 vcc_lo, exec_lo, s1
	s_cbranch_vccz .LBB302_9
.LBB302_12:
	v_mov_b32_e32 v3, 0
	v_mov_b32_e32 v11, 0
.LBB302_13:
	v_lshlrev_b32_e32 v13, 3, v6
	v_lshlrev_b32_e32 v33, 3, v0
	v_lshl_or_b32 v2, v7, 3, v5
	v_lshlrev_b32_e32 v32, 3, v1
	s_cmp_lt_i32 s12, 9
	v_lshl_add_u32 v34, v4, 1, v13
	v_add_nc_u32_e32 v35, 0x800, v33
	ds_write_b16 v2, v12 offset:2048
	ds_write_b16 v34, v9
	ds_write_b16 v34, v10 offset:512
	s_waitcnt lgkmcnt(0)
	s_barrier
	buffer_gl0_inv
	ds_read2_b64 v[12:15], v32 offset1:32
	ds_read2_b64 v[16:19], v35 offset0:48 offset1:56
	ds_read2_b64 v[20:23], v32 offset0:64 offset1:96
	ds_read2_b64 v[24:27], v35 offset1:8
	ds_read2_b64 v[28:31], v35 offset0:16 offset1:24
	ds_read2_b64 v[35:38], v35 offset0:32 offset1:40
	ds_write_b16 v2, v8 offset:2560
	ds_write_b16 v34, v3 offset:1024
	;; [unrolled: 1-line block ×3, first 2 shown]
	s_waitcnt lgkmcnt(0)
	s_barrier
	buffer_gl0_inv
	v_pk_max_f16 v12, v12, v12
	v_pk_max_f16 v18, v18, v18
	;; [unrolled: 1-line block ×6, first 2 shown]
	v_pk_min_f16 v39, v18, v12
	v_pk_max_f16 v13, v13, v13
	v_pk_max_f16 v35, v35, v35
	;; [unrolled: 1-line block ×7, first 2 shown]
	v_pk_min_f16 v40, v24, v12
	v_pk_min_f16 v41, v24, v14
	v_pk_max_f16 v15, v15, v15
	v_pk_max_f16 v21, v21, v21
	v_pk_min_f16 v55, v35, v12
	v_pk_max_f16 v25, v25, v25
	v_pk_min_f16 v56, v35, v14
	v_pk_min_f16 v57, v35, v20
	;; [unrolled: 1-line block ×3, first 2 shown]
	v_pk_max_f16 v16, v16, v16
	v_pk_max_f16 v59, v36, v36
	;; [unrolled: 1-line block ×3, first 2 shown]
	v_pk_min_f16 v61, v37, v12
	v_pk_min_f16 v62, v37, v14
	;; [unrolled: 1-line block ×5, first 2 shown]
	v_pk_add_f16 v35, v39, 0
	v_pk_min_f16 v37, v19, v13
	v_pk_min_f16 v38, v18, v20
	;; [unrolled: 1-line block ×14, first 2 shown]
	v_pk_max_f16 v23, v23, v23
	v_pk_min_f16 v54, v30, v20
	v_pk_min_f16 v30, v30, v22
	v_pk_max_f16 v27, v27, v27
	v_pk_min_f16 v12, v16, v12
	v_pk_min_f16 v14, v16, v14
	;; [unrolled: 1-line block ×5, first 2 shown]
	v_pk_add_f16 v35, v35, v37
	v_pk_add_f16 v22, v36, 0
	v_pk_min_f16 v36, v19, v15
	v_pk_add_f16 v37, v38, 0
	v_pk_min_f16 v38, v19, v21
	;; [unrolled: 2-line block ×4, first 2 shown]
	v_pk_max_f16 v29, v29, v29
	v_pk_add_f16 v44, v42, 0
	v_pk_min_f16 v48, v25, v21
	v_pk_add_f16 v36, v22, v36
	v_pk_add_f16 v37, v37, v38
	;; [unrolled: 1-line block ×5, first 2 shown]
	v_pk_min_f16 v24, v25, v23
	v_pk_add_f16 v25, v45, 0
	v_pk_min_f16 v38, v27, v13
	v_pk_add_f16 v39, v46, 0
	v_pk_min_f16 v40, v27, v15
	v_pk_add_f16 v41, v47, 0
	v_pk_min_f16 v45, v27, v21
	v_pk_add_f16 v26, v26, 0
	v_pk_min_f16 v27, v27, v23
	v_pk_max_f16 v31, v31, v31
	v_pk_add_f16 v44, v44, v48
	v_pk_add_f16 v48, v22, v24
	;; [unrolled: 1-line block ×7, first 2 shown]
	v_pk_min_f16 v24, v29, v13
	v_pk_add_f16 v25, v50, 0
	v_pk_min_f16 v26, v29, v15
	v_pk_add_f16 v27, v51, 0
	;; [unrolled: 2-line block ×3, first 2 shown]
	v_pk_add_f16 v22, v28, 0
	v_pk_min_f16 v24, v29, v23
	v_pk_add_f16 v46, v25, v26
	v_pk_add_f16 v25, v52, 0
	v_pk_min_f16 v26, v31, v13
	v_pk_add_f16 v47, v27, v47
	v_pk_add_f16 v49, v22, v24
	;; [unrolled: 1-line block ×5, first 2 shown]
	v_pk_min_f16 v25, v31, v15
	v_pk_add_f16 v27, v30, 0
	v_pk_add_f16 v26, v55, 0
	;; [unrolled: 1-line block ×5, first 2 shown]
	v_pk_min_f16 v22, v31, v21
	v_pk_add_f16 v30, v58, 0
	v_pk_max_f16 v17, v17, v17
	v_pk_add_f16 v25, v61, 0
	v_pk_add_f16 v58, v62, 0
	;; [unrolled: 1-line block ×3, first 2 shown]
	v_pk_min_f16 v22, v31, v23
	v_pk_min_f16 v24, v59, v13
	v_pk_add_f16 v61, v63, 0
	v_pk_add_f16 v62, v64, 0
	v_pk_add_f16 v12, v12, 0
	v_pk_add_f16 v53, v27, v22
	v_pk_add_f16 v54, v26, v24
	v_pk_min_f16 v22, v59, v15
	v_pk_min_f16 v24, v59, v21
	;; [unrolled: 1-line block ×3, first 2 shown]
	v_pk_add_f16 v14, v14, 0
	v_pk_add_f16 v20, v20, 0
	;; [unrolled: 1-line block ×7, first 2 shown]
	v_pk_min_f16 v22, v60, v13
	v_pk_min_f16 v24, v60, v15
	;; [unrolled: 1-line block ×9, first 2 shown]
	v_pk_add_f16 v66, v25, v22
	v_pk_add_f16 v67, v58, v24
	;; [unrolled: 1-line block ×9, first 2 shown]
	s_cbranch_scc1 .LBB302_24
; %bb.14:
	v_lshl_add_u32 v7, s6, 6, v7
	s_lshl_b32 s1, s22, 6
	v_perm_b32 v80, v11, v3, 0x5040100
	v_add_nc_u32_e32 v3, s19, v6
	v_add_nc_u32_e32 v60, 0x800, v2
	v_subrev_nc_u32_e32 v7, s1, v7
	v_add_nc_u32_e32 v63, 0xa00, v2
	v_perm_b32 v2, v10, v9, 0x5040100
	v_add_nc_u32_e32 v10, 8, v4
	v_add_nc_u32_e32 v9, 12, v4
	v_mad_i64_i32 v[7:8], null, s21, v7, 0
	v_ashrrev_i32_e32 v4, 31, v3
	v_or_b32_e32 v61, 0x800, v33
	v_or_b32_e32 v65, 0x400, v34
	v_lshl_add_u32 v68, v0, 3, 0xa00
	v_lshl_add_u32 v69, v1, 3, 0x400
	v_lshlrev_b64 v[3:4], 1, v[3:4]
	v_lshlrev_b64 v[6:7], 1, v[7:8]
	v_mad_i64_i32 v[8:9], null, v9, s8, 0
	s_add_i32 s1, s12, -8
	s_mov_b32 s6, 0
	v_add_co_u32 v11, vcc_lo, v6, v5
	v_add_co_ci_u32_e64 v7, null, 0, v7, vcc_lo
	v_mad_i64_i32 v[5:6], null, v10, s8, 0
	v_add_co_u32 v10, vcc_lo, s14, v11
	v_add_co_ci_u32_e64 v7, null, s15, v7, vcc_lo
	v_lshlrev_b64 v[28:29], 1, v[8:9]
	v_add_co_u32 v26, vcc_lo, v10, 16
	v_add_co_ci_u32_e64 v27, null, 0, v7, vcc_lo
	v_add_co_u32 v3, vcc_lo, s16, v3
	v_add_co_ci_u32_e64 v4, null, s17, v4, vcc_lo
	v_lshlrev_b64 v[30:31], 1, v[5:6]
	v_add_co_u32 v73, vcc_lo, 0x80, v3
	v_add_co_ci_u32_e64 v74, null, 0, v4, vcc_lo
	s_lshl_b64 s[8:9], s[8:9], 4
	s_branch .LBB302_16
.LBB302_15:                             ;   in Loop: Header=BB302_16 Depth=1
	v_pk_max_f16 v4, v4, v4
	v_pk_max_f16 v22, v22, v22
	;; [unrolled: 1-line block ×7, first 2 shown]
	v_pk_min_f16 v80, v4, v22
	v_pk_min_f16 v81, v4, v24
	v_pk_max_f16 v16, v16, v16
	v_pk_max_f16 v12, v12, v12
	v_pk_min_f16 v89, v10, v22
	v_pk_min_f16 v90, v10, v24
	;; [unrolled: 1-line block ×4, first 2 shown]
	v_pk_max_f16 v23, v23, v23
	v_pk_max_f16 v25, v25, v25
	v_pk_max_f16 v6, v6, v6
	v_pk_max_f16 v19, v19, v19
	v_pk_max_f16 v21, v21, v21
	v_pk_max_f16 v15, v15, v15
	v_pk_max_f16 v17, v17, v17
	v_pk_max_f16 v11, v11, v11
	v_pk_max_f16 v13, v13, v13
	v_pk_max_f16 v8, v8, v8
	v_pk_max_f16 v2, v2, v2
	v_pk_max_f16 v7, v7, v7
	v_pk_max_f16 v9, v9, v9
	v_pk_max_f16 v5, v5, v5
	v_pk_max_f16 v3, v3, v3
	v_pk_min_f16 v82, v4, v18
	v_pk_min_f16 v83, v14, v22
	;; [unrolled: 1-line block ×58, first 2 shown]
	v_pk_add_f16 v3, v35, v80
	v_pk_add_f16 v5, v36, v81
	;; [unrolled: 1-line block ×23, first 2 shown]
	ds_read2_b64 v[3:6], v61 offset0:48 offset1:56
	ds_read2_b64 v[7:10], v32 offset1:32
	v_pk_add_f16 v41, v45, v89
	v_pk_add_f16 v45, v50, v92
	;; [unrolled: 1-line block ×10, first 2 shown]
	ds_read2_b64 v[11:14], v32 offset0:64 offset1:96
	ds_read2_b64 v[15:18], v61 offset1:8
	v_pk_add_f16 v22, v70, v22
	v_pk_add_f16 v24, v71, v24
	;; [unrolled: 1-line block ×6, first 2 shown]
	s_waitcnt lgkmcnt(3)
	v_pk_max_f16 v5, v5, v5
	s_waitcnt lgkmcnt(2)
	v_pk_max_f16 v7, v7, v7
	v_pk_max_f16 v9, v9, v9
	v_pk_add_f16 v24, v24, v25
	v_pk_add_f16 v25, v57, v19
	;; [unrolled: 1-line block ×3, first 2 shown]
	v_pk_min_f16 v51, v5, v7
	v_pk_min_f16 v52, v5, v9
	ds_read2_b64 v[19:22], v61 offset0:16 offset1:24
	v_pk_add_f16 v37, v37, v101
	v_pk_add_f16 v42, v42, v102
	v_pk_add_f16 v72, v53, v117
	s_waitcnt lgkmcnt(2)
	v_pk_max_f16 v11, v11, v11
	s_waitcnt lgkmcnt(1)
	v_pk_max_f16 v15, v15, v15
	v_pk_add_f16 v59, v59, v51
	v_pk_add_f16 v62, v62, v52
	;; [unrolled: 1-line block ×3, first 2 shown]
	v_pk_min_f16 v53, v5, v11
	v_pk_min_f16 v51, v15, v9
	;; [unrolled: 1-line block ×3, first 2 shown]
	v_pk_add_f16 v57, v2, v121
	v_perm_b32 v2, v79, v78, 0x5040100
	v_pk_add_f16 v78, v35, v53
	v_pk_add_f16 v81, v37, v51
	;; [unrolled: 1-line block ×3, first 2 shown]
	ds_read2_b64 v[51:54], v61 offset0:32 offset1:40
	v_pk_add_f16 v38, v38, v86
	v_pk_add_f16 v39, v39, v87
	;; [unrolled: 1-line block ×3, first 2 shown]
	v_pk_min_f16 v35, v15, v7
	v_pk_max_f16 v17, v17, v17
	v_pk_add_f16 v38, v38, v103
	v_pk_add_f16 v39, v39, v104
	;; [unrolled: 1-line block ×3, first 2 shown]
	v_pk_max_f16 v13, v13, v13
	v_pk_add_f16 v79, v36, v35
	v_pk_min_f16 v35, v17, v7
	v_pk_min_f16 v36, v17, v9
	;; [unrolled: 1-line block ×3, first 2 shown]
	s_waitcnt lgkmcnt(1)
	v_pk_max_f16 v19, v19, v19
	v_pk_add_f16 v41, v41, v106
	v_pk_add_f16 v43, v43, v107
	v_pk_add_f16 v44, v44, v108
	v_pk_min_f16 v15, v15, v13
	v_pk_min_f16 v17, v17, v13
	v_pk_add_f16 v38, v38, v35
	v_pk_add_f16 v39, v39, v36
	;; [unrolled: 1-line block ×3, first 2 shown]
	v_pk_min_f16 v35, v19, v7
	v_pk_min_f16 v36, v19, v9
	v_pk_min_f16 v37, v19, v11
	v_pk_max_f16 v21, v21, v21
	v_pk_add_f16 v45, v45, v109
	v_pk_add_f16 v46, v46, v110
	;; [unrolled: 1-line block ×5, first 2 shown]
	v_pk_min_f16 v19, v19, v13
	v_pk_add_f16 v64, v41, v35
	v_pk_add_f16 v66, v43, v36
	;; [unrolled: 1-line block ×3, first 2 shown]
	v_pk_min_f16 v35, v21, v7
	v_pk_min_f16 v36, v21, v9
	s_waitcnt lgkmcnt(0)
	v_pk_max_f16 v37, v51, v51
	v_pk_min_f16 v41, v21, v11
	v_pk_add_f16 v49, v49, v113
	v_pk_add_f16 v50, v50, v114
	;; [unrolled: 1-line block ×5, first 2 shown]
	v_pk_min_f16 v35, v37, v7
	v_pk_add_f16 v84, v47, v41
	v_pk_min_f16 v36, v37, v9
	v_pk_max_f16 v41, v53, v53
	v_pk_max_f16 v3, v3, v3
	v_pk_add_f16 v85, v49, v35
	v_pk_min_f16 v35, v37, v11
	v_pk_add_f16 v86, v50, v36
	v_pk_min_f16 v36, v41, v7
	v_pk_max_f16 v6, v6, v6
	v_pk_max_f16 v8, v8, v8
	v_pk_add_f16 v55, v55, v119
	v_pk_min_f16 v21, v21, v13
	v_pk_min_f16 v37, v37, v13
	;; [unrolled: 1-line block ×3, first 2 shown]
	v_pk_add_f16 v70, v70, v35
	v_pk_add_f16 v72, v72, v36
	v_pk_min_f16 v35, v41, v11
	v_pk_min_f16 v36, v41, v13
	v_pk_min_f16 v7, v3, v7
	v_pk_min_f16 v9, v3, v9
	v_pk_min_f16 v11, v3, v11
	v_pk_min_f16 v3, v3, v13
	v_pk_max_f16 v10, v10, v10
	v_pk_min_f16 v5, v5, v13
	v_pk_max_f16 v12, v12, v12
	v_pk_min_f16 v13, v6, v8
	v_pk_add_f16 v56, v56, v120
	v_pk_add_f16 v87, v55, v35
	;; [unrolled: 1-line block ×4, first 2 shown]
	v_pk_min_f16 v23, v6, v10
	v_pk_min_f16 v24, v6, v12
	v_pk_max_f16 v16, v16, v16
	v_pk_add_f16 v35, v59, v13
	v_pk_max_f16 v13, v14, v14
	v_pk_add_f16 v48, v48, v112
	v_pk_add_f16 v71, v71, v37
	v_pk_add_f16 v88, v56, v36
	v_pk_add_f16 v36, v62, v23
	v_pk_add_f16 v37, v78, v24
	v_pk_min_f16 v14, v16, v8
	v_pk_min_f16 v23, v16, v10
	v_pk_min_f16 v24, v16, v12
	v_pk_min_f16 v16, v16, v13
	v_pk_max_f16 v18, v18, v18
	v_pk_add_f16 v21, v48, v21
	v_pk_add_f16 v80, v80, v42
	v_pk_add_f16 v42, v79, v14
	v_pk_add_f16 v48, v15, v16
	v_pk_min_f16 v14, v18, v8
	v_pk_min_f16 v15, v18, v10
	v_pk_min_f16 v16, v18, v12
	v_pk_min_f16 v18, v18, v13
	v_pk_max_f16 v20, v20, v20
	v_pk_add_f16 v38, v38, v14
	v_pk_add_f16 v39, v39, v15
	v_pk_add_f16 v40, v40, v16
	v_pk_add_f16 v41, v17, v18
	;; [unrolled: 9-line block ×4, first 2 shown]
	v_pk_min_f16 v14, v18, v8
	v_pk_min_f16 v15, v18, v10
	;; [unrolled: 1-line block ×4, first 2 shown]
	v_pk_max_f16 v18, v54, v54
	v_pk_max_f16 v4, v4, v4
	v_pk_add_f16 v11, v25, v11
	v_pk_add_f16 v3, v57, v3
	;; [unrolled: 1-line block ×7, first 2 shown]
	v_pk_min_f16 v14, v18, v8
	v_pk_min_f16 v15, v18, v10
	;; [unrolled: 1-line block ×9, first 2 shown]
	v_add_co_u32 v26, vcc_lo, v26, 16
	v_add_co_ci_u32_e64 v27, null, 0, v27, vcc_lo
	v_add_co_u32 v73, vcc_lo, v73, s8
	v_pk_add_f16 v43, v81, v23
	v_pk_add_f16 v44, v82, v24
	;; [unrolled: 1-line block ×11, first 2 shown]
	v_perm_b32 v80, v77, v75, 0x5040100
	v_add_co_ci_u32_e64 v74, null, s9, v74, vcc_lo
	s_add_i32 s6, s6, 8
	ds_write_b16 v63, v76
	ds_write_b16 v65, v75
	ds_write_b16 v65, v77 offset:512
	s_cmp_ge_i32 s6, s1
	s_waitcnt lgkmcnt(0)
	s_barrier
	buffer_gl0_inv
	s_cbranch_scc1 .LBB302_24
.LBB302_16:                             ; =>This Inner Loop Header: Depth=1
	s_mov_b32 s12, -1
	s_mov_b32 vcc_lo, s0
                                        ; implicit-def: $vgpr78
	s_cbranch_vccz .LBB302_18
; %bb.17:                               ;   in Loop: Header=BB302_16 Depth=1
	v_and_b32_e32 v78, 0xffff0000, v2
	s_mov_b32 s12, 0
.LBB302_18:                             ;   in Loop: Header=BB302_16 Depth=1
	v_mov_b32_e32 v75, 0
	v_mov_b32_e32 v79, 0
	s_andn2_b32 vcc_lo, exec_lo, s12
	s_cbranch_vccnz .LBB302_20
; %bb.19:                               ;   in Loop: Header=BB302_16 Depth=1
	v_add_co_u32 v3, vcc_lo, v73, v30
	v_add_co_ci_u32_e64 v4, null, v74, v31, vcc_lo
	global_load_ushort v5, v[3:4], off offset:-128
	global_load_ushort v6, v[26:27], off
	global_load_ushort v3, v[3:4], off
	s_waitcnt vmcnt(2)
	v_mul_f16_e32 v4, s13, v5
	s_waitcnt vmcnt(1)
	v_mul_f16_e32 v75, s13, v6
	;; [unrolled: 2-line block ×3, first 2 shown]
	v_bfi_b32 v78, 0xffff, v4, v2
.LBB302_20:                             ;   in Loop: Header=BB302_16 Depth=1
	ds_read2_b64 v[2:5], v68 offset0:48 offset1:56
	ds_read2_b64 v[18:21], v69 offset0:64 offset1:96
	ds_read2_b64 v[22:25], v69 offset1:32
	ds_read2_b64 v[14:17], v68 offset1:8
	ds_read2_b64 v[10:13], v68 offset0:16 offset1:24
	ds_read2_b64 v[6:9], v68 offset0:32 offset1:40
	s_mov_b32 s12, -1
	s_mov_b32 vcc_lo, s0
	ds_write_b16 v60, v75
	ds_write_b16 v34, v78
	ds_write_b16 v34, v79 offset:512
	s_waitcnt lgkmcnt(0)
	s_barrier
	buffer_gl0_inv
                                        ; implicit-def: $vgpr75
	s_cbranch_vccz .LBB302_22
; %bb.21:                               ;   in Loop: Header=BB302_16 Depth=1
	v_and_b32_e32 v75, 0xffff0000, v80
	s_mov_b32 s12, 0
.LBB302_22:                             ;   in Loop: Header=BB302_16 Depth=1
	v_mov_b32_e32 v76, 0
	v_mov_b32_e32 v77, 0
	s_andn2_b32 vcc_lo, exec_lo, s12
	s_cbranch_vccnz .LBB302_15
; %bb.23:                               ;   in Loop: Header=BB302_16 Depth=1
	v_add_co_u32 v75, vcc_lo, v73, v28
	v_add_co_ci_u32_e64 v76, null, v74, v29, vcc_lo
	global_load_ushort v77, v[75:76], off offset:-128
	global_load_ushort v81, v[26:27], off offset:8
	global_load_ushort v82, v[75:76], off
	s_waitcnt vmcnt(2)
	v_mul_f16_e32 v75, s13, v77
	s_waitcnt vmcnt(1)
	v_mul_f16_e32 v76, s13, v81
	;; [unrolled: 2-line block ×3, first 2 shown]
	v_bfi_b32 v75, 0xffff, v75, v80
	s_branch .LBB302_15
.LBB302_24:
	v_add_nc_u32_e32 v18, 0x800, v33
	s_load_dwordx2 s[0:1], s[4:5], 0x70
	v_cmp_neq_f16_e64 s6, s18, 0
	ds_read2_b64 v[2:5], v32 offset0:128 offset1:160
	ds_read2_b64 v[6:9], v32 offset0:192 offset1:224
	;; [unrolled: 1-line block ×4, first 2 shown]
	s_clause 0x1
	s_load_dword s8, s[4:5], 0x50
	s_load_dword s9, s[4:5], 0x68
	ds_read2_b64 v[26:29], v18 offset0:80 offset1:88
	v_add_nc_u32_e32 v1, s19, v1
	s_waitcnt lgkmcnt(0)
	v_pk_max_f16 v2, v2, v2
	v_pk_max_f16 v4, v4, v4
	;; [unrolled: 1-line block ×8, first 2 shown]
	v_pk_min_f16 v19, v12, v2
	v_pk_min_f16 v20, v12, v4
	;; [unrolled: 1-line block ×5, first 2 shown]
	v_pk_add_f16 v19, v35, v19
	v_pk_add_f16 v20, v36, v20
	;; [unrolled: 1-line block ×3, first 2 shown]
	ds_read2_b64 v[34:37], v18 offset0:96 offset1:104
	v_pk_min_f16 v18, v16, v4
	v_pk_min_f16 v32, v26, v4
	;; [unrolled: 1-line block ×3, first 2 shown]
	v_pk_max_f16 v28, v28, v28
	v_pk_min_f16 v22, v14, v2
	v_pk_add_f16 v31, v39, v18
	v_pk_min_f16 v18, v26, v2
	v_pk_min_f16 v26, v26, v8
	;; [unrolled: 1-line block ×3, first 2 shown]
	v_pk_add_f16 v25, v38, v25
	v_pk_add_f16 v30, v40, v30
	;; [unrolled: 1-line block ×4, first 2 shown]
	v_pk_min_f16 v18, v28, v2
	v_pk_min_f16 v26, v28, v4
	;; [unrolled: 1-line block ×4, first 2 shown]
	v_pk_add_f16 v22, v42, v22
	v_pk_add_f16 v23, v43, v23
	s_waitcnt lgkmcnt(0)
	v_pk_max_f16 v34, v34, v34
	v_pk_min_f16 v16, v16, v8
	v_pk_add_f16 v42, v51, v26
	v_pk_add_f16 v43, v53, v28
	v_pk_max_f16 v28, v36, v36
	v_pk_min_f16 v26, v34, v4
	v_pk_min_f16 v24, v14, v6
	;; [unrolled: 1-line block ×3, first 2 shown]
	v_pk_add_f16 v16, v41, v16
	v_pk_add_f16 v41, v50, v18
	v_pk_min_f16 v18, v34, v2
	v_pk_add_f16 v45, v57, v26
	v_pk_min_f16 v26, v28, v2
	v_pk_add_f16 v24, v44, v24
	v_pk_add_f16 v14, v48, v14
	;; [unrolled: 1-line block ×3, first 2 shown]
	v_pk_min_f16 v18, v34, v6
	v_pk_max_f16 v10, v10, v10
	v_pk_add_f16 v48, v66, v26
	v_pk_min_f16 v26, v28, v8
	v_pk_max_f16 v3, v3, v3
	v_pk_max_f16 v13, v13, v13
	;; [unrolled: 1-line block ×4, first 2 shown]
	v_pk_add_f16 v32, v46, v32
	v_pk_min_f16 v34, v34, v8
	v_pk_min_f16 v36, v28, v4
	v_pk_add_f16 v46, v55, v18
	v_pk_min_f16 v18, v28, v6
	v_pk_min_f16 v2, v10, v2
	;; [unrolled: 1-line block ×4, first 2 shown]
	v_pk_add_f16 v51, v59, v26
	v_pk_min_f16 v10, v10, v8
	v_pk_min_f16 v8, v12, v8
	v_pk_min_f16 v12, v13, v3
	v_pk_min_f16 v26, v13, v5
	v_pk_min_f16 v28, v13, v7
	v_pk_max_f16 v15, v15, v15
	v_pk_max_f16 v9, v9, v9
	v_pk_add_f16 v50, v58, v18
	v_pk_add_f16 v18, v19, v12
	;; [unrolled: 1-line block ×4, first 2 shown]
	v_pk_min_f16 v12, v15, v3
	v_pk_min_f16 v26, v15, v5
	v_pk_min_f16 v28, v15, v7
	v_pk_min_f16 v15, v15, v9
	v_pk_max_f16 v17, v17, v17
	v_pk_add_f16 v33, v47, v33
	v_pk_add_f16 v47, v56, v34
	;; [unrolled: 1-line block ×6, first 2 shown]
	v_pk_min_f16 v12, v17, v3
	v_pk_min_f16 v14, v17, v5
	v_pk_min_f16 v15, v17, v7
	v_pk_min_f16 v17, v17, v9
	v_pk_max_f16 v34, v27, v27
	v_pk_add_f16 v25, v25, v12
	v_pk_add_f16 v26, v31, v14
	v_pk_add_f16 v27, v30, v15
	v_pk_add_f16 v28, v16, v17
	v_pk_min_f16 v12, v34, v3
	v_pk_min_f16 v14, v34, v5
	v_pk_min_f16 v15, v34, v7
	v_pk_min_f16 v16, v34, v9
	v_pk_max_f16 v17, v29, v29
	v_pk_add_f16 v29, v38, v12
	v_pk_add_f16 v30, v32, v14
	v_pk_add_f16 v31, v33, v15
	v_pk_add_f16 v32, v39, v16
	;; [unrolled: 9-line block ×3, first 2 shown]
	v_pk_add_f16 v36, v43, v16
	v_pk_min_f16 v12, v17, v3
	v_pk_min_f16 v14, v17, v5
	v_pk_max_f16 v16, v37, v37
	v_pk_max_f16 v11, v11, v11
	v_pk_add_f16 v2, v70, v2
	v_pk_add_f16 v4, v71, v4
	;; [unrolled: 1-line block ×3, first 2 shown]
	v_pk_min_f16 v15, v17, v7
	v_pk_add_f16 v37, v44, v12
	v_pk_add_f16 v38, v45, v14
	v_pk_min_f16 v12, v16, v3
	v_pk_min_f16 v14, v16, v5
	;; [unrolled: 1-line block ×4, first 2 shown]
	v_pk_add_f16 v6, v72, v6
	v_pk_add_f16 v10, v64, v10
	v_pk_add_f16 v8, v62, v8
	v_pk_min_f16 v17, v17, v9
	v_pk_add_f16 v39, v46, v15
	v_pk_min_f16 v15, v16, v7
	v_pk_add_f16 v41, v48, v12
	;; [unrolled: 2-line block ×3, first 2 shown]
	v_pk_min_f16 v3, v11, v7
	v_add_nc_u32_e32 v2, s20, v0
	v_pk_add_f16 v0, v4, v5
	v_pk_min_f16 v5, v11, v9
	v_pk_min_f16 v7, v13, v9
	v_pk_add_f16 v40, v47, v17
	v_pk_add_f16 v42, v49, v14
	;; [unrolled: 1-line block ×4, first 2 shown]
	v_add_nc_u32_e32 v4, 8, v2
	v_add_nc_u32_e32 v6, 16, v2
	v_pk_add_f16 v47, v10, v5
	v_pk_add_f16 v48, v8, v7
	v_add_nc_u32_e32 v8, 24, v2
	v_add_nc_u32_e32 v10, 32, v2
	;; [unrolled: 1-line block ×5, first 2 shown]
	v_pk_add_f16 v43, v50, v15
	v_ashrrev_i32_e32 v3, 31, v2
	v_ashrrev_i32_e32 v5, 31, v4
	;; [unrolled: 1-line block ×8, first 2 shown]
	s_mul_i32 s1, s1, s7
	s_mul_hi_u32 s4, s0, s7
	s_mul_i32 s0, s0, s7
	s_add_i32 s1, s4, s1
	v_lshlrev_b64 v[2:3], 1, v[2:3]
	v_lshlrev_b64 v[4:5], 1, v[4:5]
	;; [unrolled: 1-line block ×8, first 2 shown]
	s_lshl_b64 s[0:1], s[0:1], 1
	s_mov_b64 s[4:5], 15
	s_add_u32 s7, s10, s0
	s_addc_u32 s10, s11, s1
	s_branch .LBB302_26
.LBB302_25:                             ;   in Loop: Header=BB302_26 Depth=1
	s_add_i32 s0, s4, -1
	v_add_nc_u32_e32 v1, 32, v1
	s_cmp_eq_u32 s0, 1
	s_cselect_b32 vcc_lo, -1, 0
	s_cmp_eq_u32 s0, 2
	v_cndmask_b32_e32 v81, v21, v49, vcc_lo
	s_cselect_b32 vcc_lo, -1, 0
	s_cmp_eq_u32 s0, 3
	v_cndmask_b32_e32 v81, v81, v25, vcc_lo
	;; [unrolled: 3-line block ×62, first 2 shown]
	s_cselect_b32 vcc_lo, -1, 0
	s_cmp_eq_u32 s4, 1
	s_cselect_b32 s0, -1, 0
	s_cmp_eq_u32 s4, 2
	v_cndmask_b32_e64 v49, v21, v49, s0
	s_cselect_b32 s0, -1, 0
	s_cmp_eq_u32 s4, 3
	v_cndmask_b32_e64 v49, v49, v25, s0
	;; [unrolled: 3-line block ×3, first 2 shown]
	s_cselect_b32 s0, -1, 0
	s_cmp_eq_u32 s4, 5
	v_cndmask_b32_e32 v50, v81, v80, vcc_lo
	v_cndmask_b32_e64 v49, v49, v29, s0
	s_cselect_b32 s0, -1, 0
	s_cmp_eq_u32 s4, 6
	v_cndmask_b32_e64 v49, v49, v51, s0
	s_cselect_b32 s0, -1, 0
	s_cmp_eq_u32 s4, 7
	;; [unrolled: 3-line block ×58, first 2 shown]
	s_cselect_b32 vcc_lo, -1, 0
	v_cndmask_b32_e64 v49, v49, v48, s0
	s_add_u32 s4, s4, 16
	s_addc_u32 s5, s5, 0
	s_cmpk_lg_i32 s4, 0x4f
	v_cndmask_b32_e32 v49, v49, v80, vcc_lo
	v_add_f16_e32 v51, v50, v49
	v_add_co_u32 v49, vcc_lo, v83, v16
	v_add_co_ci_u32_e64 v50, null, v84, v17, vcc_lo
	v_add_f16_e32 v51, v51, v85
	global_store_short v[49:50], v51, off
	s_cbranch_scc0 .LBB302_42
.LBB302_26:                             ; =>This Inner Loop Header: Depth=1
	v_mad_i64_i32 v[49:50], null, v1, s8, 0
	v_cndmask_b32_e64 v51, 0, 1, s6
	v_mov_b32_e32 v85, 0
	v_mov_b32_e32 v86, 0
	v_cmp_ne_u32_e64 s0, 1, v51
	v_lshlrev_b64 v[49:50], 1, v[49:50]
	v_add_co_u32 v81, vcc_lo, s2, v49
	v_add_co_ci_u32_e64 v82, null, s3, v50, vcc_lo
	s_andn2_b32 vcc_lo, exec_lo, s6
	s_cbranch_vccnz .LBB302_28
; %bb.27:                               ;   in Loop: Header=BB302_26 Depth=1
	v_add_co_u32 v49, vcc_lo, v81, v2
	v_add_co_ci_u32_e64 v50, null, v82, v3, vcc_lo
	global_load_ushort v49, v[49:50], off
	s_waitcnt vmcnt(0)
	v_mul_f16_e32 v86, s18, v49
.LBB302_28:                             ;   in Loop: Header=BB302_26 Depth=1
	s_add_i32 s1, s4, -15
	v_lshrrev_b32_e32 v49, 16, v21
	s_cmp_eq_u32 s1, 1
	v_lshrrev_b32_e32 v50, 16, v25
	s_cselect_b32 vcc_lo, -1, 0
	s_cmp_eq_u32 s1, 2
	v_cndmask_b32_e32 v51, v21, v49, vcc_lo
	s_cselect_b32 vcc_lo, -1, 0
	s_cmp_eq_u32 s1, 3
	v_cndmask_b32_e32 v51, v51, v25, vcc_lo
	;; [unrolled: 3-line block ×3, first 2 shown]
	s_cselect_b32 vcc_lo, -1, 0
	v_lshrrev_b32_e32 v51, 16, v29
	s_cmp_eq_u32 s1, 5
	v_cndmask_b32_e32 v52, v52, v29, vcc_lo
	s_cselect_b32 vcc_lo, -1, 0
	s_cmp_eq_u32 s1, 6
	v_cndmask_b32_e32 v53, v52, v51, vcc_lo
	s_cselect_b32 vcc_lo, -1, 0
	v_lshrrev_b32_e32 v52, 16, v33
	s_cmp_eq_u32 s1, 7
	v_cndmask_b32_e32 v53, v53, v33, vcc_lo
	s_cselect_b32 vcc_lo, -1, 0
	s_cmp_eq_u32 s1, 8
	v_cndmask_b32_e32 v54, v53, v52, vcc_lo
	;; [unrolled: 7-line block ×29, first 2 shown]
	s_cselect_b32 vcc_lo, -1, 0
	s_cmp_eq_u32 s1, 63
	v_lshrrev_b32_e32 v80, 16, v48
	v_cndmask_b32_e32 v87, v83, v48, vcc_lo
	s_cselect_b32 vcc_lo, -1, 0
	s_add_i32 s11, s4, -14
	s_cmp_eq_u32 s11, 1
	v_cndmask_b32_e32 v87, v87, v80, vcc_lo
	s_cselect_b32 s1, -1, 0
	s_cmp_eq_u32 s11, 2
	v_cndmask_b32_e64 v83, v21, v49, s1
	s_cselect_b32 s1, -1, 0
	s_cmp_eq_u32 s11, 3
	v_cndmask_b32_e64 v83, v83, v25, s1
	;; [unrolled: 3-line block ×61, first 2 shown]
	v_mad_i64_i32 v[83:84], null, v1, s9, 0
	s_cselect_b32 s1, -1, 0
	s_cmp_eq_u32 s11, 63
	v_cndmask_b32_e64 v88, v88, v48, s1
	s_cselect_b32 vcc_lo, -1, 0
	v_lshlrev_b64 v[83:84], 1, v[83:84]
	v_cndmask_b32_e32 v88, v88, v80, vcc_lo
	v_add_co_u32 v83, vcc_lo, s7, v83
	v_add_f16_e32 v87, v87, v88
	v_add_co_ci_u32_e64 v84, null, s10, v84, vcc_lo
	v_add_f16_e32 v88, v87, v86
	v_add_co_u32 v86, vcc_lo, v83, v2
	v_add_co_ci_u32_e64 v87, null, v84, v3, vcc_lo
	s_and_b32 vcc_lo, exec_lo, s0
	global_store_short v[86:87], v88, off
	s_cbranch_vccnz .LBB302_30
; %bb.29:                               ;   in Loop: Header=BB302_26 Depth=1
	v_add_co_u32 v85, vcc_lo, v81, v4
	v_add_co_ci_u32_e64 v86, null, v82, v5, vcc_lo
	global_load_ushort v85, v[85:86], off
	s_waitcnt vmcnt(0)
	v_mul_f16_e32 v85, s18, v85
.LBB302_30:                             ;   in Loop: Header=BB302_26 Depth=1
	s_add_i32 s1, s4, -13
	s_cmp_eq_u32 s1, 1
	s_cselect_b32 vcc_lo, -1, 0
	s_cmp_eq_u32 s1, 2
	v_cndmask_b32_e32 v86, v21, v49, vcc_lo
	s_cselect_b32 vcc_lo, -1, 0
	s_cmp_eq_u32 s1, 3
	v_cndmask_b32_e32 v86, v86, v25, vcc_lo
	;; [unrolled: 3-line block ×62, first 2 shown]
	s_cselect_b32 vcc_lo, -1, 0
	s_add_i32 s11, s4, -12
	s_cmp_eq_u32 s11, 1
	v_cndmask_b32_e32 v86, v86, v80, vcc_lo
	s_cselect_b32 s1, -1, 0
	s_cmp_eq_u32 s11, 2
	v_cndmask_b32_e64 v87, v21, v49, s1
	s_cselect_b32 s1, -1, 0
	s_cmp_eq_u32 s11, 3
	v_cndmask_b32_e64 v87, v87, v25, s1
	;; [unrolled: 3-line block ×61, first 2 shown]
	s_cselect_b32 s1, -1, 0
	s_cmp_eq_u32 s11, 63
	s_cselect_b32 vcc_lo, -1, 0
	v_cndmask_b32_e64 v87, v87, v48, s1
	v_cndmask_b32_e32 v87, v87, v80, vcc_lo
	v_add_f16_e32 v86, v86, v87
	v_add_co_u32 v87, vcc_lo, v83, v4
	v_add_co_ci_u32_e64 v88, null, v84, v5, vcc_lo
	v_add_f16_e32 v89, v86, v85
	v_mov_b32_e32 v85, 0
	v_mov_b32_e32 v86, 0
	s_and_b32 vcc_lo, exec_lo, s0
	global_store_short v[87:88], v89, off
	s_cbranch_vccnz .LBB302_32
; %bb.31:                               ;   in Loop: Header=BB302_26 Depth=1
	v_add_co_u32 v86, vcc_lo, v81, v6
	v_add_co_ci_u32_e64 v87, null, v82, v7, vcc_lo
	global_load_ushort v86, v[86:87], off
	s_waitcnt vmcnt(0)
	v_mul_f16_e32 v86, s18, v86
.LBB302_32:                             ;   in Loop: Header=BB302_26 Depth=1
	s_add_i32 s1, s4, -11
	s_cmp_eq_u32 s1, 1
	s_cselect_b32 vcc_lo, -1, 0
	s_cmp_eq_u32 s1, 2
	v_cndmask_b32_e32 v87, v21, v49, vcc_lo
	s_cselect_b32 vcc_lo, -1, 0
	s_cmp_eq_u32 s1, 3
	v_cndmask_b32_e32 v87, v87, v25, vcc_lo
	;; [unrolled: 3-line block ×62, first 2 shown]
	s_cselect_b32 vcc_lo, -1, 0
	s_add_i32 s11, s4, -10
	s_cmp_eq_u32 s11, 1
	v_cndmask_b32_e32 v87, v87, v80, vcc_lo
	s_cselect_b32 s1, -1, 0
	s_cmp_eq_u32 s11, 2
	v_cndmask_b32_e64 v88, v21, v49, s1
	s_cselect_b32 s1, -1, 0
	s_cmp_eq_u32 s11, 3
	v_cndmask_b32_e64 v88, v88, v25, s1
	;; [unrolled: 3-line block ×61, first 2 shown]
	s_cselect_b32 s1, -1, 0
	s_cmp_eq_u32 s11, 63
	s_cselect_b32 vcc_lo, -1, 0
	v_cndmask_b32_e64 v88, v88, v48, s1
	v_cndmask_b32_e32 v88, v88, v80, vcc_lo
	v_add_f16_e32 v87, v87, v88
	v_add_f16_e32 v88, v87, v86
	v_add_co_u32 v86, vcc_lo, v83, v6
	v_add_co_ci_u32_e64 v87, null, v84, v7, vcc_lo
	s_and_b32 vcc_lo, exec_lo, s0
	global_store_short v[86:87], v88, off
	s_cbranch_vccnz .LBB302_34
; %bb.33:                               ;   in Loop: Header=BB302_26 Depth=1
	v_add_co_u32 v85, vcc_lo, v81, v8
	v_add_co_ci_u32_e64 v86, null, v82, v9, vcc_lo
	global_load_ushort v85, v[85:86], off
	s_waitcnt vmcnt(0)
	v_mul_f16_e32 v85, s18, v85
.LBB302_34:                             ;   in Loop: Header=BB302_26 Depth=1
	s_add_i32 s1, s4, -9
	s_cmp_eq_u32 s1, 1
	s_cselect_b32 vcc_lo, -1, 0
	s_cmp_eq_u32 s1, 2
	v_cndmask_b32_e32 v86, v21, v49, vcc_lo
	s_cselect_b32 vcc_lo, -1, 0
	s_cmp_eq_u32 s1, 3
	v_cndmask_b32_e32 v86, v86, v25, vcc_lo
	;; [unrolled: 3-line block ×62, first 2 shown]
	s_cselect_b32 vcc_lo, -1, 0
	s_add_i32 s11, s4, -8
	s_cmp_eq_u32 s11, 1
	v_cndmask_b32_e32 v86, v86, v80, vcc_lo
	s_cselect_b32 s1, -1, 0
	s_cmp_eq_u32 s11, 2
	v_cndmask_b32_e64 v87, v21, v49, s1
	s_cselect_b32 s1, -1, 0
	s_cmp_eq_u32 s11, 3
	v_cndmask_b32_e64 v87, v87, v25, s1
	;; [unrolled: 3-line block ×61, first 2 shown]
	s_cselect_b32 s1, -1, 0
	s_cmp_eq_u32 s11, 63
	s_cselect_b32 vcc_lo, -1, 0
	v_cndmask_b32_e64 v87, v87, v48, s1
	v_cndmask_b32_e32 v87, v87, v80, vcc_lo
	v_add_f16_e32 v86, v86, v87
	v_add_co_u32 v87, vcc_lo, v83, v8
	v_add_co_ci_u32_e64 v88, null, v84, v9, vcc_lo
	v_add_f16_e32 v89, v86, v85
	v_mov_b32_e32 v85, 0
	v_mov_b32_e32 v86, 0
	s_and_b32 vcc_lo, exec_lo, s0
	global_store_short v[87:88], v89, off
	s_cbranch_vccnz .LBB302_36
; %bb.35:                               ;   in Loop: Header=BB302_26 Depth=1
	v_add_co_u32 v86, vcc_lo, v81, v10
	v_add_co_ci_u32_e64 v87, null, v82, v11, vcc_lo
	global_load_ushort v86, v[86:87], off
	s_waitcnt vmcnt(0)
	v_mul_f16_e32 v86, s18, v86
.LBB302_36:                             ;   in Loop: Header=BB302_26 Depth=1
	s_add_i32 s1, s4, -7
	s_cmp_eq_u32 s1, 1
	s_cselect_b32 vcc_lo, -1, 0
	s_cmp_eq_u32 s1, 2
	v_cndmask_b32_e32 v87, v21, v49, vcc_lo
	s_cselect_b32 vcc_lo, -1, 0
	s_cmp_eq_u32 s1, 3
	v_cndmask_b32_e32 v87, v87, v25, vcc_lo
	;; [unrolled: 3-line block ×62, first 2 shown]
	s_cselect_b32 vcc_lo, -1, 0
	s_add_i32 s11, s4, -6
	s_cmp_eq_u32 s11, 1
	v_cndmask_b32_e32 v87, v87, v80, vcc_lo
	s_cselect_b32 s1, -1, 0
	s_cmp_eq_u32 s11, 2
	v_cndmask_b32_e64 v88, v21, v49, s1
	s_cselect_b32 s1, -1, 0
	s_cmp_eq_u32 s11, 3
	v_cndmask_b32_e64 v88, v88, v25, s1
	;; [unrolled: 3-line block ×61, first 2 shown]
	s_cselect_b32 s1, -1, 0
	s_cmp_eq_u32 s11, 63
	s_cselect_b32 vcc_lo, -1, 0
	v_cndmask_b32_e64 v88, v88, v48, s1
	v_cndmask_b32_e32 v88, v88, v80, vcc_lo
	v_add_f16_e32 v87, v87, v88
	v_add_f16_e32 v88, v87, v86
	v_add_co_u32 v86, vcc_lo, v83, v10
	v_add_co_ci_u32_e64 v87, null, v84, v11, vcc_lo
	s_and_b32 vcc_lo, exec_lo, s0
	global_store_short v[86:87], v88, off
	s_cbranch_vccnz .LBB302_38
; %bb.37:                               ;   in Loop: Header=BB302_26 Depth=1
	v_add_co_u32 v85, vcc_lo, v81, v12
	v_add_co_ci_u32_e64 v86, null, v82, v13, vcc_lo
	global_load_ushort v85, v[85:86], off
	s_waitcnt vmcnt(0)
	v_mul_f16_e32 v85, s18, v85
.LBB302_38:                             ;   in Loop: Header=BB302_26 Depth=1
	s_add_i32 s1, s4, -5
	s_cmp_eq_u32 s1, 1
	s_cselect_b32 vcc_lo, -1, 0
	s_cmp_eq_u32 s1, 2
	v_cndmask_b32_e32 v86, v21, v49, vcc_lo
	s_cselect_b32 vcc_lo, -1, 0
	s_cmp_eq_u32 s1, 3
	v_cndmask_b32_e32 v86, v86, v25, vcc_lo
	;; [unrolled: 3-line block ×62, first 2 shown]
	s_cselect_b32 vcc_lo, -1, 0
	s_add_i32 s11, s4, -4
	s_cmp_eq_u32 s11, 1
	v_cndmask_b32_e32 v86, v86, v80, vcc_lo
	s_cselect_b32 s1, -1, 0
	s_cmp_eq_u32 s11, 2
	v_cndmask_b32_e64 v87, v21, v49, s1
	s_cselect_b32 s1, -1, 0
	s_cmp_eq_u32 s11, 3
	v_cndmask_b32_e64 v87, v87, v25, s1
	;; [unrolled: 3-line block ×61, first 2 shown]
	s_cselect_b32 s1, -1, 0
	s_cmp_eq_u32 s11, 63
	s_cselect_b32 vcc_lo, -1, 0
	v_cndmask_b32_e64 v87, v87, v48, s1
	v_cndmask_b32_e32 v87, v87, v80, vcc_lo
	v_add_f16_e32 v86, v86, v87
	v_add_co_u32 v87, vcc_lo, v83, v12
	v_add_co_ci_u32_e64 v88, null, v84, v13, vcc_lo
	v_add_f16_e32 v89, v86, v85
	v_mov_b32_e32 v85, 0
	v_mov_b32_e32 v86, 0
	s_and_b32 vcc_lo, exec_lo, s0
	global_store_short v[87:88], v89, off
	s_cbranch_vccnz .LBB302_40
; %bb.39:                               ;   in Loop: Header=BB302_26 Depth=1
	v_add_co_u32 v86, vcc_lo, v81, v14
	v_add_co_ci_u32_e64 v87, null, v82, v15, vcc_lo
	global_load_ushort v86, v[86:87], off
	s_waitcnt vmcnt(0)
	v_mul_f16_e32 v86, s18, v86
.LBB302_40:                             ;   in Loop: Header=BB302_26 Depth=1
	s_add_i32 s1, s4, -3
	s_cmp_eq_u32 s1, 1
	s_cselect_b32 vcc_lo, -1, 0
	s_cmp_eq_u32 s1, 2
	v_cndmask_b32_e32 v87, v21, v49, vcc_lo
	s_cselect_b32 vcc_lo, -1, 0
	s_cmp_eq_u32 s1, 3
	v_cndmask_b32_e32 v87, v87, v25, vcc_lo
	;; [unrolled: 3-line block ×62, first 2 shown]
	s_cselect_b32 vcc_lo, -1, 0
	s_add_i32 s11, s4, -2
	s_cmp_eq_u32 s11, 1
	v_cndmask_b32_e32 v87, v87, v80, vcc_lo
	s_cselect_b32 s1, -1, 0
	s_cmp_eq_u32 s11, 2
	v_cndmask_b32_e64 v88, v21, v49, s1
	s_cselect_b32 s1, -1, 0
	s_cmp_eq_u32 s11, 3
	v_cndmask_b32_e64 v88, v88, v25, s1
	;; [unrolled: 3-line block ×61, first 2 shown]
	s_cselect_b32 s1, -1, 0
	s_cmp_eq_u32 s11, 63
	s_cselect_b32 vcc_lo, -1, 0
	v_cndmask_b32_e64 v88, v88, v48, s1
	v_cndmask_b32_e32 v88, v88, v80, vcc_lo
	v_add_f16_e32 v87, v87, v88
	v_add_f16_e32 v88, v87, v86
	v_add_co_u32 v86, vcc_lo, v83, v14
	v_add_co_ci_u32_e64 v87, null, v84, v15, vcc_lo
	s_and_b32 vcc_lo, exec_lo, s0
	global_store_short v[86:87], v88, off
	s_cbranch_vccnz .LBB302_25
; %bb.41:                               ;   in Loop: Header=BB302_26 Depth=1
	v_add_co_u32 v81, vcc_lo, v81, v16
	v_add_co_ci_u32_e64 v82, null, v82, v17, vcc_lo
	global_load_ushort v81, v[81:82], off
	s_waitcnt vmcnt(0)
	v_mul_f16_e32 v85, s18, v81
	s_branch .LBB302_25
.LBB302_42:
	s_endpgm
	.section	.rodata,"a",@progbits
	.p2align	6, 0x0
	.amdhsa_kernel _ZN12_GLOBAL__N_120geam_min_plus_kernelIDF16_Dv2_DF16_S1_Li8ELi32ELi64ELi128ELi4ELi4ELi64ELi64ELi4ELc84ELc84ELb0ELb0ELb0EDF16_KDF16_DF16_EEviiiT16_PT17_ilS5_ilS3_S5_ilPT18_ili26rocblas_geam_ex_operation_
		.amdhsa_group_segment_fixed_size 3072
		.amdhsa_private_segment_fixed_size 0
		.amdhsa_kernarg_size 128
		.amdhsa_user_sgpr_count 6
		.amdhsa_user_sgpr_private_segment_buffer 1
		.amdhsa_user_sgpr_dispatch_ptr 0
		.amdhsa_user_sgpr_queue_ptr 0
		.amdhsa_user_sgpr_kernarg_segment_ptr 1
		.amdhsa_user_sgpr_dispatch_id 0
		.amdhsa_user_sgpr_flat_scratch_init 0
		.amdhsa_user_sgpr_private_segment_size 0
		.amdhsa_wavefront_size32 1
		.amdhsa_uses_dynamic_stack 0
		.amdhsa_system_sgpr_private_segment_wavefront_offset 0
		.amdhsa_system_sgpr_workgroup_id_x 1
		.amdhsa_system_sgpr_workgroup_id_y 0
		.amdhsa_system_sgpr_workgroup_id_z 1
		.amdhsa_system_sgpr_workgroup_info 0
		.amdhsa_system_vgpr_workitem_id 1
		.amdhsa_next_free_vgpr 122
		.amdhsa_next_free_sgpr 25
		.amdhsa_reserve_vcc 1
		.amdhsa_reserve_flat_scratch 0
		.amdhsa_float_round_mode_32 0
		.amdhsa_float_round_mode_16_64 0
		.amdhsa_float_denorm_mode_32 3
		.amdhsa_float_denorm_mode_16_64 3
		.amdhsa_dx10_clamp 1
		.amdhsa_ieee_mode 1
		.amdhsa_fp16_overflow 0
		.amdhsa_workgroup_processor_mode 1
		.amdhsa_memory_ordered 1
		.amdhsa_forward_progress 1
		.amdhsa_shared_vgpr_count 0
		.amdhsa_exception_fp_ieee_invalid_op 0
		.amdhsa_exception_fp_denorm_src 0
		.amdhsa_exception_fp_ieee_div_zero 0
		.amdhsa_exception_fp_ieee_overflow 0
		.amdhsa_exception_fp_ieee_underflow 0
		.amdhsa_exception_fp_ieee_inexact 0
		.amdhsa_exception_int_div_zero 0
	.end_amdhsa_kernel
	.section	.text._ZN12_GLOBAL__N_120geam_min_plus_kernelIDF16_Dv2_DF16_S1_Li8ELi32ELi64ELi128ELi4ELi4ELi64ELi64ELi4ELc84ELc84ELb0ELb0ELb0EDF16_KDF16_DF16_EEviiiT16_PT17_ilS5_ilS3_S5_ilPT18_ili26rocblas_geam_ex_operation_,"axG",@progbits,_ZN12_GLOBAL__N_120geam_min_plus_kernelIDF16_Dv2_DF16_S1_Li8ELi32ELi64ELi128ELi4ELi4ELi64ELi64ELi4ELc84ELc84ELb0ELb0ELb0EDF16_KDF16_DF16_EEviiiT16_PT17_ilS5_ilS3_S5_ilPT18_ili26rocblas_geam_ex_operation_,comdat
.Lfunc_end302:
	.size	_ZN12_GLOBAL__N_120geam_min_plus_kernelIDF16_Dv2_DF16_S1_Li8ELi32ELi64ELi128ELi4ELi4ELi64ELi64ELi4ELc84ELc84ELb0ELb0ELb0EDF16_KDF16_DF16_EEviiiT16_PT17_ilS5_ilS3_S5_ilPT18_ili26rocblas_geam_ex_operation_, .Lfunc_end302-_ZN12_GLOBAL__N_120geam_min_plus_kernelIDF16_Dv2_DF16_S1_Li8ELi32ELi64ELi128ELi4ELi4ELi64ELi64ELi4ELc84ELc84ELb0ELb0ELb0EDF16_KDF16_DF16_EEviiiT16_PT17_ilS5_ilS3_S5_ilPT18_ili26rocblas_geam_ex_operation_
                                        ; -- End function
	.set _ZN12_GLOBAL__N_120geam_min_plus_kernelIDF16_Dv2_DF16_S1_Li8ELi32ELi64ELi128ELi4ELi4ELi64ELi64ELi4ELc84ELc84ELb0ELb0ELb0EDF16_KDF16_DF16_EEviiiT16_PT17_ilS5_ilS3_S5_ilPT18_ili26rocblas_geam_ex_operation_.num_vgpr, 122
	.set _ZN12_GLOBAL__N_120geam_min_plus_kernelIDF16_Dv2_DF16_S1_Li8ELi32ELi64ELi128ELi4ELi4ELi64ELi64ELi4ELc84ELc84ELb0ELb0ELb0EDF16_KDF16_DF16_EEviiiT16_PT17_ilS5_ilS3_S5_ilPT18_ili26rocblas_geam_ex_operation_.num_agpr, 0
	.set _ZN12_GLOBAL__N_120geam_min_plus_kernelIDF16_Dv2_DF16_S1_Li8ELi32ELi64ELi128ELi4ELi4ELi64ELi64ELi4ELc84ELc84ELb0ELb0ELb0EDF16_KDF16_DF16_EEviiiT16_PT17_ilS5_ilS3_S5_ilPT18_ili26rocblas_geam_ex_operation_.numbered_sgpr, 25
	.set _ZN12_GLOBAL__N_120geam_min_plus_kernelIDF16_Dv2_DF16_S1_Li8ELi32ELi64ELi128ELi4ELi4ELi64ELi64ELi4ELc84ELc84ELb0ELb0ELb0EDF16_KDF16_DF16_EEviiiT16_PT17_ilS5_ilS3_S5_ilPT18_ili26rocblas_geam_ex_operation_.num_named_barrier, 0
	.set _ZN12_GLOBAL__N_120geam_min_plus_kernelIDF16_Dv2_DF16_S1_Li8ELi32ELi64ELi128ELi4ELi4ELi64ELi64ELi4ELc84ELc84ELb0ELb0ELb0EDF16_KDF16_DF16_EEviiiT16_PT17_ilS5_ilS3_S5_ilPT18_ili26rocblas_geam_ex_operation_.private_seg_size, 0
	.set _ZN12_GLOBAL__N_120geam_min_plus_kernelIDF16_Dv2_DF16_S1_Li8ELi32ELi64ELi128ELi4ELi4ELi64ELi64ELi4ELc84ELc84ELb0ELb0ELb0EDF16_KDF16_DF16_EEviiiT16_PT17_ilS5_ilS3_S5_ilPT18_ili26rocblas_geam_ex_operation_.uses_vcc, 1
	.set _ZN12_GLOBAL__N_120geam_min_plus_kernelIDF16_Dv2_DF16_S1_Li8ELi32ELi64ELi128ELi4ELi4ELi64ELi64ELi4ELc84ELc84ELb0ELb0ELb0EDF16_KDF16_DF16_EEviiiT16_PT17_ilS5_ilS3_S5_ilPT18_ili26rocblas_geam_ex_operation_.uses_flat_scratch, 0
	.set _ZN12_GLOBAL__N_120geam_min_plus_kernelIDF16_Dv2_DF16_S1_Li8ELi32ELi64ELi128ELi4ELi4ELi64ELi64ELi4ELc84ELc84ELb0ELb0ELb0EDF16_KDF16_DF16_EEviiiT16_PT17_ilS5_ilS3_S5_ilPT18_ili26rocblas_geam_ex_operation_.has_dyn_sized_stack, 0
	.set _ZN12_GLOBAL__N_120geam_min_plus_kernelIDF16_Dv2_DF16_S1_Li8ELi32ELi64ELi128ELi4ELi4ELi64ELi64ELi4ELc84ELc84ELb0ELb0ELb0EDF16_KDF16_DF16_EEviiiT16_PT17_ilS5_ilS3_S5_ilPT18_ili26rocblas_geam_ex_operation_.has_recursion, 0
	.set _ZN12_GLOBAL__N_120geam_min_plus_kernelIDF16_Dv2_DF16_S1_Li8ELi32ELi64ELi128ELi4ELi4ELi64ELi64ELi4ELc84ELc84ELb0ELb0ELb0EDF16_KDF16_DF16_EEviiiT16_PT17_ilS5_ilS3_S5_ilPT18_ili26rocblas_geam_ex_operation_.has_indirect_call, 0
	.section	.AMDGPU.csdata,"",@progbits
; Kernel info:
; codeLenInByte = 21916
; TotalNumSgprs: 27
; NumVgprs: 122
; ScratchSize: 0
; MemoryBound: 0
; FloatMode: 240
; IeeeMode: 1
; LDSByteSize: 3072 bytes/workgroup (compile time only)
; SGPRBlocks: 0
; VGPRBlocks: 15
; NumSGPRsForWavesPerEU: 27
; NumVGPRsForWavesPerEU: 122
; Occupancy: 8
; WaveLimiterHint : 1
; COMPUTE_PGM_RSRC2:SCRATCH_EN: 0
; COMPUTE_PGM_RSRC2:USER_SGPR: 6
; COMPUTE_PGM_RSRC2:TRAP_HANDLER: 0
; COMPUTE_PGM_RSRC2:TGID_X_EN: 1
; COMPUTE_PGM_RSRC2:TGID_Y_EN: 0
; COMPUTE_PGM_RSRC2:TGID_Z_EN: 1
; COMPUTE_PGM_RSRC2:TIDIG_COMP_CNT: 1
	.section	.text._ZN12_GLOBAL__N_120geam_min_plus_kernelIDF16_Dv2_DF16_S1_Li8ELi32ELi64ELi128ELi4ELi4ELi64ELi64ELi4ELc84ELc84ELb0ELb1ELb0EPKDF16_S2_DF16_EEviiiT16_PT17_ilS6_ilS4_S6_ilPT18_ili26rocblas_geam_ex_operation_,"axG",@progbits,_ZN12_GLOBAL__N_120geam_min_plus_kernelIDF16_Dv2_DF16_S1_Li8ELi32ELi64ELi128ELi4ELi4ELi64ELi64ELi4ELc84ELc84ELb0ELb1ELb0EPKDF16_S2_DF16_EEviiiT16_PT17_ilS6_ilS4_S6_ilPT18_ili26rocblas_geam_ex_operation_,comdat
	.globl	_ZN12_GLOBAL__N_120geam_min_plus_kernelIDF16_Dv2_DF16_S1_Li8ELi32ELi64ELi128ELi4ELi4ELi64ELi64ELi4ELc84ELc84ELb0ELb1ELb0EPKDF16_S2_DF16_EEviiiT16_PT17_ilS6_ilS4_S6_ilPT18_ili26rocblas_geam_ex_operation_ ; -- Begin function _ZN12_GLOBAL__N_120geam_min_plus_kernelIDF16_Dv2_DF16_S1_Li8ELi32ELi64ELi128ELi4ELi4ELi64ELi64ELi4ELc84ELc84ELb0ELb1ELb0EPKDF16_S2_DF16_EEviiiT16_PT17_ilS6_ilS4_S6_ilPT18_ili26rocblas_geam_ex_operation_
	.p2align	8
	.type	_ZN12_GLOBAL__N_120geam_min_plus_kernelIDF16_Dv2_DF16_S1_Li8ELi32ELi64ELi128ELi4ELi4ELi64ELi64ELi4ELc84ELc84ELb0ELb1ELb0EPKDF16_S2_DF16_EEviiiT16_PT17_ilS6_ilS4_S6_ilPT18_ili26rocblas_geam_ex_operation_,@function
_ZN12_GLOBAL__N_120geam_min_plus_kernelIDF16_Dv2_DF16_S1_Li8ELi32ELi64ELi128ELi4ELi4ELi64ELi64ELi4ELc84ELc84ELb0ELb1ELb0EPKDF16_S2_DF16_EEviiiT16_PT17_ilS6_ilS4_S6_ilPT18_ili26rocblas_geam_ex_operation_: ; @_ZN12_GLOBAL__N_120geam_min_plus_kernelIDF16_Dv2_DF16_S1_Li8ELi32ELi64ELi128ELi4ELi4ELi64ELi64ELi4ELc84ELc84ELb0ELb1ELb0EPKDF16_S2_DF16_EEviiiT16_PT17_ilS6_ilS4_S6_ilPT18_ili26rocblas_geam_ex_operation_
; %bb.0:
	s_clause 0x1
	s_load_dwordx4 s[0:3], s[4:5], 0x10
	s_load_dwordx4 s[8:11], s[4:5], 0x40
	s_mov_b32 s18, s7
	s_mov_b32 s19, 0
	v_mov_b32_e32 v2, 0
	s_lshl_b64 s[20:21], s[18:19], 1
	s_clause 0x1
	s_load_dwordx4 s[12:15], s[4:5], 0x28
	s_load_dwordx2 s[16:17], s[4:5], 0x50
	s_mov_b64 s[22:23], 0
	s_waitcnt lgkmcnt(0)
	s_add_u32 s0, s0, s20
	s_addc_u32 s1, s1, s21
	global_load_ushort v30, v2, s[0:1]
	s_add_u32 s0, s10, s20
	s_addc_u32 s1, s11, s21
	s_mov_b64 s[20:21], 0
	global_load_ushort v42, v2, s[0:1]
	s_waitcnt vmcnt(1)
	v_cmp_eq_f16_e32 vcc_lo, 0, v30
	v_cmp_neq_f16_e64 s1, 0, v30
	s_cbranch_vccnz .LBB303_2
; %bb.1:
	s_mul_i32 s0, s13, s18
	s_mul_hi_u32 s7, s12, s18
	s_mul_i32 s10, s12, s18
	s_add_i32 s11, s7, s0
	s_lshl_b64 s[10:11], s[10:11], 1
	s_add_u32 s22, s2, s10
	s_addc_u32 s23, s3, s11
.LBB303_2:
	s_andn2_b32 vcc_lo, exec_lo, s1
	s_cbranch_vccnz .LBB303_4
; %bb.3:
	s_mul_i32 s0, s9, s18
	s_mul_hi_u32 s2, s8, s18
	s_add_i32 s3, s2, s0
	s_mul_i32 s2, s8, s18
	s_lshl_b64 s[2:3], s[2:3], 1
	s_add_u32 s20, s14, s2
	s_addc_u32 s21, s15, s3
.LBB303_4:
	s_load_dwordx4 s[8:11], s[4:5], 0x60
	s_waitcnt vmcnt(0)
	v_cmp_eq_f16_e32 vcc_lo, 0, v42
	v_cmp_neq_f16_e64 s0, 0, v42
	s_cbranch_vccnz .LBB303_6
; %bb.5:
	s_waitcnt lgkmcnt(0)
	s_mul_i32 s2, s9, s18
	s_mul_hi_u32 s3, s8, s18
	s_add_i32 s3, s3, s2
	s_mul_i32 s2, s8, s18
	s_lshl_b64 s[2:3], s[2:3], 1
	s_add_u32 s16, s16, s2
	s_addc_u32 s17, s17, s3
	s_branch .LBB303_7
.LBB303_6:
	s_mov_b64 s[16:17], 0
.LBB303_7:
	s_clause 0x1
	s_load_dwordx4 s[12:15], s[4:5], 0x0
	s_load_dword s26, s[4:5], 0x20
	v_and_b32_e32 v31, 3, v0
	v_mov_b32_e32 v10, 0
	v_mov_b32_e32 v11, 0
	v_lshlrev_b32_e32 v4, 1, v31
	s_waitcnt lgkmcnt(0)
	s_add_i32 s2, s12, -1
	s_ashr_i32 s3, s2, 31
	s_lshr_b32 s3, s3, 26
	s_add_i32 s2, s2, s3
	s_ashr_i32 s2, s2, 6
	s_add_i32 s7, s2, 1
	s_not_b32 s2, s2
	v_cvt_f32_u32_e32 v2, s7
	v_rcp_iflag_f32_e32 v2, v2
	v_mul_f32_e32 v2, 0x4f7ffffe, v2
	v_cvt_u32_f32_e32 v2, v2
	v_readfirstlane_b32 s3, v2
	v_lshl_add_u32 v2, v1, 3, v0
	s_mul_i32 s2, s2, s3
	v_lshrrev_b32_e32 v9, 2, v2
	s_mul_hi_u32 s2, s3, s2
	s_add_i32 s3, s3, s2
	s_mul_hi_u32 s2, s6, s3
	s_mul_i32 s3, s2, s7
	s_add_i32 s8, s2, 1
	s_sub_i32 s3, s6, s3
	s_sub_i32 s9, s3, s7
	s_cmp_ge_u32 s3, s7
	s_cselect_b32 s2, s8, s2
	s_cselect_b32 s3, s9, s3
	s_add_i32 s8, s2, 1
	s_cmp_ge_u32 s3, s7
	s_cselect_b32 s3, s8, s2
	s_mul_i32 s2, s3, s7
	s_sub_i32 s2, s6, s2
	s_lshl_b32 s8, s2, 6
	v_cmp_gt_i32_e64 s2, s14, v31
	v_add_nc_u32_e32 v5, s8, v9
	v_cmp_gt_i32_e32 vcc_lo, s12, v5
	s_and_b32 s2, s2, vcc_lo
	s_and_b32 s2, s1, s2
	s_and_saveexec_b32 s6, s2
	s_cbranch_execz .LBB303_9
; %bb.8:
	v_mad_i64_i32 v[6:7], null, v5, s26, 0
	v_lshlrev_b64 v[6:7], 1, v[6:7]
	v_add_co_u32 v3, s2, s22, v6
	v_add_co_ci_u32_e64 v7, null, s23, v7, s2
	v_add_co_u32 v6, s2, v3, v4
	v_add_co_ci_u32_e64 v7, null, 0, v7, s2
	global_load_ushort v3, v[6:7], off
	s_waitcnt vmcnt(0)
	v_mul_f16_e32 v11, v30, v3
.LBB303_9:
	s_or_b32 exec_lo, exec_lo, s6
	s_load_dword s15, s[4:5], 0x38
	v_lshrrev_b32_e32 v32, 6, v2
	s_add_i32 s19, s14, -1
	v_and_b32_e32 v12, 63, v2
	s_lshl_b32 s9, s3, 7
	s_xor_b32 s24, s1, -1
	v_min_i32_e32 v3, s19, v32
	v_cmp_le_i32_e64 s6, s14, v32
	v_or_b32_e32 v2, s9, v12
	v_cmp_le_i32_e64 s2, s13, v2
	s_or_b32 s7, s2, s6
	s_waitcnt lgkmcnt(0)
	v_mad_i64_i32 v[6:7], null, s15, v3, 0
	v_ashrrev_i32_e32 v3, 31, v2
	v_lshlrev_b64 v[7:8], 1, v[6:7]
	v_add_co_u32 v7, s3, s20, v7
	v_add_co_ci_u32_e64 v8, null, s21, v8, s3
	s_nor_b32 s3, s7, s24
	s_and_saveexec_b32 s7, s3
	s_cbranch_execz .LBB303_11
; %bb.10:
	v_lshlrev_b64 v[13:14], 1, v[2:3]
	v_add_co_u32 v13, s3, v7, v13
	v_add_co_ci_u32_e64 v14, null, v8, v14, s3
	global_load_ushort v6, v[13:14], off
	s_waitcnt vmcnt(0)
	v_mul_f16_e32 v10, v30, v6
.LBB303_11:
	s_or_b32 exec_lo, exec_lo, s7
	v_or_b32_e32 v6, 64, v2
	v_mov_b32_e32 v13, 0
	v_cmp_le_i32_e64 s3, s13, v6
	v_mov_b32_e32 v6, 0
	s_or_b32 s6, s3, s6
	s_nor_b32 s6, s6, s24
	s_and_saveexec_b32 s7, s6
	s_cbranch_execz .LBB303_13
; %bb.12:
	v_lshlrev_b64 v[13:14], 1, v[2:3]
	v_add_co_u32 v7, s6, v7, v13
	v_add_co_ci_u32_e64 v8, null, v8, v14, s6
	global_load_ushort v7, v[7:8], off offset:128
	s_waitcnt vmcnt(0)
	v_mul_f16_e32 v13, v30, v7
.LBB303_13:
	s_or_b32 exec_lo, exec_lo, s7
	v_or_b32_e32 v7, 4, v31
	v_cmp_gt_i32_e64 s6, s14, v7
	s_and_b32 s6, s6, vcc_lo
	s_and_b32 s6, s1, s6
	s_and_saveexec_b32 s7, s6
	s_cbranch_execz .LBB303_15
; %bb.14:
	v_mad_i64_i32 v[6:7], null, v5, s26, 0
	v_lshlrev_b64 v[6:7], 1, v[6:7]
	v_add_co_u32 v6, s6, s22, v6
	v_add_co_ci_u32_e64 v7, null, s23, v7, s6
	v_add_co_u32 v6, s6, v6, v4
	v_add_co_ci_u32_e64 v7, null, 0, v7, s6
	global_load_ushort v6, v[6:7], off offset:8
	s_waitcnt vmcnt(0)
	v_mul_f16_e32 v6, v30, v6
.LBB303_15:
	s_or_b32 exec_lo, exec_lo, s7
	v_add_nc_u32_e32 v16, 4, v32
	v_min_i32_e32 v7, s19, v16
	v_cmp_le_i32_e64 s6, s14, v16
	v_mad_i64_i32 v[7:8], null, s15, v7, 0
	v_lshlrev_b64 v[14:15], 1, v[7:8]
	v_mov_b32_e32 v7, 0
	v_mov_b32_e32 v8, 0
	v_add_co_u32 v14, s7, s20, v14
	v_add_co_ci_u32_e64 v15, null, s21, v15, s7
	s_or_b32 s7, s2, s6
	s_nor_b32 s7, s7, s24
	s_and_saveexec_b32 s25, s7
	s_cbranch_execz .LBB303_17
; %bb.16:
	v_lshlrev_b64 v[16:17], 1, v[2:3]
	v_add_co_u32 v16, s7, v14, v16
	v_add_co_ci_u32_e64 v17, null, v15, v17, s7
	global_load_ushort v8, v[16:17], off
	s_waitcnt vmcnt(0)
	v_mul_f16_e32 v8, v30, v8
.LBB303_17:
	s_or_b32 exec_lo, exec_lo, s25
	s_or_b32 s6, s3, s6
	s_nor_b32 s6, s6, s24
	s_and_saveexec_b32 s7, s6
	s_cbranch_execz .LBB303_19
; %bb.18:
	v_lshlrev_b64 v[16:17], 1, v[2:3]
	v_add_co_u32 v14, s6, v14, v16
	v_add_co_ci_u32_e64 v15, null, v15, v17, s6
	global_load_ushort v7, v[14:15], off offset:128
	s_waitcnt vmcnt(0)
	v_mul_f16_e32 v7, v30, v7
.LBB303_19:
	s_or_b32 exec_lo, exec_lo, s7
	v_lshlrev_b32_e32 v12, 3, v12
	v_lshlrev_b32_e32 v34, 3, v0
	v_lshl_or_b32 v9, v9, 3, v4
	v_lshlrev_b32_e32 v33, 3, v1
	s_mov_b32 s25, 0
	v_lshl_add_u32 v35, v32, 1, v12
	v_add_nc_u32_e32 v36, 0x800, v34
	ds_write_b16 v9, v11 offset:2048
	s_cmp_lt_i32 s14, 9
	ds_write_b16 v35, v10
	ds_write_b16 v35, v13 offset:512
	s_waitcnt lgkmcnt(0)
	s_barrier
	buffer_gl0_inv
	ds_read2_b64 v[10:13], v33 offset1:32
	ds_read2_b64 v[14:17], v36 offset0:48 offset1:56
	ds_read2_b64 v[18:21], v33 offset0:64 offset1:96
	ds_read2_b64 v[22:25], v36 offset1:8
	ds_read2_b64 v[26:29], v36 offset0:16 offset1:24
	ds_read2_b64 v[37:40], v36 offset0:32 offset1:40
	ds_write_b16 v9, v6 offset:2560
	ds_write_b16 v35, v8 offset:1024
	;; [unrolled: 1-line block ×3, first 2 shown]
	s_waitcnt lgkmcnt(0)
	s_barrier
	buffer_gl0_inv
	v_pk_max_f16 v10, v10, v10
	v_pk_max_f16 v16, v16, v16
	;; [unrolled: 1-line block ×6, first 2 shown]
	v_pk_min_f16 v36, v16, v10
	v_pk_max_f16 v22, v22, v22
	v_pk_max_f16 v20, v20, v20
	;; [unrolled: 1-line block ×4, first 2 shown]
	v_pk_min_f16 v41, v16, v12
	v_pk_max_f16 v28, v28, v28
	v_pk_max_f16 v37, v37, v37
	;; [unrolled: 1-line block ×5, first 2 shown]
	v_pk_add_f16 v36, v36, 0
	v_pk_min_f16 v51, v17, v11
	v_pk_min_f16 v43, v16, v18
	v_pk_min_f16 v44, v22, v10
	v_pk_min_f16 v45, v22, v12
	v_pk_min_f16 v46, v22, v18
	v_pk_min_f16 v22, v22, v20
	v_pk_min_f16 v47, v24, v10
	v_pk_min_f16 v48, v24, v12
	v_pk_min_f16 v49, v24, v18
	v_pk_min_f16 v24, v24, v20
	v_pk_min_f16 v50, v26, v10
	v_pk_min_f16 v52, v26, v12
	v_pk_min_f16 v53, v26, v18
	v_pk_min_f16 v26, v26, v20
	v_pk_min_f16 v54, v28, v10
	v_pk_min_f16 v55, v28, v12
	v_pk_min_f16 v56, v28, v18
	v_pk_min_f16 v28, v28, v20
	v_pk_min_f16 v57, v37, v10
	v_pk_max_f16 v19, v19, v19
	v_pk_max_f16 v21, v21, v21
	v_pk_min_f16 v60, v37, v12
	v_pk_min_f16 v61, v37, v18
	v_pk_max_f16 v23, v23, v23
	v_pk_min_f16 v37, v37, v20
	v_pk_min_f16 v62, v39, v10
	;; [unrolled: 1-line block ×10, first 2 shown]
	v_pk_add_f16 v69, v36, v51
	v_pk_add_f16 v20, v41, 0
	v_pk_min_f16 v36, v17, v13
	v_pk_max_f16 v25, v25, v25
	v_pk_add_f16 v44, v44, 0
	v_pk_min_f16 v58, v23, v11
	v_pk_min_f16 v65, v23, v13
	;; [unrolled: 1-line block ×3, first 2 shown]
	v_pk_add_f16 v59, v20, v36
	v_pk_add_f16 v20, v22, 0
	v_pk_min_f16 v23, v23, v21
	v_pk_add_f16 v41, v43, 0
	v_pk_min_f16 v43, v17, v19
	v_pk_add_f16 v70, v44, v58
	v_pk_add_f16 v22, v47, 0
	v_pk_add_f16 v44, v50, 0
	v_pk_add_f16 v50, v20, v23
	v_pk_min_f16 v20, v25, v11
	v_pk_add_f16 v46, v46, 0
	v_pk_add_f16 v51, v41, v43
	;; [unrolled: 1-line block ×3, first 2 shown]
	v_pk_max_f16 v27, v27, v27
	v_pk_add_f16 v41, v22, v20
	v_pk_min_f16 v20, v25, v13
	v_pk_add_f16 v45, v45, 0
	v_pk_add_f16 v58, v46, v66
	;; [unrolled: 1-line block ×5, first 2 shown]
	v_pk_min_f16 v20, v25, v19
	v_pk_min_f16 v25, v25, v21
	v_pk_max_f16 v29, v29, v29
	v_pk_add_f16 v67, v45, v65
	v_pk_add_f16 v45, v52, 0
	;; [unrolled: 1-line block ×5, first 2 shown]
	v_pk_min_f16 v20, v27, v11
	v_pk_min_f16 v24, v27, v13
	v_pk_add_f16 v46, v53, 0
	v_pk_add_f16 v26, v26, 0
	;; [unrolled: 1-line block ×6, first 2 shown]
	v_pk_min_f16 v20, v27, v19
	v_pk_min_f16 v24, v27, v21
	;; [unrolled: 1-line block ×3, first 2 shown]
	v_pk_add_f16 v47, v55, 0
	v_pk_add_f16 v52, v56, 0
	;; [unrolled: 1-line block ×8, first 2 shown]
	v_pk_min_f16 v20, v29, v13
	v_pk_min_f16 v23, v29, v19
	;; [unrolled: 1-line block ×3, first 2 shown]
	v_pk_max_f16 v26, v38, v38
	v_pk_add_f16 v54, v61, 0
	v_pk_add_f16 v68, v64, 0
	;; [unrolled: 1-line block ×5, first 2 shown]
	v_pk_min_f16 v20, v26, v11
	v_pk_min_f16 v23, v26, v13
	v_pk_min_f16 v24, v26, v19
	v_pk_max_f16 v27, v40, v40
	v_pk_max_f16 v15, v15, v15
	v_pk_add_f16 v61, v62, 0
	v_pk_add_f16 v62, v63, 0
	;; [unrolled: 1-line block ×7, first 2 shown]
	v_pk_min_f16 v26, v26, v21
	v_pk_add_f16 v36, v22, v20
	v_pk_add_f16 v63, v53, v23
	v_pk_add_f16 v54, v54, v24
	v_pk_min_f16 v20, v27, v11
	v_pk_min_f16 v22, v27, v13
	v_pk_min_f16 v23, v27, v19
	v_pk_min_f16 v24, v27, v21
	v_pk_min_f16 v11, v15, v11
	v_pk_min_f16 v13, v15, v13
	v_pk_min_f16 v19, v15, v19
	v_pk_min_f16 v15, v15, v21
	v_pk_min_f16 v17, v17, v21
	v_pk_add_f16 v46, v60, v26
	v_pk_add_f16 v38, v61, v20
	;; [unrolled: 1-line block ×10, first 2 shown]
	s_cbranch_scc1 .LBB303_34
; %bb.20:
	v_mad_i64_i32 v[5:6], null, s26, v5, 0
	v_lshlrev_b64 v[26:27], 1, v[2:3]
	v_add_nc_u32_e32 v60, 0x800, v9
	v_or_b32_e32 v68, 0x800, v34
	v_add_nc_u32_e32 v71, 0xa00, v9
	v_add_nc_u32_e32 v72, 0x400, v35
	v_lshl_add_u32 v73, v0, 3, 0xa00
	v_lshlrev_b64 v[5:6], 1, v[5:6]
	v_lshl_add_u32 v74, v1, 3, 0x400
	v_add_co_u32 v4, s6, v5, v4
	v_add_co_ci_u32_e64 v5, null, 0, v6, s6
	v_add_co_u32 v4, s6, s22, v4
	v_add_co_ci_u32_e64 v5, null, s23, v5, s6
	s_add_i32 s22, s14, -8
	v_add_co_u32 v28, s6, v4, 16
	v_add_co_ci_u32_e64 v29, null, 0, v5, s6
	s_branch .LBB303_22
.LBB303_21:                             ;   in Loop: Header=BB303_22 Depth=1
	s_or_b32 exec_lo, exec_lo, s7
	v_pk_max_f16 v4, v4, v4
	v_pk_max_f16 v22, v22, v22
	;; [unrolled: 1-line block ×7, first 2 shown]
	v_pk_min_f16 v78, v4, v22
	v_pk_min_f16 v79, v4, v24
	;; [unrolled: 1-line block ×3, first 2 shown]
	v_pk_max_f16 v16, v16, v16
	v_pk_min_f16 v87, v10, v22
	v_pk_max_f16 v12, v12, v12
	v_pk_min_f16 v88, v10, v24
	v_pk_min_f16 v89, v10, v18
	;; [unrolled: 1-line block ×3, first 2 shown]
	v_pk_max_f16 v6, v6, v6
	v_pk_max_f16 v23, v23, v23
	;; [unrolled: 1-line block ×15, first 2 shown]
	v_pk_min_f16 v81, v14, v22
	v_pk_min_f16 v82, v14, v24
	;; [unrolled: 1-line block ×57, first 2 shown]
	v_pk_add_f16 v3, v69, v78
	v_pk_add_f16 v5, v59, v79
	;; [unrolled: 1-line block ×17, first 2 shown]
	ds_read2_b64 v[2:5], v68 offset0:48 offset1:56
	ds_read2_b64 v[6:9], v33 offset1:32
	v_pk_add_f16 v66, v10, v11
	ds_read2_b64 v[10:13], v33 offset0:64 offset1:96
	v_pk_add_f16 v49, v65, v88
	v_pk_add_f16 v48, v64, v91
	;; [unrolled: 1-line block ×4, first 2 shown]
	ds_read2_b64 v[14:17], v68 offset1:8
	v_pk_add_f16 v59, v70, v81
	v_pk_add_f16 v67, v67, v82
	;; [unrolled: 1-line block ×10, first 2 shown]
	ds_read2_b64 v[18:21], v68 offset0:16 offset1:24
	s_waitcnt lgkmcnt(4)
	v_pk_max_f16 v4, v4, v4
	s_waitcnt lgkmcnt(3)
	v_pk_max_f16 v6, v6, v6
	v_pk_max_f16 v8, v8, v8
	s_waitcnt lgkmcnt(2)
	v_pk_max_f16 v10, v10, v10
	v_pk_add_f16 v58, v58, v100
	v_pk_max_f16 v12, v12, v12
	v_pk_min_f16 v22, v4, v6
	v_pk_min_f16 v23, v4, v8
	;; [unrolled: 1-line block ×3, first 2 shown]
	s_waitcnt lgkmcnt(1)
	v_pk_max_f16 v14, v14, v14
	v_pk_max_f16 v16, v16, v16
	v_pk_add_f16 v44, v44, v22
	v_pk_add_f16 v52, v52, v23
	;; [unrolled: 1-line block ×3, first 2 shown]
	v_pk_min_f16 v22, v14, v6
	v_pk_min_f16 v23, v14, v8
	;; [unrolled: 1-line block ×4, first 2 shown]
	v_pk_add_f16 v41, v41, v84
	v_pk_add_f16 v78, v59, v22
	;; [unrolled: 1-line block ×4, first 2 shown]
	ds_read2_b64 v[22:25], v68 offset0:32 offset1:40
	v_pk_add_f16 v39, v39, v87
	v_pk_add_f16 v50, v50, v102
	;; [unrolled: 1-line block ×3, first 2 shown]
	v_pk_min_f16 v64, v16, v8
	s_waitcnt lgkmcnt(1)
	v_pk_max_f16 v18, v18, v18
	v_pk_add_f16 v57, v57, v86
	v_pk_add_f16 v41, v41, v101
	;; [unrolled: 1-line block ×3, first 2 shown]
	v_pk_min_f16 v59, v16, v6
	v_pk_add_f16 v64, v50, v64
	v_pk_min_f16 v50, v18, v6
	v_pk_max_f16 v20, v20, v20
	v_pk_add_f16 v36, v36, v93
	v_pk_add_f16 v57, v57, v103
	;; [unrolled: 1-line block ×4, first 2 shown]
	v_pk_min_f16 v79, v16, v10
	v_pk_add_f16 v41, v41, v59
	v_pk_min_f16 v59, v18, v8
	v_pk_add_f16 v39, v39, v50
	v_pk_min_f16 v50, v20, v8
	s_waitcnt lgkmcnt(0)
	v_pk_max_f16 v22, v22, v22
	v_pk_add_f16 v37, v37, v90
	v_pk_add_f16 v63, v63, v94
	;; [unrolled: 1-line block ×6, first 2 shown]
	v_pk_min_f16 v49, v20, v6
	v_pk_min_f16 v59, v20, v10
	;; [unrolled: 1-line block ×3, first 2 shown]
	v_pk_add_f16 v80, v48, v50
	v_pk_min_f16 v48, v22, v6
	v_pk_add_f16 v37, v37, v107
	v_pk_add_f16 v63, v63, v112
	v_pk_add_f16 v46, v46, v114
	v_pk_min_f16 v16, v16, v12
	v_pk_add_f16 v20, v47, v20
	v_pk_min_f16 v47, v22, v8
	v_pk_max_f16 v24, v24, v24
	v_pk_add_f16 v36, v36, v48
	v_pk_min_f16 v48, v22, v10
	v_pk_min_f16 v22, v22, v12
	v_pk_max_f16 v2, v2, v2
	v_pk_max_f16 v5, v5, v5
	;; [unrolled: 1-line block ×3, first 2 shown]
	v_pk_add_f16 v55, v55, v92
	v_pk_add_f16 v40, v40, v119
	;; [unrolled: 1-line block ×3, first 2 shown]
	v_pk_min_f16 v65, v18, v10
	v_pk_min_f16 v18, v18, v12
	v_pk_add_f16 v37, v37, v49
	v_pk_add_f16 v63, v63, v47
	v_pk_min_f16 v47, v24, v6
	v_pk_min_f16 v49, v24, v8
	v_pk_add_f16 v22, v46, v22
	v_pk_min_f16 v46, v24, v10
	v_pk_min_f16 v24, v24, v12
	;; [unrolled: 1-line block ×6, first 2 shown]
	v_pk_max_f16 v9, v9, v9
	v_pk_min_f16 v4, v4, v12
	v_pk_max_f16 v11, v11, v11
	v_pk_min_f16 v12, v5, v7
	v_pk_add_f16 v55, v55, v109
	v_pk_add_f16 v8, v69, v8
	;; [unrolled: 1-line block ×3, first 2 shown]
	v_pk_min_f16 v40, v5, v9
	v_pk_add_f16 v4, v43, v4
	v_pk_min_f16 v43, v5, v11
	v_pk_max_f16 v15, v15, v15
	v_pk_add_f16 v69, v44, v12
	v_pk_max_f16 v12, v13, v13
	v_pk_add_f16 v56, v56, v89
	v_pk_add_f16 v62, v62, v97
	v_pk_add_f16 v55, v55, v59
	v_pk_add_f16 v59, v52, v40
	v_pk_add_f16 v51, v51, v43
	v_pk_min_f16 v13, v15, v7
	v_pk_min_f16 v40, v15, v9
	;; [unrolled: 1-line block ×4, first 2 shown]
	v_pk_max_f16 v17, v17, v17
	v_pk_add_f16 v54, v54, v95
	v_pk_add_f16 v56, v56, v106
	;; [unrolled: 1-line block ×6, first 2 shown]
	v_pk_min_f16 v13, v17, v7
	v_pk_min_f16 v14, v17, v9
	;; [unrolled: 1-line block ×4, first 2 shown]
	v_pk_max_f16 v19, v19, v19
	v_pk_add_f16 v38, v38, v96
	v_pk_add_f16 v54, v54, v113
	;; [unrolled: 1-line block ×9, first 2 shown]
	v_pk_min_f16 v13, v19, v7
	v_pk_min_f16 v14, v19, v9
	;; [unrolled: 1-line block ×4, first 2 shown]
	v_pk_max_f16 v17, v21, v21
	v_pk_add_f16 v53, v53, v98
	v_pk_add_f16 v38, v38, v115
	;; [unrolled: 1-line block ×7, first 2 shown]
	v_pk_min_f16 v13, v17, v7
	v_pk_min_f16 v14, v17, v9
	;; [unrolled: 1-line block ×4, first 2 shown]
	v_pk_max_f16 v17, v23, v23
	v_pk_add_f16 v53, v53, v117
	v_pk_add_f16 v45, v45, v118
	;; [unrolled: 1-line block ×7, first 2 shown]
	v_pk_min_f16 v13, v17, v7
	v_pk_min_f16 v14, v17, v9
	;; [unrolled: 1-line block ×4, first 2 shown]
	v_pk_max_f16 v17, v25, v25
	v_pk_max_f16 v3, v3, v3
	v_pk_add_f16 v53, v53, v46
	v_pk_add_f16 v24, v45, v24
	;; [unrolled: 1-line block ×7, first 2 shown]
	v_pk_min_f16 v13, v17, v7
	v_pk_min_f16 v14, v17, v9
	;; [unrolled: 1-line block ×9, first 2 shown]
	v_add_co_u32 v28, s6, v28, 16
	v_pk_add_f16 v67, v61, v40
	v_pk_add_f16 v58, v58, v43
	;; [unrolled: 1-line block ×11, first 2 shown]
	v_add_co_ci_u32_e64 v29, null, 0, v29, s6
	s_add_i32 s25, s25, 8
	ds_write_b16 v71, v75
	ds_write_b16 v72, v76
	ds_write_b16 v72, v77 offset:512
	s_cmp_ge_i32 s25, s22
	s_waitcnt lgkmcnt(0)
	s_barrier
	buffer_gl0_inv
	s_cbranch_scc1 .LBB303_34
.LBB303_22:                             ; =>This Inner Loop Header: Depth=1
	v_add_nc_u32_e32 v75, s25, v31
	v_mov_b32_e32 v76, 0
	v_add_nc_u32_e32 v2, 8, v75
	v_cmp_gt_i32_e64 s6, s14, v2
	s_and_b32 s6, s6, vcc_lo
	s_and_b32 s7, s1, s6
	s_and_saveexec_b32 s6, s7
	s_cbranch_execz .LBB303_24
; %bb.23:                               ;   in Loop: Header=BB303_22 Depth=1
	global_load_ushort v2, v[28:29], off
	s_waitcnt vmcnt(0)
	v_mul_f16_e32 v76, v30, v2
.LBB303_24:                             ;   in Loop: Header=BB303_22 Depth=1
	s_or_b32 exec_lo, exec_lo, s6
	v_add_nc_u32_e32 v77, s25, v32
	v_mov_b32_e32 v78, 0
	v_mov_b32_e32 v79, 0
	v_add_nc_u32_e32 v4, 8, v77
	v_min_i32_e32 v2, s19, v4
	v_cmp_le_i32_e64 s6, s14, v4
	v_mad_i64_i32 v[2:3], null, v2, s15, 0
	v_lshlrev_b64 v[2:3], 1, v[2:3]
	v_add_co_u32 v2, s7, s20, v2
	v_add_co_ci_u32_e64 v3, null, s21, v3, s7
	s_or_b32 s7, s2, s6
	s_nor_b32 s7, s7, s24
	s_and_saveexec_b32 s23, s7
	s_cbranch_execz .LBB303_26
; %bb.25:                               ;   in Loop: Header=BB303_22 Depth=1
	v_add_co_u32 v4, s7, v2, v26
	v_add_co_ci_u32_e64 v5, null, v3, v27, s7
	global_load_ushort v4, v[4:5], off
	s_waitcnt vmcnt(0)
	v_mul_f16_e32 v79, v30, v4
.LBB303_26:                             ;   in Loop: Header=BB303_22 Depth=1
	s_or_b32 exec_lo, exec_lo, s23
	s_or_b32 s6, s3, s6
	s_nor_b32 s6, s6, s24
	s_and_saveexec_b32 s7, s6
	s_cbranch_execz .LBB303_28
; %bb.27:                               ;   in Loop: Header=BB303_22 Depth=1
	v_add_co_u32 v2, s6, v2, v26
	v_add_co_ci_u32_e64 v3, null, v3, v27, s6
	global_load_ushort v2, v[2:3], off offset:128
	s_waitcnt vmcnt(0)
	v_mul_f16_e32 v78, v30, v2
.LBB303_28:                             ;   in Loop: Header=BB303_22 Depth=1
	s_or_b32 exec_lo, exec_lo, s7
	ds_read2_b64 v[2:5], v73 offset0:48 offset1:56
	ds_read2_b64 v[18:21], v74 offset0:64 offset1:96
	ds_read2_b64 v[22:25], v74 offset1:32
	ds_read2_b64 v[14:17], v73 offset1:8
	ds_read2_b64 v[10:13], v73 offset0:16 offset1:24
	ds_read2_b64 v[6:9], v73 offset0:32 offset1:40
	v_add_nc_u32_e32 v75, 12, v75
	ds_write_b16 v60, v76
	ds_write_b16 v35, v79
	v_mov_b32_e32 v76, 0
	ds_write_b16 v35, v78 offset:512
	s_waitcnt lgkmcnt(0)
	v_cmp_gt_i32_e64 s6, s14, v75
	v_mov_b32_e32 v75, 0
	s_barrier
	buffer_gl0_inv
	s_and_b32 s6, s6, vcc_lo
	s_and_b32 s6, s1, s6
	s_and_saveexec_b32 s7, s6
	s_xor_b32 s6, exec_lo, s7
	s_cbranch_execz .LBB303_30
; %bb.29:                               ;   in Loop: Header=BB303_22 Depth=1
	global_load_ushort v75, v[28:29], off offset:8
	s_waitcnt vmcnt(0)
	v_mul_f16_e32 v75, v30, v75
.LBB303_30:                             ;   in Loop: Header=BB303_22 Depth=1
	s_or_b32 exec_lo, exec_lo, s6
	v_add_nc_u32_e32 v80, 12, v77
	v_min_i32_e32 v77, s19, v80
	v_cmp_le_i32_e64 s6, s14, v80
	v_mad_i64_i32 v[77:78], null, v77, s15, 0
	v_lshlrev_b64 v[78:79], 1, v[77:78]
	v_add_co_u32 v78, s7, s20, v78
	v_add_co_ci_u32_e64 v79, null, s21, v79, s7
	s_or_b32 s7, s2, s6
	s_nor_b32 s7, s7, s24
	s_and_saveexec_b32 s23, s7
	s_cbranch_execz .LBB303_32
; %bb.31:                               ;   in Loop: Header=BB303_22 Depth=1
	v_add_co_u32 v76, s7, v78, v26
	v_add_co_ci_u32_e64 v77, null, v79, v27, s7
	global_load_ushort v76, v[76:77], off
	s_waitcnt vmcnt(0)
	v_mul_f16_e32 v76, v30, v76
.LBB303_32:                             ;   in Loop: Header=BB303_22 Depth=1
	s_or_b32 exec_lo, exec_lo, s23
	v_mov_b32_e32 v77, 0
	s_or_b32 s6, s3, s6
	s_nor_b32 s6, s6, s24
	s_and_saveexec_b32 s7, s6
	s_cbranch_execz .LBB303_21
; %bb.33:                               ;   in Loop: Header=BB303_22 Depth=1
	v_add_co_u32 v77, s6, v78, v26
	v_add_co_ci_u32_e64 v78, null, v79, v27, s6
	global_load_ushort v77, v[77:78], off offset:128
	s_waitcnt vmcnt(0)
	v_mul_f16_e32 v77, v30, v77
	s_branch .LBB303_21
.LBB303_34:
	s_clause 0x2
	s_load_dwordx2 s[2:3], s[4:5], 0x78
	s_load_dword s15, s[4:5], 0x58
	s_load_dword s14, s[4:5], 0x70
	v_add_nc_u32_e32 v68, s9, v1
	v_add_nc_u32_e32 v10, 0x800, v34
	ds_read2_b64 v[2:5], v33 offset0:192 offset1:224
	ds_read2_b64 v[22:25], v33 offset0:128 offset1:160
	v_add_nc_u32_e32 v0, s8, v0
	ds_read2_b64 v[6:9], v10 offset0:112 offset1:120
	ds_read2_b64 v[18:21], v10 offset0:64 offset1:72
	;; [unrolled: 1-line block ×4, first 2 shown]
	v_cmp_gt_i32_e64 s8, s13, v68
	v_ashrrev_i32_e32 v1, 31, v0
	v_cndmask_b32_e64 v60, 0, 1, s0
	s_waitcnt lgkmcnt(0)
	s_mul_i32 s1, s3, s18
	v_mad_i64_i32 v[26:27], null, v68, s15, 0
	v_mad_i64_i32 v[28:29], null, v68, s14, 0
	s_mul_hi_u32 s3, s2, s18
	s_mul_i32 s2, s2, s18
	s_add_i32 s3, s3, s1
	v_cmp_gt_i32_e64 s1, s12, v0
	v_lshlrev_b64 v[26:27], 1, v[26:27]
	s_lshl_b64 s[2:3], s[2:3], 1
	v_lshlrev_b64 v[28:29], 1, v[28:29]
	s_add_u32 s9, s10, s2
	s_addc_u32 s10, s11, s3
	s_and_b32 s2, s1, s8
	v_add_co_u32 v73, vcc_lo, s16, v26
	v_add_co_ci_u32_e64 v74, null, s17, v27, vcc_lo
	v_add_co_u32 v71, vcc_lo, s9, v28
	v_add_co_ci_u32_e64 v72, null, s10, v29, vcc_lo
	s_and_saveexec_b32 s3, s2
	s_xor_b32 s2, exec_lo, s3
	s_cbranch_execz .LBB303_39
; %bb.35:
	v_lshlrev_b64 v[26:27], 1, v[0:1]
	s_andn2_b32 vcc_lo, exec_lo, s0
	s_cbranch_vccnz .LBB303_37
; %bb.36:
	v_add_co_u32 v28, vcc_lo, v73, v26
	v_add_co_ci_u32_e64 v29, null, v74, v27, vcc_lo
	global_load_ushort v28, v[28:29], off
	s_waitcnt vmcnt(0)
	v_mul_f16_e32 v28, v42, v28
	s_branch .LBB303_38
.LBB303_37:
	v_mov_b32_e32 v28, 0
.LBB303_38:
	v_pk_max_f16 v29, v22, v22
	v_pk_max_f16 v30, v18, v18
	;; [unrolled: 1-line block ×4, first 2 shown]
	v_add_co_u32 v26, vcc_lo, v71, v26
	v_pk_min_f16 v29, v30, v29
	v_add_co_ci_u32_e64 v27, null, v72, v27, vcc_lo
	v_pk_min_f16 v30, v32, v31
	v_pk_add_f16 v29, v70, v29
	v_pk_add_f16 v29, v29, v30
	v_add_f16_sdwa v29, v29, v29 dst_sel:DWORD dst_unused:UNUSED_PAD src0_sel:DWORD src1_sel:WORD_1
	v_add_f16_e32 v28, v29, v28
	global_store_short v[26:27], v28, off
.LBB303_39:
	s_or_b32 exec_lo, exec_lo, s2
	v_add_nc_u32_e32 v26, 8, v0
	v_cmp_gt_i32_e64 s0, s12, v26
	v_ashrrev_i32_e32 v27, 31, v26
	s_and_b32 s3, s0, s8
	s_and_saveexec_b32 s2, s3
	s_cbranch_execz .LBB303_44
; %bb.40:
	v_cmp_ne_u32_e32 vcc_lo, 1, v60
	v_lshlrev_b64 v[28:29], 1, v[26:27]
	s_cbranch_vccnz .LBB303_42
; %bb.41:
	v_add_co_u32 v30, vcc_lo, v73, v28
	v_add_co_ci_u32_e64 v31, null, v74, v29, vcc_lo
	global_load_ushort v30, v[30:31], off
	s_waitcnt vmcnt(0)
	v_mul_f16_e32 v30, v42, v30
	s_branch .LBB303_43
.LBB303_42:
	v_mov_b32_e32 v30, 0
.LBB303_43:
	v_pk_max_f16 v31, v22, v22
	v_pk_max_f16 v32, v20, v20
	v_pk_max_f16 v33, v23, v23
	v_pk_max_f16 v34, v21, v21
	v_add_co_u32 v28, vcc_lo, v71, v28
	v_pk_min_f16 v31, v32, v31
	v_add_co_ci_u32_e64 v29, null, v72, v29, vcc_lo
	v_pk_min_f16 v32, v34, v33
	v_pk_add_f16 v31, v41, v31
	v_pk_add_f16 v31, v31, v32
	v_add_f16_sdwa v31, v31, v31 dst_sel:DWORD dst_unused:UNUSED_PAD src0_sel:DWORD src1_sel:WORD_1
	v_add_f16_e32 v30, v31, v30
	global_store_short v[28:29], v30, off
.LBB303_44:
	s_or_b32 exec_lo, exec_lo, s2
	v_add_nc_u32_e32 v28, 16, v0
	v_cmp_gt_i32_e64 s2, s12, v28
	v_ashrrev_i32_e32 v29, 31, v28
	s_and_b32 s4, s2, s8
	s_and_saveexec_b32 s3, s4
	s_cbranch_execz .LBB303_49
; %bb.45:
	v_cmp_ne_u32_e32 vcc_lo, 1, v60
	v_lshlrev_b64 v[30:31], 1, v[28:29]
	s_cbranch_vccnz .LBB303_47
; %bb.46:
	v_add_co_u32 v32, vcc_lo, v73, v30
	v_add_co_ci_u32_e64 v33, null, v74, v31, vcc_lo
	global_load_ushort v32, v[32:33], off
	s_waitcnt vmcnt(0)
	v_mul_f16_e32 v32, v42, v32
	s_branch .LBB303_48
.LBB303_47:
	v_mov_b32_e32 v32, 0
.LBB303_48:
	v_pk_max_f16 v33, v22, v22
	v_pk_max_f16 v34, v14, v14
	v_pk_max_f16 v35, v23, v23
	v_pk_max_f16 v41, v15, v15
	v_add_co_u32 v30, vcc_lo, v71, v30
	v_pk_min_f16 v33, v34, v33
	v_add_co_ci_u32_e64 v31, null, v72, v31, vcc_lo
	v_pk_min_f16 v34, v41, v35
	v_pk_add_f16 v33, v39, v33
	v_pk_add_f16 v33, v33, v34
	v_add_f16_sdwa v33, v33, v33 dst_sel:DWORD dst_unused:UNUSED_PAD src0_sel:DWORD src1_sel:WORD_1
	v_add_f16_e32 v32, v33, v32
	global_store_short v[30:31], v32, off
.LBB303_49:
	;; [unrolled: 35-line block ×6, first 2 shown]
	s_or_b32 exec_lo, exec_lo, s7
	v_add_nc_u32_e32 v38, 56, v0
	v_cmp_gt_i32_e64 s7, s12, v38
	v_ashrrev_i32_e32 v39, 31, v38
	s_and_b32 s11, s7, s8
	s_and_saveexec_b32 s8, s11
	s_cbranch_execz .LBB303_74
; %bb.70:
	v_cmp_ne_u32_e32 vcc_lo, 1, v60
	v_lshlrev_b64 v[40:41], 1, v[38:39]
	s_cbranch_vccnz .LBB303_72
; %bb.71:
	v_add_co_u32 v73, vcc_lo, v73, v40
	v_add_co_ci_u32_e64 v74, null, v74, v41, vcc_lo
	global_load_ushort v70, v[73:74], off
	s_waitcnt vmcnt(0)
	v_mul_f16_e32 v70, v42, v70
	s_branch .LBB303_73
.LBB303_72:
	v_mov_b32_e32 v70, 0
.LBB303_73:
	v_pk_max_f16 v22, v22, v22
	v_pk_max_f16 v73, v8, v8
	;; [unrolled: 1-line block ×4, first 2 shown]
	v_pk_min_f16 v22, v73, v22
	v_pk_min_f16 v23, v74, v23
	v_pk_add_f16 v22, v69, v22
	v_pk_add_f16 v22, v22, v23
	v_add_f16_sdwa v22, v22, v22 dst_sel:DWORD dst_unused:UNUSED_PAD src0_sel:DWORD src1_sel:WORD_1
	v_add_f16_e32 v69, v22, v70
	v_add_co_u32 v22, vcc_lo, v71, v40
	v_add_co_ci_u32_e64 v23, null, v72, v41, vcc_lo
	global_store_short v[22:23], v69, off
.LBB303_74:
	s_or_b32 exec_lo, exec_lo, s8
	v_add_nc_u32_e32 v69, 32, v68
	v_mad_i64_i32 v[22:23], null, v69, s15, 0
	v_mad_i64_i32 v[40:41], null, v69, s14, 0
	v_cmp_gt_i32_e64 s8, s13, v69
	v_lshlrev_b64 v[22:23], 1, v[22:23]
	s_and_b32 s12, s1, s8
	v_lshlrev_b64 v[40:41], 1, v[40:41]
	v_add_co_u32 v69, vcc_lo, s16, v22
	v_add_co_ci_u32_e64 v70, null, s17, v23, vcc_lo
	v_add_co_u32 v40, vcc_lo, s9, v40
	v_add_co_ci_u32_e64 v41, null, s10, v41, vcc_lo
	s_and_saveexec_b32 s11, s12
	s_cbranch_execnz .LBB303_82
; %bb.75:
	s_or_b32 exec_lo, exec_lo, s11
	s_and_b32 s12, s0, s8
	s_and_saveexec_b32 s11, s12
	s_cbranch_execnz .LBB303_86
.LBB303_76:
	s_or_b32 exec_lo, exec_lo, s11
	s_and_b32 s12, s2, s8
	s_and_saveexec_b32 s11, s12
	s_cbranch_execnz .LBB303_90
.LBB303_77:
	s_or_b32 exec_lo, exec_lo, s11
	s_and_b32 s12, s3, s8
	s_and_saveexec_b32 s11, s12
	s_cbranch_execnz .LBB303_94
.LBB303_78:
	s_or_b32 exec_lo, exec_lo, s11
	s_and_b32 s12, s4, s8
	s_and_saveexec_b32 s11, s12
	s_cbranch_execnz .LBB303_98
.LBB303_79:
	s_or_b32 exec_lo, exec_lo, s11
	s_and_b32 s12, s5, s8
	s_and_saveexec_b32 s11, s12
	s_cbranch_execnz .LBB303_102
.LBB303_80:
	s_or_b32 exec_lo, exec_lo, s11
	s_and_b32 s12, s6, s8
	s_and_saveexec_b32 s11, s12
	s_cbranch_execnz .LBB303_106
.LBB303_81:
	s_or_b32 exec_lo, exec_lo, s11
	s_and_b32 s11, s7, s8
	s_and_saveexec_b32 s8, s11
	s_cbranch_execnz .LBB303_110
	s_branch .LBB303_114
.LBB303_82:
	v_cmp_ne_u32_e32 vcc_lo, 1, v60
	v_lshlrev_b64 v[22:23], 1, v[0:1]
	s_cbranch_vccnz .LBB303_84
; %bb.83:
	v_add_co_u32 v71, vcc_lo, v69, v22
	v_add_co_ci_u32_e64 v72, null, v70, v23, vcc_lo
	global_load_ushort v71, v[71:72], off
	s_waitcnt vmcnt(0)
	v_mul_f16_e32 v71, v42, v71
	s_branch .LBB303_85
.LBB303_84:
	v_mov_b32_e32 v71, 0
.LBB303_85:
	v_pk_max_f16 v72, v24, v24
	v_pk_max_f16 v73, v18, v18
	;; [unrolled: 1-line block ×4, first 2 shown]
	v_add_co_u32 v22, vcc_lo, v40, v22
	v_pk_min_f16 v72, v73, v72
	v_add_co_ci_u32_e64 v23, null, v41, v23, vcc_lo
	v_pk_min_f16 v73, v75, v74
	v_pk_add_f16 v67, v67, v72
	v_pk_add_f16 v67, v67, v73
	v_add_f16_sdwa v67, v67, v67 dst_sel:DWORD dst_unused:UNUSED_PAD src0_sel:DWORD src1_sel:WORD_1
	v_add_f16_e32 v67, v67, v71
	global_store_short v[22:23], v67, off
	s_or_b32 exec_lo, exec_lo, s11
	s_and_b32 s12, s0, s8
	s_and_saveexec_b32 s11, s12
	s_cbranch_execz .LBB303_76
.LBB303_86:
	v_cmp_ne_u32_e32 vcc_lo, 1, v60
	v_lshlrev_b64 v[22:23], 1, v[26:27]
	s_cbranch_vccnz .LBB303_88
; %bb.87:
	v_add_co_u32 v71, vcc_lo, v69, v22
	v_add_co_ci_u32_e64 v72, null, v70, v23, vcc_lo
	global_load_ushort v67, v[71:72], off
	s_waitcnt vmcnt(0)
	v_mul_f16_e32 v67, v42, v67
	s_branch .LBB303_89
.LBB303_88:
	v_mov_b32_e32 v67, 0
.LBB303_89:
	v_pk_max_f16 v71, v24, v24
	v_pk_max_f16 v72, v20, v20
	;; [unrolled: 1-line block ×4, first 2 shown]
	v_add_co_u32 v22, vcc_lo, v40, v22
	v_pk_min_f16 v71, v72, v71
	v_add_co_ci_u32_e64 v23, null, v41, v23, vcc_lo
	v_pk_min_f16 v72, v74, v73
	v_pk_add_f16 v66, v66, v71
	v_pk_add_f16 v66, v66, v72
	v_add_f16_sdwa v66, v66, v66 dst_sel:DWORD dst_unused:UNUSED_PAD src0_sel:DWORD src1_sel:WORD_1
	v_add_f16_e32 v66, v66, v67
	global_store_short v[22:23], v66, off
	s_or_b32 exec_lo, exec_lo, s11
	s_and_b32 s12, s2, s8
	s_and_saveexec_b32 s11, s12
	s_cbranch_execz .LBB303_77
.LBB303_90:
	v_cmp_ne_u32_e32 vcc_lo, 1, v60
	v_lshlrev_b64 v[22:23], 1, v[28:29]
	s_cbranch_vccnz .LBB303_92
; %bb.91:
	v_add_co_u32 v66, vcc_lo, v69, v22
	v_add_co_ci_u32_e64 v67, null, v70, v23, vcc_lo
	global_load_ushort v66, v[66:67], off
	s_waitcnt vmcnt(0)
	v_mul_f16_e32 v66, v42, v66
	s_branch .LBB303_93
.LBB303_92:
	v_mov_b32_e32 v66, 0
.LBB303_93:
	v_pk_max_f16 v67, v24, v24
	v_pk_max_f16 v71, v14, v14
	;; [unrolled: 1-line block ×4, first 2 shown]
	v_add_co_u32 v22, vcc_lo, v40, v22
	v_pk_min_f16 v67, v71, v67
	v_add_co_ci_u32_e64 v23, null, v41, v23, vcc_lo
	v_pk_min_f16 v71, v73, v72
	v_pk_add_f16 v65, v65, v67
	v_pk_add_f16 v65, v65, v71
	v_add_f16_sdwa v65, v65, v65 dst_sel:DWORD dst_unused:UNUSED_PAD src0_sel:DWORD src1_sel:WORD_1
	v_add_f16_e32 v65, v65, v66
	global_store_short v[22:23], v65, off
	s_or_b32 exec_lo, exec_lo, s11
	s_and_b32 s12, s3, s8
	s_and_saveexec_b32 s11, s12
	s_cbranch_execz .LBB303_78
.LBB303_94:
	v_cmp_ne_u32_e32 vcc_lo, 1, v60
	v_lshlrev_b64 v[22:23], 1, v[30:31]
	s_cbranch_vccnz .LBB303_96
; %bb.95:
	v_add_co_u32 v65, vcc_lo, v69, v22
	v_add_co_ci_u32_e64 v66, null, v70, v23, vcc_lo
	global_load_ushort v65, v[65:66], off
	s_waitcnt vmcnt(0)
	v_mul_f16_e32 v65, v42, v65
	s_branch .LBB303_97
.LBB303_96:
	v_mov_b32_e32 v65, 0
.LBB303_97:
	v_pk_max_f16 v66, v24, v24
	v_pk_max_f16 v67, v16, v16
	;; [unrolled: 1-line block ×4, first 2 shown]
	v_add_co_u32 v22, vcc_lo, v40, v22
	v_pk_min_f16 v66, v67, v66
	v_add_co_ci_u32_e64 v23, null, v41, v23, vcc_lo
	v_pk_min_f16 v67, v72, v71
	v_pk_add_f16 v64, v64, v66
	v_pk_add_f16 v64, v64, v67
	v_add_f16_sdwa v64, v64, v64 dst_sel:DWORD dst_unused:UNUSED_PAD src0_sel:DWORD src1_sel:WORD_1
	v_add_f16_e32 v64, v64, v65
	global_store_short v[22:23], v64, off
	s_or_b32 exec_lo, exec_lo, s11
	s_and_b32 s12, s4, s8
	s_and_saveexec_b32 s11, s12
	s_cbranch_execz .LBB303_79
.LBB303_98:
	v_cmp_ne_u32_e32 vcc_lo, 1, v60
	v_lshlrev_b64 v[22:23], 1, v[32:33]
	s_cbranch_vccnz .LBB303_100
; %bb.99:
	v_add_co_u32 v64, vcc_lo, v69, v22
	v_add_co_ci_u32_e64 v65, null, v70, v23, vcc_lo
	global_load_ushort v64, v[64:65], off
	s_waitcnt vmcnt(0)
	v_mul_f16_e32 v64, v42, v64
	s_branch .LBB303_101
.LBB303_100:
	v_mov_b32_e32 v64, 0
.LBB303_101:
	v_pk_max_f16 v65, v24, v24
	v_pk_max_f16 v66, v10, v10
	;; [unrolled: 1-line block ×4, first 2 shown]
	v_add_co_u32 v22, vcc_lo, v40, v22
	v_pk_min_f16 v65, v66, v65
	v_add_co_ci_u32_e64 v23, null, v41, v23, vcc_lo
	v_pk_min_f16 v66, v71, v67
	v_pk_add_f16 v63, v63, v65
	v_pk_add_f16 v63, v63, v66
	v_add_f16_sdwa v63, v63, v63 dst_sel:DWORD dst_unused:UNUSED_PAD src0_sel:DWORD src1_sel:WORD_1
	v_add_f16_e32 v63, v63, v64
	global_store_short v[22:23], v63, off
	s_or_b32 exec_lo, exec_lo, s11
	s_and_b32 s12, s5, s8
	s_and_saveexec_b32 s11, s12
	s_cbranch_execz .LBB303_80
.LBB303_102:
	v_cmp_ne_u32_e32 vcc_lo, 1, v60
	v_lshlrev_b64 v[22:23], 1, v[34:35]
	s_cbranch_vccnz .LBB303_104
; %bb.103:
	v_add_co_u32 v63, vcc_lo, v69, v22
	v_add_co_ci_u32_e64 v64, null, v70, v23, vcc_lo
	global_load_ushort v63, v[63:64], off
	s_waitcnt vmcnt(0)
	v_mul_f16_e32 v63, v42, v63
	s_branch .LBB303_105
.LBB303_104:
	v_mov_b32_e32 v63, 0
.LBB303_105:
	v_pk_max_f16 v64, v24, v24
	v_pk_max_f16 v65, v12, v12
	;; [unrolled: 1-line block ×4, first 2 shown]
	v_add_co_u32 v22, vcc_lo, v40, v22
	v_pk_min_f16 v64, v65, v64
	v_add_co_ci_u32_e64 v23, null, v41, v23, vcc_lo
	v_pk_min_f16 v65, v67, v66
	v_pk_add_f16 v62, v62, v64
	v_pk_add_f16 v62, v62, v65
	v_add_f16_sdwa v62, v62, v62 dst_sel:DWORD dst_unused:UNUSED_PAD src0_sel:DWORD src1_sel:WORD_1
	v_add_f16_e32 v62, v62, v63
	global_store_short v[22:23], v62, off
	s_or_b32 exec_lo, exec_lo, s11
	s_and_b32 s12, s6, s8
	s_and_saveexec_b32 s11, s12
	s_cbranch_execz .LBB303_81
.LBB303_106:
	v_cmp_ne_u32_e32 vcc_lo, 1, v60
	v_lshlrev_b64 v[22:23], 1, v[36:37]
	s_cbranch_vccnz .LBB303_108
; %bb.107:
	v_add_co_u32 v62, vcc_lo, v69, v22
	v_add_co_ci_u32_e64 v63, null, v70, v23, vcc_lo
	global_load_ushort v62, v[62:63], off
	s_waitcnt vmcnt(0)
	v_mul_f16_e32 v62, v42, v62
	s_branch .LBB303_109
.LBB303_108:
	v_mov_b32_e32 v62, 0
.LBB303_109:
	v_pk_max_f16 v63, v24, v24
	v_pk_max_f16 v64, v6, v6
	;; [unrolled: 1-line block ×4, first 2 shown]
	v_add_co_u32 v22, vcc_lo, v40, v22
	v_pk_min_f16 v63, v64, v63
	v_add_co_ci_u32_e64 v23, null, v41, v23, vcc_lo
	v_pk_min_f16 v64, v66, v65
	v_pk_add_f16 v61, v61, v63
	v_pk_add_f16 v61, v61, v64
	v_add_f16_sdwa v61, v61, v61 dst_sel:DWORD dst_unused:UNUSED_PAD src0_sel:DWORD src1_sel:WORD_1
	v_add_f16_e32 v61, v61, v62
	global_store_short v[22:23], v61, off
	s_or_b32 exec_lo, exec_lo, s11
	s_and_b32 s11, s7, s8
	s_and_saveexec_b32 s8, s11
	s_cbranch_execz .LBB303_114
.LBB303_110:
	v_cmp_ne_u32_e32 vcc_lo, 1, v60
	v_lshlrev_b64 v[22:23], 1, v[38:39]
	s_cbranch_vccnz .LBB303_112
; %bb.111:
	v_add_co_u32 v61, vcc_lo, v69, v22
	v_add_co_ci_u32_e64 v62, null, v70, v23, vcc_lo
	global_load_ushort v61, v[61:62], off
	s_waitcnt vmcnt(0)
	v_mul_f16_e32 v61, v42, v61
	s_branch .LBB303_113
.LBB303_112:
	v_mov_b32_e32 v61, 0
.LBB303_113:
	v_pk_max_f16 v24, v24, v24
	v_pk_max_f16 v62, v8, v8
	;; [unrolled: 1-line block ×4, first 2 shown]
	v_add_co_u32 v22, vcc_lo, v40, v22
	v_pk_min_f16 v24, v62, v24
	v_add_co_ci_u32_e64 v23, null, v41, v23, vcc_lo
	v_pk_min_f16 v25, v63, v25
	v_pk_add_f16 v24, v59, v24
	v_pk_add_f16 v24, v24, v25
	v_add_f16_sdwa v24, v24, v24 dst_sel:DWORD dst_unused:UNUSED_PAD src0_sel:DWORD src1_sel:WORD_1
	v_add_f16_e32 v24, v24, v61
	global_store_short v[22:23], v24, off
.LBB303_114:
	s_or_b32 exec_lo, exec_lo, s8
	v_add_nc_u32_e32 v40, 64, v68
	v_mad_i64_i32 v[22:23], null, v40, s15, 0
	v_mad_i64_i32 v[24:25], null, v40, s14, 0
	v_cmp_gt_i32_e64 s8, s13, v40
	v_lshlrev_b64 v[22:23], 1, v[22:23]
	s_and_b32 s12, s1, s8
	v_lshlrev_b64 v[24:25], 1, v[24:25]
	v_add_co_u32 v40, vcc_lo, s16, v22
	v_add_co_ci_u32_e64 v41, null, s17, v23, vcc_lo
	v_add_co_u32 v24, vcc_lo, s9, v24
	v_add_co_ci_u32_e64 v25, null, s10, v25, vcc_lo
	s_and_saveexec_b32 s11, s12
	s_cbranch_execnz .LBB303_122
; %bb.115:
	s_or_b32 exec_lo, exec_lo, s11
	s_and_b32 s12, s0, s8
	s_and_saveexec_b32 s11, s12
	s_cbranch_execnz .LBB303_126
.LBB303_116:
	s_or_b32 exec_lo, exec_lo, s11
	s_and_b32 s12, s2, s8
	s_and_saveexec_b32 s11, s12
	s_cbranch_execnz .LBB303_130
.LBB303_117:
	s_or_b32 exec_lo, exec_lo, s11
	s_and_b32 s12, s3, s8
	s_and_saveexec_b32 s11, s12
	s_cbranch_execnz .LBB303_134
.LBB303_118:
	s_or_b32 exec_lo, exec_lo, s11
	s_and_b32 s12, s4, s8
	s_and_saveexec_b32 s11, s12
	s_cbranch_execnz .LBB303_138
.LBB303_119:
	s_or_b32 exec_lo, exec_lo, s11
	s_and_b32 s12, s5, s8
	s_and_saveexec_b32 s11, s12
	s_cbranch_execnz .LBB303_142
.LBB303_120:
	s_or_b32 exec_lo, exec_lo, s11
	s_and_b32 s12, s6, s8
	s_and_saveexec_b32 s11, s12
	s_cbranch_execnz .LBB303_146
.LBB303_121:
	s_or_b32 exec_lo, exec_lo, s11
	s_and_b32 s11, s7, s8
	s_and_saveexec_b32 s8, s11
	s_cbranch_execnz .LBB303_150
	s_branch .LBB303_154
.LBB303_122:
	v_cmp_ne_u32_e32 vcc_lo, 1, v60
	v_lshlrev_b64 v[22:23], 1, v[0:1]
	s_cbranch_vccnz .LBB303_124
; %bb.123:
	v_add_co_u32 v61, vcc_lo, v40, v22
	v_add_co_ci_u32_e64 v62, null, v41, v23, vcc_lo
	global_load_ushort v59, v[61:62], off
	s_waitcnt vmcnt(0)
	v_mul_f16_e32 v59, v42, v59
	s_branch .LBB303_125
.LBB303_124:
	v_mov_b32_e32 v59, 0
.LBB303_125:
	v_pk_max_f16 v61, v2, v2
	v_pk_max_f16 v62, v18, v18
	;; [unrolled: 1-line block ×4, first 2 shown]
	v_add_co_u32 v22, vcc_lo, v24, v22
	v_pk_min_f16 v61, v62, v61
	v_add_co_ci_u32_e64 v23, null, v25, v23, vcc_lo
	v_pk_min_f16 v62, v64, v63
	v_pk_add_f16 v58, v58, v61
	v_pk_add_f16 v58, v58, v62
	v_add_f16_sdwa v58, v58, v58 dst_sel:DWORD dst_unused:UNUSED_PAD src0_sel:DWORD src1_sel:WORD_1
	v_add_f16_e32 v58, v58, v59
	global_store_short v[22:23], v58, off
	s_or_b32 exec_lo, exec_lo, s11
	s_and_b32 s12, s0, s8
	s_and_saveexec_b32 s11, s12
	s_cbranch_execz .LBB303_116
.LBB303_126:
	v_cmp_ne_u32_e32 vcc_lo, 1, v60
	v_lshlrev_b64 v[22:23], 1, v[26:27]
	s_cbranch_vccnz .LBB303_128
; %bb.127:
	v_add_co_u32 v58, vcc_lo, v40, v22
	v_add_co_ci_u32_e64 v59, null, v41, v23, vcc_lo
	global_load_ushort v58, v[58:59], off
	s_waitcnt vmcnt(0)
	v_mul_f16_e32 v58, v42, v58
	s_branch .LBB303_129
.LBB303_128:
	v_mov_b32_e32 v58, 0
.LBB303_129:
	v_pk_max_f16 v59, v2, v2
	v_pk_max_f16 v61, v20, v20
	;; [unrolled: 1-line block ×4, first 2 shown]
	v_add_co_u32 v22, vcc_lo, v24, v22
	v_pk_min_f16 v59, v61, v59
	v_add_co_ci_u32_e64 v23, null, v25, v23, vcc_lo
	v_pk_min_f16 v61, v63, v62
	v_pk_add_f16 v57, v57, v59
	v_pk_add_f16 v57, v57, v61
	v_add_f16_sdwa v57, v57, v57 dst_sel:DWORD dst_unused:UNUSED_PAD src0_sel:DWORD src1_sel:WORD_1
	v_add_f16_e32 v57, v57, v58
	global_store_short v[22:23], v57, off
	s_or_b32 exec_lo, exec_lo, s11
	s_and_b32 s12, s2, s8
	s_and_saveexec_b32 s11, s12
	s_cbranch_execz .LBB303_117
.LBB303_130:
	v_cmp_ne_u32_e32 vcc_lo, 1, v60
	v_lshlrev_b64 v[22:23], 1, v[28:29]
	s_cbranch_vccnz .LBB303_132
; %bb.131:
	v_add_co_u32 v57, vcc_lo, v40, v22
	v_add_co_ci_u32_e64 v58, null, v41, v23, vcc_lo
	global_load_ushort v57, v[57:58], off
	s_waitcnt vmcnt(0)
	v_mul_f16_e32 v57, v42, v57
	s_branch .LBB303_133
.LBB303_132:
	v_mov_b32_e32 v57, 0
.LBB303_133:
	v_pk_max_f16 v58, v2, v2
	v_pk_max_f16 v59, v14, v14
	;; [unrolled: 1-line block ×4, first 2 shown]
	v_add_co_u32 v22, vcc_lo, v24, v22
	v_pk_min_f16 v58, v59, v58
	v_add_co_ci_u32_e64 v23, null, v25, v23, vcc_lo
	v_pk_min_f16 v59, v62, v61
	v_pk_add_f16 v56, v56, v58
	v_pk_add_f16 v56, v56, v59
	v_add_f16_sdwa v56, v56, v56 dst_sel:DWORD dst_unused:UNUSED_PAD src0_sel:DWORD src1_sel:WORD_1
	v_add_f16_e32 v56, v56, v57
	global_store_short v[22:23], v56, off
	s_or_b32 exec_lo, exec_lo, s11
	s_and_b32 s12, s3, s8
	s_and_saveexec_b32 s11, s12
	s_cbranch_execz .LBB303_118
.LBB303_134:
	v_cmp_ne_u32_e32 vcc_lo, 1, v60
	v_lshlrev_b64 v[22:23], 1, v[30:31]
	s_cbranch_vccnz .LBB303_136
; %bb.135:
	v_add_co_u32 v56, vcc_lo, v40, v22
	v_add_co_ci_u32_e64 v57, null, v41, v23, vcc_lo
	global_load_ushort v56, v[56:57], off
	s_waitcnt vmcnt(0)
	v_mul_f16_e32 v56, v42, v56
	s_branch .LBB303_137
.LBB303_136:
	v_mov_b32_e32 v56, 0
.LBB303_137:
	v_pk_max_f16 v57, v2, v2
	v_pk_max_f16 v58, v16, v16
	;; [unrolled: 1-line block ×4, first 2 shown]
	v_add_co_u32 v22, vcc_lo, v24, v22
	v_pk_min_f16 v57, v58, v57
	v_add_co_ci_u32_e64 v23, null, v25, v23, vcc_lo
	v_pk_min_f16 v58, v61, v59
	v_pk_add_f16 v55, v55, v57
	v_pk_add_f16 v55, v55, v58
	v_add_f16_sdwa v55, v55, v55 dst_sel:DWORD dst_unused:UNUSED_PAD src0_sel:DWORD src1_sel:WORD_1
	v_add_f16_e32 v55, v55, v56
	global_store_short v[22:23], v55, off
	s_or_b32 exec_lo, exec_lo, s11
	s_and_b32 s12, s4, s8
	s_and_saveexec_b32 s11, s12
	s_cbranch_execz .LBB303_119
.LBB303_138:
	v_cmp_ne_u32_e32 vcc_lo, 1, v60
	v_lshlrev_b64 v[22:23], 1, v[32:33]
	s_cbranch_vccnz .LBB303_140
; %bb.139:
	v_add_co_u32 v55, vcc_lo, v40, v22
	v_add_co_ci_u32_e64 v56, null, v41, v23, vcc_lo
	global_load_ushort v55, v[55:56], off
	s_waitcnt vmcnt(0)
	v_mul_f16_e32 v55, v42, v55
	s_branch .LBB303_141
.LBB303_140:
	v_mov_b32_e32 v55, 0
.LBB303_141:
	v_pk_max_f16 v56, v2, v2
	v_pk_max_f16 v57, v10, v10
	;; [unrolled: 1-line block ×4, first 2 shown]
	v_add_co_u32 v22, vcc_lo, v24, v22
	v_pk_min_f16 v56, v57, v56
	v_add_co_ci_u32_e64 v23, null, v25, v23, vcc_lo
	v_pk_min_f16 v57, v59, v58
	v_pk_add_f16 v54, v54, v56
	v_pk_add_f16 v54, v54, v57
	v_add_f16_sdwa v54, v54, v54 dst_sel:DWORD dst_unused:UNUSED_PAD src0_sel:DWORD src1_sel:WORD_1
	v_add_f16_e32 v54, v54, v55
	global_store_short v[22:23], v54, off
	s_or_b32 exec_lo, exec_lo, s11
	s_and_b32 s12, s5, s8
	s_and_saveexec_b32 s11, s12
	s_cbranch_execz .LBB303_120
.LBB303_142:
	v_cmp_ne_u32_e32 vcc_lo, 1, v60
	v_lshlrev_b64 v[22:23], 1, v[34:35]
	s_cbranch_vccnz .LBB303_144
; %bb.143:
	v_add_co_u32 v54, vcc_lo, v40, v22
	v_add_co_ci_u32_e64 v55, null, v41, v23, vcc_lo
	global_load_ushort v54, v[54:55], off
	s_waitcnt vmcnt(0)
	v_mul_f16_e32 v54, v42, v54
	s_branch .LBB303_145
.LBB303_144:
	v_mov_b32_e32 v54, 0
.LBB303_145:
	v_pk_max_f16 v55, v2, v2
	v_pk_max_f16 v56, v12, v12
	;; [unrolled: 1-line block ×4, first 2 shown]
	v_add_co_u32 v22, vcc_lo, v24, v22
	v_pk_min_f16 v55, v56, v55
	v_add_co_ci_u32_e64 v23, null, v25, v23, vcc_lo
	v_pk_min_f16 v56, v58, v57
	v_pk_add_f16 v53, v53, v55
	v_pk_add_f16 v53, v53, v56
	v_add_f16_sdwa v53, v53, v53 dst_sel:DWORD dst_unused:UNUSED_PAD src0_sel:DWORD src1_sel:WORD_1
	v_add_f16_e32 v53, v53, v54
	global_store_short v[22:23], v53, off
	s_or_b32 exec_lo, exec_lo, s11
	s_and_b32 s12, s6, s8
	s_and_saveexec_b32 s11, s12
	s_cbranch_execz .LBB303_121
.LBB303_146:
	v_cmp_ne_u32_e32 vcc_lo, 1, v60
	v_lshlrev_b64 v[22:23], 1, v[36:37]
	s_cbranch_vccnz .LBB303_148
; %bb.147:
	v_add_co_u32 v53, vcc_lo, v40, v22
	v_add_co_ci_u32_e64 v54, null, v41, v23, vcc_lo
	global_load_ushort v53, v[53:54], off
	s_waitcnt vmcnt(0)
	v_mul_f16_e32 v53, v42, v53
	s_branch .LBB303_149
.LBB303_148:
	v_mov_b32_e32 v53, 0
.LBB303_149:
	v_pk_max_f16 v54, v2, v2
	v_pk_max_f16 v55, v6, v6
	;; [unrolled: 1-line block ×4, first 2 shown]
	v_add_co_u32 v22, vcc_lo, v24, v22
	v_pk_min_f16 v54, v55, v54
	v_add_co_ci_u32_e64 v23, null, v25, v23, vcc_lo
	v_pk_min_f16 v55, v57, v56
	v_pk_add_f16 v52, v52, v54
	v_pk_add_f16 v52, v52, v55
	v_add_f16_sdwa v52, v52, v52 dst_sel:DWORD dst_unused:UNUSED_PAD src0_sel:DWORD src1_sel:WORD_1
	v_add_f16_e32 v52, v52, v53
	global_store_short v[22:23], v52, off
	s_or_b32 exec_lo, exec_lo, s11
	s_and_b32 s11, s7, s8
	s_and_saveexec_b32 s8, s11
	s_cbranch_execz .LBB303_154
.LBB303_150:
	v_cmp_ne_u32_e32 vcc_lo, 1, v60
	v_lshlrev_b64 v[22:23], 1, v[38:39]
	s_cbranch_vccnz .LBB303_152
; %bb.151:
	v_add_co_u32 v40, vcc_lo, v40, v22
	v_add_co_ci_u32_e64 v41, null, v41, v23, vcc_lo
	global_load_ushort v40, v[40:41], off
	s_waitcnt vmcnt(0)
	v_mul_f16_e32 v40, v42, v40
	s_branch .LBB303_153
.LBB303_152:
	v_mov_b32_e32 v40, 0
.LBB303_153:
	v_pk_max_f16 v2, v2, v2
	v_pk_max_f16 v41, v8, v8
	;; [unrolled: 1-line block ×4, first 2 shown]
	v_pk_min_f16 v2, v41, v2
	v_pk_min_f16 v3, v52, v3
	v_pk_add_f16 v2, v51, v2
	v_pk_add_f16 v2, v2, v3
	v_add_f16_sdwa v2, v2, v2 dst_sel:DWORD dst_unused:UNUSED_PAD src0_sel:DWORD src1_sel:WORD_1
	v_add_f16_e32 v40, v2, v40
	v_add_co_u32 v2, vcc_lo, v24, v22
	v_add_co_ci_u32_e64 v3, null, v25, v23, vcc_lo
	global_store_short v[2:3], v40, off
.LBB303_154:
	s_or_b32 exec_lo, exec_lo, s8
	v_add_nc_u32_e32 v24, 0x60, v68
	v_mad_i64_i32 v[2:3], null, v24, s15, 0
	v_mad_i64_i32 v[22:23], null, v24, s14, 0
	v_cmp_gt_i32_e64 s8, s13, v24
	v_lshlrev_b64 v[2:3], 1, v[2:3]
	v_lshlrev_b64 v[24:25], 1, v[22:23]
	v_add_co_u32 v22, vcc_lo, s16, v2
	v_add_co_ci_u32_e64 v23, null, s17, v3, vcc_lo
	v_add_co_u32 v2, vcc_lo, s9, v24
	v_add_co_ci_u32_e64 v3, null, s10, v25, vcc_lo
	s_and_b32 s9, s1, s8
	s_and_saveexec_b32 s1, s9
	s_cbranch_execnz .LBB303_163
; %bb.155:
	s_or_b32 exec_lo, exec_lo, s1
	s_and_b32 s1, s0, s8
	s_and_saveexec_b32 s0, s1
	s_cbranch_execnz .LBB303_167
.LBB303_156:
	s_or_b32 exec_lo, exec_lo, s0
	s_and_b32 s1, s2, s8
	s_and_saveexec_b32 s0, s1
	s_cbranch_execnz .LBB303_171
.LBB303_157:
	s_or_b32 exec_lo, exec_lo, s0
	s_and_b32 s1, s3, s8
	s_and_saveexec_b32 s0, s1
	s_cbranch_execnz .LBB303_175
.LBB303_158:
	s_or_b32 exec_lo, exec_lo, s0
	s_and_b32 s1, s4, s8
	s_and_saveexec_b32 s0, s1
	s_cbranch_execnz .LBB303_179
.LBB303_159:
	s_or_b32 exec_lo, exec_lo, s0
	s_and_b32 s1, s5, s8
	s_and_saveexec_b32 s0, s1
	s_cbranch_execnz .LBB303_183
.LBB303_160:
	s_or_b32 exec_lo, exec_lo, s0
	s_and_b32 s1, s6, s8
	s_and_saveexec_b32 s0, s1
	s_cbranch_execnz .LBB303_187
.LBB303_161:
	s_or_b32 exec_lo, exec_lo, s0
	s_and_b32 s0, s7, s8
	s_and_saveexec_b32 s1, s0
	s_cbranch_execnz .LBB303_191
.LBB303_162:
	s_endpgm
.LBB303_163:
	v_cmp_ne_u32_e32 vcc_lo, 1, v60
	v_lshlrev_b64 v[0:1], 1, v[0:1]
	s_cbranch_vccnz .LBB303_165
; %bb.164:
	v_add_co_u32 v24, vcc_lo, v22, v0
	v_add_co_ci_u32_e64 v25, null, v23, v1, vcc_lo
	global_load_ushort v24, v[24:25], off
	s_waitcnt vmcnt(0)
	v_mul_f16_e32 v24, v42, v24
	s_branch .LBB303_166
.LBB303_165:
	v_mov_b32_e32 v24, 0
.LBB303_166:
	v_pk_max_f16 v25, v4, v4
	v_pk_max_f16 v18, v18, v18
	;; [unrolled: 1-line block ×4, first 2 shown]
	v_add_co_u32 v0, vcc_lo, v2, v0
	v_pk_min_f16 v18, v18, v25
	v_add_co_ci_u32_e64 v1, null, v3, v1, vcc_lo
	v_pk_min_f16 v19, v19, v40
	v_pk_add_f16 v18, v50, v18
	v_pk_add_f16 v18, v18, v19
	v_add_f16_sdwa v18, v18, v18 dst_sel:DWORD dst_unused:UNUSED_PAD src0_sel:DWORD src1_sel:WORD_1
	v_add_f16_e32 v18, v18, v24
	global_store_short v[0:1], v18, off
	s_or_b32 exec_lo, exec_lo, s1
	s_and_b32 s1, s0, s8
	s_and_saveexec_b32 s0, s1
	s_cbranch_execz .LBB303_156
.LBB303_167:
	v_cmp_ne_u32_e32 vcc_lo, 1, v60
	v_lshlrev_b64 v[0:1], 1, v[26:27]
	s_cbranch_vccnz .LBB303_169
; %bb.168:
	v_add_co_u32 v18, vcc_lo, v22, v0
	v_add_co_ci_u32_e64 v19, null, v23, v1, vcc_lo
	global_load_ushort v18, v[18:19], off
	s_waitcnt vmcnt(0)
	v_mul_f16_e32 v18, v42, v18
	s_branch .LBB303_170
.LBB303_169:
	v_mov_b32_e32 v18, 0
.LBB303_170:
	v_pk_max_f16 v19, v4, v4
	v_pk_max_f16 v20, v20, v20
	;; [unrolled: 1-line block ×4, first 2 shown]
	v_add_co_u32 v0, vcc_lo, v2, v0
	v_pk_min_f16 v19, v20, v19
	v_add_co_ci_u32_e64 v1, null, v3, v1, vcc_lo
	v_pk_min_f16 v20, v21, v24
	v_pk_add_f16 v19, v49, v19
	v_pk_add_f16 v19, v19, v20
	v_add_f16_sdwa v19, v19, v19 dst_sel:DWORD dst_unused:UNUSED_PAD src0_sel:DWORD src1_sel:WORD_1
	v_add_f16_e32 v18, v19, v18
	global_store_short v[0:1], v18, off
	s_or_b32 exec_lo, exec_lo, s0
	s_and_b32 s1, s2, s8
	s_and_saveexec_b32 s0, s1
	s_cbranch_execz .LBB303_157
.LBB303_171:
	v_cmp_ne_u32_e32 vcc_lo, 1, v60
	v_lshlrev_b64 v[0:1], 1, v[28:29]
	s_cbranch_vccnz .LBB303_173
; %bb.172:
	v_add_co_u32 v18, vcc_lo, v22, v0
	v_add_co_ci_u32_e64 v19, null, v23, v1, vcc_lo
	global_load_ushort v18, v[18:19], off
	s_waitcnt vmcnt(0)
	v_mul_f16_e32 v18, v42, v18
	s_branch .LBB303_174
.LBB303_173:
	v_mov_b32_e32 v18, 0
.LBB303_174:
	v_pk_max_f16 v19, v4, v4
	v_pk_max_f16 v14, v14, v14
	;; [unrolled: 1-line block ×4, first 2 shown]
	v_add_co_u32 v0, vcc_lo, v2, v0
	v_pk_min_f16 v14, v14, v19
	v_add_co_ci_u32_e64 v1, null, v3, v1, vcc_lo
	v_pk_min_f16 v15, v15, v20
	v_pk_add_f16 v14, v48, v14
	v_pk_add_f16 v14, v14, v15
	v_add_f16_sdwa v14, v14, v14 dst_sel:DWORD dst_unused:UNUSED_PAD src0_sel:DWORD src1_sel:WORD_1
	v_add_f16_e32 v14, v14, v18
	global_store_short v[0:1], v14, off
	s_or_b32 exec_lo, exec_lo, s0
	s_and_b32 s1, s3, s8
	s_and_saveexec_b32 s0, s1
	s_cbranch_execz .LBB303_158
.LBB303_175:
	v_cmp_ne_u32_e32 vcc_lo, 1, v60
	v_lshlrev_b64 v[0:1], 1, v[30:31]
	s_cbranch_vccnz .LBB303_177
; %bb.176:
	v_add_co_u32 v14, vcc_lo, v22, v0
	v_add_co_ci_u32_e64 v15, null, v23, v1, vcc_lo
	global_load_ushort v14, v[14:15], off
	s_waitcnt vmcnt(0)
	v_mul_f16_e32 v14, v42, v14
	s_branch .LBB303_178
.LBB303_177:
	v_mov_b32_e32 v14, 0
.LBB303_178:
	v_pk_max_f16 v15, v4, v4
	v_pk_max_f16 v16, v16, v16
	;; [unrolled: 1-line block ×4, first 2 shown]
	v_add_co_u32 v0, vcc_lo, v2, v0
	v_pk_min_f16 v15, v16, v15
	v_add_co_ci_u32_e64 v1, null, v3, v1, vcc_lo
	v_pk_min_f16 v16, v17, v18
	v_pk_add_f16 v15, v47, v15
	v_pk_add_f16 v15, v15, v16
	v_add_f16_sdwa v15, v15, v15 dst_sel:DWORD dst_unused:UNUSED_PAD src0_sel:DWORD src1_sel:WORD_1
	v_add_f16_e32 v14, v15, v14
	global_store_short v[0:1], v14, off
	s_or_b32 exec_lo, exec_lo, s0
	s_and_b32 s1, s4, s8
	s_and_saveexec_b32 s0, s1
	s_cbranch_execz .LBB303_159
.LBB303_179:
	v_cmp_ne_u32_e32 vcc_lo, 1, v60
	v_lshlrev_b64 v[0:1], 1, v[32:33]
	s_cbranch_vccnz .LBB303_181
; %bb.180:
	v_add_co_u32 v14, vcc_lo, v22, v0
	v_add_co_ci_u32_e64 v15, null, v23, v1, vcc_lo
	global_load_ushort v14, v[14:15], off
	s_waitcnt vmcnt(0)
	v_mul_f16_e32 v14, v42, v14
	s_branch .LBB303_182
.LBB303_181:
	v_mov_b32_e32 v14, 0
.LBB303_182:
	v_pk_max_f16 v15, v4, v4
	v_pk_max_f16 v10, v10, v10
	;; [unrolled: 1-line block ×4, first 2 shown]
	v_add_co_u32 v0, vcc_lo, v2, v0
	v_pk_min_f16 v10, v10, v15
	v_add_co_ci_u32_e64 v1, null, v3, v1, vcc_lo
	v_pk_min_f16 v11, v11, v16
	v_pk_add_f16 v10, v46, v10
	v_pk_add_f16 v10, v10, v11
	v_add_f16_sdwa v10, v10, v10 dst_sel:DWORD dst_unused:UNUSED_PAD src0_sel:DWORD src1_sel:WORD_1
	v_add_f16_e32 v10, v10, v14
	global_store_short v[0:1], v10, off
	s_or_b32 exec_lo, exec_lo, s0
	s_and_b32 s1, s5, s8
	s_and_saveexec_b32 s0, s1
	s_cbranch_execz .LBB303_160
.LBB303_183:
	v_cmp_ne_u32_e32 vcc_lo, 1, v60
	v_lshlrev_b64 v[0:1], 1, v[34:35]
	s_cbranch_vccnz .LBB303_185
; %bb.184:
	v_add_co_u32 v10, vcc_lo, v22, v0
	v_add_co_ci_u32_e64 v11, null, v23, v1, vcc_lo
	global_load_ushort v10, v[10:11], off
	s_waitcnt vmcnt(0)
	v_mul_f16_e32 v10, v42, v10
	s_branch .LBB303_186
.LBB303_185:
	v_mov_b32_e32 v10, 0
.LBB303_186:
	v_pk_max_f16 v11, v4, v4
	v_pk_max_f16 v12, v12, v12
	;; [unrolled: 1-line block ×4, first 2 shown]
	v_add_co_u32 v0, vcc_lo, v2, v0
	v_pk_min_f16 v11, v12, v11
	v_add_co_ci_u32_e64 v1, null, v3, v1, vcc_lo
	v_pk_min_f16 v12, v13, v14
	v_pk_add_f16 v11, v45, v11
	v_pk_add_f16 v11, v11, v12
	v_add_f16_sdwa v11, v11, v11 dst_sel:DWORD dst_unused:UNUSED_PAD src0_sel:DWORD src1_sel:WORD_1
	v_add_f16_e32 v10, v11, v10
	global_store_short v[0:1], v10, off
	s_or_b32 exec_lo, exec_lo, s0
	s_and_b32 s1, s6, s8
	s_and_saveexec_b32 s0, s1
	s_cbranch_execz .LBB303_161
.LBB303_187:
	v_cmp_ne_u32_e32 vcc_lo, 1, v60
	v_lshlrev_b64 v[0:1], 1, v[36:37]
	s_cbranch_vccnz .LBB303_189
; %bb.188:
	v_add_co_u32 v10, vcc_lo, v22, v0
	v_add_co_ci_u32_e64 v11, null, v23, v1, vcc_lo
	global_load_ushort v10, v[10:11], off
	s_waitcnt vmcnt(0)
	v_mul_f16_e32 v10, v42, v10
	s_branch .LBB303_190
.LBB303_189:
	v_mov_b32_e32 v10, 0
.LBB303_190:
	v_pk_max_f16 v11, v4, v4
	v_pk_max_f16 v6, v6, v6
	;; [unrolled: 1-line block ×4, first 2 shown]
	v_add_co_u32 v0, vcc_lo, v2, v0
	v_pk_min_f16 v6, v6, v11
	v_add_co_ci_u32_e64 v1, null, v3, v1, vcc_lo
	v_pk_min_f16 v7, v7, v12
	v_pk_add_f16 v6, v44, v6
	v_pk_add_f16 v6, v6, v7
	v_add_f16_sdwa v6, v6, v6 dst_sel:DWORD dst_unused:UNUSED_PAD src0_sel:DWORD src1_sel:WORD_1
	v_add_f16_e32 v6, v6, v10
	global_store_short v[0:1], v6, off
	s_or_b32 exec_lo, exec_lo, s0
	s_and_b32 s0, s7, s8
	s_and_saveexec_b32 s1, s0
	s_cbranch_execz .LBB303_162
.LBB303_191:
	v_cmp_ne_u32_e32 vcc_lo, 1, v60
	v_lshlrev_b64 v[0:1], 1, v[38:39]
	s_cbranch_vccnz .LBB303_193
; %bb.192:
	v_add_co_u32 v6, vcc_lo, v22, v0
	v_add_co_ci_u32_e64 v7, null, v23, v1, vcc_lo
	global_load_ushort v6, v[6:7], off
	s_waitcnt vmcnt(0)
	v_mul_f16_e32 v6, v42, v6
	s_branch .LBB303_194
.LBB303_193:
	v_mov_b32_e32 v6, 0
.LBB303_194:
	v_pk_max_f16 v4, v4, v4
	v_pk_max_f16 v7, v8, v8
	v_pk_max_f16 v5, v5, v5
	v_pk_max_f16 v8, v9, v9
	v_add_co_u32 v0, vcc_lo, v2, v0
	v_pk_min_f16 v4, v7, v4
	v_add_co_ci_u32_e64 v1, null, v3, v1, vcc_lo
	v_pk_min_f16 v5, v8, v5
	v_pk_add_f16 v4, v43, v4
	v_pk_add_f16 v4, v4, v5
	v_add_f16_sdwa v4, v4, v4 dst_sel:DWORD dst_unused:UNUSED_PAD src0_sel:DWORD src1_sel:WORD_1
	v_add_f16_e32 v4, v4, v6
	global_store_short v[0:1], v4, off
	s_endpgm
	.section	.rodata,"a",@progbits
	.p2align	6, 0x0
	.amdhsa_kernel _ZN12_GLOBAL__N_120geam_min_plus_kernelIDF16_Dv2_DF16_S1_Li8ELi32ELi64ELi128ELi4ELi4ELi64ELi64ELi4ELc84ELc84ELb0ELb1ELb0EPKDF16_S2_DF16_EEviiiT16_PT17_ilS6_ilS4_S6_ilPT18_ili26rocblas_geam_ex_operation_
		.amdhsa_group_segment_fixed_size 3072
		.amdhsa_private_segment_fixed_size 0
		.amdhsa_kernarg_size 136
		.amdhsa_user_sgpr_count 6
		.amdhsa_user_sgpr_private_segment_buffer 1
		.amdhsa_user_sgpr_dispatch_ptr 0
		.amdhsa_user_sgpr_queue_ptr 0
		.amdhsa_user_sgpr_kernarg_segment_ptr 1
		.amdhsa_user_sgpr_dispatch_id 0
		.amdhsa_user_sgpr_flat_scratch_init 0
		.amdhsa_user_sgpr_private_segment_size 0
		.amdhsa_wavefront_size32 1
		.amdhsa_uses_dynamic_stack 0
		.amdhsa_system_sgpr_private_segment_wavefront_offset 0
		.amdhsa_system_sgpr_workgroup_id_x 1
		.amdhsa_system_sgpr_workgroup_id_y 0
		.amdhsa_system_sgpr_workgroup_id_z 1
		.amdhsa_system_sgpr_workgroup_info 0
		.amdhsa_system_vgpr_workitem_id 1
		.amdhsa_next_free_vgpr 120
		.amdhsa_next_free_sgpr 27
		.amdhsa_reserve_vcc 1
		.amdhsa_reserve_flat_scratch 0
		.amdhsa_float_round_mode_32 0
		.amdhsa_float_round_mode_16_64 0
		.amdhsa_float_denorm_mode_32 3
		.amdhsa_float_denorm_mode_16_64 3
		.amdhsa_dx10_clamp 1
		.amdhsa_ieee_mode 1
		.amdhsa_fp16_overflow 0
		.amdhsa_workgroup_processor_mode 1
		.amdhsa_memory_ordered 1
		.amdhsa_forward_progress 1
		.amdhsa_shared_vgpr_count 0
		.amdhsa_exception_fp_ieee_invalid_op 0
		.amdhsa_exception_fp_denorm_src 0
		.amdhsa_exception_fp_ieee_div_zero 0
		.amdhsa_exception_fp_ieee_overflow 0
		.amdhsa_exception_fp_ieee_underflow 0
		.amdhsa_exception_fp_ieee_inexact 0
		.amdhsa_exception_int_div_zero 0
	.end_amdhsa_kernel
	.section	.text._ZN12_GLOBAL__N_120geam_min_plus_kernelIDF16_Dv2_DF16_S1_Li8ELi32ELi64ELi128ELi4ELi4ELi64ELi64ELi4ELc84ELc84ELb0ELb1ELb0EPKDF16_S2_DF16_EEviiiT16_PT17_ilS6_ilS4_S6_ilPT18_ili26rocblas_geam_ex_operation_,"axG",@progbits,_ZN12_GLOBAL__N_120geam_min_plus_kernelIDF16_Dv2_DF16_S1_Li8ELi32ELi64ELi128ELi4ELi4ELi64ELi64ELi4ELc84ELc84ELb0ELb1ELb0EPKDF16_S2_DF16_EEviiiT16_PT17_ilS6_ilS4_S6_ilPT18_ili26rocblas_geam_ex_operation_,comdat
.Lfunc_end303:
	.size	_ZN12_GLOBAL__N_120geam_min_plus_kernelIDF16_Dv2_DF16_S1_Li8ELi32ELi64ELi128ELi4ELi4ELi64ELi64ELi4ELc84ELc84ELb0ELb1ELb0EPKDF16_S2_DF16_EEviiiT16_PT17_ilS6_ilS4_S6_ilPT18_ili26rocblas_geam_ex_operation_, .Lfunc_end303-_ZN12_GLOBAL__N_120geam_min_plus_kernelIDF16_Dv2_DF16_S1_Li8ELi32ELi64ELi128ELi4ELi4ELi64ELi64ELi4ELc84ELc84ELb0ELb1ELb0EPKDF16_S2_DF16_EEviiiT16_PT17_ilS6_ilS4_S6_ilPT18_ili26rocblas_geam_ex_operation_
                                        ; -- End function
	.set _ZN12_GLOBAL__N_120geam_min_plus_kernelIDF16_Dv2_DF16_S1_Li8ELi32ELi64ELi128ELi4ELi4ELi64ELi64ELi4ELc84ELc84ELb0ELb1ELb0EPKDF16_S2_DF16_EEviiiT16_PT17_ilS6_ilS4_S6_ilPT18_ili26rocblas_geam_ex_operation_.num_vgpr, 120
	.set _ZN12_GLOBAL__N_120geam_min_plus_kernelIDF16_Dv2_DF16_S1_Li8ELi32ELi64ELi128ELi4ELi4ELi64ELi64ELi4ELc84ELc84ELb0ELb1ELb0EPKDF16_S2_DF16_EEviiiT16_PT17_ilS6_ilS4_S6_ilPT18_ili26rocblas_geam_ex_operation_.num_agpr, 0
	.set _ZN12_GLOBAL__N_120geam_min_plus_kernelIDF16_Dv2_DF16_S1_Li8ELi32ELi64ELi128ELi4ELi4ELi64ELi64ELi4ELc84ELc84ELb0ELb1ELb0EPKDF16_S2_DF16_EEviiiT16_PT17_ilS6_ilS4_S6_ilPT18_ili26rocblas_geam_ex_operation_.numbered_sgpr, 27
	.set _ZN12_GLOBAL__N_120geam_min_plus_kernelIDF16_Dv2_DF16_S1_Li8ELi32ELi64ELi128ELi4ELi4ELi64ELi64ELi4ELc84ELc84ELb0ELb1ELb0EPKDF16_S2_DF16_EEviiiT16_PT17_ilS6_ilS4_S6_ilPT18_ili26rocblas_geam_ex_operation_.num_named_barrier, 0
	.set _ZN12_GLOBAL__N_120geam_min_plus_kernelIDF16_Dv2_DF16_S1_Li8ELi32ELi64ELi128ELi4ELi4ELi64ELi64ELi4ELc84ELc84ELb0ELb1ELb0EPKDF16_S2_DF16_EEviiiT16_PT17_ilS6_ilS4_S6_ilPT18_ili26rocblas_geam_ex_operation_.private_seg_size, 0
	.set _ZN12_GLOBAL__N_120geam_min_plus_kernelIDF16_Dv2_DF16_S1_Li8ELi32ELi64ELi128ELi4ELi4ELi64ELi64ELi4ELc84ELc84ELb0ELb1ELb0EPKDF16_S2_DF16_EEviiiT16_PT17_ilS6_ilS4_S6_ilPT18_ili26rocblas_geam_ex_operation_.uses_vcc, 1
	.set _ZN12_GLOBAL__N_120geam_min_plus_kernelIDF16_Dv2_DF16_S1_Li8ELi32ELi64ELi128ELi4ELi4ELi64ELi64ELi4ELc84ELc84ELb0ELb1ELb0EPKDF16_S2_DF16_EEviiiT16_PT17_ilS6_ilS4_S6_ilPT18_ili26rocblas_geam_ex_operation_.uses_flat_scratch, 0
	.set _ZN12_GLOBAL__N_120geam_min_plus_kernelIDF16_Dv2_DF16_S1_Li8ELi32ELi64ELi128ELi4ELi4ELi64ELi64ELi4ELc84ELc84ELb0ELb1ELb0EPKDF16_S2_DF16_EEviiiT16_PT17_ilS6_ilS4_S6_ilPT18_ili26rocblas_geam_ex_operation_.has_dyn_sized_stack, 0
	.set _ZN12_GLOBAL__N_120geam_min_plus_kernelIDF16_Dv2_DF16_S1_Li8ELi32ELi64ELi128ELi4ELi4ELi64ELi64ELi4ELc84ELc84ELb0ELb1ELb0EPKDF16_S2_DF16_EEviiiT16_PT17_ilS6_ilS4_S6_ilPT18_ili26rocblas_geam_ex_operation_.has_recursion, 0
	.set _ZN12_GLOBAL__N_120geam_min_plus_kernelIDF16_Dv2_DF16_S1_Li8ELi32ELi64ELi128ELi4ELi4ELi64ELi64ELi4ELc84ELc84ELb0ELb1ELb0EPKDF16_S2_DF16_EEviiiT16_PT17_ilS6_ilS4_S6_ilPT18_ili26rocblas_geam_ex_operation_.has_indirect_call, 0
	.section	.AMDGPU.csdata,"",@progbits
; Kernel info:
; codeLenInByte = 12072
; TotalNumSgprs: 29
; NumVgprs: 120
; ScratchSize: 0
; MemoryBound: 0
; FloatMode: 240
; IeeeMode: 1
; LDSByteSize: 3072 bytes/workgroup (compile time only)
; SGPRBlocks: 0
; VGPRBlocks: 14
; NumSGPRsForWavesPerEU: 29
; NumVGPRsForWavesPerEU: 120
; Occupancy: 8
; WaveLimiterHint : 0
; COMPUTE_PGM_RSRC2:SCRATCH_EN: 0
; COMPUTE_PGM_RSRC2:USER_SGPR: 6
; COMPUTE_PGM_RSRC2:TRAP_HANDLER: 0
; COMPUTE_PGM_RSRC2:TGID_X_EN: 1
; COMPUTE_PGM_RSRC2:TGID_Y_EN: 0
; COMPUTE_PGM_RSRC2:TGID_Z_EN: 1
; COMPUTE_PGM_RSRC2:TIDIG_COMP_CNT: 1
	.section	.text._ZN12_GLOBAL__N_120geam_min_plus_kernelIDF16_Dv2_DF16_S1_Li8ELi32ELi64ELi128ELi4ELi4ELi64ELi64ELi4ELc84ELc84ELb1ELb1ELb0EDF16_KDF16_DF16_EEviiiT16_PT17_ilS5_ilS3_S5_ilPT18_ili26rocblas_geam_ex_operation_,"axG",@progbits,_ZN12_GLOBAL__N_120geam_min_plus_kernelIDF16_Dv2_DF16_S1_Li8ELi32ELi64ELi128ELi4ELi4ELi64ELi64ELi4ELc84ELc84ELb1ELb1ELb0EDF16_KDF16_DF16_EEviiiT16_PT17_ilS5_ilS3_S5_ilPT18_ili26rocblas_geam_ex_operation_,comdat
	.globl	_ZN12_GLOBAL__N_120geam_min_plus_kernelIDF16_Dv2_DF16_S1_Li8ELi32ELi64ELi128ELi4ELi4ELi64ELi64ELi4ELc84ELc84ELb1ELb1ELb0EDF16_KDF16_DF16_EEviiiT16_PT17_ilS5_ilS3_S5_ilPT18_ili26rocblas_geam_ex_operation_ ; -- Begin function _ZN12_GLOBAL__N_120geam_min_plus_kernelIDF16_Dv2_DF16_S1_Li8ELi32ELi64ELi128ELi4ELi4ELi64ELi64ELi4ELc84ELc84ELb1ELb1ELb0EDF16_KDF16_DF16_EEviiiT16_PT17_ilS5_ilS3_S5_ilPT18_ili26rocblas_geam_ex_operation_
	.p2align	8
	.type	_ZN12_GLOBAL__N_120geam_min_plus_kernelIDF16_Dv2_DF16_S1_Li8ELi32ELi64ELi128ELi4ELi4ELi64ELi64ELi4ELc84ELc84ELb1ELb1ELb0EDF16_KDF16_DF16_EEviiiT16_PT17_ilS5_ilS3_S5_ilPT18_ili26rocblas_geam_ex_operation_,@function
_ZN12_GLOBAL__N_120geam_min_plus_kernelIDF16_Dv2_DF16_S1_Li8ELi32ELi64ELi128ELi4ELi4ELi64ELi64ELi4ELc84ELc84ELb1ELb1ELb0EDF16_KDF16_DF16_EEviiiT16_PT17_ilS5_ilS3_S5_ilPT18_ili26rocblas_geam_ex_operation_: ; @_ZN12_GLOBAL__N_120geam_min_plus_kernelIDF16_Dv2_DF16_S1_Li8ELi32ELi64ELi128ELi4ELi4ELi64ELi64ELi4ELc84ELc84ELb1ELb1ELb0EDF16_KDF16_DF16_EEviiiT16_PT17_ilS5_ilS3_S5_ilPT18_ili26rocblas_geam_ex_operation_
; %bb.0:
	s_clause 0x1
	s_load_dwordx4 s[12:15], s[4:5], 0x0
	s_load_dwordx4 s[0:3], s[4:5], 0x20
	s_waitcnt lgkmcnt(0)
	v_cmp_eq_f16_e64 s8, s15, 0
	s_and_b32 vcc_lo, exec_lo, s8
	s_cbranch_vccnz .LBB304_37
; %bb.1:
	s_load_dwordx2 s[10:11], s[4:5], 0x10
	s_mul_i32 s1, s1, s7
	s_mul_hi_u32 s9, s0, s7
	s_mul_i32 s0, s0, s7
	s_add_i32 s1, s9, s1
	s_lshl_b64 s[0:1], s[0:1], 1
	s_waitcnt lgkmcnt(0)
	s_add_u32 s18, s10, s0
	s_addc_u32 s19, s11, s1
	s_andn2_b32 vcc_lo, exec_lo, s8
	s_mov_b32 s0, -1
	s_cbranch_vccnz .LBB304_3
.LBB304_2:
	s_mov_b32 s0, 0
.LBB304_3:
	s_mov_b64 s[16:17], 0
	s_andn2_b32 vcc_lo, exec_lo, s0
	s_mov_b64 s[20:21], 0
	s_cbranch_vccnz .LBB304_5
; %bb.4:
	s_load_dwordx2 s[0:1], s[4:5], 0x38
	s_waitcnt lgkmcnt(0)
	s_mul_i32 s1, s1, s7
	s_mul_hi_u32 s8, s0, s7
	s_mul_i32 s0, s0, s7
	s_add_i32 s1, s8, s1
	s_lshl_b64 s[0:1], s[0:1], 1
	s_add_u32 s20, s2, s0
	s_addc_u32 s21, s3, s1
.LBB304_5:
	s_clause 0x1
	s_load_dword s15, s[4:5], 0x40
	s_load_dwordx4 s[8:11], s[4:5], 0x58
	s_waitcnt lgkmcnt(0)
	v_cmp_eq_f16_e64 s0, s15, 0
	v_cmp_neq_f16_e64 s3, s15, 0
	s_and_b32 vcc_lo, exec_lo, s0
	s_cbranch_vccnz .LBB304_7
; %bb.6:
	s_load_dwordx2 s[0:1], s[4:5], 0x48
	s_mul_i32 s2, s9, s7
	s_mul_hi_u32 s9, s8, s7
	s_mul_i32 s8, s8, s7
	s_add_i32 s9, s9, s2
	s_lshl_b64 s[8:9], s[8:9], 1
	s_waitcnt lgkmcnt(0)
	s_add_u32 s16, s0, s8
	s_addc_u32 s17, s1, s9
.LBB304_7:
	s_add_i32 s0, s12, -1
	s_load_dword s25, s[4:5], 0x18
	s_ashr_i32 s1, s0, 31
	v_and_b32_e32 v32, 3, v0
	s_lshr_b32 s1, s1, 26
	v_mov_b32_e32 v10, 0
	s_add_i32 s0, s0, s1
	v_mov_b32_e32 v11, 0
	s_ashr_i32 s0, s0, 6
	v_cmp_gt_i32_e32 vcc_lo, s14, v32
	s_add_i32 s1, s0, 1
	s_not_b32 s0, s0
	v_cvt_f32_u32_e32 v2, s1
	v_lshlrev_b32_e32 v4, 1, v32
	v_rcp_iflag_f32_e32 v2, v2
	v_mul_f32_e32 v2, 0x4f7ffffe, v2
	v_cvt_u32_f32_e32 v2, v2
	v_readfirstlane_b32 s2, v2
	v_lshl_add_u32 v2, v1, 3, v0
	s_mul_i32 s0, s0, s2
	v_lshrrev_b32_e32 v8, 2, v2
	s_mul_hi_u32 s0, s2, s0
	s_add_i32 s2, s2, s0
	s_mul_hi_u32 s0, s6, s2
	s_mul_i32 s2, s0, s1
	s_add_i32 s8, s0, 1
	s_sub_i32 s2, s6, s2
	s_sub_i32 s9, s2, s1
	s_cmp_ge_u32 s2, s1
	s_cselect_b32 s0, s8, s0
	s_cselect_b32 s2, s9, s2
	s_add_i32 s8, s0, 1
	s_cmp_ge_u32 s2, s1
	s_cselect_b32 s2, s8, s0
	s_mul_i32 s0, s2, s1
	s_sub_i32 s0, s6, s0
	s_lshl_b32 s6, s0, 6
	v_add_nc_u32_e32 v5, s6, v8
	v_cmp_gt_i32_e64 s0, s12, v5
	v_cmp_le_i32_e64 s1, s12, v5
	s_and_b32 s8, vcc_lo, s0
	s_and_saveexec_b32 s0, s8
	s_cbranch_execz .LBB304_9
; %bb.8:
	s_waitcnt lgkmcnt(0)
	v_mad_i64_i32 v[6:7], null, v5, s25, 0
	v_lshlrev_b64 v[6:7], 1, v[6:7]
	v_add_co_u32 v3, vcc_lo, s18, v6
	v_add_co_ci_u32_e64 v7, null, s19, v7, vcc_lo
	v_add_co_u32 v6, vcc_lo, v3, v4
	v_add_co_ci_u32_e64 v7, null, 0, v7, vcc_lo
	global_load_ushort v11, v[6:7], off
.LBB304_9:
	s_or_b32 exec_lo, exec_lo, s0
	s_load_dword s8, s[4:5], 0x30
	v_lshrrev_b32_e32 v33, 6, v2
	v_and_b32_e32 v12, 63, v2
	s_lshl_b32 s22, s2, 7
	v_cmp_le_i32_e64 s2, s14, v33
	v_or_b32_e32 v2, s22, v12
	v_cmp_le_i32_e32 vcc_lo, s13, v2
	v_ashrrev_i32_e32 v3, 31, v2
	s_waitcnt lgkmcnt(0)
	v_mad_i64_i32 v[6:7], null, s8, v33, 0
	s_ashr_i32 s9, s8, 31
	v_lshlrev_b64 v[13:14], 1, v[6:7]
	v_add_co_u32 v7, s0, s20, v13
	v_add_co_ci_u32_e64 v9, null, s21, v14, s0
	s_nor_b32 s0, vcc_lo, s2
	s_and_saveexec_b32 s23, s0
	s_cbranch_execz .LBB304_11
; %bb.10:
	v_lshlrev_b64 v[13:14], 1, v[2:3]
	v_add_co_u32 v13, s0, v7, v13
	v_add_co_ci_u32_e64 v14, null, v9, v14, s0
	global_load_ushort v10, v[13:14], off
.LBB304_11:
	s_or_b32 exec_lo, exec_lo, s23
	v_or_b32_e32 v6, 64, v2
	v_mov_b32_e32 v13, 0
	v_cmp_le_i32_e64 s0, s13, v6
	v_mov_b32_e32 v6, 0
	s_nor_b32 s2, s0, s2
	s_and_saveexec_b32 s23, s2
	s_cbranch_execz .LBB304_13
; %bb.12:
	v_lshlrev_b64 v[13:14], 1, v[2:3]
	v_add_co_u32 v13, s2, v7, v13
	v_add_co_ci_u32_e64 v14, null, v9, v14, s2
	global_load_ushort v13, v[13:14], off offset:128
.LBB304_13:
	s_or_b32 exec_lo, exec_lo, s23
	v_or_b32_e32 v7, 4, v32
	s_xor_b32 s23, s1, -1
	v_cmp_gt_i32_e64 s2, s14, v7
	s_and_b32 s1, s2, s23
	s_and_saveexec_b32 s2, s1
	s_cbranch_execz .LBB304_15
; %bb.14:
	v_mad_i64_i32 v[6:7], null, v5, s25, 0
	v_lshlrev_b64 v[6:7], 1, v[6:7]
	v_add_co_u32 v6, s1, s18, v6
	v_add_co_ci_u32_e64 v7, null, s19, v7, s1
	v_add_co_u32 v6, s1, v6, v4
	v_add_co_ci_u32_e64 v7, null, 0, v7, s1
	global_load_ushort v6, v[6:7], off offset:8
.LBB304_15:
	s_or_b32 exec_lo, exec_lo, s2
	v_add_nc_u32_e32 v9, 4, v33
	v_mad_u64_u32 v[14:15], null, s8, v9, 0
	v_cmp_le_i32_e64 s1, s14, v9
	v_mov_b32_e32 v7, v15
	v_mad_u64_u32 v[15:16], null, s9, v9, v[7:8]
	v_mov_b32_e32 v7, 0
	v_mov_b32_e32 v9, 0
	v_lshlrev_b64 v[14:15], 1, v[14:15]
	v_add_co_u32 v14, s2, s20, v14
	v_add_co_ci_u32_e64 v15, null, s21, v15, s2
	s_nor_b32 s2, vcc_lo, s1
	s_and_saveexec_b32 s24, s2
	s_cbranch_execz .LBB304_17
; %bb.16:
	v_lshlrev_b64 v[16:17], 1, v[2:3]
	v_add_co_u32 v16, s2, v14, v16
	v_add_co_ci_u32_e64 v17, null, v15, v17, s2
	global_load_ushort v9, v[16:17], off
.LBB304_17:
	s_or_b32 exec_lo, exec_lo, s24
	s_nor_b32 s1, s0, s1
	s_and_saveexec_b32 s2, s1
	s_cbranch_execz .LBB304_19
; %bb.18:
	v_lshlrev_b64 v[16:17], 1, v[2:3]
	v_add_co_u32 v14, s1, v14, v16
	v_add_co_ci_u32_e64 v15, null, v15, v17, s1
	global_load_ushort v7, v[14:15], off offset:128
.LBB304_19:
	s_or_b32 exec_lo, exec_lo, s2
	v_lshlrev_b32_e32 v12, 3, v12
	v_lshlrev_b32_e32 v35, 3, v0
	v_lshl_or_b32 v8, v8, 3, v4
	v_lshlrev_b32_e32 v34, 3, v1
	s_mov_b32 s24, 0
	v_lshl_add_u32 v36, v33, 1, v12
	v_add_nc_u32_e32 v30, 0x800, v35
	s_waitcnt vmcnt(0)
	ds_write_b16 v8, v11 offset:2048
	s_cmp_lt_i32 s14, 9
	ds_write_b16 v36, v10
	ds_write_b16 v36, v13 offset:512
	s_waitcnt lgkmcnt(0)
	s_barrier
	buffer_gl0_inv
	ds_read2_b64 v[10:13], v34 offset1:32
	ds_read2_b64 v[14:17], v30 offset0:48 offset1:56
	ds_read2_b64 v[18:21], v34 offset0:64 offset1:96
	ds_read2_b64 v[22:25], v30 offset1:8
	ds_read2_b64 v[26:29], v30 offset0:16 offset1:24
	ds_read2_b64 v[37:40], v30 offset0:32 offset1:40
	ds_write_b16 v8, v6 offset:2560
	ds_write_b16 v36, v9 offset:1024
	;; [unrolled: 1-line block ×3, first 2 shown]
	s_waitcnt lgkmcnt(0)
	s_barrier
	buffer_gl0_inv
	v_pk_max_f16 v10, v10, v10
	v_pk_max_f16 v16, v16, v16
	;; [unrolled: 1-line block ×6, first 2 shown]
	v_pk_min_f16 v30, v16, v10
	v_pk_max_f16 v22, v22, v22
	v_pk_max_f16 v20, v20, v20
	;; [unrolled: 1-line block ×4, first 2 shown]
	v_pk_min_f16 v31, v16, v12
	v_pk_max_f16 v28, v28, v28
	v_pk_max_f16 v37, v37, v37
	;; [unrolled: 1-line block ×5, first 2 shown]
	v_pk_add_f16 v30, v30, 0
	v_pk_min_f16 v50, v17, v11
	v_pk_min_f16 v41, v16, v18
	;; [unrolled: 1-line block ×19, first 2 shown]
	v_pk_max_f16 v19, v19, v19
	v_pk_max_f16 v21, v21, v21
	v_pk_min_f16 v56, v37, v12
	v_pk_min_f16 v59, v37, v18
	v_pk_max_f16 v23, v23, v23
	v_pk_min_f16 v37, v37, v20
	v_pk_min_f16 v60, v39, v10
	;; [unrolled: 1-line block ×10, first 2 shown]
	v_pk_add_f16 v68, v30, v50
	v_pk_add_f16 v20, v31, 0
	v_pk_min_f16 v30, v17, v13
	v_pk_max_f16 v25, v25, v25
	v_pk_add_f16 v42, v42, 0
	v_pk_min_f16 v57, v23, v11
	v_pk_min_f16 v63, v23, v13
	;; [unrolled: 1-line block ×3, first 2 shown]
	v_pk_add_f16 v58, v20, v30
	v_pk_add_f16 v20, v22, 0
	v_pk_min_f16 v23, v23, v21
	v_pk_add_f16 v70, v42, v57
	v_pk_add_f16 v22, v45, 0
	;; [unrolled: 1-line block ×5, first 2 shown]
	v_pk_min_f16 v20, v25, v11
	v_pk_min_f16 v41, v17, v19
	v_pk_add_f16 v30, v46, 0
	v_pk_max_f16 v27, v27, v27
	v_pk_add_f16 v43, v43, 0
	v_pk_add_f16 v69, v22, v20
	v_pk_min_f16 v20, v25, v13
	v_pk_add_f16 v50, v31, v41
	v_pk_add_f16 v31, v47, 0
	;; [unrolled: 1-line block ×3, first 2 shown]
	v_pk_max_f16 v29, v29, v29
	v_pk_add_f16 v65, v30, v20
	v_pk_min_f16 v20, v25, v19
	v_pk_min_f16 v25, v25, v21
	v_pk_add_f16 v44, v44, 0
	v_pk_add_f16 v66, v43, v63
	;; [unrolled: 1-line block ×7, first 2 shown]
	v_pk_min_f16 v20, v27, v11
	v_pk_min_f16 v24, v27, v13
	v_pk_add_f16 v57, v44, v64
	v_pk_add_f16 v26, v26, 0
	;; [unrolled: 1-line block ×5, first 2 shown]
	v_pk_min_f16 v20, v27, v19
	v_pk_min_f16 v24, v27, v21
	;; [unrolled: 1-line block ×3, first 2 shown]
	v_pk_add_f16 v44, v53, 0
	v_pk_add_f16 v45, v54, 0
	;; [unrolled: 1-line block ×8, first 2 shown]
	v_pk_min_f16 v20, v29, v13
	v_pk_min_f16 v23, v29, v19
	;; [unrolled: 1-line block ×3, first 2 shown]
	v_pk_max_f16 v26, v38, v38
	v_pk_add_f16 v52, v59, 0
	v_pk_add_f16 v63, v44, v20
	;; [unrolled: 1-line block ×4, first 2 shown]
	v_pk_min_f16 v20, v26, v11
	v_pk_min_f16 v23, v26, v13
	;; [unrolled: 1-line block ×3, first 2 shown]
	v_pk_max_f16 v27, v40, v40
	v_pk_max_f16 v15, v15, v15
	v_pk_add_f16 v59, v37, 0
	v_pk_add_f16 v30, v60, 0
	;; [unrolled: 1-line block ×9, first 2 shown]
	v_pk_min_f16 v26, v26, v21
	v_pk_add_f16 v37, v22, v20
	v_pk_add_f16 v62, v51, v23
	v_pk_add_f16 v53, v52, v24
	v_pk_min_f16 v20, v27, v11
	v_pk_min_f16 v22, v27, v13
	;; [unrolled: 1-line block ×9, first 2 shown]
	v_pk_add_f16 v45, v59, v26
	v_pk_add_f16 v38, v30, v20
	v_pk_add_f16 v61, v60, v22
	v_pk_add_f16 v52, v67, v23
	v_pk_add_f16 v44, v25, v24
	v_pk_add_f16 v40, v10, v11
	v_pk_add_f16 v60, v12, v13
	v_pk_add_f16 v51, v18, v19
	v_pk_add_f16 v43, v14, v15
	v_pk_add_f16 v42, v16, v17
	s_cbranch_scc1 .LBB304_34
; %bb.20:
	v_mad_i64_i32 v[5:6], null, s25, v5, 0
	v_add_nc_u32_e32 v7, 8, v33
	v_lshlrev_b64 v[2:3], 1, v[2:3]
	v_add_nc_u32_e32 v59, 0x800, v8
	v_add_nc_u32_e32 v71, 0xa00, v8
	v_or_b32_e32 v67, 0x800, v35
	v_mad_i64_i32 v[9:10], null, v7, s8, 0
	v_lshlrev_b64 v[5:6], 1, v[5:6]
	v_add_nc_u32_e32 v7, 12, v33
	v_add_nc_u32_e32 v72, 0x400, v36
	v_lshl_add_u32 v73, v0, 3, 0xa00
	v_lshl_add_u32 v74, v1, 3, 0x400
	v_add_co_u32 v4, s1, v5, v4
	v_add_co_ci_u32_e64 v5, null, 0, v6, s1
	v_mad_i64_i32 v[7:8], null, v7, s8, 0
	v_add_co_u32 v75, s1, s20, v2
	v_add_co_ci_u32_e64 v76, null, s21, v3, s1
	v_add_co_u32 v2, s1, s18, v4
	v_add_co_ci_u32_e64 v3, null, s19, v5, s1
	v_lshlrev_b64 v[26:27], 1, v[9:10]
	v_add_co_u32 v30, s1, v2, 16
	v_lshlrev_b64 v[28:29], 1, v[7:8]
	v_add_co_ci_u32_e64 v31, null, 0, v3, s1
	s_add_i32 s18, s14, -8
	s_lshl_b64 s[8:9], s[8:9], 4
	s_branch .LBB304_22
.LBB304_21:                             ;   in Loop: Header=BB304_22 Depth=1
	s_or_b32 exec_lo, exec_lo, s2
	v_pk_max_f16 v4, v4, v4
	v_pk_max_f16 v22, v22, v22
	;; [unrolled: 1-line block ×7, first 2 shown]
	v_pk_min_f16 v80, v4, v22
	v_pk_min_f16 v81, v4, v24
	v_pk_min_f16 v82, v4, v14
	v_pk_max_f16 v20, v20, v20
	v_pk_max_f16 v12, v12, v12
	v_pk_min_f16 v89, v10, v22
	v_pk_min_f16 v90, v10, v24
	;; [unrolled: 1-line block ×4, first 2 shown]
	v_pk_max_f16 v6, v6, v6
	v_pk_max_f16 v23, v23, v23
	;; [unrolled: 1-line block ×15, first 2 shown]
	v_pk_min_f16 v83, v18, v22
	v_pk_min_f16 v84, v18, v24
	;; [unrolled: 1-line block ×55, first 2 shown]
	v_pk_add_f16 v3, v68, v80
	v_pk_add_f16 v5, v58, v81
	;; [unrolled: 1-line block ×4, first 2 shown]
	v_pk_min_f16 v19, v19, v17
	v_pk_min_f16 v21, v21, v17
	v_pk_add_f16 v17, v70, v83
	v_pk_add_f16 v47, v63, v93
	;; [unrolled: 1-line block ×13, first 2 shown]
	ds_read2_b64 v[2:5], v67 offset0:48 offset1:56
	ds_read2_b64 v[6:9], v34 offset1:32
	v_pk_add_f16 v68, v10, v11
	ds_read2_b64 v[10:13], v34 offset0:64 offset1:96
	v_pk_add_f16 v20, v48, v20
	v_pk_add_f16 v48, v64, v90
	;; [unrolled: 1-line block ×3, first 2 shown]
	ds_read2_b64 v[14:17], v67 offset1:8
	v_pk_add_f16 v18, v49, v18
	v_pk_add_f16 v50, v66, v84
	;; [unrolled: 1-line block ×9, first 2 shown]
	ds_read2_b64 v[18:21], v67 offset0:16 offset1:24
	v_pk_add_f16 v50, v50, v101
	v_pk_add_f16 v57, v57, v102
	s_waitcnt lgkmcnt(4)
	v_pk_max_f16 v4, v4, v4
	s_waitcnt lgkmcnt(3)
	v_pk_max_f16 v6, v6, v6
	v_pk_max_f16 v8, v8, v8
	s_waitcnt lgkmcnt(2)
	v_pk_max_f16 v10, v10, v10
	v_pk_add_f16 v41, v41, v89
	v_pk_add_f16 v49, v49, v103
	v_pk_min_f16 v22, v4, v6
	v_pk_min_f16 v23, v4, v8
	;; [unrolled: 1-line block ×3, first 2 shown]
	s_waitcnt lgkmcnt(1)
	v_pk_max_f16 v14, v14, v14
	v_pk_max_f16 v16, v16, v16
	v_pk_add_f16 v51, v51, v22
	v_pk_add_f16 v60, v60, v23
	v_pk_add_f16 v63, v63, v24
	v_pk_min_f16 v22, v14, v6
	v_pk_min_f16 v23, v14, v8
	;; [unrolled: 1-line block ×3, first 2 shown]
	s_waitcnt lgkmcnt(0)
	v_pk_max_f16 v18, v18, v18
	v_pk_add_f16 v56, v56, v88
	v_pk_add_f16 v64, v64, v22
	;; [unrolled: 1-line block ×4, first 2 shown]
	ds_read2_b64 v[22:25], v67 offset0:32 offset1:40
	v_pk_min_f16 v50, v16, v6
	v_pk_add_f16 v41, v41, v106
	v_pk_max_f16 v20, v20, v20
	v_pk_add_f16 v37, v37, v95
	v_pk_add_f16 v56, v56, v105
	;; [unrolled: 1-line block ×3, first 2 shown]
	v_pk_min_f16 v49, v18, v6
	v_pk_add_f16 v48, v48, v107
	v_pk_add_f16 v47, v47, v110
	v_pk_max_f16 v12, v12, v12
	v_pk_min_f16 v81, v16, v10
	v_pk_min_f16 v50, v18, v8
	v_pk_add_f16 v41, v41, v49
	v_pk_min_f16 v49, v20, v8
	v_pk_add_f16 v39, v39, v92
	v_pk_add_f16 v62, v62, v96
	;; [unrolled: 1-line block ×4, first 2 shown]
	v_pk_min_f16 v14, v14, v12
	s_waitcnt lgkmcnt(0)
	v_pk_max_f16 v22, v22, v22
	v_pk_add_f16 v56, v56, v81
	v_pk_add_f16 v81, v48, v50
	v_pk_min_f16 v48, v20, v6
	v_pk_min_f16 v50, v20, v10
	;; [unrolled: 1-line block ×3, first 2 shown]
	v_pk_add_f16 v83, v47, v49
	v_pk_min_f16 v47, v22, v6
	v_pk_add_f16 v58, v58, v104
	v_pk_add_f16 v39, v39, v109
	;; [unrolled: 1-line block ×5, first 2 shown]
	v_pk_min_f16 v65, v16, v8
	v_pk_add_f16 v20, v46, v20
	v_pk_min_f16 v46, v22, v8
	v_pk_max_f16 v24, v24, v24
	v_pk_add_f16 v37, v37, v47
	v_pk_min_f16 v47, v22, v10
	v_pk_min_f16 v22, v22, v12
	v_pk_max_f16 v2, v2, v2
	v_pk_max_f16 v5, v5, v5
	;; [unrolled: 1-line block ×3, first 2 shown]
	v_pk_add_f16 v55, v55, v91
	v_pk_add_f16 v54, v54, v94
	v_pk_add_f16 v40, v40, v121
	v_pk_add_f16 v42, v42, v123
	v_pk_min_f16 v16, v16, v12
	v_pk_add_f16 v65, v58, v65
	v_pk_min_f16 v58, v18, v10
	v_pk_min_f16 v18, v18, v12
	v_pk_add_f16 v39, v39, v48
	v_pk_add_f16 v62, v62, v46
	v_pk_min_f16 v46, v24, v6
	v_pk_min_f16 v48, v24, v8
	v_pk_add_f16 v22, v45, v22
	v_pk_min_f16 v45, v24, v10
	v_pk_min_f16 v24, v24, v12
	;; [unrolled: 1-line block ×6, first 2 shown]
	v_pk_max_f16 v9, v9, v9
	v_pk_min_f16 v4, v4, v12
	v_pk_max_f16 v11, v11, v11
	v_pk_min_f16 v12, v5, v7
	v_pk_add_f16 v55, v55, v108
	v_pk_add_f16 v54, v54, v111
	;; [unrolled: 1-line block ×4, first 2 shown]
	v_pk_min_f16 v40, v5, v9
	v_pk_add_f16 v4, v42, v4
	v_pk_min_f16 v42, v5, v11
	v_pk_max_f16 v15, v15, v15
	v_pk_add_f16 v68, v51, v12
	v_pk_max_f16 v12, v13, v13
	v_pk_add_f16 v61, v61, v99
	v_pk_add_f16 v55, v55, v58
	;; [unrolled: 1-line block ×5, first 2 shown]
	v_pk_min_f16 v13, v15, v7
	v_pk_min_f16 v40, v15, v9
	;; [unrolled: 1-line block ×4, first 2 shown]
	v_pk_max_f16 v17, v17, v17
	v_pk_add_f16 v53, v53, v97
	v_pk_add_f16 v61, v61, v118
	;; [unrolled: 1-line block ×6, first 2 shown]
	v_pk_min_f16 v13, v17, v7
	v_pk_min_f16 v14, v17, v9
	v_pk_min_f16 v15, v17, v11
	v_pk_min_f16 v17, v17, v12
	v_pk_max_f16 v19, v19, v19
	v_pk_add_f16 v38, v38, v98
	v_pk_add_f16 v53, v53, v115
	;; [unrolled: 1-line block ×8, first 2 shown]
	v_pk_min_f16 v13, v19, v7
	v_pk_min_f16 v14, v19, v9
	;; [unrolled: 1-line block ×4, first 2 shown]
	v_pk_max_f16 v17, v21, v21
	v_pk_add_f16 v52, v52, v100
	v_pk_add_f16 v38, v38, v117
	;; [unrolled: 1-line block ×7, first 2 shown]
	v_pk_min_f16 v13, v17, v7
	v_pk_min_f16 v14, v17, v9
	;; [unrolled: 1-line block ×4, first 2 shown]
	v_pk_max_f16 v17, v23, v23
	v_pk_add_f16 v52, v52, v119
	v_pk_add_f16 v44, v44, v120
	;; [unrolled: 1-line block ×8, first 2 shown]
	v_pk_min_f16 v13, v17, v7
	v_pk_min_f16 v14, v17, v9
	;; [unrolled: 1-line block ×4, first 2 shown]
	v_pk_max_f16 v17, v25, v25
	v_pk_max_f16 v3, v3, v3
	v_pk_add_f16 v52, v52, v45
	v_pk_add_f16 v24, v44, v24
	;; [unrolled: 1-line block ×7, first 2 shown]
	v_pk_min_f16 v13, v17, v7
	v_pk_min_f16 v14, v17, v9
	;; [unrolled: 1-line block ×9, first 2 shown]
	v_add_co_u32 v75, s1, v75, s8
	v_add_co_ci_u32_e64 v76, null, s9, v76, s1
	v_add_co_u32 v30, s1, v30, 16
	v_pk_add_f16 v66, v80, v40
	v_pk_add_f16 v57, v57, v42
	;; [unrolled: 1-line block ×11, first 2 shown]
	v_add_co_ci_u32_e64 v31, null, 0, v31, s1
	s_add_i32 s24, s24, 8
	s_waitcnt vmcnt(0)
	ds_write_b16 v71, v77
	ds_write_b16 v72, v78
	ds_write_b16 v72, v79 offset:512
	s_cmp_ge_i32 s24, s18
	s_waitcnt lgkmcnt(0)
	s_barrier
	buffer_gl0_inv
	s_cbranch_scc1 .LBB304_34
.LBB304_22:                             ; =>This Inner Loop Header: Depth=1
	v_add_nc_u32_e32 v77, s24, v32
	v_mov_b32_e32 v78, 0
	v_add_nc_u32_e32 v2, 8, v77
	v_cmp_gt_i32_e64 s1, s14, v2
	s_and_b32 s2, s1, s23
	s_and_saveexec_b32 s1, s2
	s_cbranch_execz .LBB304_24
; %bb.23:                               ;   in Loop: Header=BB304_22 Depth=1
	global_load_ushort v78, v[30:31], off
.LBB304_24:                             ;   in Loop: Header=BB304_22 Depth=1
	s_or_b32 exec_lo, exec_lo, s1
	v_add_nc_u32_e32 v79, s24, v33
	v_mov_b32_e32 v80, 0
	v_mov_b32_e32 v81, 0
	v_add_nc_u32_e32 v2, 8, v79
	v_cmp_le_i32_e64 s1, s14, v2
	s_nor_b32 s2, vcc_lo, s1
	s_and_saveexec_b32 s19, s2
	s_cbranch_execz .LBB304_26
; %bb.25:                               ;   in Loop: Header=BB304_22 Depth=1
	v_add_co_u32 v2, s2, v75, v26
	v_add_co_ci_u32_e64 v3, null, v76, v27, s2
	global_load_ushort v81, v[2:3], off
.LBB304_26:                             ;   in Loop: Header=BB304_22 Depth=1
	s_or_b32 exec_lo, exec_lo, s19
	s_nor_b32 s1, s0, s1
	s_and_saveexec_b32 s2, s1
	s_cbranch_execz .LBB304_28
; %bb.27:                               ;   in Loop: Header=BB304_22 Depth=1
	v_add_co_u32 v2, s1, v75, v26
	v_add_co_ci_u32_e64 v3, null, v76, v27, s1
	global_load_ushort v80, v[2:3], off offset:128
.LBB304_28:                             ;   in Loop: Header=BB304_22 Depth=1
	s_or_b32 exec_lo, exec_lo, s2
	ds_read2_b64 v[2:5], v73 offset0:48 offset1:56
	ds_read2_b64 v[14:17], v74 offset0:64 offset1:96
	ds_read2_b64 v[22:25], v74 offset1:32
	ds_read2_b64 v[18:21], v73 offset1:8
	ds_read2_b64 v[10:13], v73 offset0:16 offset1:24
	ds_read2_b64 v[6:9], v73 offset0:32 offset1:40
	v_add_nc_u32_e32 v77, 12, v77
	s_waitcnt vmcnt(0)
	ds_write_b16 v59, v78
	ds_write_b16 v36, v81
	ds_write_b16 v36, v80 offset:512
	v_mov_b32_e32 v78, 0
	s_waitcnt lgkmcnt(0)
	s_barrier
	v_cmp_gt_i32_e64 s1, s14, v77
	v_mov_b32_e32 v77, 0
	buffer_gl0_inv
	s_and_b32 s1, s1, s23
	s_and_saveexec_b32 s2, s1
	s_xor_b32 s1, exec_lo, s2
	s_cbranch_execz .LBB304_30
; %bb.29:                               ;   in Loop: Header=BB304_22 Depth=1
	global_load_ushort v77, v[30:31], off offset:8
.LBB304_30:                             ;   in Loop: Header=BB304_22 Depth=1
	s_or_b32 exec_lo, exec_lo, s1
	v_add_nc_u32_e32 v79, 12, v79
	v_cmp_le_i32_e64 s1, s14, v79
	s_nor_b32 s2, vcc_lo, s1
	s_and_saveexec_b32 s19, s2
	s_cbranch_execz .LBB304_32
; %bb.31:                               ;   in Loop: Header=BB304_22 Depth=1
	v_add_co_u32 v78, s2, v75, v28
	v_add_co_ci_u32_e64 v79, null, v76, v29, s2
	global_load_ushort v78, v[78:79], off
.LBB304_32:                             ;   in Loop: Header=BB304_22 Depth=1
	s_or_b32 exec_lo, exec_lo, s19
	v_mov_b32_e32 v79, 0
	s_nor_b32 s1, s0, s1
	s_and_saveexec_b32 s2, s1
	s_cbranch_execz .LBB304_21
; %bb.33:                               ;   in Loop: Header=BB304_22 Depth=1
	v_add_co_u32 v79, s1, v75, v28
	v_add_co_ci_u32_e64 v80, null, v76, v29, s1
	global_load_ushort v79, v[79:80], off offset:128
	s_branch .LBB304_21
.LBB304_34:
	s_clause 0x2
	s_load_dwordx2 s[0:1], s[4:5], 0x70
	s_load_dword s14, s[4:5], 0x50
	s_load_dword s9, s[4:5], 0x68
	v_add_nc_u32_e32 v67, s22, v1
	v_add_nc_u32_e32 v10, 0x800, v35
	ds_read2_b64 v[2:5], v34 offset0:192 offset1:224
	ds_read2_b64 v[22:25], v34 offset0:128 offset1:160
	v_add_nc_u32_e32 v0, s6, v0
	ds_read2_b64 v[6:9], v10 offset0:112 offset1:120
	ds_read2_b64 v[18:21], v10 offset0:64 offset1:72
	;; [unrolled: 1-line block ×4, first 2 shown]
	v_cmp_gt_i32_e64 s8, s13, v67
	v_ashrrev_i32_e32 v1, 31, v0
	v_cndmask_b32_e64 v59, 0, 1, s3
	s_waitcnt lgkmcnt(0)
	s_mul_i32 s1, s1, s7
	v_mad_i64_i32 v[26:27], null, v67, s14, 0
	v_mad_i64_i32 v[28:29], null, v67, s9, 0
	s_mul_hi_u32 s2, s0, s7
	s_mul_i32 s0, s0, s7
	s_add_i32 s1, s2, s1
	s_lshl_b64 s[4:5], s[0:1], 1
	v_lshlrev_b64 v[26:27], 1, v[26:27]
	v_lshlrev_b64 v[28:29], 1, v[28:29]
	s_add_u32 s10, s10, s4
	v_cmp_gt_i32_e64 s0, s12, v0
	s_addc_u32 s11, s11, s5
	v_add_co_u32 v73, vcc_lo, s16, v26
	v_add_co_ci_u32_e64 v74, null, s17, v27, vcc_lo
	v_add_co_u32 v71, vcc_lo, s10, v28
	v_add_co_ci_u32_e64 v72, null, s11, v29, vcc_lo
	s_and_b32 s1, s0, s8
	s_and_saveexec_b32 s2, s1
	s_xor_b32 s1, exec_lo, s2
	s_cbranch_execz .LBB304_40
; %bb.35:
	v_lshlrev_b64 v[26:27], 1, v[0:1]
	s_andn2_b32 vcc_lo, exec_lo, s3
	s_cbranch_vccnz .LBB304_38
; %bb.36:
	v_add_co_u32 v28, vcc_lo, v73, v26
	v_add_co_ci_u32_e64 v29, null, v74, v27, vcc_lo
	global_load_ushort v28, v[28:29], off
	s_waitcnt vmcnt(0)
	v_mul_f16_e32 v28, s15, v28
	s_branch .LBB304_39
.LBB304_37:
	s_mov_b64 s[18:19], 0
	s_andn2_b32 vcc_lo, exec_lo, s8
	s_mov_b32 s0, -1
	s_cbranch_vccz .LBB304_2
	s_branch .LBB304_3
.LBB304_38:
	v_mov_b32_e32 v28, 0
.LBB304_39:
	v_pk_max_f16 v29, v22, v22
	v_pk_max_f16 v30, v18, v18
	;; [unrolled: 1-line block ×4, first 2 shown]
	v_add_co_u32 v26, vcc_lo, v71, v26
	v_pk_min_f16 v29, v30, v29
	v_add_co_ci_u32_e64 v27, null, v72, v27, vcc_lo
	v_pk_min_f16 v30, v32, v31
	v_pk_add_f16 v29, v70, v29
	v_pk_add_f16 v29, v29, v30
	v_add_f16_sdwa v29, v29, v29 dst_sel:DWORD dst_unused:UNUSED_PAD src0_sel:DWORD src1_sel:WORD_1
	v_add_f16_e32 v28, v29, v28
	global_store_short v[26:27], v28, off
.LBB304_40:
	s_or_b32 exec_lo, exec_lo, s1
	v_add_nc_u32_e32 v26, 8, v0
	v_cmp_gt_i32_e64 s1, s12, v26
	v_ashrrev_i32_e32 v27, 31, v26
	s_and_b32 s3, s1, s8
	s_and_saveexec_b32 s2, s3
	s_cbranch_execz .LBB304_45
; %bb.41:
	v_cmp_ne_u32_e32 vcc_lo, 1, v59
	v_lshlrev_b64 v[28:29], 1, v[26:27]
	s_cbranch_vccnz .LBB304_43
; %bb.42:
	v_add_co_u32 v30, vcc_lo, v73, v28
	v_add_co_ci_u32_e64 v31, null, v74, v29, vcc_lo
	global_load_ushort v30, v[30:31], off
	s_waitcnt vmcnt(0)
	v_mul_f16_e32 v30, s15, v30
	s_branch .LBB304_44
.LBB304_43:
	v_mov_b32_e32 v30, 0
.LBB304_44:
	v_pk_max_f16 v31, v22, v22
	v_pk_max_f16 v32, v20, v20
	v_pk_max_f16 v33, v23, v23
	v_pk_max_f16 v34, v21, v21
	v_add_co_u32 v28, vcc_lo, v71, v28
	v_pk_min_f16 v31, v32, v31
	v_add_co_ci_u32_e64 v29, null, v72, v29, vcc_lo
	v_pk_min_f16 v32, v34, v33
	v_pk_add_f16 v31, v69, v31
	v_pk_add_f16 v31, v31, v32
	v_add_f16_sdwa v31, v31, v31 dst_sel:DWORD dst_unused:UNUSED_PAD src0_sel:DWORD src1_sel:WORD_1
	v_add_f16_e32 v30, v31, v30
	global_store_short v[28:29], v30, off
.LBB304_45:
	s_or_b32 exec_lo, exec_lo, s2
	v_add_nc_u32_e32 v28, 16, v0
	v_cmp_gt_i32_e64 s2, s12, v28
	v_ashrrev_i32_e32 v29, 31, v28
	s_and_b32 s4, s2, s8
	s_and_saveexec_b32 s3, s4
	s_cbranch_execz .LBB304_50
; %bb.46:
	v_cmp_ne_u32_e32 vcc_lo, 1, v59
	v_lshlrev_b64 v[30:31], 1, v[28:29]
	s_cbranch_vccnz .LBB304_48
; %bb.47:
	v_add_co_u32 v32, vcc_lo, v73, v30
	v_add_co_ci_u32_e64 v33, null, v74, v31, vcc_lo
	global_load_ushort v32, v[32:33], off
	s_waitcnt vmcnt(0)
	v_mul_f16_e32 v32, s15, v32
	s_branch .LBB304_49
.LBB304_48:
	v_mov_b32_e32 v32, 0
.LBB304_49:
	v_pk_max_f16 v33, v22, v22
	v_pk_max_f16 v34, v14, v14
	v_pk_max_f16 v35, v23, v23
	v_pk_max_f16 v36, v15, v15
	v_add_co_u32 v30, vcc_lo, v71, v30
	v_pk_min_f16 v33, v34, v33
	v_add_co_ci_u32_e64 v31, null, v72, v31, vcc_lo
	v_pk_min_f16 v34, v36, v35
	v_pk_add_f16 v33, v41, v33
	v_pk_add_f16 v33, v33, v34
	v_add_f16_sdwa v33, v33, v33 dst_sel:DWORD dst_unused:UNUSED_PAD src0_sel:DWORD src1_sel:WORD_1
	v_add_f16_e32 v32, v33, v32
	global_store_short v[30:31], v32, off
.LBB304_50:
	;; [unrolled: 35-line block ×6, first 2 shown]
	s_or_b32 exec_lo, exec_lo, s7
	v_add_nc_u32_e32 v38, 56, v0
	v_cmp_gt_i32_e64 s7, s12, v38
	v_ashrrev_i32_e32 v39, 31, v38
	s_and_b32 s12, s7, s8
	s_and_saveexec_b32 s8, s12
	s_cbranch_execz .LBB304_75
; %bb.71:
	v_cmp_ne_u32_e32 vcc_lo, 1, v59
	v_lshlrev_b64 v[40:41], 1, v[38:39]
	s_cbranch_vccnz .LBB304_73
; %bb.72:
	v_add_co_u32 v69, vcc_lo, v73, v40
	v_add_co_ci_u32_e64 v70, null, v74, v41, vcc_lo
	global_load_ushort v69, v[69:70], off
	s_waitcnt vmcnt(0)
	v_mul_f16_e32 v69, s15, v69
	s_branch .LBB304_74
.LBB304_73:
	v_mov_b32_e32 v69, 0
.LBB304_74:
	v_pk_max_f16 v22, v22, v22
	v_pk_max_f16 v70, v8, v8
	;; [unrolled: 1-line block ×4, first 2 shown]
	v_pk_min_f16 v22, v70, v22
	v_pk_min_f16 v23, v73, v23
	v_pk_add_f16 v22, v68, v22
	v_pk_add_f16 v22, v22, v23
	v_add_f16_sdwa v22, v22, v22 dst_sel:DWORD dst_unused:UNUSED_PAD src0_sel:DWORD src1_sel:WORD_1
	v_add_f16_e32 v68, v22, v69
	v_add_co_u32 v22, vcc_lo, v71, v40
	v_add_co_ci_u32_e64 v23, null, v72, v41, vcc_lo
	global_store_short v[22:23], v68, off
.LBB304_75:
	s_or_b32 exec_lo, exec_lo, s8
	v_add_nc_u32_e32 v68, 32, v67
	v_mad_i64_i32 v[22:23], null, v68, s14, 0
	v_mad_i64_i32 v[40:41], null, v68, s9, 0
	v_cmp_gt_i32_e64 s8, s13, v68
	v_lshlrev_b64 v[22:23], 1, v[22:23]
	s_and_b32 s18, s0, s8
	v_lshlrev_b64 v[40:41], 1, v[40:41]
	v_add_co_u32 v68, vcc_lo, s16, v22
	v_add_co_ci_u32_e64 v69, null, s17, v23, vcc_lo
	v_add_co_u32 v40, vcc_lo, s10, v40
	v_add_co_ci_u32_e64 v41, null, s11, v41, vcc_lo
	s_and_saveexec_b32 s12, s18
	s_cbranch_execnz .LBB304_83
; %bb.76:
	s_or_b32 exec_lo, exec_lo, s12
	s_and_b32 s18, s1, s8
	s_and_saveexec_b32 s12, s18
	s_cbranch_execnz .LBB304_87
.LBB304_77:
	s_or_b32 exec_lo, exec_lo, s12
	s_and_b32 s18, s2, s8
	s_and_saveexec_b32 s12, s18
	s_cbranch_execnz .LBB304_91
.LBB304_78:
	s_or_b32 exec_lo, exec_lo, s12
	s_and_b32 s18, s3, s8
	s_and_saveexec_b32 s12, s18
	s_cbranch_execnz .LBB304_95
.LBB304_79:
	s_or_b32 exec_lo, exec_lo, s12
	s_and_b32 s18, s4, s8
	s_and_saveexec_b32 s12, s18
	s_cbranch_execnz .LBB304_99
.LBB304_80:
	s_or_b32 exec_lo, exec_lo, s12
	s_and_b32 s18, s5, s8
	s_and_saveexec_b32 s12, s18
	s_cbranch_execnz .LBB304_103
.LBB304_81:
	s_or_b32 exec_lo, exec_lo, s12
	s_and_b32 s18, s6, s8
	s_and_saveexec_b32 s12, s18
	s_cbranch_execnz .LBB304_107
.LBB304_82:
	s_or_b32 exec_lo, exec_lo, s12
	s_and_b32 s12, s7, s8
	s_and_saveexec_b32 s8, s12
	s_cbranch_execnz .LBB304_111
	s_branch .LBB304_115
.LBB304_83:
	v_cmp_ne_u32_e32 vcc_lo, 1, v59
	v_lshlrev_b64 v[22:23], 1, v[0:1]
	s_cbranch_vccnz .LBB304_85
; %bb.84:
	v_add_co_u32 v70, vcc_lo, v68, v22
	v_add_co_ci_u32_e64 v71, null, v69, v23, vcc_lo
	global_load_ushort v70, v[70:71], off
	s_waitcnt vmcnt(0)
	v_mul_f16_e32 v70, s15, v70
	s_branch .LBB304_86
.LBB304_85:
	v_mov_b32_e32 v70, 0
.LBB304_86:
	v_pk_max_f16 v71, v24, v24
	v_pk_max_f16 v72, v18, v18
	;; [unrolled: 1-line block ×4, first 2 shown]
	v_add_co_u32 v22, vcc_lo, v40, v22
	v_pk_min_f16 v71, v72, v71
	v_add_co_ci_u32_e64 v23, null, v41, v23, vcc_lo
	v_pk_min_f16 v72, v74, v73
	v_pk_add_f16 v66, v66, v71
	v_pk_add_f16 v66, v66, v72
	v_add_f16_sdwa v66, v66, v66 dst_sel:DWORD dst_unused:UNUSED_PAD src0_sel:DWORD src1_sel:WORD_1
	v_add_f16_e32 v66, v66, v70
	global_store_short v[22:23], v66, off
	s_or_b32 exec_lo, exec_lo, s12
	s_and_b32 s18, s1, s8
	s_and_saveexec_b32 s12, s18
	s_cbranch_execz .LBB304_77
.LBB304_87:
	v_cmp_ne_u32_e32 vcc_lo, 1, v59
	v_lshlrev_b64 v[22:23], 1, v[26:27]
	s_cbranch_vccnz .LBB304_89
; %bb.88:
	v_add_co_u32 v70, vcc_lo, v68, v22
	v_add_co_ci_u32_e64 v71, null, v69, v23, vcc_lo
	global_load_ushort v66, v[70:71], off
	s_waitcnt vmcnt(0)
	v_mul_f16_e32 v66, s15, v66
	s_branch .LBB304_90
.LBB304_89:
	v_mov_b32_e32 v66, 0
.LBB304_90:
	v_pk_max_f16 v70, v24, v24
	v_pk_max_f16 v71, v20, v20
	;; [unrolled: 1-line block ×4, first 2 shown]
	v_add_co_u32 v22, vcc_lo, v40, v22
	v_pk_min_f16 v70, v71, v70
	v_add_co_ci_u32_e64 v23, null, v41, v23, vcc_lo
	v_pk_min_f16 v71, v73, v72
	v_pk_add_f16 v65, v65, v70
	v_pk_add_f16 v65, v65, v71
	v_add_f16_sdwa v65, v65, v65 dst_sel:DWORD dst_unused:UNUSED_PAD src0_sel:DWORD src1_sel:WORD_1
	v_add_f16_e32 v65, v65, v66
	global_store_short v[22:23], v65, off
	s_or_b32 exec_lo, exec_lo, s12
	s_and_b32 s18, s2, s8
	s_and_saveexec_b32 s12, s18
	s_cbranch_execz .LBB304_78
.LBB304_91:
	v_cmp_ne_u32_e32 vcc_lo, 1, v59
	v_lshlrev_b64 v[22:23], 1, v[28:29]
	s_cbranch_vccnz .LBB304_93
; %bb.92:
	v_add_co_u32 v65, vcc_lo, v68, v22
	v_add_co_ci_u32_e64 v66, null, v69, v23, vcc_lo
	global_load_ushort v65, v[65:66], off
	s_waitcnt vmcnt(0)
	v_mul_f16_e32 v65, s15, v65
	s_branch .LBB304_94
.LBB304_93:
	v_mov_b32_e32 v65, 0
.LBB304_94:
	v_pk_max_f16 v66, v24, v24
	v_pk_max_f16 v70, v14, v14
	;; [unrolled: 1-line block ×4, first 2 shown]
	v_add_co_u32 v22, vcc_lo, v40, v22
	v_pk_min_f16 v66, v70, v66
	v_add_co_ci_u32_e64 v23, null, v41, v23, vcc_lo
	v_pk_min_f16 v70, v72, v71
	v_pk_add_f16 v64, v64, v66
	v_pk_add_f16 v64, v64, v70
	v_add_f16_sdwa v64, v64, v64 dst_sel:DWORD dst_unused:UNUSED_PAD src0_sel:DWORD src1_sel:WORD_1
	v_add_f16_e32 v64, v64, v65
	global_store_short v[22:23], v64, off
	s_or_b32 exec_lo, exec_lo, s12
	s_and_b32 s18, s3, s8
	s_and_saveexec_b32 s12, s18
	s_cbranch_execz .LBB304_79
.LBB304_95:
	v_cmp_ne_u32_e32 vcc_lo, 1, v59
	v_lshlrev_b64 v[22:23], 1, v[30:31]
	s_cbranch_vccnz .LBB304_97
; %bb.96:
	v_add_co_u32 v64, vcc_lo, v68, v22
	v_add_co_ci_u32_e64 v65, null, v69, v23, vcc_lo
	global_load_ushort v64, v[64:65], off
	s_waitcnt vmcnt(0)
	v_mul_f16_e32 v64, s15, v64
	s_branch .LBB304_98
.LBB304_97:
	v_mov_b32_e32 v64, 0
.LBB304_98:
	v_pk_max_f16 v65, v24, v24
	v_pk_max_f16 v66, v16, v16
	;; [unrolled: 1-line block ×4, first 2 shown]
	v_add_co_u32 v22, vcc_lo, v40, v22
	v_pk_min_f16 v65, v66, v65
	v_add_co_ci_u32_e64 v23, null, v41, v23, vcc_lo
	v_pk_min_f16 v66, v71, v70
	v_pk_add_f16 v63, v63, v65
	v_pk_add_f16 v63, v63, v66
	v_add_f16_sdwa v63, v63, v63 dst_sel:DWORD dst_unused:UNUSED_PAD src0_sel:DWORD src1_sel:WORD_1
	v_add_f16_e32 v63, v63, v64
	global_store_short v[22:23], v63, off
	s_or_b32 exec_lo, exec_lo, s12
	s_and_b32 s18, s4, s8
	s_and_saveexec_b32 s12, s18
	s_cbranch_execz .LBB304_80
.LBB304_99:
	v_cmp_ne_u32_e32 vcc_lo, 1, v59
	v_lshlrev_b64 v[22:23], 1, v[32:33]
	s_cbranch_vccnz .LBB304_101
; %bb.100:
	v_add_co_u32 v63, vcc_lo, v68, v22
	v_add_co_ci_u32_e64 v64, null, v69, v23, vcc_lo
	global_load_ushort v63, v[63:64], off
	s_waitcnt vmcnt(0)
	v_mul_f16_e32 v63, s15, v63
	s_branch .LBB304_102
.LBB304_101:
	v_mov_b32_e32 v63, 0
.LBB304_102:
	v_pk_max_f16 v64, v24, v24
	v_pk_max_f16 v65, v10, v10
	v_pk_max_f16 v66, v25, v25
	v_pk_max_f16 v70, v11, v11
	v_add_co_u32 v22, vcc_lo, v40, v22
	v_pk_min_f16 v64, v65, v64
	v_add_co_ci_u32_e64 v23, null, v41, v23, vcc_lo
	v_pk_min_f16 v65, v70, v66
	v_pk_add_f16 v62, v62, v64
	v_pk_add_f16 v62, v62, v65
	v_add_f16_sdwa v62, v62, v62 dst_sel:DWORD dst_unused:UNUSED_PAD src0_sel:DWORD src1_sel:WORD_1
	v_add_f16_e32 v62, v62, v63
	global_store_short v[22:23], v62, off
	s_or_b32 exec_lo, exec_lo, s12
	s_and_b32 s18, s5, s8
	s_and_saveexec_b32 s12, s18
	s_cbranch_execz .LBB304_81
.LBB304_103:
	v_cmp_ne_u32_e32 vcc_lo, 1, v59
	v_lshlrev_b64 v[22:23], 1, v[34:35]
	s_cbranch_vccnz .LBB304_105
; %bb.104:
	v_add_co_u32 v62, vcc_lo, v68, v22
	v_add_co_ci_u32_e64 v63, null, v69, v23, vcc_lo
	global_load_ushort v62, v[62:63], off
	s_waitcnt vmcnt(0)
	v_mul_f16_e32 v62, s15, v62
	s_branch .LBB304_106
.LBB304_105:
	v_mov_b32_e32 v62, 0
.LBB304_106:
	v_pk_max_f16 v63, v24, v24
	v_pk_max_f16 v64, v12, v12
	;; [unrolled: 1-line block ×4, first 2 shown]
	v_add_co_u32 v22, vcc_lo, v40, v22
	v_pk_min_f16 v63, v64, v63
	v_add_co_ci_u32_e64 v23, null, v41, v23, vcc_lo
	v_pk_min_f16 v64, v66, v65
	v_pk_add_f16 v61, v61, v63
	v_pk_add_f16 v61, v61, v64
	v_add_f16_sdwa v61, v61, v61 dst_sel:DWORD dst_unused:UNUSED_PAD src0_sel:DWORD src1_sel:WORD_1
	v_add_f16_e32 v61, v61, v62
	global_store_short v[22:23], v61, off
	s_or_b32 exec_lo, exec_lo, s12
	s_and_b32 s18, s6, s8
	s_and_saveexec_b32 s12, s18
	s_cbranch_execz .LBB304_82
.LBB304_107:
	v_cmp_ne_u32_e32 vcc_lo, 1, v59
	v_lshlrev_b64 v[22:23], 1, v[36:37]
	s_cbranch_vccnz .LBB304_109
; %bb.108:
	v_add_co_u32 v61, vcc_lo, v68, v22
	v_add_co_ci_u32_e64 v62, null, v69, v23, vcc_lo
	global_load_ushort v61, v[61:62], off
	s_waitcnt vmcnt(0)
	v_mul_f16_e32 v61, s15, v61
	s_branch .LBB304_110
.LBB304_109:
	v_mov_b32_e32 v61, 0
.LBB304_110:
	v_pk_max_f16 v62, v24, v24
	v_pk_max_f16 v63, v6, v6
	;; [unrolled: 1-line block ×4, first 2 shown]
	v_add_co_u32 v22, vcc_lo, v40, v22
	v_pk_min_f16 v62, v63, v62
	v_add_co_ci_u32_e64 v23, null, v41, v23, vcc_lo
	v_pk_min_f16 v63, v65, v64
	v_pk_add_f16 v60, v60, v62
	v_pk_add_f16 v60, v60, v63
	v_add_f16_sdwa v60, v60, v60 dst_sel:DWORD dst_unused:UNUSED_PAD src0_sel:DWORD src1_sel:WORD_1
	v_add_f16_e32 v60, v60, v61
	global_store_short v[22:23], v60, off
	s_or_b32 exec_lo, exec_lo, s12
	s_and_b32 s12, s7, s8
	s_and_saveexec_b32 s8, s12
	s_cbranch_execz .LBB304_115
.LBB304_111:
	v_cmp_ne_u32_e32 vcc_lo, 1, v59
	v_lshlrev_b64 v[22:23], 1, v[38:39]
	s_cbranch_vccnz .LBB304_113
; %bb.112:
	v_add_co_u32 v60, vcc_lo, v68, v22
	v_add_co_ci_u32_e64 v61, null, v69, v23, vcc_lo
	global_load_ushort v60, v[60:61], off
	s_waitcnt vmcnt(0)
	v_mul_f16_e32 v60, s15, v60
	s_branch .LBB304_114
.LBB304_113:
	v_mov_b32_e32 v60, 0
.LBB304_114:
	v_pk_max_f16 v24, v24, v24
	v_pk_max_f16 v61, v8, v8
	;; [unrolled: 1-line block ×4, first 2 shown]
	v_add_co_u32 v22, vcc_lo, v40, v22
	v_pk_min_f16 v24, v61, v24
	v_add_co_ci_u32_e64 v23, null, v41, v23, vcc_lo
	v_pk_min_f16 v25, v62, v25
	v_pk_add_f16 v24, v58, v24
	v_pk_add_f16 v24, v24, v25
	v_add_f16_sdwa v24, v24, v24 dst_sel:DWORD dst_unused:UNUSED_PAD src0_sel:DWORD src1_sel:WORD_1
	v_add_f16_e32 v24, v24, v60
	global_store_short v[22:23], v24, off
.LBB304_115:
	s_or_b32 exec_lo, exec_lo, s8
	v_add_nc_u32_e32 v40, 64, v67
	v_mad_i64_i32 v[22:23], null, v40, s14, 0
	v_mad_i64_i32 v[24:25], null, v40, s9, 0
	v_cmp_gt_i32_e64 s8, s13, v40
	v_lshlrev_b64 v[22:23], 1, v[22:23]
	s_and_b32 s18, s0, s8
	v_lshlrev_b64 v[24:25], 1, v[24:25]
	v_add_co_u32 v40, vcc_lo, s16, v22
	v_add_co_ci_u32_e64 v41, null, s17, v23, vcc_lo
	v_add_co_u32 v24, vcc_lo, s10, v24
	v_add_co_ci_u32_e64 v25, null, s11, v25, vcc_lo
	s_and_saveexec_b32 s12, s18
	s_cbranch_execnz .LBB304_123
; %bb.116:
	s_or_b32 exec_lo, exec_lo, s12
	s_and_b32 s18, s1, s8
	s_and_saveexec_b32 s12, s18
	s_cbranch_execnz .LBB304_127
.LBB304_117:
	s_or_b32 exec_lo, exec_lo, s12
	s_and_b32 s18, s2, s8
	s_and_saveexec_b32 s12, s18
	s_cbranch_execnz .LBB304_131
.LBB304_118:
	s_or_b32 exec_lo, exec_lo, s12
	s_and_b32 s18, s3, s8
	s_and_saveexec_b32 s12, s18
	s_cbranch_execnz .LBB304_135
.LBB304_119:
	s_or_b32 exec_lo, exec_lo, s12
	s_and_b32 s18, s4, s8
	s_and_saveexec_b32 s12, s18
	s_cbranch_execnz .LBB304_139
.LBB304_120:
	s_or_b32 exec_lo, exec_lo, s12
	s_and_b32 s18, s5, s8
	s_and_saveexec_b32 s12, s18
	s_cbranch_execnz .LBB304_143
.LBB304_121:
	s_or_b32 exec_lo, exec_lo, s12
	s_and_b32 s18, s6, s8
	s_and_saveexec_b32 s12, s18
	s_cbranch_execnz .LBB304_147
.LBB304_122:
	s_or_b32 exec_lo, exec_lo, s12
	s_and_b32 s12, s7, s8
	s_and_saveexec_b32 s8, s12
	s_cbranch_execnz .LBB304_151
	s_branch .LBB304_155
.LBB304_123:
	v_cmp_ne_u32_e32 vcc_lo, 1, v59
	v_lshlrev_b64 v[22:23], 1, v[0:1]
	s_cbranch_vccnz .LBB304_125
; %bb.124:
	v_add_co_u32 v60, vcc_lo, v40, v22
	v_add_co_ci_u32_e64 v61, null, v41, v23, vcc_lo
	global_load_ushort v58, v[60:61], off
	s_waitcnt vmcnt(0)
	v_mul_f16_e32 v58, s15, v58
	s_branch .LBB304_126
.LBB304_125:
	v_mov_b32_e32 v58, 0
.LBB304_126:
	v_pk_max_f16 v60, v2, v2
	v_pk_max_f16 v61, v18, v18
	;; [unrolled: 1-line block ×4, first 2 shown]
	v_add_co_u32 v22, vcc_lo, v24, v22
	v_pk_min_f16 v60, v61, v60
	v_add_co_ci_u32_e64 v23, null, v25, v23, vcc_lo
	v_pk_min_f16 v61, v63, v62
	v_pk_add_f16 v57, v57, v60
	v_pk_add_f16 v57, v57, v61
	v_add_f16_sdwa v57, v57, v57 dst_sel:DWORD dst_unused:UNUSED_PAD src0_sel:DWORD src1_sel:WORD_1
	v_add_f16_e32 v57, v57, v58
	global_store_short v[22:23], v57, off
	s_or_b32 exec_lo, exec_lo, s12
	s_and_b32 s18, s1, s8
	s_and_saveexec_b32 s12, s18
	s_cbranch_execz .LBB304_117
.LBB304_127:
	v_cmp_ne_u32_e32 vcc_lo, 1, v59
	v_lshlrev_b64 v[22:23], 1, v[26:27]
	s_cbranch_vccnz .LBB304_129
; %bb.128:
	v_add_co_u32 v57, vcc_lo, v40, v22
	v_add_co_ci_u32_e64 v58, null, v41, v23, vcc_lo
	global_load_ushort v57, v[57:58], off
	s_waitcnt vmcnt(0)
	v_mul_f16_e32 v57, s15, v57
	s_branch .LBB304_130
.LBB304_129:
	v_mov_b32_e32 v57, 0
.LBB304_130:
	v_pk_max_f16 v58, v2, v2
	v_pk_max_f16 v60, v20, v20
	;; [unrolled: 1-line block ×4, first 2 shown]
	v_add_co_u32 v22, vcc_lo, v24, v22
	v_pk_min_f16 v58, v60, v58
	v_add_co_ci_u32_e64 v23, null, v25, v23, vcc_lo
	v_pk_min_f16 v60, v62, v61
	v_pk_add_f16 v56, v56, v58
	v_pk_add_f16 v56, v56, v60
	v_add_f16_sdwa v56, v56, v56 dst_sel:DWORD dst_unused:UNUSED_PAD src0_sel:DWORD src1_sel:WORD_1
	v_add_f16_e32 v56, v56, v57
	global_store_short v[22:23], v56, off
	s_or_b32 exec_lo, exec_lo, s12
	s_and_b32 s18, s2, s8
	s_and_saveexec_b32 s12, s18
	s_cbranch_execz .LBB304_118
.LBB304_131:
	v_cmp_ne_u32_e32 vcc_lo, 1, v59
	v_lshlrev_b64 v[22:23], 1, v[28:29]
	s_cbranch_vccnz .LBB304_133
; %bb.132:
	v_add_co_u32 v56, vcc_lo, v40, v22
	v_add_co_ci_u32_e64 v57, null, v41, v23, vcc_lo
	global_load_ushort v56, v[56:57], off
	s_waitcnt vmcnt(0)
	v_mul_f16_e32 v56, s15, v56
	s_branch .LBB304_134
.LBB304_133:
	v_mov_b32_e32 v56, 0
.LBB304_134:
	v_pk_max_f16 v57, v2, v2
	v_pk_max_f16 v58, v14, v14
	;; [unrolled: 1-line block ×4, first 2 shown]
	v_add_co_u32 v22, vcc_lo, v24, v22
	v_pk_min_f16 v57, v58, v57
	v_add_co_ci_u32_e64 v23, null, v25, v23, vcc_lo
	v_pk_min_f16 v58, v61, v60
	v_pk_add_f16 v55, v55, v57
	v_pk_add_f16 v55, v55, v58
	v_add_f16_sdwa v55, v55, v55 dst_sel:DWORD dst_unused:UNUSED_PAD src0_sel:DWORD src1_sel:WORD_1
	v_add_f16_e32 v55, v55, v56
	global_store_short v[22:23], v55, off
	s_or_b32 exec_lo, exec_lo, s12
	s_and_b32 s18, s3, s8
	s_and_saveexec_b32 s12, s18
	s_cbranch_execz .LBB304_119
.LBB304_135:
	v_cmp_ne_u32_e32 vcc_lo, 1, v59
	v_lshlrev_b64 v[22:23], 1, v[30:31]
	s_cbranch_vccnz .LBB304_137
; %bb.136:
	v_add_co_u32 v55, vcc_lo, v40, v22
	v_add_co_ci_u32_e64 v56, null, v41, v23, vcc_lo
	global_load_ushort v55, v[55:56], off
	s_waitcnt vmcnt(0)
	v_mul_f16_e32 v55, s15, v55
	s_branch .LBB304_138
.LBB304_137:
	v_mov_b32_e32 v55, 0
.LBB304_138:
	v_pk_max_f16 v56, v2, v2
	v_pk_max_f16 v57, v16, v16
	;; [unrolled: 1-line block ×4, first 2 shown]
	v_add_co_u32 v22, vcc_lo, v24, v22
	v_pk_min_f16 v56, v57, v56
	v_add_co_ci_u32_e64 v23, null, v25, v23, vcc_lo
	v_pk_min_f16 v57, v60, v58
	v_pk_add_f16 v54, v54, v56
	v_pk_add_f16 v54, v54, v57
	v_add_f16_sdwa v54, v54, v54 dst_sel:DWORD dst_unused:UNUSED_PAD src0_sel:DWORD src1_sel:WORD_1
	v_add_f16_e32 v54, v54, v55
	global_store_short v[22:23], v54, off
	s_or_b32 exec_lo, exec_lo, s12
	s_and_b32 s18, s4, s8
	s_and_saveexec_b32 s12, s18
	s_cbranch_execz .LBB304_120
.LBB304_139:
	v_cmp_ne_u32_e32 vcc_lo, 1, v59
	v_lshlrev_b64 v[22:23], 1, v[32:33]
	s_cbranch_vccnz .LBB304_141
; %bb.140:
	v_add_co_u32 v54, vcc_lo, v40, v22
	v_add_co_ci_u32_e64 v55, null, v41, v23, vcc_lo
	global_load_ushort v54, v[54:55], off
	s_waitcnt vmcnt(0)
	v_mul_f16_e32 v54, s15, v54
	s_branch .LBB304_142
.LBB304_141:
	v_mov_b32_e32 v54, 0
.LBB304_142:
	v_pk_max_f16 v55, v2, v2
	v_pk_max_f16 v56, v10, v10
	;; [unrolled: 1-line block ×4, first 2 shown]
	v_add_co_u32 v22, vcc_lo, v24, v22
	v_pk_min_f16 v55, v56, v55
	v_add_co_ci_u32_e64 v23, null, v25, v23, vcc_lo
	v_pk_min_f16 v56, v58, v57
	v_pk_add_f16 v53, v53, v55
	v_pk_add_f16 v53, v53, v56
	v_add_f16_sdwa v53, v53, v53 dst_sel:DWORD dst_unused:UNUSED_PAD src0_sel:DWORD src1_sel:WORD_1
	v_add_f16_e32 v53, v53, v54
	global_store_short v[22:23], v53, off
	s_or_b32 exec_lo, exec_lo, s12
	s_and_b32 s18, s5, s8
	s_and_saveexec_b32 s12, s18
	s_cbranch_execz .LBB304_121
.LBB304_143:
	v_cmp_ne_u32_e32 vcc_lo, 1, v59
	v_lshlrev_b64 v[22:23], 1, v[34:35]
	s_cbranch_vccnz .LBB304_145
; %bb.144:
	v_add_co_u32 v53, vcc_lo, v40, v22
	v_add_co_ci_u32_e64 v54, null, v41, v23, vcc_lo
	global_load_ushort v53, v[53:54], off
	s_waitcnt vmcnt(0)
	v_mul_f16_e32 v53, s15, v53
	s_branch .LBB304_146
.LBB304_145:
	v_mov_b32_e32 v53, 0
.LBB304_146:
	v_pk_max_f16 v54, v2, v2
	v_pk_max_f16 v55, v12, v12
	;; [unrolled: 1-line block ×4, first 2 shown]
	v_add_co_u32 v22, vcc_lo, v24, v22
	v_pk_min_f16 v54, v55, v54
	v_add_co_ci_u32_e64 v23, null, v25, v23, vcc_lo
	v_pk_min_f16 v55, v57, v56
	v_pk_add_f16 v52, v52, v54
	v_pk_add_f16 v52, v52, v55
	v_add_f16_sdwa v52, v52, v52 dst_sel:DWORD dst_unused:UNUSED_PAD src0_sel:DWORD src1_sel:WORD_1
	v_add_f16_e32 v52, v52, v53
	global_store_short v[22:23], v52, off
	s_or_b32 exec_lo, exec_lo, s12
	s_and_b32 s18, s6, s8
	s_and_saveexec_b32 s12, s18
	s_cbranch_execz .LBB304_122
.LBB304_147:
	v_cmp_ne_u32_e32 vcc_lo, 1, v59
	v_lshlrev_b64 v[22:23], 1, v[36:37]
	s_cbranch_vccnz .LBB304_149
; %bb.148:
	v_add_co_u32 v52, vcc_lo, v40, v22
	v_add_co_ci_u32_e64 v53, null, v41, v23, vcc_lo
	global_load_ushort v52, v[52:53], off
	s_waitcnt vmcnt(0)
	v_mul_f16_e32 v52, s15, v52
	s_branch .LBB304_150
.LBB304_149:
	v_mov_b32_e32 v52, 0
.LBB304_150:
	v_pk_max_f16 v53, v2, v2
	v_pk_max_f16 v54, v6, v6
	v_pk_max_f16 v55, v3, v3
	v_pk_max_f16 v56, v7, v7
	v_add_co_u32 v22, vcc_lo, v24, v22
	v_pk_min_f16 v53, v54, v53
	v_add_co_ci_u32_e64 v23, null, v25, v23, vcc_lo
	v_pk_min_f16 v54, v56, v55
	v_pk_add_f16 v51, v51, v53
	v_pk_add_f16 v51, v51, v54
	v_add_f16_sdwa v51, v51, v51 dst_sel:DWORD dst_unused:UNUSED_PAD src0_sel:DWORD src1_sel:WORD_1
	v_add_f16_e32 v51, v51, v52
	global_store_short v[22:23], v51, off
	s_or_b32 exec_lo, exec_lo, s12
	s_and_b32 s12, s7, s8
	s_and_saveexec_b32 s8, s12
	s_cbranch_execz .LBB304_155
.LBB304_151:
	v_cmp_ne_u32_e32 vcc_lo, 1, v59
	v_lshlrev_b64 v[22:23], 1, v[38:39]
	s_cbranch_vccnz .LBB304_153
; %bb.152:
	v_add_co_u32 v40, vcc_lo, v40, v22
	v_add_co_ci_u32_e64 v41, null, v41, v23, vcc_lo
	global_load_ushort v40, v[40:41], off
	s_waitcnt vmcnt(0)
	v_mul_f16_e32 v40, s15, v40
	s_branch .LBB304_154
.LBB304_153:
	v_mov_b32_e32 v40, 0
.LBB304_154:
	v_pk_max_f16 v2, v2, v2
	v_pk_max_f16 v41, v8, v8
	;; [unrolled: 1-line block ×4, first 2 shown]
	v_pk_min_f16 v2, v41, v2
	v_pk_min_f16 v3, v51, v3
	v_pk_add_f16 v2, v50, v2
	v_pk_add_f16 v2, v2, v3
	v_add_f16_sdwa v2, v2, v2 dst_sel:DWORD dst_unused:UNUSED_PAD src0_sel:DWORD src1_sel:WORD_1
	v_add_f16_e32 v40, v2, v40
	v_add_co_u32 v2, vcc_lo, v24, v22
	v_add_co_ci_u32_e64 v3, null, v25, v23, vcc_lo
	global_store_short v[2:3], v40, off
.LBB304_155:
	s_or_b32 exec_lo, exec_lo, s8
	v_add_nc_u32_e32 v24, 0x60, v67
	v_mad_i64_i32 v[2:3], null, v24, s14, 0
	v_mad_i64_i32 v[22:23], null, v24, s9, 0
	v_cmp_gt_i32_e64 s8, s13, v24
	v_lshlrev_b64 v[2:3], 1, v[2:3]
	s_and_b32 s9, s0, s8
	v_lshlrev_b64 v[24:25], 1, v[22:23]
	v_add_co_u32 v22, vcc_lo, s16, v2
	v_add_co_ci_u32_e64 v23, null, s17, v3, vcc_lo
	v_add_co_u32 v2, vcc_lo, s10, v24
	v_add_co_ci_u32_e64 v3, null, s11, v25, vcc_lo
	s_and_saveexec_b32 s0, s9
	s_cbranch_execnz .LBB304_164
; %bb.156:
	s_or_b32 exec_lo, exec_lo, s0
	s_and_b32 s1, s1, s8
	s_and_saveexec_b32 s0, s1
	s_cbranch_execnz .LBB304_168
.LBB304_157:
	s_or_b32 exec_lo, exec_lo, s0
	s_and_b32 s1, s2, s8
	s_and_saveexec_b32 s0, s1
	s_cbranch_execnz .LBB304_172
.LBB304_158:
	s_or_b32 exec_lo, exec_lo, s0
	s_and_b32 s1, s3, s8
	s_and_saveexec_b32 s0, s1
	s_cbranch_execnz .LBB304_176
.LBB304_159:
	s_or_b32 exec_lo, exec_lo, s0
	s_and_b32 s1, s4, s8
	s_and_saveexec_b32 s0, s1
	s_cbranch_execnz .LBB304_180
.LBB304_160:
	s_or_b32 exec_lo, exec_lo, s0
	s_and_b32 s1, s5, s8
	s_and_saveexec_b32 s0, s1
	s_cbranch_execnz .LBB304_184
.LBB304_161:
	s_or_b32 exec_lo, exec_lo, s0
	s_and_b32 s1, s6, s8
	s_and_saveexec_b32 s0, s1
	s_cbranch_execnz .LBB304_188
.LBB304_162:
	s_or_b32 exec_lo, exec_lo, s0
	s_and_b32 s0, s7, s8
	s_and_saveexec_b32 s1, s0
	s_cbranch_execnz .LBB304_192
.LBB304_163:
	s_endpgm
.LBB304_164:
	v_cmp_ne_u32_e32 vcc_lo, 1, v59
	v_lshlrev_b64 v[0:1], 1, v[0:1]
	s_cbranch_vccnz .LBB304_166
; %bb.165:
	v_add_co_u32 v24, vcc_lo, v22, v0
	v_add_co_ci_u32_e64 v25, null, v23, v1, vcc_lo
	global_load_ushort v24, v[24:25], off
	s_waitcnt vmcnt(0)
	v_mul_f16_e32 v24, s15, v24
	s_branch .LBB304_167
.LBB304_166:
	v_mov_b32_e32 v24, 0
.LBB304_167:
	v_pk_max_f16 v25, v4, v4
	v_pk_max_f16 v18, v18, v18
	;; [unrolled: 1-line block ×4, first 2 shown]
	v_add_co_u32 v0, vcc_lo, v2, v0
	v_pk_min_f16 v18, v18, v25
	v_add_co_ci_u32_e64 v1, null, v3, v1, vcc_lo
	v_pk_min_f16 v19, v19, v40
	v_pk_add_f16 v18, v49, v18
	v_pk_add_f16 v18, v18, v19
	v_add_f16_sdwa v18, v18, v18 dst_sel:DWORD dst_unused:UNUSED_PAD src0_sel:DWORD src1_sel:WORD_1
	v_add_f16_e32 v18, v18, v24
	global_store_short v[0:1], v18, off
	s_or_b32 exec_lo, exec_lo, s0
	s_and_b32 s1, s1, s8
	s_and_saveexec_b32 s0, s1
	s_cbranch_execz .LBB304_157
.LBB304_168:
	v_cmp_ne_u32_e32 vcc_lo, 1, v59
	v_lshlrev_b64 v[0:1], 1, v[26:27]
	s_cbranch_vccnz .LBB304_170
; %bb.169:
	v_add_co_u32 v18, vcc_lo, v22, v0
	v_add_co_ci_u32_e64 v19, null, v23, v1, vcc_lo
	global_load_ushort v18, v[18:19], off
	s_waitcnt vmcnt(0)
	v_mul_f16_e32 v18, s15, v18
	s_branch .LBB304_171
.LBB304_170:
	v_mov_b32_e32 v18, 0
.LBB304_171:
	v_pk_max_f16 v19, v4, v4
	v_pk_max_f16 v20, v20, v20
	;; [unrolled: 1-line block ×4, first 2 shown]
	v_add_co_u32 v0, vcc_lo, v2, v0
	v_pk_min_f16 v19, v20, v19
	v_add_co_ci_u32_e64 v1, null, v3, v1, vcc_lo
	v_pk_min_f16 v20, v21, v24
	v_pk_add_f16 v19, v48, v19
	v_pk_add_f16 v19, v19, v20
	v_add_f16_sdwa v19, v19, v19 dst_sel:DWORD dst_unused:UNUSED_PAD src0_sel:DWORD src1_sel:WORD_1
	v_add_f16_e32 v18, v19, v18
	global_store_short v[0:1], v18, off
	s_or_b32 exec_lo, exec_lo, s0
	s_and_b32 s1, s2, s8
	s_and_saveexec_b32 s0, s1
	s_cbranch_execz .LBB304_158
.LBB304_172:
	v_cmp_ne_u32_e32 vcc_lo, 1, v59
	v_lshlrev_b64 v[0:1], 1, v[28:29]
	s_cbranch_vccnz .LBB304_174
; %bb.173:
	v_add_co_u32 v18, vcc_lo, v22, v0
	v_add_co_ci_u32_e64 v19, null, v23, v1, vcc_lo
	global_load_ushort v18, v[18:19], off
	s_waitcnt vmcnt(0)
	v_mul_f16_e32 v18, s15, v18
	s_branch .LBB304_175
.LBB304_174:
	v_mov_b32_e32 v18, 0
.LBB304_175:
	v_pk_max_f16 v19, v4, v4
	v_pk_max_f16 v14, v14, v14
	;; [unrolled: 1-line block ×4, first 2 shown]
	v_add_co_u32 v0, vcc_lo, v2, v0
	v_pk_min_f16 v14, v14, v19
	v_add_co_ci_u32_e64 v1, null, v3, v1, vcc_lo
	v_pk_min_f16 v15, v15, v20
	v_pk_add_f16 v14, v47, v14
	v_pk_add_f16 v14, v14, v15
	v_add_f16_sdwa v14, v14, v14 dst_sel:DWORD dst_unused:UNUSED_PAD src0_sel:DWORD src1_sel:WORD_1
	v_add_f16_e32 v14, v14, v18
	global_store_short v[0:1], v14, off
	s_or_b32 exec_lo, exec_lo, s0
	s_and_b32 s1, s3, s8
	s_and_saveexec_b32 s0, s1
	s_cbranch_execz .LBB304_159
.LBB304_176:
	v_cmp_ne_u32_e32 vcc_lo, 1, v59
	v_lshlrev_b64 v[0:1], 1, v[30:31]
	s_cbranch_vccnz .LBB304_178
; %bb.177:
	v_add_co_u32 v14, vcc_lo, v22, v0
	v_add_co_ci_u32_e64 v15, null, v23, v1, vcc_lo
	global_load_ushort v14, v[14:15], off
	s_waitcnt vmcnt(0)
	v_mul_f16_e32 v14, s15, v14
	s_branch .LBB304_179
.LBB304_178:
	v_mov_b32_e32 v14, 0
.LBB304_179:
	v_pk_max_f16 v15, v4, v4
	v_pk_max_f16 v16, v16, v16
	;; [unrolled: 1-line block ×4, first 2 shown]
	v_add_co_u32 v0, vcc_lo, v2, v0
	v_pk_min_f16 v15, v16, v15
	v_add_co_ci_u32_e64 v1, null, v3, v1, vcc_lo
	v_pk_min_f16 v16, v17, v18
	v_pk_add_f16 v15, v46, v15
	v_pk_add_f16 v15, v15, v16
	v_add_f16_sdwa v15, v15, v15 dst_sel:DWORD dst_unused:UNUSED_PAD src0_sel:DWORD src1_sel:WORD_1
	v_add_f16_e32 v14, v15, v14
	global_store_short v[0:1], v14, off
	s_or_b32 exec_lo, exec_lo, s0
	s_and_b32 s1, s4, s8
	s_and_saveexec_b32 s0, s1
	s_cbranch_execz .LBB304_160
.LBB304_180:
	v_cmp_ne_u32_e32 vcc_lo, 1, v59
	v_lshlrev_b64 v[0:1], 1, v[32:33]
	s_cbranch_vccnz .LBB304_182
; %bb.181:
	v_add_co_u32 v14, vcc_lo, v22, v0
	v_add_co_ci_u32_e64 v15, null, v23, v1, vcc_lo
	global_load_ushort v14, v[14:15], off
	s_waitcnt vmcnt(0)
	v_mul_f16_e32 v14, s15, v14
	s_branch .LBB304_183
.LBB304_182:
	v_mov_b32_e32 v14, 0
.LBB304_183:
	v_pk_max_f16 v15, v4, v4
	v_pk_max_f16 v10, v10, v10
	;; [unrolled: 1-line block ×4, first 2 shown]
	v_add_co_u32 v0, vcc_lo, v2, v0
	v_pk_min_f16 v10, v10, v15
	v_add_co_ci_u32_e64 v1, null, v3, v1, vcc_lo
	v_pk_min_f16 v11, v11, v16
	v_pk_add_f16 v10, v45, v10
	v_pk_add_f16 v10, v10, v11
	v_add_f16_sdwa v10, v10, v10 dst_sel:DWORD dst_unused:UNUSED_PAD src0_sel:DWORD src1_sel:WORD_1
	v_add_f16_e32 v10, v10, v14
	global_store_short v[0:1], v10, off
	s_or_b32 exec_lo, exec_lo, s0
	s_and_b32 s1, s5, s8
	s_and_saveexec_b32 s0, s1
	s_cbranch_execz .LBB304_161
.LBB304_184:
	v_cmp_ne_u32_e32 vcc_lo, 1, v59
	v_lshlrev_b64 v[0:1], 1, v[34:35]
	s_cbranch_vccnz .LBB304_186
; %bb.185:
	v_add_co_u32 v10, vcc_lo, v22, v0
	v_add_co_ci_u32_e64 v11, null, v23, v1, vcc_lo
	global_load_ushort v10, v[10:11], off
	s_waitcnt vmcnt(0)
	v_mul_f16_e32 v10, s15, v10
	s_branch .LBB304_187
.LBB304_186:
	v_mov_b32_e32 v10, 0
.LBB304_187:
	v_pk_max_f16 v11, v4, v4
	v_pk_max_f16 v12, v12, v12
	;; [unrolled: 1-line block ×4, first 2 shown]
	v_add_co_u32 v0, vcc_lo, v2, v0
	v_pk_min_f16 v11, v12, v11
	v_add_co_ci_u32_e64 v1, null, v3, v1, vcc_lo
	v_pk_min_f16 v12, v13, v14
	v_pk_add_f16 v11, v44, v11
	v_pk_add_f16 v11, v11, v12
	v_add_f16_sdwa v11, v11, v11 dst_sel:DWORD dst_unused:UNUSED_PAD src0_sel:DWORD src1_sel:WORD_1
	v_add_f16_e32 v10, v11, v10
	global_store_short v[0:1], v10, off
	s_or_b32 exec_lo, exec_lo, s0
	s_and_b32 s1, s6, s8
	s_and_saveexec_b32 s0, s1
	s_cbranch_execz .LBB304_162
.LBB304_188:
	v_cmp_ne_u32_e32 vcc_lo, 1, v59
	v_lshlrev_b64 v[0:1], 1, v[36:37]
	s_cbranch_vccnz .LBB304_190
; %bb.189:
	v_add_co_u32 v10, vcc_lo, v22, v0
	v_add_co_ci_u32_e64 v11, null, v23, v1, vcc_lo
	global_load_ushort v10, v[10:11], off
	s_waitcnt vmcnt(0)
	v_mul_f16_e32 v10, s15, v10
	s_branch .LBB304_191
.LBB304_190:
	v_mov_b32_e32 v10, 0
.LBB304_191:
	v_pk_max_f16 v11, v4, v4
	v_pk_max_f16 v6, v6, v6
	;; [unrolled: 1-line block ×4, first 2 shown]
	v_add_co_u32 v0, vcc_lo, v2, v0
	v_pk_min_f16 v6, v6, v11
	v_add_co_ci_u32_e64 v1, null, v3, v1, vcc_lo
	v_pk_min_f16 v7, v7, v12
	v_pk_add_f16 v6, v43, v6
	v_pk_add_f16 v6, v6, v7
	v_add_f16_sdwa v6, v6, v6 dst_sel:DWORD dst_unused:UNUSED_PAD src0_sel:DWORD src1_sel:WORD_1
	v_add_f16_e32 v6, v6, v10
	global_store_short v[0:1], v6, off
	s_or_b32 exec_lo, exec_lo, s0
	s_and_b32 s0, s7, s8
	s_and_saveexec_b32 s1, s0
	s_cbranch_execz .LBB304_163
.LBB304_192:
	v_cmp_ne_u32_e32 vcc_lo, 1, v59
	v_lshlrev_b64 v[0:1], 1, v[38:39]
	s_cbranch_vccnz .LBB304_194
; %bb.193:
	v_add_co_u32 v6, vcc_lo, v22, v0
	v_add_co_ci_u32_e64 v7, null, v23, v1, vcc_lo
	global_load_ushort v6, v[6:7], off
	s_waitcnt vmcnt(0)
	v_mul_f16_e32 v6, s15, v6
	s_branch .LBB304_195
.LBB304_194:
	v_mov_b32_e32 v6, 0
.LBB304_195:
	v_pk_max_f16 v4, v4, v4
	v_pk_max_f16 v7, v8, v8
	;; [unrolled: 1-line block ×4, first 2 shown]
	v_add_co_u32 v0, vcc_lo, v2, v0
	v_pk_min_f16 v4, v7, v4
	v_add_co_ci_u32_e64 v1, null, v3, v1, vcc_lo
	v_pk_min_f16 v5, v8, v5
	v_pk_add_f16 v4, v42, v4
	v_pk_add_f16 v4, v4, v5
	v_add_f16_sdwa v4, v4, v4 dst_sel:DWORD dst_unused:UNUSED_PAD src0_sel:DWORD src1_sel:WORD_1
	v_add_f16_e32 v4, v4, v6
	global_store_short v[0:1], v4, off
	s_endpgm
	.section	.rodata,"a",@progbits
	.p2align	6, 0x0
	.amdhsa_kernel _ZN12_GLOBAL__N_120geam_min_plus_kernelIDF16_Dv2_DF16_S1_Li8ELi32ELi64ELi128ELi4ELi4ELi64ELi64ELi4ELc84ELc84ELb1ELb1ELb0EDF16_KDF16_DF16_EEviiiT16_PT17_ilS5_ilS3_S5_ilPT18_ili26rocblas_geam_ex_operation_
		.amdhsa_group_segment_fixed_size 3072
		.amdhsa_private_segment_fixed_size 0
		.amdhsa_kernarg_size 128
		.amdhsa_user_sgpr_count 6
		.amdhsa_user_sgpr_private_segment_buffer 1
		.amdhsa_user_sgpr_dispatch_ptr 0
		.amdhsa_user_sgpr_queue_ptr 0
		.amdhsa_user_sgpr_kernarg_segment_ptr 1
		.amdhsa_user_sgpr_dispatch_id 0
		.amdhsa_user_sgpr_flat_scratch_init 0
		.amdhsa_user_sgpr_private_segment_size 0
		.amdhsa_wavefront_size32 1
		.amdhsa_uses_dynamic_stack 0
		.amdhsa_system_sgpr_private_segment_wavefront_offset 0
		.amdhsa_system_sgpr_workgroup_id_x 1
		.amdhsa_system_sgpr_workgroup_id_y 0
		.amdhsa_system_sgpr_workgroup_id_z 1
		.amdhsa_system_sgpr_workgroup_info 0
		.amdhsa_system_vgpr_workitem_id 1
		.amdhsa_next_free_vgpr 124
		.amdhsa_next_free_sgpr 26
		.amdhsa_reserve_vcc 1
		.amdhsa_reserve_flat_scratch 0
		.amdhsa_float_round_mode_32 0
		.amdhsa_float_round_mode_16_64 0
		.amdhsa_float_denorm_mode_32 3
		.amdhsa_float_denorm_mode_16_64 3
		.amdhsa_dx10_clamp 1
		.amdhsa_ieee_mode 1
		.amdhsa_fp16_overflow 0
		.amdhsa_workgroup_processor_mode 1
		.amdhsa_memory_ordered 1
		.amdhsa_forward_progress 1
		.amdhsa_shared_vgpr_count 0
		.amdhsa_exception_fp_ieee_invalid_op 0
		.amdhsa_exception_fp_denorm_src 0
		.amdhsa_exception_fp_ieee_div_zero 0
		.amdhsa_exception_fp_ieee_overflow 0
		.amdhsa_exception_fp_ieee_underflow 0
		.amdhsa_exception_fp_ieee_inexact 0
		.amdhsa_exception_int_div_zero 0
	.end_amdhsa_kernel
	.section	.text._ZN12_GLOBAL__N_120geam_min_plus_kernelIDF16_Dv2_DF16_S1_Li8ELi32ELi64ELi128ELi4ELi4ELi64ELi64ELi4ELc84ELc84ELb1ELb1ELb0EDF16_KDF16_DF16_EEviiiT16_PT17_ilS5_ilS3_S5_ilPT18_ili26rocblas_geam_ex_operation_,"axG",@progbits,_ZN12_GLOBAL__N_120geam_min_plus_kernelIDF16_Dv2_DF16_S1_Li8ELi32ELi64ELi128ELi4ELi4ELi64ELi64ELi4ELc84ELc84ELb1ELb1ELb0EDF16_KDF16_DF16_EEviiiT16_PT17_ilS5_ilS3_S5_ilPT18_ili26rocblas_geam_ex_operation_,comdat
.Lfunc_end304:
	.size	_ZN12_GLOBAL__N_120geam_min_plus_kernelIDF16_Dv2_DF16_S1_Li8ELi32ELi64ELi128ELi4ELi4ELi64ELi64ELi4ELc84ELc84ELb1ELb1ELb0EDF16_KDF16_DF16_EEviiiT16_PT17_ilS5_ilS3_S5_ilPT18_ili26rocblas_geam_ex_operation_, .Lfunc_end304-_ZN12_GLOBAL__N_120geam_min_plus_kernelIDF16_Dv2_DF16_S1_Li8ELi32ELi64ELi128ELi4ELi4ELi64ELi64ELi4ELc84ELc84ELb1ELb1ELb0EDF16_KDF16_DF16_EEviiiT16_PT17_ilS5_ilS3_S5_ilPT18_ili26rocblas_geam_ex_operation_
                                        ; -- End function
	.set _ZN12_GLOBAL__N_120geam_min_plus_kernelIDF16_Dv2_DF16_S1_Li8ELi32ELi64ELi128ELi4ELi4ELi64ELi64ELi4ELc84ELc84ELb1ELb1ELb0EDF16_KDF16_DF16_EEviiiT16_PT17_ilS5_ilS3_S5_ilPT18_ili26rocblas_geam_ex_operation_.num_vgpr, 124
	.set _ZN12_GLOBAL__N_120geam_min_plus_kernelIDF16_Dv2_DF16_S1_Li8ELi32ELi64ELi128ELi4ELi4ELi64ELi64ELi4ELc84ELc84ELb1ELb1ELb0EDF16_KDF16_DF16_EEviiiT16_PT17_ilS5_ilS3_S5_ilPT18_ili26rocblas_geam_ex_operation_.num_agpr, 0
	.set _ZN12_GLOBAL__N_120geam_min_plus_kernelIDF16_Dv2_DF16_S1_Li8ELi32ELi64ELi128ELi4ELi4ELi64ELi64ELi4ELc84ELc84ELb1ELb1ELb0EDF16_KDF16_DF16_EEviiiT16_PT17_ilS5_ilS3_S5_ilPT18_ili26rocblas_geam_ex_operation_.numbered_sgpr, 26
	.set _ZN12_GLOBAL__N_120geam_min_plus_kernelIDF16_Dv2_DF16_S1_Li8ELi32ELi64ELi128ELi4ELi4ELi64ELi64ELi4ELc84ELc84ELb1ELb1ELb0EDF16_KDF16_DF16_EEviiiT16_PT17_ilS5_ilS3_S5_ilPT18_ili26rocblas_geam_ex_operation_.num_named_barrier, 0
	.set _ZN12_GLOBAL__N_120geam_min_plus_kernelIDF16_Dv2_DF16_S1_Li8ELi32ELi64ELi128ELi4ELi4ELi64ELi64ELi4ELc84ELc84ELb1ELb1ELb0EDF16_KDF16_DF16_EEviiiT16_PT17_ilS5_ilS3_S5_ilPT18_ili26rocblas_geam_ex_operation_.private_seg_size, 0
	.set _ZN12_GLOBAL__N_120geam_min_plus_kernelIDF16_Dv2_DF16_S1_Li8ELi32ELi64ELi128ELi4ELi4ELi64ELi64ELi4ELc84ELc84ELb1ELb1ELb0EDF16_KDF16_DF16_EEviiiT16_PT17_ilS5_ilS3_S5_ilPT18_ili26rocblas_geam_ex_operation_.uses_vcc, 1
	.set _ZN12_GLOBAL__N_120geam_min_plus_kernelIDF16_Dv2_DF16_S1_Li8ELi32ELi64ELi128ELi4ELi4ELi64ELi64ELi4ELc84ELc84ELb1ELb1ELb0EDF16_KDF16_DF16_EEviiiT16_PT17_ilS5_ilS3_S5_ilPT18_ili26rocblas_geam_ex_operation_.uses_flat_scratch, 0
	.set _ZN12_GLOBAL__N_120geam_min_plus_kernelIDF16_Dv2_DF16_S1_Li8ELi32ELi64ELi128ELi4ELi4ELi64ELi64ELi4ELc84ELc84ELb1ELb1ELb0EDF16_KDF16_DF16_EEviiiT16_PT17_ilS5_ilS3_S5_ilPT18_ili26rocblas_geam_ex_operation_.has_dyn_sized_stack, 0
	.set _ZN12_GLOBAL__N_120geam_min_plus_kernelIDF16_Dv2_DF16_S1_Li8ELi32ELi64ELi128ELi4ELi4ELi64ELi64ELi4ELc84ELc84ELb1ELb1ELb0EDF16_KDF16_DF16_EEviiiT16_PT17_ilS5_ilS3_S5_ilPT18_ili26rocblas_geam_ex_operation_.has_recursion, 0
	.set _ZN12_GLOBAL__N_120geam_min_plus_kernelIDF16_Dv2_DF16_S1_Li8ELi32ELi64ELi128ELi4ELi4ELi64ELi64ELi4ELc84ELc84ELb1ELb1ELb0EDF16_KDF16_DF16_EEviiiT16_PT17_ilS5_ilS3_S5_ilPT18_ili26rocblas_geam_ex_operation_.has_indirect_call, 0
	.section	.AMDGPU.csdata,"",@progbits
; Kernel info:
; codeLenInByte = 11948
; TotalNumSgprs: 28
; NumVgprs: 124
; ScratchSize: 0
; MemoryBound: 0
; FloatMode: 240
; IeeeMode: 1
; LDSByteSize: 3072 bytes/workgroup (compile time only)
; SGPRBlocks: 0
; VGPRBlocks: 15
; NumSGPRsForWavesPerEU: 28
; NumVGPRsForWavesPerEU: 124
; Occupancy: 8
; WaveLimiterHint : 0
; COMPUTE_PGM_RSRC2:SCRATCH_EN: 0
; COMPUTE_PGM_RSRC2:USER_SGPR: 6
; COMPUTE_PGM_RSRC2:TRAP_HANDLER: 0
; COMPUTE_PGM_RSRC2:TGID_X_EN: 1
; COMPUTE_PGM_RSRC2:TGID_Y_EN: 0
; COMPUTE_PGM_RSRC2:TGID_Z_EN: 1
; COMPUTE_PGM_RSRC2:TIDIG_COMP_CNT: 1
	.section	.text._ZN12_GLOBAL__N_120geam_min_plus_kernelIDF16_Dv2_DF16_S1_Li8ELi32ELi64ELi128ELi4ELi4ELi64ELi64ELi4ELc84ELc84ELb0ELb1ELb0EDF16_KDF16_DF16_EEviiiT16_PT17_ilS5_ilS3_S5_ilPT18_ili26rocblas_geam_ex_operation_,"axG",@progbits,_ZN12_GLOBAL__N_120geam_min_plus_kernelIDF16_Dv2_DF16_S1_Li8ELi32ELi64ELi128ELi4ELi4ELi64ELi64ELi4ELc84ELc84ELb0ELb1ELb0EDF16_KDF16_DF16_EEviiiT16_PT17_ilS5_ilS3_S5_ilPT18_ili26rocblas_geam_ex_operation_,comdat
	.globl	_ZN12_GLOBAL__N_120geam_min_plus_kernelIDF16_Dv2_DF16_S1_Li8ELi32ELi64ELi128ELi4ELi4ELi64ELi64ELi4ELc84ELc84ELb0ELb1ELb0EDF16_KDF16_DF16_EEviiiT16_PT17_ilS5_ilS3_S5_ilPT18_ili26rocblas_geam_ex_operation_ ; -- Begin function _ZN12_GLOBAL__N_120geam_min_plus_kernelIDF16_Dv2_DF16_S1_Li8ELi32ELi64ELi128ELi4ELi4ELi64ELi64ELi4ELc84ELc84ELb0ELb1ELb0EDF16_KDF16_DF16_EEviiiT16_PT17_ilS5_ilS3_S5_ilPT18_ili26rocblas_geam_ex_operation_
	.p2align	8
	.type	_ZN12_GLOBAL__N_120geam_min_plus_kernelIDF16_Dv2_DF16_S1_Li8ELi32ELi64ELi128ELi4ELi4ELi64ELi64ELi4ELc84ELc84ELb0ELb1ELb0EDF16_KDF16_DF16_EEviiiT16_PT17_ilS5_ilS3_S5_ilPT18_ili26rocblas_geam_ex_operation_,@function
_ZN12_GLOBAL__N_120geam_min_plus_kernelIDF16_Dv2_DF16_S1_Li8ELi32ELi64ELi128ELi4ELi4ELi64ELi64ELi4ELc84ELc84ELb0ELb1ELb0EDF16_KDF16_DF16_EEviiiT16_PT17_ilS5_ilS3_S5_ilPT18_ili26rocblas_geam_ex_operation_: ; @_ZN12_GLOBAL__N_120geam_min_plus_kernelIDF16_Dv2_DF16_S1_Li8ELi32ELi64ELi128ELi4ELi4ELi64ELi64ELi4ELc84ELc84ELb0ELb1ELb0EDF16_KDF16_DF16_EEviiiT16_PT17_ilS5_ilS3_S5_ilPT18_ili26rocblas_geam_ex_operation_
; %bb.0:
	s_clause 0x1
	s_load_dwordx4 s[12:15], s[4:5], 0x0
	s_load_dwordx4 s[0:3], s[4:5], 0x20
	s_waitcnt lgkmcnt(0)
	v_cmp_eq_f16_e64 s8, s15, 0
	v_cmp_neq_f16_e64 s24, s15, 0
	s_and_b32 vcc_lo, exec_lo, s8
	s_cbranch_vccnz .LBB305_37
; %bb.1:
	s_load_dwordx2 s[10:11], s[4:5], 0x10
	s_mul_i32 s1, s1, s7
	s_mul_hi_u32 s9, s0, s7
	s_mul_i32 s0, s0, s7
	s_add_i32 s1, s9, s1
	s_lshl_b64 s[0:1], s[0:1], 1
	s_waitcnt lgkmcnt(0)
	s_add_u32 s20, s10, s0
	s_addc_u32 s21, s11, s1
	s_andn2_b32 vcc_lo, exec_lo, s8
	s_mov_b32 s0, -1
	s_cbranch_vccnz .LBB305_3
.LBB305_2:
	s_mov_b32 s0, 0
.LBB305_3:
	s_mov_b64 s[16:17], 0
	s_andn2_b32 vcc_lo, exec_lo, s0
	s_mov_b64 s[18:19], 0
	s_cbranch_vccnz .LBB305_5
; %bb.4:
	s_load_dwordx2 s[0:1], s[4:5], 0x38
	s_waitcnt lgkmcnt(0)
	s_mul_i32 s1, s1, s7
	s_mul_hi_u32 s8, s0, s7
	s_mul_i32 s0, s0, s7
	s_add_i32 s1, s8, s1
	s_lshl_b64 s[0:1], s[0:1], 1
	s_add_u32 s18, s2, s0
	s_addc_u32 s19, s3, s1
.LBB305_5:
	s_clause 0x1
	s_load_dword s22, s[4:5], 0x40
	s_load_dwordx4 s[8:11], s[4:5], 0x58
	s_waitcnt lgkmcnt(0)
	v_cmp_eq_f16_e64 s0, s22, 0
	v_cmp_neq_f16_e64 s23, s22, 0
	s_and_b32 vcc_lo, exec_lo, s0
	s_cbranch_vccnz .LBB305_7
; %bb.6:
	s_load_dwordx2 s[0:1], s[4:5], 0x48
	s_mul_i32 s2, s9, s7
	s_mul_hi_u32 s3, s8, s7
	s_add_i32 s3, s3, s2
	s_mul_i32 s2, s8, s7
	s_lshl_b64 s[2:3], s[2:3], 1
	s_waitcnt lgkmcnt(0)
	s_add_u32 s16, s0, s2
	s_addc_u32 s17, s1, s3
.LBB305_7:
	s_add_i32 s0, s12, -1
	s_load_dword s28, s[4:5], 0x18
	s_ashr_i32 s1, s0, 31
	v_and_b32_e32 v30, 3, v0
	s_lshr_b32 s1, s1, 26
	v_mov_b32_e32 v10, 0
	s_add_i32 s0, s0, s1
	v_mov_b32_e32 v11, 0
	s_ashr_i32 s0, s0, 6
	v_lshlrev_b32_e32 v4, 1, v30
	s_add_i32 s2, s0, 1
	s_not_b32 s0, s0
	v_cvt_f32_u32_e32 v2, s2
	v_rcp_iflag_f32_e32 v2, v2
	v_mul_f32_e32 v2, 0x4f7ffffe, v2
	v_cvt_u32_f32_e32 v2, v2
	v_readfirstlane_b32 s1, v2
	v_lshl_add_u32 v2, v1, 3, v0
	s_mul_i32 s0, s0, s1
	v_lshrrev_b32_e32 v9, 2, v2
	s_mul_hi_u32 s0, s1, s0
	s_add_i32 s1, s1, s0
	s_mul_hi_u32 s0, s6, s1
	s_mul_i32 s1, s0, s2
	s_add_i32 s3, s0, 1
	s_sub_i32 s1, s6, s1
	s_sub_i32 s8, s1, s2
	s_cmp_ge_u32 s1, s2
	s_cselect_b32 s0, s3, s0
	s_cselect_b32 s1, s8, s1
	s_add_i32 s3, s0, 1
	s_cmp_ge_u32 s1, s2
	s_cselect_b32 s1, s3, s0
	s_mul_i32 s0, s1, s2
	s_sub_i32 s0, s6, s0
	s_lshl_b32 s6, s0, 6
	v_cmp_gt_i32_e64 s0, s14, v30
	v_add_nc_u32_e32 v5, s6, v9
	v_cmp_gt_i32_e32 vcc_lo, s12, v5
	s_and_b32 s0, s0, vcc_lo
	s_and_b32 s0, s24, s0
	s_and_saveexec_b32 s2, s0
	s_cbranch_execz .LBB305_9
; %bb.8:
	s_waitcnt lgkmcnt(0)
	v_mad_i64_i32 v[6:7], null, v5, s28, 0
	v_lshlrev_b64 v[6:7], 1, v[6:7]
	v_add_co_u32 v3, s0, s20, v6
	v_add_co_ci_u32_e64 v7, null, s21, v7, s0
	v_add_co_u32 v6, s0, v3, v4
	v_add_co_ci_u32_e64 v7, null, 0, v7, s0
	global_load_ushort v3, v[6:7], off
	s_waitcnt vmcnt(0)
	v_mul_f16_e32 v11, s15, v3
.LBB305_9:
	s_or_b32 exec_lo, exec_lo, s2
	s_load_dword s9, s[4:5], 0x30
	v_lshrrev_b32_e32 v31, 6, v2
	s_add_i32 s25, s14, -1
	v_and_b32_e32 v12, 63, v2
	s_lshl_b32 s8, s1, 7
	s_xor_b32 s26, s24, -1
	v_min_i32_e32 v3, s25, v31
	v_cmp_le_i32_e64 s2, s14, v31
	v_or_b32_e32 v2, s8, v12
	v_cmp_le_i32_e64 s0, s13, v2
	s_or_b32 s3, s0, s2
	s_waitcnt lgkmcnt(0)
	v_mad_i64_i32 v[6:7], null, s9, v3, 0
	v_ashrrev_i32_e32 v3, 31, v2
	v_lshlrev_b64 v[7:8], 1, v[6:7]
	v_add_co_u32 v7, s1, s18, v7
	v_add_co_ci_u32_e64 v8, null, s19, v8, s1
	s_nor_b32 s1, s3, s26
	s_and_saveexec_b32 s3, s1
	s_cbranch_execz .LBB305_11
; %bb.10:
	v_lshlrev_b64 v[13:14], 1, v[2:3]
	v_add_co_u32 v13, s1, v7, v13
	v_add_co_ci_u32_e64 v14, null, v8, v14, s1
	global_load_ushort v6, v[13:14], off
	s_waitcnt vmcnt(0)
	v_mul_f16_e32 v10, s15, v6
.LBB305_11:
	s_or_b32 exec_lo, exec_lo, s3
	v_or_b32_e32 v6, 64, v2
	v_mov_b32_e32 v13, 0
	v_cmp_le_i32_e64 s1, s13, v6
	v_mov_b32_e32 v6, 0
	s_or_b32 s2, s1, s2
	s_nor_b32 s2, s2, s26
	s_and_saveexec_b32 s3, s2
	s_cbranch_execz .LBB305_13
; %bb.12:
	v_lshlrev_b64 v[13:14], 1, v[2:3]
	v_add_co_u32 v7, s2, v7, v13
	v_add_co_ci_u32_e64 v8, null, v8, v14, s2
	global_load_ushort v7, v[7:8], off offset:128
	s_waitcnt vmcnt(0)
	v_mul_f16_e32 v13, s15, v7
.LBB305_13:
	s_or_b32 exec_lo, exec_lo, s3
	v_or_b32_e32 v7, 4, v30
	v_cmp_gt_i32_e64 s2, s14, v7
	s_and_b32 s2, s2, vcc_lo
	s_and_b32 s2, s24, s2
	s_and_saveexec_b32 s3, s2
	s_cbranch_execz .LBB305_15
; %bb.14:
	v_mad_i64_i32 v[6:7], null, v5, s28, 0
	v_lshlrev_b64 v[6:7], 1, v[6:7]
	v_add_co_u32 v6, s2, s20, v6
	v_add_co_ci_u32_e64 v7, null, s21, v7, s2
	v_add_co_u32 v6, s2, v6, v4
	v_add_co_ci_u32_e64 v7, null, 0, v7, s2
	global_load_ushort v6, v[6:7], off offset:8
	s_waitcnt vmcnt(0)
	v_mul_f16_e32 v6, s15, v6
.LBB305_15:
	s_or_b32 exec_lo, exec_lo, s3
	v_add_nc_u32_e32 v16, 4, v31
	v_min_i32_e32 v7, s25, v16
	v_cmp_le_i32_e64 s2, s14, v16
	v_mad_i64_i32 v[7:8], null, s9, v7, 0
	v_lshlrev_b64 v[14:15], 1, v[7:8]
	v_mov_b32_e32 v7, 0
	v_mov_b32_e32 v8, 0
	v_add_co_u32 v14, s3, s18, v14
	v_add_co_ci_u32_e64 v15, null, s19, v15, s3
	s_or_b32 s3, s0, s2
	s_nor_b32 s3, s3, s26
	s_and_saveexec_b32 s27, s3
	s_cbranch_execz .LBB305_17
; %bb.16:
	v_lshlrev_b64 v[16:17], 1, v[2:3]
	v_add_co_u32 v16, s3, v14, v16
	v_add_co_ci_u32_e64 v17, null, v15, v17, s3
	global_load_ushort v8, v[16:17], off
	s_waitcnt vmcnt(0)
	v_mul_f16_e32 v8, s15, v8
.LBB305_17:
	s_or_b32 exec_lo, exec_lo, s27
	s_or_b32 s2, s1, s2
	s_nor_b32 s2, s2, s26
	s_and_saveexec_b32 s3, s2
	s_cbranch_execz .LBB305_19
; %bb.18:
	v_lshlrev_b64 v[16:17], 1, v[2:3]
	v_add_co_u32 v14, s2, v14, v16
	v_add_co_ci_u32_e64 v15, null, v15, v17, s2
	global_load_ushort v7, v[14:15], off offset:128
	s_waitcnt vmcnt(0)
	v_mul_f16_e32 v7, s15, v7
.LBB305_19:
	s_or_b32 exec_lo, exec_lo, s3
	v_lshlrev_b32_e32 v12, 3, v12
	v_lshlrev_b32_e32 v33, 3, v0
	v_lshl_or_b32 v9, v9, 3, v4
	v_lshlrev_b32_e32 v32, 3, v1
	s_mov_b32 s27, 0
	v_lshl_add_u32 v34, v31, 1, v12
	v_add_nc_u32_e32 v35, 0x800, v33
	ds_write_b16 v9, v11 offset:2048
	s_cmp_lt_i32 s14, 9
	ds_write_b16 v34, v10
	ds_write_b16 v34, v13 offset:512
	s_waitcnt lgkmcnt(0)
	s_barrier
	buffer_gl0_inv
	ds_read2_b64 v[10:13], v32 offset1:32
	ds_read2_b64 v[14:17], v35 offset0:48 offset1:56
	ds_read2_b64 v[18:21], v32 offset0:64 offset1:96
	ds_read2_b64 v[22:25], v35 offset1:8
	ds_read2_b64 v[26:29], v35 offset0:16 offset1:24
	ds_read2_b64 v[35:38], v35 offset0:32 offset1:40
	ds_write_b16 v9, v6 offset:2560
	ds_write_b16 v34, v8 offset:1024
	;; [unrolled: 1-line block ×3, first 2 shown]
	s_waitcnt lgkmcnt(0)
	s_barrier
	buffer_gl0_inv
	v_pk_max_f16 v10, v10, v10
	v_pk_max_f16 v16, v16, v16
	;; [unrolled: 1-line block ×6, first 2 shown]
	v_pk_min_f16 v39, v16, v10
	v_pk_max_f16 v22, v22, v22
	v_pk_max_f16 v20, v20, v20
	;; [unrolled: 1-line block ×4, first 2 shown]
	v_pk_min_f16 v40, v16, v12
	v_pk_max_f16 v28, v28, v28
	v_pk_max_f16 v35, v35, v35
	;; [unrolled: 1-line block ×5, first 2 shown]
	v_pk_add_f16 v39, v39, 0
	v_pk_min_f16 v50, v17, v11
	v_pk_min_f16 v41, v16, v18
	;; [unrolled: 1-line block ×19, first 2 shown]
	v_pk_max_f16 v19, v19, v19
	v_pk_max_f16 v21, v21, v21
	v_pk_min_f16 v56, v35, v12
	v_pk_min_f16 v59, v35, v18
	v_pk_max_f16 v23, v23, v23
	v_pk_min_f16 v35, v35, v20
	v_pk_min_f16 v60, v37, v10
	;; [unrolled: 1-line block ×10, first 2 shown]
	v_pk_add_f16 v68, v39, v50
	v_pk_add_f16 v20, v40, 0
	v_pk_min_f16 v39, v17, v13
	v_pk_max_f16 v25, v25, v25
	v_pk_add_f16 v40, v41, 0
	v_pk_min_f16 v41, v17, v19
	v_pk_add_f16 v42, v42, 0
	v_pk_min_f16 v57, v23, v11
	v_pk_min_f16 v63, v23, v13
	v_pk_add_f16 v44, v44, 0
	v_pk_min_f16 v64, v23, v19
	v_pk_add_f16 v58, v20, v39
	v_pk_add_f16 v20, v22, 0
	v_pk_min_f16 v23, v23, v21
	v_pk_add_f16 v50, v40, v41
	v_pk_add_f16 v41, v42, v57
	;; [unrolled: 1-line block ×6, first 2 shown]
	v_pk_min_f16 v20, v25, v11
	v_pk_add_f16 v40, v46, 0
	v_pk_max_f16 v27, v27, v27
	v_pk_add_f16 v43, v43, 0
	v_pk_add_f16 v42, v47, 0
	;; [unrolled: 1-line block ×3, first 2 shown]
	v_pk_min_f16 v20, v25, v13
	v_pk_add_f16 v24, v24, 0
	v_pk_max_f16 v29, v29, v29
	v_pk_add_f16 v66, v43, v63
	v_pk_add_f16 v43, v48, 0
	;; [unrolled: 1-line block ×3, first 2 shown]
	v_pk_min_f16 v20, v25, v19
	v_pk_min_f16 v25, v25, v21
	v_pk_add_f16 v23, v52, 0
	v_pk_add_f16 v52, v56, 0
	;; [unrolled: 1-line block ×5, first 2 shown]
	v_pk_min_f16 v20, v27, v11
	v_pk_min_f16 v24, v27, v13
	v_pk_add_f16 v26, v26, 0
	v_pk_add_f16 v25, v37, 0
	;; [unrolled: 1-line block ×5, first 2 shown]
	v_pk_min_f16 v20, v27, v19
	v_pk_min_f16 v24, v27, v21
	;; [unrolled: 1-line block ×3, first 2 shown]
	v_pk_add_f16 v51, v54, 0
	v_pk_add_f16 v28, v28, 0
	;; [unrolled: 1-line block ×8, first 2 shown]
	v_pk_min_f16 v20, v29, v13
	v_pk_min_f16 v23, v29, v19
	;; [unrolled: 1-line block ×3, first 2 shown]
	v_pk_max_f16 v26, v36, v36
	v_pk_max_f16 v27, v38, v38
	v_pk_add_f16 v63, v46, v20
	v_pk_add_f16 v54, v51, v23
	;; [unrolled: 1-line block ×3, first 2 shown]
	v_pk_min_f16 v20, v26, v11
	v_pk_min_f16 v23, v26, v13
	;; [unrolled: 1-line block ×3, first 2 shown]
	v_pk_max_f16 v15, v15, v15
	v_pk_add_f16 v40, v60, 0
	v_pk_add_f16 v60, v61, 0
	v_pk_add_f16 v67, v62, 0
	v_pk_add_f16 v10, v10, 0
	v_pk_add_f16 v12, v12, 0
	v_pk_add_f16 v18, v18, 0
	v_pk_add_f16 v14, v14, 0
	v_pk_add_f16 v16, v16, 0
	v_pk_min_f16 v26, v26, v21
	v_pk_add_f16 v36, v22, v20
	v_pk_add_f16 v62, v52, v23
	;; [unrolled: 1-line block ×3, first 2 shown]
	v_pk_min_f16 v20, v27, v11
	v_pk_min_f16 v22, v27, v13
	;; [unrolled: 1-line block ×9, first 2 shown]
	v_pk_add_f16 v45, v59, v26
	v_pk_add_f16 v38, v40, v20
	v_pk_add_f16 v61, v60, v22
	v_pk_add_f16 v52, v67, v23
	v_pk_add_f16 v44, v25, v24
	v_pk_add_f16 v40, v10, v11
	v_pk_add_f16 v60, v12, v13
	v_pk_add_f16 v51, v18, v19
	v_pk_add_f16 v43, v14, v15
	v_pk_add_f16 v42, v16, v17
	s_cbranch_scc1 .LBB305_34
; %bb.20:
	v_mad_i64_i32 v[5:6], null, s28, v5, 0
	v_lshlrev_b64 v[26:27], 1, v[2:3]
	v_add_nc_u32_e32 v59, 0x800, v9
	v_or_b32_e32 v67, 0x800, v33
	v_add_nc_u32_e32 v69, 0xa00, v9
	v_add_nc_u32_e32 v70, 0x400, v34
	v_lshl_add_u32 v71, v0, 3, 0xa00
	v_lshlrev_b64 v[5:6], 1, v[5:6]
	v_lshl_add_u32 v72, v1, 3, 0x400
	v_add_co_u32 v4, s2, v5, v4
	v_add_co_ci_u32_e64 v5, null, 0, v6, s2
	v_add_co_u32 v4, s2, s20, v4
	v_add_co_ci_u32_e64 v5, null, s21, v5, s2
	s_add_i32 s20, s14, -8
	v_add_co_u32 v28, s2, v4, 16
	v_add_co_ci_u32_e64 v29, null, 0, v5, s2
	s_branch .LBB305_22
.LBB305_21:                             ;   in Loop: Header=BB305_22 Depth=1
	s_or_b32 exec_lo, exec_lo, s3
	v_pk_max_f16 v22, v22, v22
	v_pk_max_f16 v24, v24, v24
	;; [unrolled: 1-line block ×14, first 2 shown]
	v_pk_min_f16 v82, v10, v22
	v_pk_max_f16 v12, v12, v12
	v_pk_max_f16 v11, v11, v11
	v_pk_max_f16 v13, v13, v13
	v_pk_max_f16 v6, v6, v6
	v_pk_max_f16 v8, v8, v8
	v_pk_max_f16 v7, v7, v7
	v_pk_max_f16 v9, v9, v9
	v_pk_min_f16 v83, v10, v24
	v_pk_max_f16 v2, v2, v2
	v_pk_max_f16 v5, v5, v5
	v_pk_max_f16 v3, v3, v3
	v_pk_min_f16 v84, v10, v18
	v_pk_min_f16 v10, v10, v20
	;; [unrolled: 1-line block ×62, first 2 shown]
	v_pk_add_f16 v3, v68, v94
	v_pk_add_f16 v5, v58, v95
	v_pk_add_f16 v50, v50, v96
	v_pk_add_f16 v10, v47, v10
	v_pk_add_f16 v14, v49, v14
	v_pk_add_f16 v16, v48, v16
	v_pk_add_f16 v48, v64, v83
	v_pk_add_f16 v46, v46, v12
	v_pk_add_f16 v45, v45, v6
	v_pk_add_f16 v44, v44, v8
	v_pk_add_f16 v22, v40, v22
	v_pk_add_f16 v18, v51, v18
	v_pk_add_f16 v40, v43, v2
	v_pk_add_f16 v42, v42, v4
	v_pk_add_f16 v43, v3, v7
	v_pk_add_f16 v51, v5, v9
	v_pk_add_f16 v50, v50, v13
	ds_read2_b64 v[2:5], v67 offset0:48 offset1:56
	ds_read2_b64 v[6:9], v32 offset1:32
	v_pk_add_f16 v64, v10, v11
	ds_read2_b64 v[10:13], v32 offset0:64 offset1:96
	v_pk_add_f16 v47, v63, v86
	v_pk_add_f16 v24, v60, v24
	;; [unrolled: 1-line block ×4, first 2 shown]
	ds_read2_b64 v[14:17], v67 offset1:8
	v_pk_add_f16 v41, v41, v76
	v_pk_add_f16 v58, v66, v77
	;; [unrolled: 1-line block ×9, first 2 shown]
	ds_read2_b64 v[18:21], v67 offset0:16 offset1:24
	v_pk_add_f16 v58, v58, v97
	s_waitcnt lgkmcnt(4)
	v_pk_max_f16 v4, v4, v4
	s_waitcnt lgkmcnt(3)
	v_pk_max_f16 v6, v6, v6
	v_pk_max_f16 v8, v8, v8
	s_waitcnt lgkmcnt(2)
	v_pk_max_f16 v10, v10, v10
	v_pk_add_f16 v57, v57, v98
	v_pk_max_f16 v12, v12, v12
	v_pk_min_f16 v22, v4, v6
	v_pk_min_f16 v23, v4, v8
	;; [unrolled: 1-line block ×3, first 2 shown]
	s_waitcnt lgkmcnt(1)
	v_pk_max_f16 v14, v14, v14
	v_pk_max_f16 v16, v16, v16
	v_pk_add_f16 v43, v43, v22
	v_pk_add_f16 v51, v51, v23
	;; [unrolled: 1-line block ×3, first 2 shown]
	v_pk_min_f16 v22, v14, v6
	v_pk_min_f16 v23, v14, v8
	;; [unrolled: 1-line block ×4, first 2 shown]
	v_pk_add_f16 v39, v39, v79
	v_pk_add_f16 v41, v41, v22
	;; [unrolled: 1-line block ×4, first 2 shown]
	ds_read2_b64 v[22:25], v67 offset0:32 offset1:40
	v_pk_add_f16 v37, v37, v82
	v_pk_add_f16 v49, v49, v100
	;; [unrolled: 1-line block ×3, first 2 shown]
	v_pk_min_f16 v60, v16, v8
	s_waitcnt lgkmcnt(1)
	v_pk_max_f16 v18, v18, v18
	v_pk_add_f16 v56, v56, v81
	v_pk_add_f16 v55, v55, v84
	;; [unrolled: 1-line block ×4, first 2 shown]
	v_pk_min_f16 v58, v16, v6
	v_pk_min_f16 v77, v16, v10
	v_pk_min_f16 v16, v16, v12
	v_pk_add_f16 v60, v49, v60
	v_pk_min_f16 v49, v18, v6
	v_pk_max_f16 v20, v20, v20
	v_pk_add_f16 v36, v36, v88
	v_pk_add_f16 v56, v56, v101
	;; [unrolled: 1-line block ×7, first 2 shown]
	v_pk_min_f16 v58, v18, v8
	v_pk_min_f16 v63, v18, v10
	v_pk_add_f16 v37, v37, v49
	v_pk_min_f16 v49, v20, v8
	s_waitcnt lgkmcnt(0)
	v_pk_max_f16 v22, v22, v22
	v_pk_add_f16 v35, v35, v85
	v_pk_add_f16 v62, v62, v89
	;; [unrolled: 1-line block ×7, first 2 shown]
	v_pk_min_f16 v48, v20, v6
	v_pk_min_f16 v58, v20, v10
	;; [unrolled: 1-line block ×3, first 2 shown]
	v_pk_add_f16 v63, v47, v49
	v_pk_min_f16 v47, v22, v6
	v_pk_add_f16 v35, v35, v105
	v_pk_add_f16 v62, v62, v110
	;; [unrolled: 1-line block ×4, first 2 shown]
	v_pk_min_f16 v46, v22, v8
	v_pk_max_f16 v24, v24, v24
	v_pk_add_f16 v36, v36, v47
	v_pk_min_f16 v47, v22, v10
	v_pk_min_f16 v22, v22, v12
	v_pk_max_f16 v2, v2, v2
	v_pk_max_f16 v5, v5, v5
	;; [unrolled: 1-line block ×3, first 2 shown]
	v_pk_add_f16 v54, v54, v87
	v_pk_add_f16 v40, v40, v117
	v_pk_min_f16 v18, v18, v12
	v_pk_add_f16 v35, v35, v48
	v_pk_add_f16 v62, v62, v46
	v_pk_min_f16 v46, v24, v6
	v_pk_min_f16 v48, v24, v8
	v_pk_add_f16 v22, v45, v22
	v_pk_min_f16 v45, v24, v10
	v_pk_min_f16 v24, v24, v12
	;; [unrolled: 1-line block ×6, first 2 shown]
	v_pk_max_f16 v9, v9, v9
	v_pk_min_f16 v4, v4, v12
	v_pk_max_f16 v11, v11, v11
	v_pk_min_f16 v12, v5, v7
	v_pk_add_f16 v54, v54, v107
	v_pk_add_f16 v10, v68, v10
	;; [unrolled: 1-line block ×3, first 2 shown]
	v_pk_min_f16 v40, v5, v9
	v_pk_add_f16 v4, v42, v4
	v_pk_min_f16 v42, v5, v11
	v_pk_max_f16 v15, v15, v15
	v_pk_add_f16 v68, v43, v12
	v_pk_max_f16 v12, v13, v13
	v_pk_add_f16 v61, v61, v92
	v_pk_add_f16 v54, v54, v58
	;; [unrolled: 1-line block ×4, first 2 shown]
	v_pk_min_f16 v13, v15, v7
	v_pk_min_f16 v40, v15, v9
	v_pk_min_f16 v42, v15, v11
	v_pk_min_f16 v15, v15, v12
	v_pk_max_f16 v17, v17, v17
	v_pk_add_f16 v53, v53, v90
	v_pk_add_f16 v61, v61, v114
	;; [unrolled: 1-line block ×4, first 2 shown]
	v_pk_min_f16 v13, v17, v7
	v_pk_min_f16 v14, v17, v9
	;; [unrolled: 1-line block ×4, first 2 shown]
	v_pk_max_f16 v19, v19, v19
	v_pk_add_f16 v38, v38, v91
	v_pk_add_f16 v53, v53, v111
	;; [unrolled: 1-line block ×9, first 2 shown]
	v_pk_min_f16 v13, v19, v7
	v_pk_min_f16 v14, v19, v9
	;; [unrolled: 1-line block ×4, first 2 shown]
	v_pk_max_f16 v17, v21, v21
	v_pk_add_f16 v52, v52, v93
	v_pk_add_f16 v38, v38, v113
	;; [unrolled: 1-line block ×7, first 2 shown]
	v_pk_min_f16 v13, v17, v7
	v_pk_min_f16 v14, v17, v9
	;; [unrolled: 1-line block ×4, first 2 shown]
	v_pk_max_f16 v17, v23, v23
	v_pk_add_f16 v52, v52, v115
	v_pk_add_f16 v44, v44, v116
	;; [unrolled: 1-line block ×7, first 2 shown]
	v_pk_min_f16 v13, v17, v7
	v_pk_min_f16 v14, v17, v9
	;; [unrolled: 1-line block ×4, first 2 shown]
	v_pk_max_f16 v17, v25, v25
	v_pk_max_f16 v3, v3, v3
	v_pk_add_f16 v52, v52, v45
	v_pk_add_f16 v24, v44, v24
	;; [unrolled: 1-line block ×7, first 2 shown]
	v_pk_min_f16 v13, v17, v7
	v_pk_min_f16 v14, v17, v9
	;; [unrolled: 1-line block ×9, first 2 shown]
	v_add_co_u32 v28, s2, v28, 16
	v_pk_add_f16 v66, v76, v40
	v_pk_add_f16 v57, v57, v42
	;; [unrolled: 1-line block ×11, first 2 shown]
	v_add_co_ci_u32_e64 v29, null, 0, v29, s2
	s_add_i32 s27, s27, 8
	ds_write_b16 v69, v73
	ds_write_b16 v70, v74
	ds_write_b16 v70, v75 offset:512
	s_cmp_ge_i32 s27, s20
	s_waitcnt lgkmcnt(0)
	s_barrier
	buffer_gl0_inv
	s_cbranch_scc1 .LBB305_34
.LBB305_22:                             ; =>This Inner Loop Header: Depth=1
	v_add_nc_u32_e32 v73, s27, v30
	v_mov_b32_e32 v74, 0
	v_add_nc_u32_e32 v2, 8, v73
	v_cmp_gt_i32_e64 s2, s14, v2
	s_and_b32 s2, s2, vcc_lo
	s_and_b32 s3, s24, s2
	s_and_saveexec_b32 s2, s3
	s_cbranch_execz .LBB305_24
; %bb.23:                               ;   in Loop: Header=BB305_22 Depth=1
	global_load_ushort v2, v[28:29], off
	s_waitcnt vmcnt(0)
	v_mul_f16_e32 v74, s15, v2
.LBB305_24:                             ;   in Loop: Header=BB305_22 Depth=1
	s_or_b32 exec_lo, exec_lo, s2
	v_add_nc_u32_e32 v75, s27, v31
	v_mov_b32_e32 v76, 0
	v_mov_b32_e32 v77, 0
	v_add_nc_u32_e32 v4, 8, v75
	v_min_i32_e32 v2, s25, v4
	v_cmp_le_i32_e64 s2, s14, v4
	v_mad_i64_i32 v[2:3], null, v2, s9, 0
	v_lshlrev_b64 v[2:3], 1, v[2:3]
	v_add_co_u32 v2, s3, s18, v2
	v_add_co_ci_u32_e64 v3, null, s19, v3, s3
	s_or_b32 s3, s0, s2
	s_nor_b32 s3, s3, s26
	s_and_saveexec_b32 s21, s3
	s_cbranch_execz .LBB305_26
; %bb.25:                               ;   in Loop: Header=BB305_22 Depth=1
	v_add_co_u32 v4, s3, v2, v26
	v_add_co_ci_u32_e64 v5, null, v3, v27, s3
	global_load_ushort v4, v[4:5], off
	s_waitcnt vmcnt(0)
	v_mul_f16_e32 v77, s15, v4
.LBB305_26:                             ;   in Loop: Header=BB305_22 Depth=1
	s_or_b32 exec_lo, exec_lo, s21
	s_or_b32 s2, s1, s2
	s_nor_b32 s2, s2, s26
	s_and_saveexec_b32 s3, s2
	s_cbranch_execz .LBB305_28
; %bb.27:                               ;   in Loop: Header=BB305_22 Depth=1
	v_add_co_u32 v2, s2, v2, v26
	v_add_co_ci_u32_e64 v3, null, v3, v27, s2
	global_load_ushort v2, v[2:3], off offset:128
	s_waitcnt vmcnt(0)
	v_mul_f16_e32 v76, s15, v2
.LBB305_28:                             ;   in Loop: Header=BB305_22 Depth=1
	s_or_b32 exec_lo, exec_lo, s3
	ds_read2_b64 v[2:5], v71 offset0:48 offset1:56
	ds_read2_b64 v[18:21], v72 offset0:64 offset1:96
	ds_read2_b64 v[22:25], v72 offset1:32
	ds_read2_b64 v[14:17], v71 offset1:8
	ds_read2_b64 v[10:13], v71 offset0:16 offset1:24
	ds_read2_b64 v[6:9], v71 offset0:32 offset1:40
	v_add_nc_u32_e32 v73, 12, v73
	ds_write_b16 v59, v74
	ds_write_b16 v34, v77
	v_mov_b32_e32 v74, 0
	ds_write_b16 v34, v76 offset:512
	s_waitcnt lgkmcnt(0)
	v_cmp_gt_i32_e64 s2, s14, v73
	v_mov_b32_e32 v73, 0
	s_barrier
	buffer_gl0_inv
	s_and_b32 s2, s2, vcc_lo
	s_and_b32 s2, s24, s2
	s_and_saveexec_b32 s3, s2
	s_xor_b32 s2, exec_lo, s3
	s_cbranch_execz .LBB305_30
; %bb.29:                               ;   in Loop: Header=BB305_22 Depth=1
	global_load_ushort v73, v[28:29], off offset:8
	s_waitcnt vmcnt(0)
	v_mul_f16_e32 v73, s15, v73
.LBB305_30:                             ;   in Loop: Header=BB305_22 Depth=1
	s_or_b32 exec_lo, exec_lo, s2
	v_add_nc_u32_e32 v78, 12, v75
	v_min_i32_e32 v75, s25, v78
	v_cmp_le_i32_e64 s2, s14, v78
	v_mad_i64_i32 v[75:76], null, v75, s9, 0
	v_lshlrev_b64 v[76:77], 1, v[75:76]
	v_add_co_u32 v76, s3, s18, v76
	v_add_co_ci_u32_e64 v77, null, s19, v77, s3
	s_or_b32 s3, s0, s2
	s_nor_b32 s3, s3, s26
	s_and_saveexec_b32 s21, s3
	s_cbranch_execz .LBB305_32
; %bb.31:                               ;   in Loop: Header=BB305_22 Depth=1
	v_add_co_u32 v74, s3, v76, v26
	v_add_co_ci_u32_e64 v75, null, v77, v27, s3
	global_load_ushort v74, v[74:75], off
	s_waitcnt vmcnt(0)
	v_mul_f16_e32 v74, s15, v74
.LBB305_32:                             ;   in Loop: Header=BB305_22 Depth=1
	s_or_b32 exec_lo, exec_lo, s21
	v_mov_b32_e32 v75, 0
	s_or_b32 s2, s1, s2
	s_nor_b32 s2, s2, s26
	s_and_saveexec_b32 s3, s2
	s_cbranch_execz .LBB305_21
; %bb.33:                               ;   in Loop: Header=BB305_22 Depth=1
	v_add_co_u32 v75, s2, v76, v26
	v_add_co_ci_u32_e64 v76, null, v77, v27, s2
	global_load_ushort v75, v[75:76], off offset:128
	s_waitcnt vmcnt(0)
	v_mul_f16_e32 v75, s15, v75
	s_branch .LBB305_21
.LBB305_34:
	s_clause 0x2
	s_load_dwordx2 s[0:1], s[4:5], 0x70
	s_load_dword s14, s[4:5], 0x50
	s_load_dword s9, s[4:5], 0x68
	v_add_nc_u32_e32 v67, s8, v1
	v_add_nc_u32_e32 v10, 0x800, v33
	ds_read2_b64 v[2:5], v32 offset0:192 offset1:224
	ds_read2_b64 v[22:25], v32 offset0:128 offset1:160
	v_add_nc_u32_e32 v0, s6, v0
	ds_read2_b64 v[6:9], v10 offset0:112 offset1:120
	ds_read2_b64 v[18:21], v10 offset0:64 offset1:72
	;; [unrolled: 1-line block ×4, first 2 shown]
	v_cmp_gt_i32_e64 s8, s13, v67
	v_ashrrev_i32_e32 v1, 31, v0
	v_cndmask_b32_e64 v59, 0, 1, s23
	s_waitcnt lgkmcnt(0)
	s_mul_i32 s1, s1, s7
	v_mad_i64_i32 v[26:27], null, v67, s14, 0
	v_mad_i64_i32 v[28:29], null, v67, s9, 0
	s_mul_hi_u32 s2, s0, s7
	s_mul_i32 s0, s0, s7
	s_add_i32 s1, s2, s1
	s_lshl_b64 s[2:3], s[0:1], 1
	v_lshlrev_b64 v[26:27], 1, v[26:27]
	v_lshlrev_b64 v[28:29], 1, v[28:29]
	s_add_u32 s10, s10, s2
	v_cmp_gt_i32_e64 s0, s12, v0
	s_addc_u32 s11, s11, s3
	v_add_co_u32 v71, vcc_lo, s16, v26
	v_add_co_ci_u32_e64 v72, null, s17, v27, vcc_lo
	v_add_co_u32 v69, vcc_lo, s10, v28
	v_add_co_ci_u32_e64 v70, null, s11, v29, vcc_lo
	s_and_b32 s1, s0, s8
	s_and_saveexec_b32 s2, s1
	s_xor_b32 s1, exec_lo, s2
	s_cbranch_execz .LBB305_40
; %bb.35:
	v_lshlrev_b64 v[26:27], 1, v[0:1]
	s_andn2_b32 vcc_lo, exec_lo, s23
	s_cbranch_vccnz .LBB305_38
; %bb.36:
	v_add_co_u32 v28, vcc_lo, v71, v26
	v_add_co_ci_u32_e64 v29, null, v72, v27, vcc_lo
	global_load_ushort v28, v[28:29], off
	s_waitcnt vmcnt(0)
	v_mul_f16_e32 v28, s22, v28
	s_branch .LBB305_39
.LBB305_37:
	s_mov_b64 s[20:21], 0
	s_andn2_b32 vcc_lo, exec_lo, s8
	s_mov_b32 s0, -1
	s_cbranch_vccz .LBB305_2
	s_branch .LBB305_3
.LBB305_38:
	v_mov_b32_e32 v28, 0
.LBB305_39:
	v_pk_max_f16 v29, v22, v22
	v_pk_max_f16 v30, v18, v18
	;; [unrolled: 1-line block ×4, first 2 shown]
	v_add_co_u32 v26, vcc_lo, v69, v26
	v_pk_min_f16 v29, v30, v29
	v_add_co_ci_u32_e64 v27, null, v70, v27, vcc_lo
	v_pk_min_f16 v30, v32, v31
	v_pk_add_f16 v29, v41, v29
	v_pk_add_f16 v29, v29, v30
	v_add_f16_sdwa v29, v29, v29 dst_sel:DWORD dst_unused:UNUSED_PAD src0_sel:DWORD src1_sel:WORD_1
	v_add_f16_e32 v28, v29, v28
	global_store_short v[26:27], v28, off
.LBB305_40:
	s_or_b32 exec_lo, exec_lo, s1
	v_add_nc_u32_e32 v26, 8, v0
	v_cmp_gt_i32_e64 s1, s12, v26
	v_ashrrev_i32_e32 v27, 31, v26
	s_and_b32 s3, s1, s8
	s_and_saveexec_b32 s2, s3
	s_cbranch_execz .LBB305_45
; %bb.41:
	v_cmp_ne_u32_e32 vcc_lo, 1, v59
	v_lshlrev_b64 v[28:29], 1, v[26:27]
	s_cbranch_vccnz .LBB305_43
; %bb.42:
	v_add_co_u32 v30, vcc_lo, v71, v28
	v_add_co_ci_u32_e64 v31, null, v72, v29, vcc_lo
	global_load_ushort v30, v[30:31], off
	s_waitcnt vmcnt(0)
	v_mul_f16_e32 v30, s22, v30
	s_branch .LBB305_44
.LBB305_43:
	v_mov_b32_e32 v30, 0
.LBB305_44:
	v_pk_max_f16 v31, v22, v22
	v_pk_max_f16 v32, v20, v20
	v_pk_max_f16 v33, v23, v23
	v_pk_max_f16 v34, v21, v21
	v_add_co_u32 v28, vcc_lo, v69, v28
	v_pk_min_f16 v31, v32, v31
	v_add_co_ci_u32_e64 v29, null, v70, v29, vcc_lo
	v_pk_min_f16 v32, v34, v33
	v_pk_add_f16 v31, v39, v31
	v_pk_add_f16 v31, v31, v32
	v_add_f16_sdwa v31, v31, v31 dst_sel:DWORD dst_unused:UNUSED_PAD src0_sel:DWORD src1_sel:WORD_1
	v_add_f16_e32 v30, v31, v30
	global_store_short v[28:29], v30, off
.LBB305_45:
	s_or_b32 exec_lo, exec_lo, s2
	v_add_nc_u32_e32 v28, 16, v0
	v_cmp_gt_i32_e64 s2, s12, v28
	v_ashrrev_i32_e32 v29, 31, v28
	s_and_b32 s4, s2, s8
	s_and_saveexec_b32 s3, s4
	s_cbranch_execz .LBB305_50
; %bb.46:
	v_cmp_ne_u32_e32 vcc_lo, 1, v59
	v_lshlrev_b64 v[30:31], 1, v[28:29]
	s_cbranch_vccnz .LBB305_48
; %bb.47:
	v_add_co_u32 v32, vcc_lo, v71, v30
	v_add_co_ci_u32_e64 v33, null, v72, v31, vcc_lo
	global_load_ushort v32, v[32:33], off
	s_waitcnt vmcnt(0)
	v_mul_f16_e32 v32, s22, v32
	s_branch .LBB305_49
.LBB305_48:
	v_mov_b32_e32 v32, 0
.LBB305_49:
	v_pk_max_f16 v33, v22, v22
	v_pk_max_f16 v34, v14, v14
	v_pk_max_f16 v39, v23, v23
	v_pk_max_f16 v41, v15, v15
	v_add_co_u32 v30, vcc_lo, v69, v30
	v_pk_min_f16 v33, v34, v33
	v_add_co_ci_u32_e64 v31, null, v70, v31, vcc_lo
	v_pk_min_f16 v34, v41, v39
	v_pk_add_f16 v33, v37, v33
	v_pk_add_f16 v33, v33, v34
	v_add_f16_sdwa v33, v33, v33 dst_sel:DWORD dst_unused:UNUSED_PAD src0_sel:DWORD src1_sel:WORD_1
	v_add_f16_e32 v32, v33, v32
	global_store_short v[30:31], v32, off
.LBB305_50:
	;; [unrolled: 35-line block ×6, first 2 shown]
	s_or_b32 exec_lo, exec_lo, s7
	v_add_nc_u32_e32 v38, 56, v0
	v_cmp_gt_i32_e64 s7, s12, v38
	v_ashrrev_i32_e32 v39, 31, v38
	s_and_b32 s12, s7, s8
	s_and_saveexec_b32 s8, s12
	s_cbranch_execz .LBB305_75
; %bb.71:
	v_cmp_ne_u32_e32 vcc_lo, 1, v59
	v_lshlrev_b64 v[40:41], 1, v[38:39]
	s_cbranch_vccnz .LBB305_73
; %bb.72:
	v_add_co_u32 v71, vcc_lo, v71, v40
	v_add_co_ci_u32_e64 v72, null, v72, v41, vcc_lo
	global_load_ushort v71, v[71:72], off
	s_waitcnt vmcnt(0)
	v_mul_f16_e32 v71, s22, v71
	s_branch .LBB305_74
.LBB305_73:
	v_mov_b32_e32 v71, 0
.LBB305_74:
	v_pk_max_f16 v22, v22, v22
	v_pk_max_f16 v72, v8, v8
	;; [unrolled: 1-line block ×4, first 2 shown]
	v_pk_min_f16 v22, v72, v22
	v_pk_min_f16 v23, v73, v23
	v_pk_add_f16 v22, v68, v22
	v_pk_add_f16 v22, v22, v23
	v_add_f16_sdwa v22, v22, v22 dst_sel:DWORD dst_unused:UNUSED_PAD src0_sel:DWORD src1_sel:WORD_1
	v_add_f16_e32 v68, v22, v71
	v_add_co_u32 v22, vcc_lo, v69, v40
	v_add_co_ci_u32_e64 v23, null, v70, v41, vcc_lo
	global_store_short v[22:23], v68, off
.LBB305_75:
	s_or_b32 exec_lo, exec_lo, s8
	v_add_nc_u32_e32 v68, 32, v67
	v_mad_i64_i32 v[22:23], null, v68, s14, 0
	v_mad_i64_i32 v[40:41], null, v68, s9, 0
	v_cmp_gt_i32_e64 s8, s13, v68
	v_lshlrev_b64 v[22:23], 1, v[22:23]
	s_and_b32 s15, s0, s8
	v_lshlrev_b64 v[40:41], 1, v[40:41]
	v_add_co_u32 v68, vcc_lo, s16, v22
	v_add_co_ci_u32_e64 v69, null, s17, v23, vcc_lo
	v_add_co_u32 v40, vcc_lo, s10, v40
	v_add_co_ci_u32_e64 v41, null, s11, v41, vcc_lo
	s_and_saveexec_b32 s12, s15
	s_cbranch_execnz .LBB305_83
; %bb.76:
	s_or_b32 exec_lo, exec_lo, s12
	s_and_b32 s15, s1, s8
	s_and_saveexec_b32 s12, s15
	s_cbranch_execnz .LBB305_87
.LBB305_77:
	s_or_b32 exec_lo, exec_lo, s12
	s_and_b32 s15, s2, s8
	s_and_saveexec_b32 s12, s15
	s_cbranch_execnz .LBB305_91
.LBB305_78:
	s_or_b32 exec_lo, exec_lo, s12
	s_and_b32 s15, s3, s8
	s_and_saveexec_b32 s12, s15
	s_cbranch_execnz .LBB305_95
.LBB305_79:
	s_or_b32 exec_lo, exec_lo, s12
	s_and_b32 s15, s4, s8
	s_and_saveexec_b32 s12, s15
	s_cbranch_execnz .LBB305_99
.LBB305_80:
	s_or_b32 exec_lo, exec_lo, s12
	s_and_b32 s15, s5, s8
	s_and_saveexec_b32 s12, s15
	s_cbranch_execnz .LBB305_103
.LBB305_81:
	s_or_b32 exec_lo, exec_lo, s12
	s_and_b32 s15, s6, s8
	s_and_saveexec_b32 s12, s15
	s_cbranch_execnz .LBB305_107
.LBB305_82:
	s_or_b32 exec_lo, exec_lo, s12
	s_and_b32 s12, s7, s8
	s_and_saveexec_b32 s8, s12
	s_cbranch_execnz .LBB305_111
	s_branch .LBB305_115
.LBB305_83:
	v_cmp_ne_u32_e32 vcc_lo, 1, v59
	v_lshlrev_b64 v[22:23], 1, v[0:1]
	s_cbranch_vccnz .LBB305_85
; %bb.84:
	v_add_co_u32 v70, vcc_lo, v68, v22
	v_add_co_ci_u32_e64 v71, null, v69, v23, vcc_lo
	global_load_ushort v70, v[70:71], off
	s_waitcnt vmcnt(0)
	v_mul_f16_e32 v70, s22, v70
	s_branch .LBB305_86
.LBB305_85:
	v_mov_b32_e32 v70, 0
.LBB305_86:
	v_pk_max_f16 v71, v24, v24
	v_pk_max_f16 v72, v18, v18
	;; [unrolled: 1-line block ×4, first 2 shown]
	v_add_co_u32 v22, vcc_lo, v40, v22
	v_pk_min_f16 v71, v72, v71
	v_add_co_ci_u32_e64 v23, null, v41, v23, vcc_lo
	v_pk_min_f16 v72, v74, v73
	v_pk_add_f16 v66, v66, v71
	v_pk_add_f16 v66, v66, v72
	v_add_f16_sdwa v66, v66, v66 dst_sel:DWORD dst_unused:UNUSED_PAD src0_sel:DWORD src1_sel:WORD_1
	v_add_f16_e32 v66, v66, v70
	global_store_short v[22:23], v66, off
	s_or_b32 exec_lo, exec_lo, s12
	s_and_b32 s15, s1, s8
	s_and_saveexec_b32 s12, s15
	s_cbranch_execz .LBB305_77
.LBB305_87:
	v_cmp_ne_u32_e32 vcc_lo, 1, v59
	v_lshlrev_b64 v[22:23], 1, v[26:27]
	s_cbranch_vccnz .LBB305_89
; %bb.88:
	v_add_co_u32 v70, vcc_lo, v68, v22
	v_add_co_ci_u32_e64 v71, null, v69, v23, vcc_lo
	global_load_ushort v66, v[70:71], off
	s_waitcnt vmcnt(0)
	v_mul_f16_e32 v66, s22, v66
	s_branch .LBB305_90
.LBB305_89:
	v_mov_b32_e32 v66, 0
.LBB305_90:
	v_pk_max_f16 v70, v24, v24
	v_pk_max_f16 v71, v20, v20
	v_pk_max_f16 v72, v25, v25
	v_pk_max_f16 v73, v21, v21
	v_add_co_u32 v22, vcc_lo, v40, v22
	v_pk_min_f16 v70, v71, v70
	v_add_co_ci_u32_e64 v23, null, v41, v23, vcc_lo
	v_pk_min_f16 v71, v73, v72
	v_pk_add_f16 v65, v65, v70
	v_pk_add_f16 v65, v65, v71
	v_add_f16_sdwa v65, v65, v65 dst_sel:DWORD dst_unused:UNUSED_PAD src0_sel:DWORD src1_sel:WORD_1
	v_add_f16_e32 v65, v65, v66
	global_store_short v[22:23], v65, off
	s_or_b32 exec_lo, exec_lo, s12
	s_and_b32 s15, s2, s8
	s_and_saveexec_b32 s12, s15
	s_cbranch_execz .LBB305_78
.LBB305_91:
	v_cmp_ne_u32_e32 vcc_lo, 1, v59
	v_lshlrev_b64 v[22:23], 1, v[28:29]
	s_cbranch_vccnz .LBB305_93
; %bb.92:
	v_add_co_u32 v65, vcc_lo, v68, v22
	v_add_co_ci_u32_e64 v66, null, v69, v23, vcc_lo
	global_load_ushort v65, v[65:66], off
	s_waitcnt vmcnt(0)
	v_mul_f16_e32 v65, s22, v65
	s_branch .LBB305_94
.LBB305_93:
	v_mov_b32_e32 v65, 0
.LBB305_94:
	v_pk_max_f16 v66, v24, v24
	v_pk_max_f16 v70, v14, v14
	v_pk_max_f16 v71, v25, v25
	v_pk_max_f16 v72, v15, v15
	v_add_co_u32 v22, vcc_lo, v40, v22
	v_pk_min_f16 v66, v70, v66
	v_add_co_ci_u32_e64 v23, null, v41, v23, vcc_lo
	v_pk_min_f16 v70, v72, v71
	v_pk_add_f16 v64, v64, v66
	v_pk_add_f16 v64, v64, v70
	v_add_f16_sdwa v64, v64, v64 dst_sel:DWORD dst_unused:UNUSED_PAD src0_sel:DWORD src1_sel:WORD_1
	v_add_f16_e32 v64, v64, v65
	global_store_short v[22:23], v64, off
	s_or_b32 exec_lo, exec_lo, s12
	s_and_b32 s15, s3, s8
	s_and_saveexec_b32 s12, s15
	s_cbranch_execz .LBB305_79
.LBB305_95:
	v_cmp_ne_u32_e32 vcc_lo, 1, v59
	v_lshlrev_b64 v[22:23], 1, v[30:31]
	s_cbranch_vccnz .LBB305_97
; %bb.96:
	v_add_co_u32 v64, vcc_lo, v68, v22
	v_add_co_ci_u32_e64 v65, null, v69, v23, vcc_lo
	global_load_ushort v64, v[64:65], off
	s_waitcnt vmcnt(0)
	v_mul_f16_e32 v64, s22, v64
	s_branch .LBB305_98
.LBB305_97:
	v_mov_b32_e32 v64, 0
.LBB305_98:
	v_pk_max_f16 v65, v24, v24
	v_pk_max_f16 v66, v16, v16
	;; [unrolled: 1-line block ×4, first 2 shown]
	v_add_co_u32 v22, vcc_lo, v40, v22
	v_pk_min_f16 v65, v66, v65
	v_add_co_ci_u32_e64 v23, null, v41, v23, vcc_lo
	v_pk_min_f16 v66, v71, v70
	v_pk_add_f16 v63, v63, v65
	v_pk_add_f16 v63, v63, v66
	v_add_f16_sdwa v63, v63, v63 dst_sel:DWORD dst_unused:UNUSED_PAD src0_sel:DWORD src1_sel:WORD_1
	v_add_f16_e32 v63, v63, v64
	global_store_short v[22:23], v63, off
	s_or_b32 exec_lo, exec_lo, s12
	s_and_b32 s15, s4, s8
	s_and_saveexec_b32 s12, s15
	s_cbranch_execz .LBB305_80
.LBB305_99:
	v_cmp_ne_u32_e32 vcc_lo, 1, v59
	v_lshlrev_b64 v[22:23], 1, v[32:33]
	s_cbranch_vccnz .LBB305_101
; %bb.100:
	v_add_co_u32 v63, vcc_lo, v68, v22
	v_add_co_ci_u32_e64 v64, null, v69, v23, vcc_lo
	global_load_ushort v63, v[63:64], off
	s_waitcnt vmcnt(0)
	v_mul_f16_e32 v63, s22, v63
	s_branch .LBB305_102
.LBB305_101:
	v_mov_b32_e32 v63, 0
.LBB305_102:
	v_pk_max_f16 v64, v24, v24
	v_pk_max_f16 v65, v10, v10
	;; [unrolled: 1-line block ×4, first 2 shown]
	v_add_co_u32 v22, vcc_lo, v40, v22
	v_pk_min_f16 v64, v65, v64
	v_add_co_ci_u32_e64 v23, null, v41, v23, vcc_lo
	v_pk_min_f16 v65, v70, v66
	v_pk_add_f16 v62, v62, v64
	v_pk_add_f16 v62, v62, v65
	v_add_f16_sdwa v62, v62, v62 dst_sel:DWORD dst_unused:UNUSED_PAD src0_sel:DWORD src1_sel:WORD_1
	v_add_f16_e32 v62, v62, v63
	global_store_short v[22:23], v62, off
	s_or_b32 exec_lo, exec_lo, s12
	s_and_b32 s15, s5, s8
	s_and_saveexec_b32 s12, s15
	s_cbranch_execz .LBB305_81
.LBB305_103:
	v_cmp_ne_u32_e32 vcc_lo, 1, v59
	v_lshlrev_b64 v[22:23], 1, v[34:35]
	s_cbranch_vccnz .LBB305_105
; %bb.104:
	v_add_co_u32 v62, vcc_lo, v68, v22
	v_add_co_ci_u32_e64 v63, null, v69, v23, vcc_lo
	global_load_ushort v62, v[62:63], off
	s_waitcnt vmcnt(0)
	v_mul_f16_e32 v62, s22, v62
	s_branch .LBB305_106
.LBB305_105:
	v_mov_b32_e32 v62, 0
.LBB305_106:
	v_pk_max_f16 v63, v24, v24
	v_pk_max_f16 v64, v12, v12
	;; [unrolled: 1-line block ×4, first 2 shown]
	v_add_co_u32 v22, vcc_lo, v40, v22
	v_pk_min_f16 v63, v64, v63
	v_add_co_ci_u32_e64 v23, null, v41, v23, vcc_lo
	v_pk_min_f16 v64, v66, v65
	v_pk_add_f16 v61, v61, v63
	v_pk_add_f16 v61, v61, v64
	v_add_f16_sdwa v61, v61, v61 dst_sel:DWORD dst_unused:UNUSED_PAD src0_sel:DWORD src1_sel:WORD_1
	v_add_f16_e32 v61, v61, v62
	global_store_short v[22:23], v61, off
	s_or_b32 exec_lo, exec_lo, s12
	s_and_b32 s15, s6, s8
	s_and_saveexec_b32 s12, s15
	s_cbranch_execz .LBB305_82
.LBB305_107:
	v_cmp_ne_u32_e32 vcc_lo, 1, v59
	v_lshlrev_b64 v[22:23], 1, v[36:37]
	s_cbranch_vccnz .LBB305_109
; %bb.108:
	v_add_co_u32 v61, vcc_lo, v68, v22
	v_add_co_ci_u32_e64 v62, null, v69, v23, vcc_lo
	global_load_ushort v61, v[61:62], off
	s_waitcnt vmcnt(0)
	v_mul_f16_e32 v61, s22, v61
	s_branch .LBB305_110
.LBB305_109:
	v_mov_b32_e32 v61, 0
.LBB305_110:
	v_pk_max_f16 v62, v24, v24
	v_pk_max_f16 v63, v6, v6
	;; [unrolled: 1-line block ×4, first 2 shown]
	v_add_co_u32 v22, vcc_lo, v40, v22
	v_pk_min_f16 v62, v63, v62
	v_add_co_ci_u32_e64 v23, null, v41, v23, vcc_lo
	v_pk_min_f16 v63, v65, v64
	v_pk_add_f16 v60, v60, v62
	v_pk_add_f16 v60, v60, v63
	v_add_f16_sdwa v60, v60, v60 dst_sel:DWORD dst_unused:UNUSED_PAD src0_sel:DWORD src1_sel:WORD_1
	v_add_f16_e32 v60, v60, v61
	global_store_short v[22:23], v60, off
	s_or_b32 exec_lo, exec_lo, s12
	s_and_b32 s12, s7, s8
	s_and_saveexec_b32 s8, s12
	s_cbranch_execz .LBB305_115
.LBB305_111:
	v_cmp_ne_u32_e32 vcc_lo, 1, v59
	v_lshlrev_b64 v[22:23], 1, v[38:39]
	s_cbranch_vccnz .LBB305_113
; %bb.112:
	v_add_co_u32 v60, vcc_lo, v68, v22
	v_add_co_ci_u32_e64 v61, null, v69, v23, vcc_lo
	global_load_ushort v60, v[60:61], off
	s_waitcnt vmcnt(0)
	v_mul_f16_e32 v60, s22, v60
	s_branch .LBB305_114
.LBB305_113:
	v_mov_b32_e32 v60, 0
.LBB305_114:
	v_pk_max_f16 v24, v24, v24
	v_pk_max_f16 v61, v8, v8
	;; [unrolled: 1-line block ×4, first 2 shown]
	v_add_co_u32 v22, vcc_lo, v40, v22
	v_pk_min_f16 v24, v61, v24
	v_add_co_ci_u32_e64 v23, null, v41, v23, vcc_lo
	v_pk_min_f16 v25, v62, v25
	v_pk_add_f16 v24, v58, v24
	v_pk_add_f16 v24, v24, v25
	v_add_f16_sdwa v24, v24, v24 dst_sel:DWORD dst_unused:UNUSED_PAD src0_sel:DWORD src1_sel:WORD_1
	v_add_f16_e32 v24, v24, v60
	global_store_short v[22:23], v24, off
.LBB305_115:
	s_or_b32 exec_lo, exec_lo, s8
	v_add_nc_u32_e32 v40, 64, v67
	v_mad_i64_i32 v[22:23], null, v40, s14, 0
	v_mad_i64_i32 v[24:25], null, v40, s9, 0
	v_cmp_gt_i32_e64 s8, s13, v40
	v_lshlrev_b64 v[22:23], 1, v[22:23]
	s_and_b32 s15, s0, s8
	v_lshlrev_b64 v[24:25], 1, v[24:25]
	v_add_co_u32 v40, vcc_lo, s16, v22
	v_add_co_ci_u32_e64 v41, null, s17, v23, vcc_lo
	v_add_co_u32 v24, vcc_lo, s10, v24
	v_add_co_ci_u32_e64 v25, null, s11, v25, vcc_lo
	s_and_saveexec_b32 s12, s15
	s_cbranch_execnz .LBB305_123
; %bb.116:
	s_or_b32 exec_lo, exec_lo, s12
	s_and_b32 s15, s1, s8
	s_and_saveexec_b32 s12, s15
	s_cbranch_execnz .LBB305_127
.LBB305_117:
	s_or_b32 exec_lo, exec_lo, s12
	s_and_b32 s15, s2, s8
	s_and_saveexec_b32 s12, s15
	s_cbranch_execnz .LBB305_131
.LBB305_118:
	s_or_b32 exec_lo, exec_lo, s12
	s_and_b32 s15, s3, s8
	s_and_saveexec_b32 s12, s15
	s_cbranch_execnz .LBB305_135
.LBB305_119:
	s_or_b32 exec_lo, exec_lo, s12
	s_and_b32 s15, s4, s8
	s_and_saveexec_b32 s12, s15
	s_cbranch_execnz .LBB305_139
.LBB305_120:
	s_or_b32 exec_lo, exec_lo, s12
	s_and_b32 s15, s5, s8
	s_and_saveexec_b32 s12, s15
	s_cbranch_execnz .LBB305_143
.LBB305_121:
	s_or_b32 exec_lo, exec_lo, s12
	s_and_b32 s15, s6, s8
	s_and_saveexec_b32 s12, s15
	s_cbranch_execnz .LBB305_147
.LBB305_122:
	s_or_b32 exec_lo, exec_lo, s12
	s_and_b32 s12, s7, s8
	s_and_saveexec_b32 s8, s12
	s_cbranch_execnz .LBB305_151
	s_branch .LBB305_155
.LBB305_123:
	v_cmp_ne_u32_e32 vcc_lo, 1, v59
	v_lshlrev_b64 v[22:23], 1, v[0:1]
	s_cbranch_vccnz .LBB305_125
; %bb.124:
	v_add_co_u32 v60, vcc_lo, v40, v22
	v_add_co_ci_u32_e64 v61, null, v41, v23, vcc_lo
	global_load_ushort v58, v[60:61], off
	s_waitcnt vmcnt(0)
	v_mul_f16_e32 v58, s22, v58
	s_branch .LBB305_126
.LBB305_125:
	v_mov_b32_e32 v58, 0
.LBB305_126:
	v_pk_max_f16 v60, v2, v2
	v_pk_max_f16 v61, v18, v18
	;; [unrolled: 1-line block ×4, first 2 shown]
	v_add_co_u32 v22, vcc_lo, v24, v22
	v_pk_min_f16 v60, v61, v60
	v_add_co_ci_u32_e64 v23, null, v25, v23, vcc_lo
	v_pk_min_f16 v61, v63, v62
	v_pk_add_f16 v57, v57, v60
	v_pk_add_f16 v57, v57, v61
	v_add_f16_sdwa v57, v57, v57 dst_sel:DWORD dst_unused:UNUSED_PAD src0_sel:DWORD src1_sel:WORD_1
	v_add_f16_e32 v57, v57, v58
	global_store_short v[22:23], v57, off
	s_or_b32 exec_lo, exec_lo, s12
	s_and_b32 s15, s1, s8
	s_and_saveexec_b32 s12, s15
	s_cbranch_execz .LBB305_117
.LBB305_127:
	v_cmp_ne_u32_e32 vcc_lo, 1, v59
	v_lshlrev_b64 v[22:23], 1, v[26:27]
	s_cbranch_vccnz .LBB305_129
; %bb.128:
	v_add_co_u32 v57, vcc_lo, v40, v22
	v_add_co_ci_u32_e64 v58, null, v41, v23, vcc_lo
	global_load_ushort v57, v[57:58], off
	s_waitcnt vmcnt(0)
	v_mul_f16_e32 v57, s22, v57
	s_branch .LBB305_130
.LBB305_129:
	v_mov_b32_e32 v57, 0
.LBB305_130:
	v_pk_max_f16 v58, v2, v2
	v_pk_max_f16 v60, v20, v20
	;; [unrolled: 1-line block ×4, first 2 shown]
	v_add_co_u32 v22, vcc_lo, v24, v22
	v_pk_min_f16 v58, v60, v58
	v_add_co_ci_u32_e64 v23, null, v25, v23, vcc_lo
	v_pk_min_f16 v60, v62, v61
	v_pk_add_f16 v56, v56, v58
	v_pk_add_f16 v56, v56, v60
	v_add_f16_sdwa v56, v56, v56 dst_sel:DWORD dst_unused:UNUSED_PAD src0_sel:DWORD src1_sel:WORD_1
	v_add_f16_e32 v56, v56, v57
	global_store_short v[22:23], v56, off
	s_or_b32 exec_lo, exec_lo, s12
	s_and_b32 s15, s2, s8
	s_and_saveexec_b32 s12, s15
	s_cbranch_execz .LBB305_118
.LBB305_131:
	v_cmp_ne_u32_e32 vcc_lo, 1, v59
	v_lshlrev_b64 v[22:23], 1, v[28:29]
	s_cbranch_vccnz .LBB305_133
; %bb.132:
	v_add_co_u32 v56, vcc_lo, v40, v22
	v_add_co_ci_u32_e64 v57, null, v41, v23, vcc_lo
	global_load_ushort v56, v[56:57], off
	s_waitcnt vmcnt(0)
	v_mul_f16_e32 v56, s22, v56
	s_branch .LBB305_134
.LBB305_133:
	v_mov_b32_e32 v56, 0
.LBB305_134:
	v_pk_max_f16 v57, v2, v2
	v_pk_max_f16 v58, v14, v14
	;; [unrolled: 1-line block ×4, first 2 shown]
	v_add_co_u32 v22, vcc_lo, v24, v22
	v_pk_min_f16 v57, v58, v57
	v_add_co_ci_u32_e64 v23, null, v25, v23, vcc_lo
	v_pk_min_f16 v58, v61, v60
	v_pk_add_f16 v55, v55, v57
	v_pk_add_f16 v55, v55, v58
	v_add_f16_sdwa v55, v55, v55 dst_sel:DWORD dst_unused:UNUSED_PAD src0_sel:DWORD src1_sel:WORD_1
	v_add_f16_e32 v55, v55, v56
	global_store_short v[22:23], v55, off
	s_or_b32 exec_lo, exec_lo, s12
	s_and_b32 s15, s3, s8
	s_and_saveexec_b32 s12, s15
	s_cbranch_execz .LBB305_119
.LBB305_135:
	v_cmp_ne_u32_e32 vcc_lo, 1, v59
	v_lshlrev_b64 v[22:23], 1, v[30:31]
	s_cbranch_vccnz .LBB305_137
; %bb.136:
	v_add_co_u32 v55, vcc_lo, v40, v22
	v_add_co_ci_u32_e64 v56, null, v41, v23, vcc_lo
	global_load_ushort v55, v[55:56], off
	s_waitcnt vmcnt(0)
	v_mul_f16_e32 v55, s22, v55
	s_branch .LBB305_138
.LBB305_137:
	v_mov_b32_e32 v55, 0
.LBB305_138:
	v_pk_max_f16 v56, v2, v2
	v_pk_max_f16 v57, v16, v16
	;; [unrolled: 1-line block ×4, first 2 shown]
	v_add_co_u32 v22, vcc_lo, v24, v22
	v_pk_min_f16 v56, v57, v56
	v_add_co_ci_u32_e64 v23, null, v25, v23, vcc_lo
	v_pk_min_f16 v57, v60, v58
	v_pk_add_f16 v54, v54, v56
	v_pk_add_f16 v54, v54, v57
	v_add_f16_sdwa v54, v54, v54 dst_sel:DWORD dst_unused:UNUSED_PAD src0_sel:DWORD src1_sel:WORD_1
	v_add_f16_e32 v54, v54, v55
	global_store_short v[22:23], v54, off
	s_or_b32 exec_lo, exec_lo, s12
	s_and_b32 s15, s4, s8
	s_and_saveexec_b32 s12, s15
	s_cbranch_execz .LBB305_120
.LBB305_139:
	v_cmp_ne_u32_e32 vcc_lo, 1, v59
	v_lshlrev_b64 v[22:23], 1, v[32:33]
	s_cbranch_vccnz .LBB305_141
; %bb.140:
	v_add_co_u32 v54, vcc_lo, v40, v22
	v_add_co_ci_u32_e64 v55, null, v41, v23, vcc_lo
	global_load_ushort v54, v[54:55], off
	s_waitcnt vmcnt(0)
	v_mul_f16_e32 v54, s22, v54
	s_branch .LBB305_142
.LBB305_141:
	v_mov_b32_e32 v54, 0
.LBB305_142:
	v_pk_max_f16 v55, v2, v2
	v_pk_max_f16 v56, v10, v10
	;; [unrolled: 1-line block ×4, first 2 shown]
	v_add_co_u32 v22, vcc_lo, v24, v22
	v_pk_min_f16 v55, v56, v55
	v_add_co_ci_u32_e64 v23, null, v25, v23, vcc_lo
	v_pk_min_f16 v56, v58, v57
	v_pk_add_f16 v53, v53, v55
	v_pk_add_f16 v53, v53, v56
	v_add_f16_sdwa v53, v53, v53 dst_sel:DWORD dst_unused:UNUSED_PAD src0_sel:DWORD src1_sel:WORD_1
	v_add_f16_e32 v53, v53, v54
	global_store_short v[22:23], v53, off
	s_or_b32 exec_lo, exec_lo, s12
	s_and_b32 s15, s5, s8
	s_and_saveexec_b32 s12, s15
	s_cbranch_execz .LBB305_121
.LBB305_143:
	v_cmp_ne_u32_e32 vcc_lo, 1, v59
	v_lshlrev_b64 v[22:23], 1, v[34:35]
	s_cbranch_vccnz .LBB305_145
; %bb.144:
	v_add_co_u32 v53, vcc_lo, v40, v22
	v_add_co_ci_u32_e64 v54, null, v41, v23, vcc_lo
	global_load_ushort v53, v[53:54], off
	s_waitcnt vmcnt(0)
	v_mul_f16_e32 v53, s22, v53
	s_branch .LBB305_146
.LBB305_145:
	v_mov_b32_e32 v53, 0
.LBB305_146:
	v_pk_max_f16 v54, v2, v2
	v_pk_max_f16 v55, v12, v12
	;; [unrolled: 1-line block ×4, first 2 shown]
	v_add_co_u32 v22, vcc_lo, v24, v22
	v_pk_min_f16 v54, v55, v54
	v_add_co_ci_u32_e64 v23, null, v25, v23, vcc_lo
	v_pk_min_f16 v55, v57, v56
	v_pk_add_f16 v52, v52, v54
	v_pk_add_f16 v52, v52, v55
	v_add_f16_sdwa v52, v52, v52 dst_sel:DWORD dst_unused:UNUSED_PAD src0_sel:DWORD src1_sel:WORD_1
	v_add_f16_e32 v52, v52, v53
	global_store_short v[22:23], v52, off
	s_or_b32 exec_lo, exec_lo, s12
	s_and_b32 s15, s6, s8
	s_and_saveexec_b32 s12, s15
	s_cbranch_execz .LBB305_122
.LBB305_147:
	v_cmp_ne_u32_e32 vcc_lo, 1, v59
	v_lshlrev_b64 v[22:23], 1, v[36:37]
	s_cbranch_vccnz .LBB305_149
; %bb.148:
	v_add_co_u32 v52, vcc_lo, v40, v22
	v_add_co_ci_u32_e64 v53, null, v41, v23, vcc_lo
	global_load_ushort v52, v[52:53], off
	s_waitcnt vmcnt(0)
	v_mul_f16_e32 v52, s22, v52
	s_branch .LBB305_150
.LBB305_149:
	v_mov_b32_e32 v52, 0
.LBB305_150:
	v_pk_max_f16 v53, v2, v2
	v_pk_max_f16 v54, v6, v6
	v_pk_max_f16 v55, v3, v3
	v_pk_max_f16 v56, v7, v7
	v_add_co_u32 v22, vcc_lo, v24, v22
	v_pk_min_f16 v53, v54, v53
	v_add_co_ci_u32_e64 v23, null, v25, v23, vcc_lo
	v_pk_min_f16 v54, v56, v55
	v_pk_add_f16 v51, v51, v53
	v_pk_add_f16 v51, v51, v54
	v_add_f16_sdwa v51, v51, v51 dst_sel:DWORD dst_unused:UNUSED_PAD src0_sel:DWORD src1_sel:WORD_1
	v_add_f16_e32 v51, v51, v52
	global_store_short v[22:23], v51, off
	s_or_b32 exec_lo, exec_lo, s12
	s_and_b32 s12, s7, s8
	s_and_saveexec_b32 s8, s12
	s_cbranch_execz .LBB305_155
.LBB305_151:
	v_cmp_ne_u32_e32 vcc_lo, 1, v59
	v_lshlrev_b64 v[22:23], 1, v[38:39]
	s_cbranch_vccnz .LBB305_153
; %bb.152:
	v_add_co_u32 v40, vcc_lo, v40, v22
	v_add_co_ci_u32_e64 v41, null, v41, v23, vcc_lo
	global_load_ushort v40, v[40:41], off
	s_waitcnt vmcnt(0)
	v_mul_f16_e32 v40, s22, v40
	s_branch .LBB305_154
.LBB305_153:
	v_mov_b32_e32 v40, 0
.LBB305_154:
	v_pk_max_f16 v2, v2, v2
	v_pk_max_f16 v41, v8, v8
	;; [unrolled: 1-line block ×4, first 2 shown]
	v_pk_min_f16 v2, v41, v2
	v_pk_min_f16 v3, v51, v3
	v_pk_add_f16 v2, v50, v2
	v_pk_add_f16 v2, v2, v3
	v_add_f16_sdwa v2, v2, v2 dst_sel:DWORD dst_unused:UNUSED_PAD src0_sel:DWORD src1_sel:WORD_1
	v_add_f16_e32 v40, v2, v40
	v_add_co_u32 v2, vcc_lo, v24, v22
	v_add_co_ci_u32_e64 v3, null, v25, v23, vcc_lo
	global_store_short v[2:3], v40, off
.LBB305_155:
	s_or_b32 exec_lo, exec_lo, s8
	v_add_nc_u32_e32 v24, 0x60, v67
	v_mad_i64_i32 v[2:3], null, v24, s14, 0
	v_mad_i64_i32 v[22:23], null, v24, s9, 0
	v_cmp_gt_i32_e64 s8, s13, v24
	v_lshlrev_b64 v[2:3], 1, v[2:3]
	s_and_b32 s9, s0, s8
	v_lshlrev_b64 v[24:25], 1, v[22:23]
	v_add_co_u32 v22, vcc_lo, s16, v2
	v_add_co_ci_u32_e64 v23, null, s17, v3, vcc_lo
	v_add_co_u32 v2, vcc_lo, s10, v24
	v_add_co_ci_u32_e64 v3, null, s11, v25, vcc_lo
	s_and_saveexec_b32 s0, s9
	s_cbranch_execnz .LBB305_164
; %bb.156:
	s_or_b32 exec_lo, exec_lo, s0
	s_and_b32 s1, s1, s8
	s_and_saveexec_b32 s0, s1
	s_cbranch_execnz .LBB305_168
.LBB305_157:
	s_or_b32 exec_lo, exec_lo, s0
	s_and_b32 s1, s2, s8
	s_and_saveexec_b32 s0, s1
	s_cbranch_execnz .LBB305_172
.LBB305_158:
	s_or_b32 exec_lo, exec_lo, s0
	s_and_b32 s1, s3, s8
	s_and_saveexec_b32 s0, s1
	s_cbranch_execnz .LBB305_176
.LBB305_159:
	s_or_b32 exec_lo, exec_lo, s0
	s_and_b32 s1, s4, s8
	s_and_saveexec_b32 s0, s1
	s_cbranch_execnz .LBB305_180
.LBB305_160:
	s_or_b32 exec_lo, exec_lo, s0
	s_and_b32 s1, s5, s8
	s_and_saveexec_b32 s0, s1
	s_cbranch_execnz .LBB305_184
.LBB305_161:
	s_or_b32 exec_lo, exec_lo, s0
	s_and_b32 s1, s6, s8
	s_and_saveexec_b32 s0, s1
	s_cbranch_execnz .LBB305_188
.LBB305_162:
	s_or_b32 exec_lo, exec_lo, s0
	s_and_b32 s0, s7, s8
	s_and_saveexec_b32 s1, s0
	s_cbranch_execnz .LBB305_192
.LBB305_163:
	s_endpgm
.LBB305_164:
	v_cmp_ne_u32_e32 vcc_lo, 1, v59
	v_lshlrev_b64 v[0:1], 1, v[0:1]
	s_cbranch_vccnz .LBB305_166
; %bb.165:
	v_add_co_u32 v24, vcc_lo, v22, v0
	v_add_co_ci_u32_e64 v25, null, v23, v1, vcc_lo
	global_load_ushort v24, v[24:25], off
	s_waitcnt vmcnt(0)
	v_mul_f16_e32 v24, s22, v24
	s_branch .LBB305_167
.LBB305_166:
	v_mov_b32_e32 v24, 0
.LBB305_167:
	v_pk_max_f16 v25, v4, v4
	v_pk_max_f16 v18, v18, v18
	;; [unrolled: 1-line block ×4, first 2 shown]
	v_add_co_u32 v0, vcc_lo, v2, v0
	v_pk_min_f16 v18, v18, v25
	v_add_co_ci_u32_e64 v1, null, v3, v1, vcc_lo
	v_pk_min_f16 v19, v19, v40
	v_pk_add_f16 v18, v49, v18
	v_pk_add_f16 v18, v18, v19
	v_add_f16_sdwa v18, v18, v18 dst_sel:DWORD dst_unused:UNUSED_PAD src0_sel:DWORD src1_sel:WORD_1
	v_add_f16_e32 v18, v18, v24
	global_store_short v[0:1], v18, off
	s_or_b32 exec_lo, exec_lo, s0
	s_and_b32 s1, s1, s8
	s_and_saveexec_b32 s0, s1
	s_cbranch_execz .LBB305_157
.LBB305_168:
	v_cmp_ne_u32_e32 vcc_lo, 1, v59
	v_lshlrev_b64 v[0:1], 1, v[26:27]
	s_cbranch_vccnz .LBB305_170
; %bb.169:
	v_add_co_u32 v18, vcc_lo, v22, v0
	v_add_co_ci_u32_e64 v19, null, v23, v1, vcc_lo
	global_load_ushort v18, v[18:19], off
	s_waitcnt vmcnt(0)
	v_mul_f16_e32 v18, s22, v18
	s_branch .LBB305_171
.LBB305_170:
	v_mov_b32_e32 v18, 0
.LBB305_171:
	v_pk_max_f16 v19, v4, v4
	v_pk_max_f16 v20, v20, v20
	;; [unrolled: 1-line block ×4, first 2 shown]
	v_add_co_u32 v0, vcc_lo, v2, v0
	v_pk_min_f16 v19, v20, v19
	v_add_co_ci_u32_e64 v1, null, v3, v1, vcc_lo
	v_pk_min_f16 v20, v21, v24
	v_pk_add_f16 v19, v48, v19
	v_pk_add_f16 v19, v19, v20
	v_add_f16_sdwa v19, v19, v19 dst_sel:DWORD dst_unused:UNUSED_PAD src0_sel:DWORD src1_sel:WORD_1
	v_add_f16_e32 v18, v19, v18
	global_store_short v[0:1], v18, off
	s_or_b32 exec_lo, exec_lo, s0
	s_and_b32 s1, s2, s8
	s_and_saveexec_b32 s0, s1
	s_cbranch_execz .LBB305_158
.LBB305_172:
	v_cmp_ne_u32_e32 vcc_lo, 1, v59
	v_lshlrev_b64 v[0:1], 1, v[28:29]
	s_cbranch_vccnz .LBB305_174
; %bb.173:
	v_add_co_u32 v18, vcc_lo, v22, v0
	v_add_co_ci_u32_e64 v19, null, v23, v1, vcc_lo
	global_load_ushort v18, v[18:19], off
	s_waitcnt vmcnt(0)
	v_mul_f16_e32 v18, s22, v18
	s_branch .LBB305_175
.LBB305_174:
	v_mov_b32_e32 v18, 0
.LBB305_175:
	v_pk_max_f16 v19, v4, v4
	v_pk_max_f16 v14, v14, v14
	;; [unrolled: 1-line block ×4, first 2 shown]
	v_add_co_u32 v0, vcc_lo, v2, v0
	v_pk_min_f16 v14, v14, v19
	v_add_co_ci_u32_e64 v1, null, v3, v1, vcc_lo
	v_pk_min_f16 v15, v15, v20
	v_pk_add_f16 v14, v47, v14
	v_pk_add_f16 v14, v14, v15
	v_add_f16_sdwa v14, v14, v14 dst_sel:DWORD dst_unused:UNUSED_PAD src0_sel:DWORD src1_sel:WORD_1
	v_add_f16_e32 v14, v14, v18
	global_store_short v[0:1], v14, off
	s_or_b32 exec_lo, exec_lo, s0
	s_and_b32 s1, s3, s8
	s_and_saveexec_b32 s0, s1
	s_cbranch_execz .LBB305_159
.LBB305_176:
	v_cmp_ne_u32_e32 vcc_lo, 1, v59
	v_lshlrev_b64 v[0:1], 1, v[30:31]
	s_cbranch_vccnz .LBB305_178
; %bb.177:
	v_add_co_u32 v14, vcc_lo, v22, v0
	v_add_co_ci_u32_e64 v15, null, v23, v1, vcc_lo
	global_load_ushort v14, v[14:15], off
	s_waitcnt vmcnt(0)
	v_mul_f16_e32 v14, s22, v14
	s_branch .LBB305_179
.LBB305_178:
	v_mov_b32_e32 v14, 0
.LBB305_179:
	v_pk_max_f16 v15, v4, v4
	v_pk_max_f16 v16, v16, v16
	;; [unrolled: 1-line block ×4, first 2 shown]
	v_add_co_u32 v0, vcc_lo, v2, v0
	v_pk_min_f16 v15, v16, v15
	v_add_co_ci_u32_e64 v1, null, v3, v1, vcc_lo
	v_pk_min_f16 v16, v17, v18
	v_pk_add_f16 v15, v46, v15
	v_pk_add_f16 v15, v15, v16
	v_add_f16_sdwa v15, v15, v15 dst_sel:DWORD dst_unused:UNUSED_PAD src0_sel:DWORD src1_sel:WORD_1
	v_add_f16_e32 v14, v15, v14
	global_store_short v[0:1], v14, off
	s_or_b32 exec_lo, exec_lo, s0
	s_and_b32 s1, s4, s8
	s_and_saveexec_b32 s0, s1
	s_cbranch_execz .LBB305_160
.LBB305_180:
	v_cmp_ne_u32_e32 vcc_lo, 1, v59
	v_lshlrev_b64 v[0:1], 1, v[32:33]
	s_cbranch_vccnz .LBB305_182
; %bb.181:
	v_add_co_u32 v14, vcc_lo, v22, v0
	v_add_co_ci_u32_e64 v15, null, v23, v1, vcc_lo
	global_load_ushort v14, v[14:15], off
	s_waitcnt vmcnt(0)
	v_mul_f16_e32 v14, s22, v14
	s_branch .LBB305_183
.LBB305_182:
	v_mov_b32_e32 v14, 0
.LBB305_183:
	v_pk_max_f16 v15, v4, v4
	v_pk_max_f16 v10, v10, v10
	;; [unrolled: 1-line block ×4, first 2 shown]
	v_add_co_u32 v0, vcc_lo, v2, v0
	v_pk_min_f16 v10, v10, v15
	v_add_co_ci_u32_e64 v1, null, v3, v1, vcc_lo
	v_pk_min_f16 v11, v11, v16
	v_pk_add_f16 v10, v45, v10
	v_pk_add_f16 v10, v10, v11
	v_add_f16_sdwa v10, v10, v10 dst_sel:DWORD dst_unused:UNUSED_PAD src0_sel:DWORD src1_sel:WORD_1
	v_add_f16_e32 v10, v10, v14
	global_store_short v[0:1], v10, off
	s_or_b32 exec_lo, exec_lo, s0
	s_and_b32 s1, s5, s8
	s_and_saveexec_b32 s0, s1
	s_cbranch_execz .LBB305_161
.LBB305_184:
	v_cmp_ne_u32_e32 vcc_lo, 1, v59
	v_lshlrev_b64 v[0:1], 1, v[34:35]
	s_cbranch_vccnz .LBB305_186
; %bb.185:
	v_add_co_u32 v10, vcc_lo, v22, v0
	v_add_co_ci_u32_e64 v11, null, v23, v1, vcc_lo
	global_load_ushort v10, v[10:11], off
	s_waitcnt vmcnt(0)
	v_mul_f16_e32 v10, s22, v10
	s_branch .LBB305_187
.LBB305_186:
	v_mov_b32_e32 v10, 0
.LBB305_187:
	v_pk_max_f16 v11, v4, v4
	v_pk_max_f16 v12, v12, v12
	;; [unrolled: 1-line block ×4, first 2 shown]
	v_add_co_u32 v0, vcc_lo, v2, v0
	v_pk_min_f16 v11, v12, v11
	v_add_co_ci_u32_e64 v1, null, v3, v1, vcc_lo
	v_pk_min_f16 v12, v13, v14
	v_pk_add_f16 v11, v44, v11
	v_pk_add_f16 v11, v11, v12
	v_add_f16_sdwa v11, v11, v11 dst_sel:DWORD dst_unused:UNUSED_PAD src0_sel:DWORD src1_sel:WORD_1
	v_add_f16_e32 v10, v11, v10
	global_store_short v[0:1], v10, off
	s_or_b32 exec_lo, exec_lo, s0
	s_and_b32 s1, s6, s8
	s_and_saveexec_b32 s0, s1
	s_cbranch_execz .LBB305_162
.LBB305_188:
	v_cmp_ne_u32_e32 vcc_lo, 1, v59
	v_lshlrev_b64 v[0:1], 1, v[36:37]
	s_cbranch_vccnz .LBB305_190
; %bb.189:
	v_add_co_u32 v10, vcc_lo, v22, v0
	v_add_co_ci_u32_e64 v11, null, v23, v1, vcc_lo
	global_load_ushort v10, v[10:11], off
	s_waitcnt vmcnt(0)
	v_mul_f16_e32 v10, s22, v10
	s_branch .LBB305_191
.LBB305_190:
	v_mov_b32_e32 v10, 0
.LBB305_191:
	v_pk_max_f16 v11, v4, v4
	v_pk_max_f16 v6, v6, v6
	v_pk_max_f16 v12, v5, v5
	v_pk_max_f16 v7, v7, v7
	v_add_co_u32 v0, vcc_lo, v2, v0
	v_pk_min_f16 v6, v6, v11
	v_add_co_ci_u32_e64 v1, null, v3, v1, vcc_lo
	v_pk_min_f16 v7, v7, v12
	v_pk_add_f16 v6, v43, v6
	v_pk_add_f16 v6, v6, v7
	v_add_f16_sdwa v6, v6, v6 dst_sel:DWORD dst_unused:UNUSED_PAD src0_sel:DWORD src1_sel:WORD_1
	v_add_f16_e32 v6, v6, v10
	global_store_short v[0:1], v6, off
	s_or_b32 exec_lo, exec_lo, s0
	s_and_b32 s0, s7, s8
	s_and_saveexec_b32 s1, s0
	s_cbranch_execz .LBB305_163
.LBB305_192:
	v_cmp_ne_u32_e32 vcc_lo, 1, v59
	v_lshlrev_b64 v[0:1], 1, v[38:39]
	s_cbranch_vccnz .LBB305_194
; %bb.193:
	v_add_co_u32 v6, vcc_lo, v22, v0
	v_add_co_ci_u32_e64 v7, null, v23, v1, vcc_lo
	global_load_ushort v6, v[6:7], off
	s_waitcnt vmcnt(0)
	v_mul_f16_e32 v6, s22, v6
	s_branch .LBB305_195
.LBB305_194:
	v_mov_b32_e32 v6, 0
.LBB305_195:
	v_pk_max_f16 v4, v4, v4
	v_pk_max_f16 v7, v8, v8
	;; [unrolled: 1-line block ×4, first 2 shown]
	v_add_co_u32 v0, vcc_lo, v2, v0
	v_pk_min_f16 v4, v7, v4
	v_add_co_ci_u32_e64 v1, null, v3, v1, vcc_lo
	v_pk_min_f16 v5, v8, v5
	v_pk_add_f16 v4, v42, v4
	v_pk_add_f16 v4, v4, v5
	v_add_f16_sdwa v4, v4, v4 dst_sel:DWORD dst_unused:UNUSED_PAD src0_sel:DWORD src1_sel:WORD_1
	v_add_f16_e32 v4, v4, v6
	global_store_short v[0:1], v4, off
	s_endpgm
	.section	.rodata,"a",@progbits
	.p2align	6, 0x0
	.amdhsa_kernel _ZN12_GLOBAL__N_120geam_min_plus_kernelIDF16_Dv2_DF16_S1_Li8ELi32ELi64ELi128ELi4ELi4ELi64ELi64ELi4ELc84ELc84ELb0ELb1ELb0EDF16_KDF16_DF16_EEviiiT16_PT17_ilS5_ilS3_S5_ilPT18_ili26rocblas_geam_ex_operation_
		.amdhsa_group_segment_fixed_size 3072
		.amdhsa_private_segment_fixed_size 0
		.amdhsa_kernarg_size 128
		.amdhsa_user_sgpr_count 6
		.amdhsa_user_sgpr_private_segment_buffer 1
		.amdhsa_user_sgpr_dispatch_ptr 0
		.amdhsa_user_sgpr_queue_ptr 0
		.amdhsa_user_sgpr_kernarg_segment_ptr 1
		.amdhsa_user_sgpr_dispatch_id 0
		.amdhsa_user_sgpr_flat_scratch_init 0
		.amdhsa_user_sgpr_private_segment_size 0
		.amdhsa_wavefront_size32 1
		.amdhsa_uses_dynamic_stack 0
		.amdhsa_system_sgpr_private_segment_wavefront_offset 0
		.amdhsa_system_sgpr_workgroup_id_x 1
		.amdhsa_system_sgpr_workgroup_id_y 0
		.amdhsa_system_sgpr_workgroup_id_z 1
		.amdhsa_system_sgpr_workgroup_info 0
		.amdhsa_system_vgpr_workitem_id 1
		.amdhsa_next_free_vgpr 118
		.amdhsa_next_free_sgpr 29
		.amdhsa_reserve_vcc 1
		.amdhsa_reserve_flat_scratch 0
		.amdhsa_float_round_mode_32 0
		.amdhsa_float_round_mode_16_64 0
		.amdhsa_float_denorm_mode_32 3
		.amdhsa_float_denorm_mode_16_64 3
		.amdhsa_dx10_clamp 1
		.amdhsa_ieee_mode 1
		.amdhsa_fp16_overflow 0
		.amdhsa_workgroup_processor_mode 1
		.amdhsa_memory_ordered 1
		.amdhsa_forward_progress 1
		.amdhsa_shared_vgpr_count 0
		.amdhsa_exception_fp_ieee_invalid_op 0
		.amdhsa_exception_fp_denorm_src 0
		.amdhsa_exception_fp_ieee_div_zero 0
		.amdhsa_exception_fp_ieee_overflow 0
		.amdhsa_exception_fp_ieee_underflow 0
		.amdhsa_exception_fp_ieee_inexact 0
		.amdhsa_exception_int_div_zero 0
	.end_amdhsa_kernel
	.section	.text._ZN12_GLOBAL__N_120geam_min_plus_kernelIDF16_Dv2_DF16_S1_Li8ELi32ELi64ELi128ELi4ELi4ELi64ELi64ELi4ELc84ELc84ELb0ELb1ELb0EDF16_KDF16_DF16_EEviiiT16_PT17_ilS5_ilS3_S5_ilPT18_ili26rocblas_geam_ex_operation_,"axG",@progbits,_ZN12_GLOBAL__N_120geam_min_plus_kernelIDF16_Dv2_DF16_S1_Li8ELi32ELi64ELi128ELi4ELi4ELi64ELi64ELi4ELc84ELc84ELb0ELb1ELb0EDF16_KDF16_DF16_EEviiiT16_PT17_ilS5_ilS3_S5_ilPT18_ili26rocblas_geam_ex_operation_,comdat
.Lfunc_end305:
	.size	_ZN12_GLOBAL__N_120geam_min_plus_kernelIDF16_Dv2_DF16_S1_Li8ELi32ELi64ELi128ELi4ELi4ELi64ELi64ELi4ELc84ELc84ELb0ELb1ELb0EDF16_KDF16_DF16_EEviiiT16_PT17_ilS5_ilS3_S5_ilPT18_ili26rocblas_geam_ex_operation_, .Lfunc_end305-_ZN12_GLOBAL__N_120geam_min_plus_kernelIDF16_Dv2_DF16_S1_Li8ELi32ELi64ELi128ELi4ELi4ELi64ELi64ELi4ELc84ELc84ELb0ELb1ELb0EDF16_KDF16_DF16_EEviiiT16_PT17_ilS5_ilS3_S5_ilPT18_ili26rocblas_geam_ex_operation_
                                        ; -- End function
	.set _ZN12_GLOBAL__N_120geam_min_plus_kernelIDF16_Dv2_DF16_S1_Li8ELi32ELi64ELi128ELi4ELi4ELi64ELi64ELi4ELc84ELc84ELb0ELb1ELb0EDF16_KDF16_DF16_EEviiiT16_PT17_ilS5_ilS3_S5_ilPT18_ili26rocblas_geam_ex_operation_.num_vgpr, 118
	.set _ZN12_GLOBAL__N_120geam_min_plus_kernelIDF16_Dv2_DF16_S1_Li8ELi32ELi64ELi128ELi4ELi4ELi64ELi64ELi4ELc84ELc84ELb0ELb1ELb0EDF16_KDF16_DF16_EEviiiT16_PT17_ilS5_ilS3_S5_ilPT18_ili26rocblas_geam_ex_operation_.num_agpr, 0
	.set _ZN12_GLOBAL__N_120geam_min_plus_kernelIDF16_Dv2_DF16_S1_Li8ELi32ELi64ELi128ELi4ELi4ELi64ELi64ELi4ELc84ELc84ELb0ELb1ELb0EDF16_KDF16_DF16_EEviiiT16_PT17_ilS5_ilS3_S5_ilPT18_ili26rocblas_geam_ex_operation_.numbered_sgpr, 29
	.set _ZN12_GLOBAL__N_120geam_min_plus_kernelIDF16_Dv2_DF16_S1_Li8ELi32ELi64ELi128ELi4ELi4ELi64ELi64ELi4ELc84ELc84ELb0ELb1ELb0EDF16_KDF16_DF16_EEviiiT16_PT17_ilS5_ilS3_S5_ilPT18_ili26rocblas_geam_ex_operation_.num_named_barrier, 0
	.set _ZN12_GLOBAL__N_120geam_min_plus_kernelIDF16_Dv2_DF16_S1_Li8ELi32ELi64ELi128ELi4ELi4ELi64ELi64ELi4ELc84ELc84ELb0ELb1ELb0EDF16_KDF16_DF16_EEviiiT16_PT17_ilS5_ilS3_S5_ilPT18_ili26rocblas_geam_ex_operation_.private_seg_size, 0
	.set _ZN12_GLOBAL__N_120geam_min_plus_kernelIDF16_Dv2_DF16_S1_Li8ELi32ELi64ELi128ELi4ELi4ELi64ELi64ELi4ELc84ELc84ELb0ELb1ELb0EDF16_KDF16_DF16_EEviiiT16_PT17_ilS5_ilS3_S5_ilPT18_ili26rocblas_geam_ex_operation_.uses_vcc, 1
	.set _ZN12_GLOBAL__N_120geam_min_plus_kernelIDF16_Dv2_DF16_S1_Li8ELi32ELi64ELi128ELi4ELi4ELi64ELi64ELi4ELc84ELc84ELb0ELb1ELb0EDF16_KDF16_DF16_EEviiiT16_PT17_ilS5_ilS3_S5_ilPT18_ili26rocblas_geam_ex_operation_.uses_flat_scratch, 0
	.set _ZN12_GLOBAL__N_120geam_min_plus_kernelIDF16_Dv2_DF16_S1_Li8ELi32ELi64ELi128ELi4ELi4ELi64ELi64ELi4ELc84ELc84ELb0ELb1ELb0EDF16_KDF16_DF16_EEviiiT16_PT17_ilS5_ilS3_S5_ilPT18_ili26rocblas_geam_ex_operation_.has_dyn_sized_stack, 0
	.set _ZN12_GLOBAL__N_120geam_min_plus_kernelIDF16_Dv2_DF16_S1_Li8ELi32ELi64ELi128ELi4ELi4ELi64ELi64ELi4ELc84ELc84ELb0ELb1ELb0EDF16_KDF16_DF16_EEviiiT16_PT17_ilS5_ilS3_S5_ilPT18_ili26rocblas_geam_ex_operation_.has_recursion, 0
	.set _ZN12_GLOBAL__N_120geam_min_plus_kernelIDF16_Dv2_DF16_S1_Li8ELi32ELi64ELi128ELi4ELi4ELi64ELi64ELi4ELc84ELc84ELb0ELb1ELb0EDF16_KDF16_DF16_EEviiiT16_PT17_ilS5_ilS3_S5_ilPT18_ili26rocblas_geam_ex_operation_.has_indirect_call, 0
	.section	.AMDGPU.csdata,"",@progbits
; Kernel info:
; codeLenInByte = 12076
; TotalNumSgprs: 31
; NumVgprs: 118
; ScratchSize: 0
; MemoryBound: 0
; FloatMode: 240
; IeeeMode: 1
; LDSByteSize: 3072 bytes/workgroup (compile time only)
; SGPRBlocks: 0
; VGPRBlocks: 14
; NumSGPRsForWavesPerEU: 31
; NumVGPRsForWavesPerEU: 118
; Occupancy: 8
; WaveLimiterHint : 0
; COMPUTE_PGM_RSRC2:SCRATCH_EN: 0
; COMPUTE_PGM_RSRC2:USER_SGPR: 6
; COMPUTE_PGM_RSRC2:TRAP_HANDLER: 0
; COMPUTE_PGM_RSRC2:TGID_X_EN: 1
; COMPUTE_PGM_RSRC2:TGID_Y_EN: 0
; COMPUTE_PGM_RSRC2:TGID_Z_EN: 1
; COMPUTE_PGM_RSRC2:TIDIG_COMP_CNT: 1
	.section	.AMDGPU.gpr_maximums,"",@progbits
	.set amdgpu.max_num_vgpr, 0
	.set amdgpu.max_num_agpr, 0
	.set amdgpu.max_num_sgpr, 0
	.section	.AMDGPU.csdata,"",@progbits
	.type	__hip_cuid_ff796bfe49bf3d00,@object ; @__hip_cuid_ff796bfe49bf3d00
	.section	.bss,"aw",@nobits
	.globl	__hip_cuid_ff796bfe49bf3d00
__hip_cuid_ff796bfe49bf3d00:
	.byte	0                               ; 0x0
	.size	__hip_cuid_ff796bfe49bf3d00, 1

	.ident	"AMD clang version 22.0.0git (https://github.com/RadeonOpenCompute/llvm-project roc-7.2.4 26084 f58b06dce1f9c15707c5f808fd002e18c2accf7e)"
	.section	".note.GNU-stack","",@progbits
	.addrsig
	.addrsig_sym __hip_cuid_ff796bfe49bf3d00
	.amdgpu_metadata
---
amdhsa.kernels:
  - .args:
      - .offset:         0
        .size:           4
        .value_kind:     by_value
      - .offset:         4
        .size:           4
        .value_kind:     by_value
      - .offset:         8
        .size:           4
        .value_kind:     by_value
      - .address_space:  global
        .offset:         16
        .size:           8
        .value_kind:     global_buffer
      - .offset:         24
        .size:           8
        .value_kind:     by_value
      - .offset:         32
        .size:           4
        .value_kind:     by_value
      - .offset:         40
        .size:           8
        .value_kind:     by_value
      - .address_space:  global
        .offset:         48
        .size:           8
        .value_kind:     global_buffer
      - .offset:         56
        .size:           8
        .value_kind:     by_value
      - .offset:         64
        .size:           4
        .value_kind:     by_value
      - .offset:         72
        .size:           8
        .value_kind:     by_value
    .group_segment_fixed_size: 0
    .kernarg_segment_align: 8
    .kernarg_segment_size: 80
    .language:       OpenCL C
    .language_version:
      - 2
      - 0
    .max_flat_workgroup_size: 1024
    .name:           _ZN12_GLOBAL__N_120geam_ex_scale_kernelILi32ELi32EffPKPKfPKPfEEviiT2_T3_lilT4_lil
    .private_segment_fixed_size: 0
    .sgpr_count:     18
    .sgpr_spill_count: 0
    .symbol:         _ZN12_GLOBAL__N_120geam_ex_scale_kernelILi32ELi32EffPKPKfPKPfEEviiT2_T3_lilT4_lil.kd
    .uniform_work_group_size: 1
    .uses_dynamic_stack: false
    .vgpr_count:     8
    .vgpr_spill_count: 0
    .wavefront_size: 32
    .workgroup_processor_mode: 1
  - .args:
      - .offset:         0
        .size:           4
        .value_kind:     by_value
      - .offset:         4
        .size:           4
        .value_kind:     by_value
      - .address_space:  global
        .offset:         8
        .size:           8
        .value_kind:     global_buffer
      - .address_space:  global
        .offset:         16
        .size:           8
        .value_kind:     global_buffer
      - .offset:         24
        .size:           8
        .value_kind:     by_value
      - .offset:         32
        .size:           4
        .value_kind:     by_value
      - .offset:         40
        .size:           8
        .value_kind:     by_value
      - .address_space:  global
        .offset:         48
        .size:           8
        .value_kind:     global_buffer
      - .offset:         56
        .size:           8
        .value_kind:     by_value
      - .offset:         64
        .size:           4
        .value_kind:     by_value
      - .offset:         72
        .size:           8
        .value_kind:     by_value
    .group_segment_fixed_size: 0
    .kernarg_segment_align: 8
    .kernarg_segment_size: 80
    .language:       OpenCL C
    .language_version:
      - 2
      - 0
    .max_flat_workgroup_size: 1024
    .name:           _ZN12_GLOBAL__N_120geam_ex_scale_kernelILi32ELi32EfPKfPKS2_PKPfEEviiT2_T3_lilT4_lil
    .private_segment_fixed_size: 0
    .sgpr_count:     18
    .sgpr_spill_count: 0
    .symbol:         _ZN12_GLOBAL__N_120geam_ex_scale_kernelILi32ELi32EfPKfPKS2_PKPfEEviiT2_T3_lilT4_lil.kd
    .uniform_work_group_size: 1
    .uses_dynamic_stack: false
    .vgpr_count:     8
    .vgpr_spill_count: 0
    .wavefront_size: 32
    .workgroup_processor_mode: 1
  - .args:
      - .offset:         0
        .size:           4
        .value_kind:     by_value
      - .offset:         4
        .size:           4
        .value_kind:     by_value
      - .offset:         8
        .size:           4
        .value_kind:     by_value
      - .address_space:  global
        .offset:         16
        .size:           8
        .value_kind:     global_buffer
      - .offset:         24
        .size:           8
        .value_kind:     by_value
      - .offset:         32
        .size:           4
        .value_kind:     by_value
      - .offset:         40
        .size:           8
        .value_kind:     by_value
      - .address_space:  global
        .offset:         48
        .size:           8
        .value_kind:     global_buffer
      - .offset:         56
        .size:           8
        .value_kind:     by_value
      - .offset:         64
        .size:           4
        .value_kind:     by_value
      - .offset:         72
        .size:           8
        .value_kind:     by_value
    .group_segment_fixed_size: 0
    .kernarg_segment_align: 8
    .kernarg_segment_size: 80
    .language:       OpenCL C
    .language_version:
      - 2
      - 0
    .max_flat_workgroup_size: 1024
    .name:           _ZN12_GLOBAL__N_120geam_ex_round_kernelILi32ELi32EffPKPKfPKPfEEviiT2_T3_lilT4_lil
    .private_segment_fixed_size: 0
    .sgpr_count:     18
    .sgpr_spill_count: 0
    .symbol:         _ZN12_GLOBAL__N_120geam_ex_round_kernelILi32ELi32EffPKPKfPKPfEEviiT2_T3_lilT4_lil.kd
    .uniform_work_group_size: 1
    .uses_dynamic_stack: false
    .vgpr_count:     8
    .vgpr_spill_count: 0
    .wavefront_size: 32
    .workgroup_processor_mode: 1
  - .args:
      - .offset:         0
        .size:           4
        .value_kind:     by_value
      - .offset:         4
        .size:           4
        .value_kind:     by_value
      - .offset:         8
        .size:           4
        .value_kind:     by_value
      - .address_space:  global
        .offset:         16
        .size:           8
        .value_kind:     global_buffer
      - .address_space:  global
        .offset:         24
        .size:           8
        .value_kind:     global_buffer
      - .offset:         32
        .size:           4
        .value_kind:     by_value
      - .offset:         40
        .size:           8
        .value_kind:     by_value
      - .address_space:  global
        .offset:         48
        .size:           8
        .value_kind:     global_buffer
      - .offset:         56
        .size:           4
        .value_kind:     by_value
      - .offset:         64
        .size:           8
        .value_kind:     by_value
      - .address_space:  global
        .offset:         72
        .size:           8
        .value_kind:     global_buffer
      - .address_space:  global
        .offset:         80
        .size:           8
        .value_kind:     global_buffer
      - .offset:         88
        .size:           4
        .value_kind:     by_value
      - .offset:         96
        .size:           8
        .value_kind:     by_value
      - .address_space:  global
        .offset:         104
        .size:           8
        .value_kind:     global_buffer
      - .offset:         112
        .size:           4
        .value_kind:     by_value
      - .offset:         120
        .size:           8
        .value_kind:     by_value
      - .offset:         128
        .size:           4
        .value_kind:     by_value
      - .offset:         132
        .size:           4
        .value_kind:     by_value
    .group_segment_fixed_size: 10240
    .kernarg_segment_align: 8
    .kernarg_segment_size: 136
    .language:       OpenCL C
    .language_version:
      - 2
      - 0
    .max_flat_workgroup_size: 256
    .name:           _ZN12_GLOBAL__N_120geam_min_plus_kernelIf15HIP_vector_typeIfLj2EEfLi32ELi8ELi256ELi64ELi4ELi64ELi4ELi4ELi64ELc78ELc78ELb0ELb0ELb1EPKfKS4_KPfEEviiiT16_PT17_ilSA_ilS8_SA_ilPT18_ili26rocblas_geam_ex_operation_
    .private_segment_fixed_size: 0
    .sgpr_count:     27
    .sgpr_spill_count: 0
    .symbol:         _ZN12_GLOBAL__N_120geam_min_plus_kernelIf15HIP_vector_typeIfLj2EEfLi32ELi8ELi256ELi64ELi4ELi64ELi4ELi4ELi64ELc78ELc78ELb0ELb0ELb1EPKfKS4_KPfEEviiiT16_PT17_ilSA_ilS8_SA_ilPT18_ili26rocblas_geam_ex_operation_.kd
    .uniform_work_group_size: 1
    .uses_dynamic_stack: false
    .vgpr_count:     166
    .vgpr_spill_count: 0
    .wavefront_size: 32
    .workgroup_processor_mode: 1
  - .args:
      - .offset:         0
        .size:           4
        .value_kind:     by_value
      - .offset:         4
        .size:           4
        .value_kind:     by_value
      - .offset:         8
        .size:           4
        .value_kind:     by_value
      - .offset:         12
        .size:           4
        .value_kind:     by_value
      - .address_space:  global
        .offset:         16
        .size:           8
        .value_kind:     global_buffer
      - .offset:         24
        .size:           4
        .value_kind:     by_value
      - .offset:         32
        .size:           8
        .value_kind:     by_value
      - .address_space:  global
        .offset:         40
        .size:           8
        .value_kind:     global_buffer
      - .offset:         48
        .size:           4
        .value_kind:     by_value
      - .offset:         56
        .size:           8
        .value_kind:     by_value
      - .offset:         64
        .size:           4
        .value_kind:     by_value
      - .address_space:  global
        .offset:         72
        .size:           8
        .value_kind:     global_buffer
      - .offset:         80
        .size:           4
        .value_kind:     by_value
      - .offset:         88
        .size:           8
        .value_kind:     by_value
      - .address_space:  global
        .offset:         96
        .size:           8
        .value_kind:     global_buffer
      - .offset:         104
        .size:           4
        .value_kind:     by_value
      - .offset:         112
        .size:           8
        .value_kind:     by_value
      - .offset:         120
        .size:           4
        .value_kind:     by_value
      - .offset:         124
        .size:           4
        .value_kind:     by_value
    .group_segment_fixed_size: 10240
    .kernarg_segment_align: 8
    .kernarg_segment_size: 128
    .language:       OpenCL C
    .language_version:
      - 2
      - 0
    .max_flat_workgroup_size: 256
    .name:           _ZN12_GLOBAL__N_120geam_min_plus_kernelIf15HIP_vector_typeIfLj2EEfLi32ELi8ELi256ELi64ELi4ELi64ELi4ELi4ELi64ELc78ELc78ELb1ELb0ELb1EfKPKfKPfEEviiiT16_PT17_ilSA_ilS8_SA_ilPT18_ili26rocblas_geam_ex_operation_
    .private_segment_fixed_size: 0
    .sgpr_count:     24
    .sgpr_spill_count: 0
    .symbol:         _ZN12_GLOBAL__N_120geam_min_plus_kernelIf15HIP_vector_typeIfLj2EEfLi32ELi8ELi256ELi64ELi4ELi64ELi4ELi4ELi64ELc78ELc78ELb1ELb0ELb1EfKPKfKPfEEviiiT16_PT17_ilSA_ilS8_SA_ilPT18_ili26rocblas_geam_ex_operation_.kd
    .uniform_work_group_size: 1
    .uses_dynamic_stack: false
    .vgpr_count:     174
    .vgpr_spill_count: 0
    .wavefront_size: 32
    .workgroup_processor_mode: 1
  - .args:
      - .offset:         0
        .size:           4
        .value_kind:     by_value
      - .offset:         4
        .size:           4
        .value_kind:     by_value
      - .offset:         8
        .size:           4
        .value_kind:     by_value
      - .offset:         12
        .size:           4
        .value_kind:     by_value
      - .address_space:  global
        .offset:         16
        .size:           8
        .value_kind:     global_buffer
      - .offset:         24
        .size:           4
        .value_kind:     by_value
      - .offset:         32
        .size:           8
        .value_kind:     by_value
      - .address_space:  global
        .offset:         40
        .size:           8
        .value_kind:     global_buffer
      - .offset:         48
        .size:           4
        .value_kind:     by_value
      - .offset:         56
        .size:           8
        .value_kind:     by_value
      - .offset:         64
        .size:           4
        .value_kind:     by_value
      - .address_space:  global
        .offset:         72
        .size:           8
        .value_kind:     global_buffer
      - .offset:         80
        .size:           4
        .value_kind:     by_value
      - .offset:         88
        .size:           8
        .value_kind:     by_value
      - .address_space:  global
        .offset:         96
        .size:           8
        .value_kind:     global_buffer
      - .offset:         104
        .size:           4
        .value_kind:     by_value
      - .offset:         112
        .size:           8
        .value_kind:     by_value
      - .offset:         120
        .size:           4
        .value_kind:     by_value
      - .offset:         124
        .size:           4
        .value_kind:     by_value
    .group_segment_fixed_size: 10240
    .kernarg_segment_align: 8
    .kernarg_segment_size: 128
    .language:       OpenCL C
    .language_version:
      - 2
      - 0
    .max_flat_workgroup_size: 256
    .name:           _ZN12_GLOBAL__N_120geam_min_plus_kernelIf15HIP_vector_typeIfLj2EEfLi32ELi8ELi256ELi64ELi4ELi64ELi4ELi4ELi64ELc78ELc78ELb0ELb0ELb1EfKPKfKPfEEviiiT16_PT17_ilSA_ilS8_SA_ilPT18_ili26rocblas_geam_ex_operation_
    .private_segment_fixed_size: 0
    .sgpr_count:     28
    .sgpr_spill_count: 0
    .symbol:         _ZN12_GLOBAL__N_120geam_min_plus_kernelIf15HIP_vector_typeIfLj2EEfLi32ELi8ELi256ELi64ELi4ELi64ELi4ELi4ELi64ELc78ELc78ELb0ELb0ELb1EfKPKfKPfEEviiiT16_PT17_ilSA_ilS8_SA_ilPT18_ili26rocblas_geam_ex_operation_.kd
    .uniform_work_group_size: 1
    .uses_dynamic_stack: false
    .vgpr_count:     166
    .vgpr_spill_count: 0
    .wavefront_size: 32
    .workgroup_processor_mode: 1
  - .args:
      - .offset:         0
        .size:           4
        .value_kind:     by_value
      - .offset:         4
        .size:           4
        .value_kind:     by_value
      - .offset:         8
        .size:           4
        .value_kind:     by_value
      - .address_space:  global
        .offset:         16
        .size:           8
        .value_kind:     global_buffer
      - .address_space:  global
        .offset:         24
        .size:           8
        .value_kind:     global_buffer
      - .offset:         32
        .size:           4
        .value_kind:     by_value
      - .offset:         40
        .size:           8
        .value_kind:     by_value
      - .address_space:  global
        .offset:         48
        .size:           8
        .value_kind:     global_buffer
      - .offset:         56
        .size:           4
        .value_kind:     by_value
      - .offset:         64
        .size:           8
        .value_kind:     by_value
      - .address_space:  global
        .offset:         72
        .size:           8
        .value_kind:     global_buffer
      - .address_space:  global
        .offset:         80
        .size:           8
        .value_kind:     global_buffer
      - .offset:         88
        .size:           4
        .value_kind:     by_value
      - .offset:         96
        .size:           8
        .value_kind:     by_value
      - .address_space:  global
        .offset:         104
        .size:           8
        .value_kind:     global_buffer
      - .offset:         112
        .size:           4
        .value_kind:     by_value
      - .offset:         120
        .size:           8
        .value_kind:     by_value
      - .offset:         128
        .size:           4
        .value_kind:     by_value
      - .offset:         132
        .size:           4
        .value_kind:     by_value
    .group_segment_fixed_size: 10240
    .kernarg_segment_align: 8
    .kernarg_segment_size: 136
    .language:       OpenCL C
    .language_version:
      - 2
      - 0
    .max_flat_workgroup_size: 256
    .name:           _ZN12_GLOBAL__N_120geam_min_plus_kernelIf15HIP_vector_typeIfLj2EEfLi32ELi8ELi256ELi64ELi4ELi64ELi4ELi4ELi64ELc78ELc78ELb0ELb1ELb1EPKfKS4_KPfEEviiiT16_PT17_ilSA_ilS8_SA_ilPT18_ili26rocblas_geam_ex_operation_
    .private_segment_fixed_size: 0
    .sgpr_count:     32
    .sgpr_spill_count: 0
    .symbol:         _ZN12_GLOBAL__N_120geam_min_plus_kernelIf15HIP_vector_typeIfLj2EEfLi32ELi8ELi256ELi64ELi4ELi64ELi4ELi4ELi64ELc78ELc78ELb0ELb1ELb1EPKfKS4_KPfEEviiiT16_PT17_ilSA_ilS8_SA_ilPT18_ili26rocblas_geam_ex_operation_.kd
    .uniform_work_group_size: 1
    .uses_dynamic_stack: false
    .vgpr_count:     158
    .vgpr_spill_count: 0
    .wavefront_size: 32
    .workgroup_processor_mode: 1
  - .args:
      - .offset:         0
        .size:           4
        .value_kind:     by_value
      - .offset:         4
        .size:           4
        .value_kind:     by_value
      - .offset:         8
        .size:           4
        .value_kind:     by_value
      - .offset:         12
        .size:           4
        .value_kind:     by_value
      - .address_space:  global
        .offset:         16
        .size:           8
        .value_kind:     global_buffer
      - .offset:         24
        .size:           4
        .value_kind:     by_value
      - .offset:         32
        .size:           8
        .value_kind:     by_value
      - .address_space:  global
        .offset:         40
        .size:           8
        .value_kind:     global_buffer
      - .offset:         48
        .size:           4
        .value_kind:     by_value
      - .offset:         56
        .size:           8
        .value_kind:     by_value
      - .offset:         64
        .size:           4
        .value_kind:     by_value
      - .address_space:  global
        .offset:         72
        .size:           8
        .value_kind:     global_buffer
      - .offset:         80
        .size:           4
        .value_kind:     by_value
      - .offset:         88
        .size:           8
        .value_kind:     by_value
      - .address_space:  global
        .offset:         96
        .size:           8
        .value_kind:     global_buffer
      - .offset:         104
        .size:           4
        .value_kind:     by_value
      - .offset:         112
        .size:           8
        .value_kind:     by_value
      - .offset:         120
        .size:           4
        .value_kind:     by_value
      - .offset:         124
        .size:           4
        .value_kind:     by_value
    .group_segment_fixed_size: 10240
    .kernarg_segment_align: 8
    .kernarg_segment_size: 128
    .language:       OpenCL C
    .language_version:
      - 2
      - 0
    .max_flat_workgroup_size: 256
    .name:           _ZN12_GLOBAL__N_120geam_min_plus_kernelIf15HIP_vector_typeIfLj2EEfLi32ELi8ELi256ELi64ELi4ELi64ELi4ELi4ELi64ELc78ELc78ELb1ELb1ELb1EfKPKfKPfEEviiiT16_PT17_ilSA_ilS8_SA_ilPT18_ili26rocblas_geam_ex_operation_
    .private_segment_fixed_size: 0
    .sgpr_count:     29
    .sgpr_spill_count: 0
    .symbol:         _ZN12_GLOBAL__N_120geam_min_plus_kernelIf15HIP_vector_typeIfLj2EEfLi32ELi8ELi256ELi64ELi4ELi64ELi4ELi4ELi64ELc78ELc78ELb1ELb1ELb1EfKPKfKPfEEviiiT16_PT17_ilSA_ilS8_SA_ilPT18_ili26rocblas_geam_ex_operation_.kd
    .uniform_work_group_size: 1
    .uses_dynamic_stack: false
    .vgpr_count:     162
    .vgpr_spill_count: 0
    .wavefront_size: 32
    .workgroup_processor_mode: 1
  - .args:
      - .offset:         0
        .size:           4
        .value_kind:     by_value
      - .offset:         4
        .size:           4
        .value_kind:     by_value
      - .offset:         8
        .size:           4
        .value_kind:     by_value
      - .offset:         12
        .size:           4
        .value_kind:     by_value
      - .address_space:  global
        .offset:         16
        .size:           8
        .value_kind:     global_buffer
      - .offset:         24
        .size:           4
        .value_kind:     by_value
      - .offset:         32
        .size:           8
        .value_kind:     by_value
      - .address_space:  global
        .offset:         40
        .size:           8
        .value_kind:     global_buffer
      - .offset:         48
        .size:           4
        .value_kind:     by_value
      - .offset:         56
        .size:           8
        .value_kind:     by_value
      - .offset:         64
        .size:           4
        .value_kind:     by_value
      - .address_space:  global
        .offset:         72
        .size:           8
        .value_kind:     global_buffer
      - .offset:         80
        .size:           4
        .value_kind:     by_value
      - .offset:         88
        .size:           8
        .value_kind:     by_value
      - .address_space:  global
        .offset:         96
        .size:           8
        .value_kind:     global_buffer
      - .offset:         104
        .size:           4
        .value_kind:     by_value
      - .offset:         112
        .size:           8
        .value_kind:     by_value
      - .offset:         120
        .size:           4
        .value_kind:     by_value
      - .offset:         124
        .size:           4
        .value_kind:     by_value
    .group_segment_fixed_size: 10240
    .kernarg_segment_align: 8
    .kernarg_segment_size: 128
    .language:       OpenCL C
    .language_version:
      - 2
      - 0
    .max_flat_workgroup_size: 256
    .name:           _ZN12_GLOBAL__N_120geam_min_plus_kernelIf15HIP_vector_typeIfLj2EEfLi32ELi8ELi256ELi64ELi4ELi64ELi4ELi4ELi64ELc78ELc78ELb0ELb1ELb1EfKPKfKPfEEviiiT16_PT17_ilSA_ilS8_SA_ilPT18_ili26rocblas_geam_ex_operation_
    .private_segment_fixed_size: 0
    .sgpr_count:     31
    .sgpr_spill_count: 0
    .symbol:         _ZN12_GLOBAL__N_120geam_min_plus_kernelIf15HIP_vector_typeIfLj2EEfLi32ELi8ELi256ELi64ELi4ELi64ELi4ELi4ELi64ELc78ELc78ELb0ELb1ELb1EfKPKfKPfEEviiiT16_PT17_ilSA_ilS8_SA_ilPT18_ili26rocblas_geam_ex_operation_.kd
    .uniform_work_group_size: 1
    .uses_dynamic_stack: false
    .vgpr_count:     158
    .vgpr_spill_count: 0
    .wavefront_size: 32
    .workgroup_processor_mode: 1
  - .args:
      - .offset:         0
        .size:           4
        .value_kind:     by_value
      - .offset:         4
        .size:           4
        .value_kind:     by_value
      - .offset:         8
        .size:           4
        .value_kind:     by_value
      - .address_space:  global
        .offset:         16
        .size:           8
        .value_kind:     global_buffer
      - .address_space:  global
        .offset:         24
        .size:           8
        .value_kind:     global_buffer
      - .offset:         32
        .size:           4
        .value_kind:     by_value
      - .offset:         40
        .size:           8
        .value_kind:     by_value
      - .address_space:  global
        .offset:         48
        .size:           8
        .value_kind:     global_buffer
      - .offset:         56
        .size:           4
        .value_kind:     by_value
      - .offset:         64
        .size:           8
        .value_kind:     by_value
      - .address_space:  global
        .offset:         72
        .size:           8
        .value_kind:     global_buffer
      - .address_space:  global
        .offset:         80
        .size:           8
        .value_kind:     global_buffer
      - .offset:         88
        .size:           4
        .value_kind:     by_value
      - .offset:         96
        .size:           8
        .value_kind:     by_value
      - .address_space:  global
        .offset:         104
        .size:           8
        .value_kind:     global_buffer
      - .offset:         112
        .size:           4
        .value_kind:     by_value
      - .offset:         120
        .size:           8
        .value_kind:     by_value
      - .offset:         128
        .size:           4
        .value_kind:     by_value
      - .offset:         132
        .size:           4
        .value_kind:     by_value
    .group_segment_fixed_size: 8192
    .kernarg_segment_align: 8
    .kernarg_segment_size: 136
    .language:       OpenCL C
    .language_version:
      - 2
      - 0
    .max_flat_workgroup_size: 256
    .name:           _ZN12_GLOBAL__N_120geam_min_plus_kernelIf15HIP_vector_typeIfLj2EEfLi32ELi8ELi128ELi128ELi4ELi4ELi64ELi4ELi64ELc84ELc78ELb0ELb0ELb1EPKfKS4_KPfEEviiiT16_PT17_ilSA_ilS8_SA_ilPT18_ili26rocblas_geam_ex_operation_
    .private_segment_fixed_size: 0
    .sgpr_count:     27
    .sgpr_spill_count: 0
    .symbol:         _ZN12_GLOBAL__N_120geam_min_plus_kernelIf15HIP_vector_typeIfLj2EEfLi32ELi8ELi128ELi128ELi4ELi4ELi64ELi4ELi64ELc84ELc78ELb0ELb0ELb1EPKfKS4_KPfEEviiiT16_PT17_ilSA_ilS8_SA_ilPT18_ili26rocblas_geam_ex_operation_.kd
    .uniform_work_group_size: 1
    .uses_dynamic_stack: false
    .vgpr_count:     177
    .vgpr_spill_count: 0
    .wavefront_size: 32
    .workgroup_processor_mode: 1
  - .args:
      - .offset:         0
        .size:           4
        .value_kind:     by_value
      - .offset:         4
        .size:           4
        .value_kind:     by_value
      - .offset:         8
        .size:           4
        .value_kind:     by_value
      - .offset:         12
        .size:           4
        .value_kind:     by_value
      - .address_space:  global
        .offset:         16
        .size:           8
        .value_kind:     global_buffer
      - .offset:         24
        .size:           4
        .value_kind:     by_value
      - .offset:         32
        .size:           8
        .value_kind:     by_value
      - .address_space:  global
        .offset:         40
        .size:           8
        .value_kind:     global_buffer
      - .offset:         48
        .size:           4
        .value_kind:     by_value
      - .offset:         56
        .size:           8
        .value_kind:     by_value
      - .offset:         64
        .size:           4
        .value_kind:     by_value
      - .address_space:  global
        .offset:         72
        .size:           8
        .value_kind:     global_buffer
      - .offset:         80
        .size:           4
        .value_kind:     by_value
      - .offset:         88
        .size:           8
        .value_kind:     by_value
      - .address_space:  global
        .offset:         96
        .size:           8
        .value_kind:     global_buffer
      - .offset:         104
        .size:           4
        .value_kind:     by_value
      - .offset:         112
        .size:           8
        .value_kind:     by_value
      - .offset:         120
        .size:           4
        .value_kind:     by_value
      - .offset:         124
        .size:           4
        .value_kind:     by_value
    .group_segment_fixed_size: 8192
    .kernarg_segment_align: 8
    .kernarg_segment_size: 128
    .language:       OpenCL C
    .language_version:
      - 2
      - 0
    .max_flat_workgroup_size: 256
    .name:           _ZN12_GLOBAL__N_120geam_min_plus_kernelIf15HIP_vector_typeIfLj2EEfLi32ELi8ELi128ELi128ELi4ELi4ELi64ELi4ELi64ELc84ELc78ELb1ELb0ELb1EfKPKfKPfEEviiiT16_PT17_ilSA_ilS8_SA_ilPT18_ili26rocblas_geam_ex_operation_
    .private_segment_fixed_size: 0
    .sgpr_count:     24
    .sgpr_spill_count: 0
    .symbol:         _ZN12_GLOBAL__N_120geam_min_plus_kernelIf15HIP_vector_typeIfLj2EEfLi32ELi8ELi128ELi128ELi4ELi4ELi64ELi4ELi64ELc84ELc78ELb1ELb0ELb1EfKPKfKPfEEviiiT16_PT17_ilSA_ilS8_SA_ilPT18_ili26rocblas_geam_ex_operation_.kd
    .uniform_work_group_size: 1
    .uses_dynamic_stack: false
    .vgpr_count:     187
    .vgpr_spill_count: 0
    .wavefront_size: 32
    .workgroup_processor_mode: 1
  - .args:
      - .offset:         0
        .size:           4
        .value_kind:     by_value
      - .offset:         4
        .size:           4
        .value_kind:     by_value
      - .offset:         8
        .size:           4
        .value_kind:     by_value
      - .offset:         12
        .size:           4
        .value_kind:     by_value
      - .address_space:  global
        .offset:         16
        .size:           8
        .value_kind:     global_buffer
      - .offset:         24
        .size:           4
        .value_kind:     by_value
      - .offset:         32
        .size:           8
        .value_kind:     by_value
      - .address_space:  global
        .offset:         40
        .size:           8
        .value_kind:     global_buffer
      - .offset:         48
        .size:           4
        .value_kind:     by_value
      - .offset:         56
        .size:           8
        .value_kind:     by_value
      - .offset:         64
        .size:           4
        .value_kind:     by_value
      - .address_space:  global
        .offset:         72
        .size:           8
        .value_kind:     global_buffer
      - .offset:         80
        .size:           4
        .value_kind:     by_value
      - .offset:         88
        .size:           8
        .value_kind:     by_value
      - .address_space:  global
        .offset:         96
        .size:           8
        .value_kind:     global_buffer
      - .offset:         104
        .size:           4
        .value_kind:     by_value
      - .offset:         112
        .size:           8
        .value_kind:     by_value
      - .offset:         120
        .size:           4
        .value_kind:     by_value
      - .offset:         124
        .size:           4
        .value_kind:     by_value
    .group_segment_fixed_size: 8192
    .kernarg_segment_align: 8
    .kernarg_segment_size: 128
    .language:       OpenCL C
    .language_version:
      - 2
      - 0
    .max_flat_workgroup_size: 256
    .name:           _ZN12_GLOBAL__N_120geam_min_plus_kernelIf15HIP_vector_typeIfLj2EEfLi32ELi8ELi128ELi128ELi4ELi4ELi64ELi4ELi64ELc84ELc78ELb0ELb0ELb1EfKPKfKPfEEviiiT16_PT17_ilSA_ilS8_SA_ilPT18_ili26rocblas_geam_ex_operation_
    .private_segment_fixed_size: 0
    .sgpr_count:     26
    .sgpr_spill_count: 0
    .symbol:         _ZN12_GLOBAL__N_120geam_min_plus_kernelIf15HIP_vector_typeIfLj2EEfLi32ELi8ELi128ELi128ELi4ELi4ELi64ELi4ELi64ELc84ELc78ELb0ELb0ELb1EfKPKfKPfEEviiiT16_PT17_ilSA_ilS8_SA_ilPT18_ili26rocblas_geam_ex_operation_.kd
    .uniform_work_group_size: 1
    .uses_dynamic_stack: false
    .vgpr_count:     177
    .vgpr_spill_count: 0
    .wavefront_size: 32
    .workgroup_processor_mode: 1
  - .args:
      - .offset:         0
        .size:           4
        .value_kind:     by_value
      - .offset:         4
        .size:           4
        .value_kind:     by_value
      - .offset:         8
        .size:           4
        .value_kind:     by_value
      - .address_space:  global
        .offset:         16
        .size:           8
        .value_kind:     global_buffer
      - .address_space:  global
        .offset:         24
        .size:           8
        .value_kind:     global_buffer
      - .offset:         32
        .size:           4
        .value_kind:     by_value
      - .offset:         40
        .size:           8
        .value_kind:     by_value
      - .address_space:  global
        .offset:         48
        .size:           8
        .value_kind:     global_buffer
      - .offset:         56
        .size:           4
        .value_kind:     by_value
      - .offset:         64
        .size:           8
        .value_kind:     by_value
      - .address_space:  global
        .offset:         72
        .size:           8
        .value_kind:     global_buffer
      - .address_space:  global
        .offset:         80
        .size:           8
        .value_kind:     global_buffer
      - .offset:         88
        .size:           4
        .value_kind:     by_value
      - .offset:         96
        .size:           8
        .value_kind:     by_value
      - .address_space:  global
        .offset:         104
        .size:           8
        .value_kind:     global_buffer
      - .offset:         112
        .size:           4
        .value_kind:     by_value
      - .offset:         120
        .size:           8
        .value_kind:     by_value
      - .offset:         128
        .size:           4
        .value_kind:     by_value
      - .offset:         132
        .size:           4
        .value_kind:     by_value
    .group_segment_fixed_size: 8192
    .kernarg_segment_align: 8
    .kernarg_segment_size: 136
    .language:       OpenCL C
    .language_version:
      - 2
      - 0
    .max_flat_workgroup_size: 256
    .name:           _ZN12_GLOBAL__N_120geam_min_plus_kernelIf15HIP_vector_typeIfLj2EEfLi32ELi8ELi128ELi128ELi4ELi4ELi64ELi4ELi64ELc84ELc78ELb0ELb1ELb1EPKfKS4_KPfEEviiiT16_PT17_ilSA_ilS8_SA_ilPT18_ili26rocblas_geam_ex_operation_
    .private_segment_fixed_size: 0
    .sgpr_count:     30
    .sgpr_spill_count: 0
    .symbol:         _ZN12_GLOBAL__N_120geam_min_plus_kernelIf15HIP_vector_typeIfLj2EEfLi32ELi8ELi128ELi128ELi4ELi4ELi64ELi4ELi64ELc84ELc78ELb0ELb1ELb1EPKfKS4_KPfEEviiiT16_PT17_ilSA_ilS8_SA_ilPT18_ili26rocblas_geam_ex_operation_.kd
    .uniform_work_group_size: 1
    .uses_dynamic_stack: false
    .vgpr_count:     176
    .vgpr_spill_count: 0
    .wavefront_size: 32
    .workgroup_processor_mode: 1
  - .args:
      - .offset:         0
        .size:           4
        .value_kind:     by_value
      - .offset:         4
        .size:           4
        .value_kind:     by_value
      - .offset:         8
        .size:           4
        .value_kind:     by_value
      - .offset:         12
        .size:           4
        .value_kind:     by_value
      - .address_space:  global
        .offset:         16
        .size:           8
        .value_kind:     global_buffer
      - .offset:         24
        .size:           4
        .value_kind:     by_value
      - .offset:         32
        .size:           8
        .value_kind:     by_value
      - .address_space:  global
        .offset:         40
        .size:           8
        .value_kind:     global_buffer
      - .offset:         48
        .size:           4
        .value_kind:     by_value
      - .offset:         56
        .size:           8
        .value_kind:     by_value
      - .offset:         64
        .size:           4
        .value_kind:     by_value
      - .address_space:  global
        .offset:         72
        .size:           8
        .value_kind:     global_buffer
      - .offset:         80
        .size:           4
        .value_kind:     by_value
      - .offset:         88
        .size:           8
        .value_kind:     by_value
      - .address_space:  global
        .offset:         96
        .size:           8
        .value_kind:     global_buffer
      - .offset:         104
        .size:           4
        .value_kind:     by_value
      - .offset:         112
        .size:           8
        .value_kind:     by_value
      - .offset:         120
        .size:           4
        .value_kind:     by_value
      - .offset:         124
        .size:           4
        .value_kind:     by_value
    .group_segment_fixed_size: 8192
    .kernarg_segment_align: 8
    .kernarg_segment_size: 128
    .language:       OpenCL C
    .language_version:
      - 2
      - 0
    .max_flat_workgroup_size: 256
    .name:           _ZN12_GLOBAL__N_120geam_min_plus_kernelIf15HIP_vector_typeIfLj2EEfLi32ELi8ELi128ELi128ELi4ELi4ELi64ELi4ELi64ELc84ELc78ELb1ELb1ELb1EfKPKfKPfEEviiiT16_PT17_ilSA_ilS8_SA_ilPT18_ili26rocblas_geam_ex_operation_
    .private_segment_fixed_size: 0
    .sgpr_count:     27
    .sgpr_spill_count: 0
    .symbol:         _ZN12_GLOBAL__N_120geam_min_plus_kernelIf15HIP_vector_typeIfLj2EEfLi32ELi8ELi128ELi128ELi4ELi4ELi64ELi4ELi64ELc84ELc78ELb1ELb1ELb1EfKPKfKPfEEviiiT16_PT17_ilSA_ilS8_SA_ilPT18_ili26rocblas_geam_ex_operation_.kd
    .uniform_work_group_size: 1
    .uses_dynamic_stack: false
    .vgpr_count:     177
    .vgpr_spill_count: 0
    .wavefront_size: 32
    .workgroup_processor_mode: 1
  - .args:
      - .offset:         0
        .size:           4
        .value_kind:     by_value
      - .offset:         4
        .size:           4
        .value_kind:     by_value
      - .offset:         8
        .size:           4
        .value_kind:     by_value
      - .offset:         12
        .size:           4
        .value_kind:     by_value
      - .address_space:  global
        .offset:         16
        .size:           8
        .value_kind:     global_buffer
      - .offset:         24
        .size:           4
        .value_kind:     by_value
      - .offset:         32
        .size:           8
        .value_kind:     by_value
      - .address_space:  global
        .offset:         40
        .size:           8
        .value_kind:     global_buffer
      - .offset:         48
        .size:           4
        .value_kind:     by_value
      - .offset:         56
        .size:           8
        .value_kind:     by_value
      - .offset:         64
        .size:           4
        .value_kind:     by_value
      - .address_space:  global
        .offset:         72
        .size:           8
        .value_kind:     global_buffer
      - .offset:         80
        .size:           4
        .value_kind:     by_value
      - .offset:         88
        .size:           8
        .value_kind:     by_value
      - .address_space:  global
        .offset:         96
        .size:           8
        .value_kind:     global_buffer
      - .offset:         104
        .size:           4
        .value_kind:     by_value
      - .offset:         112
        .size:           8
        .value_kind:     by_value
      - .offset:         120
        .size:           4
        .value_kind:     by_value
      - .offset:         124
        .size:           4
        .value_kind:     by_value
    .group_segment_fixed_size: 8192
    .kernarg_segment_align: 8
    .kernarg_segment_size: 128
    .language:       OpenCL C
    .language_version:
      - 2
      - 0
    .max_flat_workgroup_size: 256
    .name:           _ZN12_GLOBAL__N_120geam_min_plus_kernelIf15HIP_vector_typeIfLj2EEfLi32ELi8ELi128ELi128ELi4ELi4ELi64ELi4ELi64ELc84ELc78ELb0ELb1ELb1EfKPKfKPfEEviiiT16_PT17_ilSA_ilS8_SA_ilPT18_ili26rocblas_geam_ex_operation_
    .private_segment_fixed_size: 0
    .sgpr_count:     30
    .sgpr_spill_count: 0
    .symbol:         _ZN12_GLOBAL__N_120geam_min_plus_kernelIf15HIP_vector_typeIfLj2EEfLi32ELi8ELi128ELi128ELi4ELi4ELi64ELi4ELi64ELc84ELc78ELb0ELb1ELb1EfKPKfKPfEEviiiT16_PT17_ilSA_ilS8_SA_ilPT18_ili26rocblas_geam_ex_operation_.kd
    .uniform_work_group_size: 1
    .uses_dynamic_stack: false
    .vgpr_count:     176
    .vgpr_spill_count: 0
    .wavefront_size: 32
    .workgroup_processor_mode: 1
  - .args:
      - .offset:         0
        .size:           4
        .value_kind:     by_value
      - .offset:         4
        .size:           4
        .value_kind:     by_value
      - .offset:         8
        .size:           4
        .value_kind:     by_value
      - .address_space:  global
        .offset:         16
        .size:           8
        .value_kind:     global_buffer
      - .address_space:  global
        .offset:         24
        .size:           8
        .value_kind:     global_buffer
      - .offset:         32
        .size:           4
        .value_kind:     by_value
      - .offset:         40
        .size:           8
        .value_kind:     by_value
      - .address_space:  global
        .offset:         48
        .size:           8
        .value_kind:     global_buffer
      - .offset:         56
        .size:           4
        .value_kind:     by_value
      - .offset:         64
        .size:           8
        .value_kind:     by_value
      - .address_space:  global
        .offset:         72
        .size:           8
        .value_kind:     global_buffer
      - .address_space:  global
        .offset:         80
        .size:           8
        .value_kind:     global_buffer
      - .offset:         88
        .size:           4
        .value_kind:     by_value
      - .offset:         96
        .size:           8
        .value_kind:     by_value
      - .address_space:  global
        .offset:         104
        .size:           8
        .value_kind:     global_buffer
      - .offset:         112
        .size:           4
        .value_kind:     by_value
      - .offset:         120
        .size:           8
        .value_kind:     by_value
      - .offset:         128
        .size:           4
        .value_kind:     by_value
      - .offset:         132
        .size:           4
        .value_kind:     by_value
    .group_segment_fixed_size: 10240
    .kernarg_segment_align: 8
    .kernarg_segment_size: 136
    .language:       OpenCL C
    .language_version:
      - 2
      - 0
    .max_flat_workgroup_size: 256
    .name:           _ZN12_GLOBAL__N_120geam_min_plus_kernelIf15HIP_vector_typeIfLj2EEfLi8ELi32ELi64ELi256ELi4ELi64ELi4ELi64ELi4ELc78ELc84ELb0ELb0ELb1EPKfKS4_KPfEEviiiT16_PT17_ilSA_ilS8_SA_ilPT18_ili26rocblas_geam_ex_operation_
    .private_segment_fixed_size: 0
    .sgpr_count:     27
    .sgpr_spill_count: 0
    .symbol:         _ZN12_GLOBAL__N_120geam_min_plus_kernelIf15HIP_vector_typeIfLj2EEfLi8ELi32ELi64ELi256ELi4ELi64ELi4ELi64ELi4ELc78ELc84ELb0ELb0ELb1EPKfKS4_KPfEEviiiT16_PT17_ilSA_ilS8_SA_ilPT18_ili26rocblas_geam_ex_operation_.kd
    .uniform_work_group_size: 1
    .uses_dynamic_stack: false
    .vgpr_count:     171
    .vgpr_spill_count: 0
    .wavefront_size: 32
    .workgroup_processor_mode: 1
  - .args:
      - .offset:         0
        .size:           4
        .value_kind:     by_value
      - .offset:         4
        .size:           4
        .value_kind:     by_value
      - .offset:         8
        .size:           4
        .value_kind:     by_value
      - .offset:         12
        .size:           4
        .value_kind:     by_value
      - .address_space:  global
        .offset:         16
        .size:           8
        .value_kind:     global_buffer
      - .offset:         24
        .size:           4
        .value_kind:     by_value
      - .offset:         32
        .size:           8
        .value_kind:     by_value
      - .address_space:  global
        .offset:         40
        .size:           8
        .value_kind:     global_buffer
      - .offset:         48
        .size:           4
        .value_kind:     by_value
      - .offset:         56
        .size:           8
        .value_kind:     by_value
      - .offset:         64
        .size:           4
        .value_kind:     by_value
      - .address_space:  global
        .offset:         72
        .size:           8
        .value_kind:     global_buffer
      - .offset:         80
        .size:           4
        .value_kind:     by_value
      - .offset:         88
        .size:           8
        .value_kind:     by_value
      - .address_space:  global
        .offset:         96
        .size:           8
        .value_kind:     global_buffer
      - .offset:         104
        .size:           4
        .value_kind:     by_value
      - .offset:         112
        .size:           8
        .value_kind:     by_value
      - .offset:         120
        .size:           4
        .value_kind:     by_value
      - .offset:         124
        .size:           4
        .value_kind:     by_value
    .group_segment_fixed_size: 10240
    .kernarg_segment_align: 8
    .kernarg_segment_size: 128
    .language:       OpenCL C
    .language_version:
      - 2
      - 0
    .max_flat_workgroup_size: 256
    .name:           _ZN12_GLOBAL__N_120geam_min_plus_kernelIf15HIP_vector_typeIfLj2EEfLi8ELi32ELi64ELi256ELi4ELi64ELi4ELi64ELi4ELc78ELc84ELb1ELb0ELb1EfKPKfKPfEEviiiT16_PT17_ilSA_ilS8_SA_ilPT18_ili26rocblas_geam_ex_operation_
    .private_segment_fixed_size: 0
    .sgpr_count:     26
    .sgpr_spill_count: 0
    .symbol:         _ZN12_GLOBAL__N_120geam_min_plus_kernelIf15HIP_vector_typeIfLj2EEfLi8ELi32ELi64ELi256ELi4ELi64ELi4ELi64ELi4ELc78ELc84ELb1ELb0ELb1EfKPKfKPfEEviiiT16_PT17_ilSA_ilS8_SA_ilPT18_ili26rocblas_geam_ex_operation_.kd
    .uniform_work_group_size: 1
    .uses_dynamic_stack: false
    .vgpr_count:     178
    .vgpr_spill_count: 0
    .wavefront_size: 32
    .workgroup_processor_mode: 1
  - .args:
      - .offset:         0
        .size:           4
        .value_kind:     by_value
      - .offset:         4
        .size:           4
        .value_kind:     by_value
      - .offset:         8
        .size:           4
        .value_kind:     by_value
      - .offset:         12
        .size:           4
        .value_kind:     by_value
      - .address_space:  global
        .offset:         16
        .size:           8
        .value_kind:     global_buffer
      - .offset:         24
        .size:           4
        .value_kind:     by_value
      - .offset:         32
        .size:           8
        .value_kind:     by_value
      - .address_space:  global
        .offset:         40
        .size:           8
        .value_kind:     global_buffer
      - .offset:         48
        .size:           4
        .value_kind:     by_value
      - .offset:         56
        .size:           8
        .value_kind:     by_value
      - .offset:         64
        .size:           4
        .value_kind:     by_value
      - .address_space:  global
        .offset:         72
        .size:           8
        .value_kind:     global_buffer
      - .offset:         80
        .size:           4
        .value_kind:     by_value
      - .offset:         88
        .size:           8
        .value_kind:     by_value
      - .address_space:  global
        .offset:         96
        .size:           8
        .value_kind:     global_buffer
      - .offset:         104
        .size:           4
        .value_kind:     by_value
      - .offset:         112
        .size:           8
        .value_kind:     by_value
      - .offset:         120
        .size:           4
        .value_kind:     by_value
      - .offset:         124
        .size:           4
        .value_kind:     by_value
    .group_segment_fixed_size: 10240
    .kernarg_segment_align: 8
    .kernarg_segment_size: 128
    .language:       OpenCL C
    .language_version:
      - 2
      - 0
    .max_flat_workgroup_size: 256
    .name:           _ZN12_GLOBAL__N_120geam_min_plus_kernelIf15HIP_vector_typeIfLj2EEfLi8ELi32ELi64ELi256ELi4ELi64ELi4ELi64ELi4ELc78ELc84ELb0ELb0ELb1EfKPKfKPfEEviiiT16_PT17_ilSA_ilS8_SA_ilPT18_ili26rocblas_geam_ex_operation_
    .private_segment_fixed_size: 0
    .sgpr_count:     27
    .sgpr_spill_count: 0
    .symbol:         _ZN12_GLOBAL__N_120geam_min_plus_kernelIf15HIP_vector_typeIfLj2EEfLi8ELi32ELi64ELi256ELi4ELi64ELi4ELi64ELi4ELc78ELc84ELb0ELb0ELb1EfKPKfKPfEEviiiT16_PT17_ilSA_ilS8_SA_ilPT18_ili26rocblas_geam_ex_operation_.kd
    .uniform_work_group_size: 1
    .uses_dynamic_stack: false
    .vgpr_count:     171
    .vgpr_spill_count: 0
    .wavefront_size: 32
    .workgroup_processor_mode: 1
  - .args:
      - .offset:         0
        .size:           4
        .value_kind:     by_value
      - .offset:         4
        .size:           4
        .value_kind:     by_value
      - .offset:         8
        .size:           4
        .value_kind:     by_value
      - .address_space:  global
        .offset:         16
        .size:           8
        .value_kind:     global_buffer
      - .address_space:  global
        .offset:         24
        .size:           8
        .value_kind:     global_buffer
      - .offset:         32
        .size:           4
        .value_kind:     by_value
      - .offset:         40
        .size:           8
        .value_kind:     by_value
      - .address_space:  global
        .offset:         48
        .size:           8
        .value_kind:     global_buffer
      - .offset:         56
        .size:           4
        .value_kind:     by_value
      - .offset:         64
        .size:           8
        .value_kind:     by_value
      - .address_space:  global
        .offset:         72
        .size:           8
        .value_kind:     global_buffer
      - .address_space:  global
        .offset:         80
        .size:           8
        .value_kind:     global_buffer
      - .offset:         88
        .size:           4
        .value_kind:     by_value
      - .offset:         96
        .size:           8
        .value_kind:     by_value
      - .address_space:  global
        .offset:         104
        .size:           8
        .value_kind:     global_buffer
      - .offset:         112
        .size:           4
        .value_kind:     by_value
      - .offset:         120
        .size:           8
        .value_kind:     by_value
      - .offset:         128
        .size:           4
        .value_kind:     by_value
      - .offset:         132
        .size:           4
        .value_kind:     by_value
    .group_segment_fixed_size: 10240
    .kernarg_segment_align: 8
    .kernarg_segment_size: 136
    .language:       OpenCL C
    .language_version:
      - 2
      - 0
    .max_flat_workgroup_size: 256
    .name:           _ZN12_GLOBAL__N_120geam_min_plus_kernelIf15HIP_vector_typeIfLj2EEfLi8ELi32ELi64ELi256ELi4ELi64ELi4ELi64ELi4ELc78ELc84ELb0ELb1ELb1EPKfKS4_KPfEEviiiT16_PT17_ilSA_ilS8_SA_ilPT18_ili26rocblas_geam_ex_operation_
    .private_segment_fixed_size: 0
    .sgpr_count:     33
    .sgpr_spill_count: 0
    .symbol:         _ZN12_GLOBAL__N_120geam_min_plus_kernelIf15HIP_vector_typeIfLj2EEfLi8ELi32ELi64ELi256ELi4ELi64ELi4ELi64ELi4ELc78ELc84ELb0ELb1ELb1EPKfKS4_KPfEEviiiT16_PT17_ilSA_ilS8_SA_ilPT18_ili26rocblas_geam_ex_operation_.kd
    .uniform_work_group_size: 1
    .uses_dynamic_stack: false
    .vgpr_count:     159
    .vgpr_spill_count: 0
    .wavefront_size: 32
    .workgroup_processor_mode: 1
  - .args:
      - .offset:         0
        .size:           4
        .value_kind:     by_value
      - .offset:         4
        .size:           4
        .value_kind:     by_value
      - .offset:         8
        .size:           4
        .value_kind:     by_value
      - .offset:         12
        .size:           4
        .value_kind:     by_value
      - .address_space:  global
        .offset:         16
        .size:           8
        .value_kind:     global_buffer
      - .offset:         24
        .size:           4
        .value_kind:     by_value
      - .offset:         32
        .size:           8
        .value_kind:     by_value
      - .address_space:  global
        .offset:         40
        .size:           8
        .value_kind:     global_buffer
      - .offset:         48
        .size:           4
        .value_kind:     by_value
      - .offset:         56
        .size:           8
        .value_kind:     by_value
      - .offset:         64
        .size:           4
        .value_kind:     by_value
      - .address_space:  global
        .offset:         72
        .size:           8
        .value_kind:     global_buffer
      - .offset:         80
        .size:           4
        .value_kind:     by_value
      - .offset:         88
        .size:           8
        .value_kind:     by_value
      - .address_space:  global
        .offset:         96
        .size:           8
        .value_kind:     global_buffer
      - .offset:         104
        .size:           4
        .value_kind:     by_value
      - .offset:         112
        .size:           8
        .value_kind:     by_value
      - .offset:         120
        .size:           4
        .value_kind:     by_value
      - .offset:         124
        .size:           4
        .value_kind:     by_value
    .group_segment_fixed_size: 10240
    .kernarg_segment_align: 8
    .kernarg_segment_size: 128
    .language:       OpenCL C
    .language_version:
      - 2
      - 0
    .max_flat_workgroup_size: 256
    .name:           _ZN12_GLOBAL__N_120geam_min_plus_kernelIf15HIP_vector_typeIfLj2EEfLi8ELi32ELi64ELi256ELi4ELi64ELi4ELi64ELi4ELc78ELc84ELb1ELb1ELb1EfKPKfKPfEEviiiT16_PT17_ilSA_ilS8_SA_ilPT18_ili26rocblas_geam_ex_operation_
    .private_segment_fixed_size: 0
    .sgpr_count:     30
    .sgpr_spill_count: 0
    .symbol:         _ZN12_GLOBAL__N_120geam_min_plus_kernelIf15HIP_vector_typeIfLj2EEfLi8ELi32ELi64ELi256ELi4ELi64ELi4ELi64ELi4ELc78ELc84ELb1ELb1ELb1EfKPKfKPfEEviiiT16_PT17_ilSA_ilS8_SA_ilPT18_ili26rocblas_geam_ex_operation_.kd
    .uniform_work_group_size: 1
    .uses_dynamic_stack: false
    .vgpr_count:     165
    .vgpr_spill_count: 0
    .wavefront_size: 32
    .workgroup_processor_mode: 1
  - .args:
      - .offset:         0
        .size:           4
        .value_kind:     by_value
      - .offset:         4
        .size:           4
        .value_kind:     by_value
      - .offset:         8
        .size:           4
        .value_kind:     by_value
      - .offset:         12
        .size:           4
        .value_kind:     by_value
      - .address_space:  global
        .offset:         16
        .size:           8
        .value_kind:     global_buffer
      - .offset:         24
        .size:           4
        .value_kind:     by_value
      - .offset:         32
        .size:           8
        .value_kind:     by_value
      - .address_space:  global
        .offset:         40
        .size:           8
        .value_kind:     global_buffer
      - .offset:         48
        .size:           4
        .value_kind:     by_value
      - .offset:         56
        .size:           8
        .value_kind:     by_value
      - .offset:         64
        .size:           4
        .value_kind:     by_value
      - .address_space:  global
        .offset:         72
        .size:           8
        .value_kind:     global_buffer
      - .offset:         80
        .size:           4
        .value_kind:     by_value
      - .offset:         88
        .size:           8
        .value_kind:     by_value
      - .address_space:  global
        .offset:         96
        .size:           8
        .value_kind:     global_buffer
      - .offset:         104
        .size:           4
        .value_kind:     by_value
      - .offset:         112
        .size:           8
        .value_kind:     by_value
      - .offset:         120
        .size:           4
        .value_kind:     by_value
      - .offset:         124
        .size:           4
        .value_kind:     by_value
    .group_segment_fixed_size: 10240
    .kernarg_segment_align: 8
    .kernarg_segment_size: 128
    .language:       OpenCL C
    .language_version:
      - 2
      - 0
    .max_flat_workgroup_size: 256
    .name:           _ZN12_GLOBAL__N_120geam_min_plus_kernelIf15HIP_vector_typeIfLj2EEfLi8ELi32ELi64ELi256ELi4ELi64ELi4ELi64ELi4ELc78ELc84ELb0ELb1ELb1EfKPKfKPfEEviiiT16_PT17_ilSA_ilS8_SA_ilPT18_ili26rocblas_geam_ex_operation_
    .private_segment_fixed_size: 0
    .sgpr_count:     33
    .sgpr_spill_count: 0
    .symbol:         _ZN12_GLOBAL__N_120geam_min_plus_kernelIf15HIP_vector_typeIfLj2EEfLi8ELi32ELi64ELi256ELi4ELi64ELi4ELi64ELi4ELc78ELc84ELb0ELb1ELb1EfKPKfKPfEEviiiT16_PT17_ilSA_ilS8_SA_ilPT18_ili26rocblas_geam_ex_operation_.kd
    .uniform_work_group_size: 1
    .uses_dynamic_stack: false
    .vgpr_count:     159
    .vgpr_spill_count: 0
    .wavefront_size: 32
    .workgroup_processor_mode: 1
  - .args:
      - .offset:         0
        .size:           4
        .value_kind:     by_value
      - .offset:         4
        .size:           4
        .value_kind:     by_value
      - .offset:         8
        .size:           4
        .value_kind:     by_value
      - .address_space:  global
        .offset:         16
        .size:           8
        .value_kind:     global_buffer
      - .address_space:  global
        .offset:         24
        .size:           8
        .value_kind:     global_buffer
      - .offset:         32
        .size:           4
        .value_kind:     by_value
      - .offset:         40
        .size:           8
        .value_kind:     by_value
      - .address_space:  global
        .offset:         48
        .size:           8
        .value_kind:     global_buffer
      - .offset:         56
        .size:           4
        .value_kind:     by_value
      - .offset:         64
        .size:           8
        .value_kind:     by_value
      - .address_space:  global
        .offset:         72
        .size:           8
        .value_kind:     global_buffer
      - .address_space:  global
        .offset:         80
        .size:           8
        .value_kind:     global_buffer
      - .offset:         88
        .size:           4
        .value_kind:     by_value
      - .offset:         96
        .size:           8
        .value_kind:     by_value
      - .address_space:  global
        .offset:         104
        .size:           8
        .value_kind:     global_buffer
      - .offset:         112
        .size:           4
        .value_kind:     by_value
      - .offset:         120
        .size:           8
        .value_kind:     by_value
      - .offset:         128
        .size:           4
        .value_kind:     by_value
      - .offset:         132
        .size:           4
        .value_kind:     by_value
    .group_segment_fixed_size: 10240
    .kernarg_segment_align: 8
    .kernarg_segment_size: 136
    .language:       OpenCL C
    .language_version:
      - 2
      - 0
    .max_flat_workgroup_size: 256
    .name:           _ZN12_GLOBAL__N_120geam_min_plus_kernelIf15HIP_vector_typeIfLj2EEfLi8ELi32ELi64ELi256ELi4ELi4ELi64ELi64ELi4ELc84ELc84ELb0ELb0ELb1EPKfKS4_KPfEEviiiT16_PT17_ilSA_ilS8_SA_ilPT18_ili26rocblas_geam_ex_operation_
    .private_segment_fixed_size: 0
    .sgpr_count:     27
    .sgpr_spill_count: 0
    .symbol:         _ZN12_GLOBAL__N_120geam_min_plus_kernelIf15HIP_vector_typeIfLj2EEfLi8ELi32ELi64ELi256ELi4ELi4ELi64ELi64ELi4ELc84ELc84ELb0ELb0ELb1EPKfKS4_KPfEEviiiT16_PT17_ilSA_ilS8_SA_ilPT18_ili26rocblas_geam_ex_operation_.kd
    .uniform_work_group_size: 1
    .uses_dynamic_stack: false
    .vgpr_count:     166
    .vgpr_spill_count: 0
    .wavefront_size: 32
    .workgroup_processor_mode: 1
  - .args:
      - .offset:         0
        .size:           4
        .value_kind:     by_value
      - .offset:         4
        .size:           4
        .value_kind:     by_value
      - .offset:         8
        .size:           4
        .value_kind:     by_value
      - .offset:         12
        .size:           4
        .value_kind:     by_value
      - .address_space:  global
        .offset:         16
        .size:           8
        .value_kind:     global_buffer
      - .offset:         24
        .size:           4
        .value_kind:     by_value
      - .offset:         32
        .size:           8
        .value_kind:     by_value
      - .address_space:  global
        .offset:         40
        .size:           8
        .value_kind:     global_buffer
      - .offset:         48
        .size:           4
        .value_kind:     by_value
      - .offset:         56
        .size:           8
        .value_kind:     by_value
      - .offset:         64
        .size:           4
        .value_kind:     by_value
      - .address_space:  global
        .offset:         72
        .size:           8
        .value_kind:     global_buffer
      - .offset:         80
        .size:           4
        .value_kind:     by_value
      - .offset:         88
        .size:           8
        .value_kind:     by_value
      - .address_space:  global
        .offset:         96
        .size:           8
        .value_kind:     global_buffer
      - .offset:         104
        .size:           4
        .value_kind:     by_value
      - .offset:         112
        .size:           8
        .value_kind:     by_value
      - .offset:         120
        .size:           4
        .value_kind:     by_value
      - .offset:         124
        .size:           4
        .value_kind:     by_value
    .group_segment_fixed_size: 10240
    .kernarg_segment_align: 8
    .kernarg_segment_size: 128
    .language:       OpenCL C
    .language_version:
      - 2
      - 0
    .max_flat_workgroup_size: 256
    .name:           _ZN12_GLOBAL__N_120geam_min_plus_kernelIf15HIP_vector_typeIfLj2EEfLi8ELi32ELi64ELi256ELi4ELi4ELi64ELi64ELi4ELc84ELc84ELb1ELb0ELb1EfKPKfKPfEEviiiT16_PT17_ilSA_ilS8_SA_ilPT18_ili26rocblas_geam_ex_operation_
    .private_segment_fixed_size: 0
    .sgpr_count:     24
    .sgpr_spill_count: 0
    .symbol:         _ZN12_GLOBAL__N_120geam_min_plus_kernelIf15HIP_vector_typeIfLj2EEfLi8ELi32ELi64ELi256ELi4ELi4ELi64ELi64ELi4ELc84ELc84ELb1ELb0ELb1EfKPKfKPfEEviiiT16_PT17_ilSA_ilS8_SA_ilPT18_ili26rocblas_geam_ex_operation_.kd
    .uniform_work_group_size: 1
    .uses_dynamic_stack: false
    .vgpr_count:     174
    .vgpr_spill_count: 0
    .wavefront_size: 32
    .workgroup_processor_mode: 1
  - .args:
      - .offset:         0
        .size:           4
        .value_kind:     by_value
      - .offset:         4
        .size:           4
        .value_kind:     by_value
      - .offset:         8
        .size:           4
        .value_kind:     by_value
      - .offset:         12
        .size:           4
        .value_kind:     by_value
      - .address_space:  global
        .offset:         16
        .size:           8
        .value_kind:     global_buffer
      - .offset:         24
        .size:           4
        .value_kind:     by_value
      - .offset:         32
        .size:           8
        .value_kind:     by_value
      - .address_space:  global
        .offset:         40
        .size:           8
        .value_kind:     global_buffer
      - .offset:         48
        .size:           4
        .value_kind:     by_value
      - .offset:         56
        .size:           8
        .value_kind:     by_value
      - .offset:         64
        .size:           4
        .value_kind:     by_value
      - .address_space:  global
        .offset:         72
        .size:           8
        .value_kind:     global_buffer
      - .offset:         80
        .size:           4
        .value_kind:     by_value
      - .offset:         88
        .size:           8
        .value_kind:     by_value
      - .address_space:  global
        .offset:         96
        .size:           8
        .value_kind:     global_buffer
      - .offset:         104
        .size:           4
        .value_kind:     by_value
      - .offset:         112
        .size:           8
        .value_kind:     by_value
      - .offset:         120
        .size:           4
        .value_kind:     by_value
      - .offset:         124
        .size:           4
        .value_kind:     by_value
    .group_segment_fixed_size: 10240
    .kernarg_segment_align: 8
    .kernarg_segment_size: 128
    .language:       OpenCL C
    .language_version:
      - 2
      - 0
    .max_flat_workgroup_size: 256
    .name:           _ZN12_GLOBAL__N_120geam_min_plus_kernelIf15HIP_vector_typeIfLj2EEfLi8ELi32ELi64ELi256ELi4ELi4ELi64ELi64ELi4ELc84ELc84ELb0ELb0ELb1EfKPKfKPfEEviiiT16_PT17_ilSA_ilS8_SA_ilPT18_ili26rocblas_geam_ex_operation_
    .private_segment_fixed_size: 0
    .sgpr_count:     28
    .sgpr_spill_count: 0
    .symbol:         _ZN12_GLOBAL__N_120geam_min_plus_kernelIf15HIP_vector_typeIfLj2EEfLi8ELi32ELi64ELi256ELi4ELi4ELi64ELi64ELi4ELc84ELc84ELb0ELb0ELb1EfKPKfKPfEEviiiT16_PT17_ilSA_ilS8_SA_ilPT18_ili26rocblas_geam_ex_operation_.kd
    .uniform_work_group_size: 1
    .uses_dynamic_stack: false
    .vgpr_count:     166
    .vgpr_spill_count: 0
    .wavefront_size: 32
    .workgroup_processor_mode: 1
  - .args:
      - .offset:         0
        .size:           4
        .value_kind:     by_value
      - .offset:         4
        .size:           4
        .value_kind:     by_value
      - .offset:         8
        .size:           4
        .value_kind:     by_value
      - .address_space:  global
        .offset:         16
        .size:           8
        .value_kind:     global_buffer
      - .address_space:  global
        .offset:         24
        .size:           8
        .value_kind:     global_buffer
      - .offset:         32
        .size:           4
        .value_kind:     by_value
      - .offset:         40
        .size:           8
        .value_kind:     by_value
      - .address_space:  global
        .offset:         48
        .size:           8
        .value_kind:     global_buffer
      - .offset:         56
        .size:           4
        .value_kind:     by_value
      - .offset:         64
        .size:           8
        .value_kind:     by_value
      - .address_space:  global
        .offset:         72
        .size:           8
        .value_kind:     global_buffer
      - .address_space:  global
        .offset:         80
        .size:           8
        .value_kind:     global_buffer
      - .offset:         88
        .size:           4
        .value_kind:     by_value
      - .offset:         96
        .size:           8
        .value_kind:     by_value
      - .address_space:  global
        .offset:         104
        .size:           8
        .value_kind:     global_buffer
      - .offset:         112
        .size:           4
        .value_kind:     by_value
      - .offset:         120
        .size:           8
        .value_kind:     by_value
      - .offset:         128
        .size:           4
        .value_kind:     by_value
      - .offset:         132
        .size:           4
        .value_kind:     by_value
    .group_segment_fixed_size: 10240
    .kernarg_segment_align: 8
    .kernarg_segment_size: 136
    .language:       OpenCL C
    .language_version:
      - 2
      - 0
    .max_flat_workgroup_size: 256
    .name:           _ZN12_GLOBAL__N_120geam_min_plus_kernelIf15HIP_vector_typeIfLj2EEfLi8ELi32ELi64ELi256ELi4ELi4ELi64ELi64ELi4ELc84ELc84ELb0ELb1ELb1EPKfKS4_KPfEEviiiT16_PT17_ilSA_ilS8_SA_ilPT18_ili26rocblas_geam_ex_operation_
    .private_segment_fixed_size: 0
    .sgpr_count:     31
    .sgpr_spill_count: 0
    .symbol:         _ZN12_GLOBAL__N_120geam_min_plus_kernelIf15HIP_vector_typeIfLj2EEfLi8ELi32ELi64ELi256ELi4ELi4ELi64ELi64ELi4ELc84ELc84ELb0ELb1ELb1EPKfKS4_KPfEEviiiT16_PT17_ilSA_ilS8_SA_ilPT18_ili26rocblas_geam_ex_operation_.kd
    .uniform_work_group_size: 1
    .uses_dynamic_stack: false
    .vgpr_count:     158
    .vgpr_spill_count: 0
    .wavefront_size: 32
    .workgroup_processor_mode: 1
  - .args:
      - .offset:         0
        .size:           4
        .value_kind:     by_value
      - .offset:         4
        .size:           4
        .value_kind:     by_value
      - .offset:         8
        .size:           4
        .value_kind:     by_value
      - .offset:         12
        .size:           4
        .value_kind:     by_value
      - .address_space:  global
        .offset:         16
        .size:           8
        .value_kind:     global_buffer
      - .offset:         24
        .size:           4
        .value_kind:     by_value
      - .offset:         32
        .size:           8
        .value_kind:     by_value
      - .address_space:  global
        .offset:         40
        .size:           8
        .value_kind:     global_buffer
      - .offset:         48
        .size:           4
        .value_kind:     by_value
      - .offset:         56
        .size:           8
        .value_kind:     by_value
      - .offset:         64
        .size:           4
        .value_kind:     by_value
      - .address_space:  global
        .offset:         72
        .size:           8
        .value_kind:     global_buffer
      - .offset:         80
        .size:           4
        .value_kind:     by_value
      - .offset:         88
        .size:           8
        .value_kind:     by_value
      - .address_space:  global
        .offset:         96
        .size:           8
        .value_kind:     global_buffer
      - .offset:         104
        .size:           4
        .value_kind:     by_value
      - .offset:         112
        .size:           8
        .value_kind:     by_value
      - .offset:         120
        .size:           4
        .value_kind:     by_value
      - .offset:         124
        .size:           4
        .value_kind:     by_value
    .group_segment_fixed_size: 10240
    .kernarg_segment_align: 8
    .kernarg_segment_size: 128
    .language:       OpenCL C
    .language_version:
      - 2
      - 0
    .max_flat_workgroup_size: 256
    .name:           _ZN12_GLOBAL__N_120geam_min_plus_kernelIf15HIP_vector_typeIfLj2EEfLi8ELi32ELi64ELi256ELi4ELi4ELi64ELi64ELi4ELc84ELc84ELb1ELb1ELb1EfKPKfKPfEEviiiT16_PT17_ilSA_ilS8_SA_ilPT18_ili26rocblas_geam_ex_operation_
    .private_segment_fixed_size: 0
    .sgpr_count:     31
    .sgpr_spill_count: 0
    .symbol:         _ZN12_GLOBAL__N_120geam_min_plus_kernelIf15HIP_vector_typeIfLj2EEfLi8ELi32ELi64ELi256ELi4ELi4ELi64ELi64ELi4ELc84ELc84ELb1ELb1ELb1EfKPKfKPfEEviiiT16_PT17_ilSA_ilS8_SA_ilPT18_ili26rocblas_geam_ex_operation_.kd
    .uniform_work_group_size: 1
    .uses_dynamic_stack: false
    .vgpr_count:     162
    .vgpr_spill_count: 0
    .wavefront_size: 32
    .workgroup_processor_mode: 1
  - .args:
      - .offset:         0
        .size:           4
        .value_kind:     by_value
      - .offset:         4
        .size:           4
        .value_kind:     by_value
      - .offset:         8
        .size:           4
        .value_kind:     by_value
      - .offset:         12
        .size:           4
        .value_kind:     by_value
      - .address_space:  global
        .offset:         16
        .size:           8
        .value_kind:     global_buffer
      - .offset:         24
        .size:           4
        .value_kind:     by_value
      - .offset:         32
        .size:           8
        .value_kind:     by_value
      - .address_space:  global
        .offset:         40
        .size:           8
        .value_kind:     global_buffer
      - .offset:         48
        .size:           4
        .value_kind:     by_value
      - .offset:         56
        .size:           8
        .value_kind:     by_value
      - .offset:         64
        .size:           4
        .value_kind:     by_value
      - .address_space:  global
        .offset:         72
        .size:           8
        .value_kind:     global_buffer
      - .offset:         80
        .size:           4
        .value_kind:     by_value
      - .offset:         88
        .size:           8
        .value_kind:     by_value
      - .address_space:  global
        .offset:         96
        .size:           8
        .value_kind:     global_buffer
      - .offset:         104
        .size:           4
        .value_kind:     by_value
      - .offset:         112
        .size:           8
        .value_kind:     by_value
      - .offset:         120
        .size:           4
        .value_kind:     by_value
      - .offset:         124
        .size:           4
        .value_kind:     by_value
    .group_segment_fixed_size: 10240
    .kernarg_segment_align: 8
    .kernarg_segment_size: 128
    .language:       OpenCL C
    .language_version:
      - 2
      - 0
    .max_flat_workgroup_size: 256
    .name:           _ZN12_GLOBAL__N_120geam_min_plus_kernelIf15HIP_vector_typeIfLj2EEfLi8ELi32ELi64ELi256ELi4ELi4ELi64ELi64ELi4ELc84ELc84ELb0ELb1ELb1EfKPKfKPfEEviiiT16_PT17_ilSA_ilS8_SA_ilPT18_ili26rocblas_geam_ex_operation_
    .private_segment_fixed_size: 0
    .sgpr_count:     31
    .sgpr_spill_count: 0
    .symbol:         _ZN12_GLOBAL__N_120geam_min_plus_kernelIf15HIP_vector_typeIfLj2EEfLi8ELi32ELi64ELi256ELi4ELi4ELi64ELi64ELi4ELc84ELc84ELb0ELb1ELb1EfKPKfKPfEEviiiT16_PT17_ilSA_ilS8_SA_ilPT18_ili26rocblas_geam_ex_operation_.kd
    .uniform_work_group_size: 1
    .uses_dynamic_stack: false
    .vgpr_count:     158
    .vgpr_spill_count: 0
    .wavefront_size: 32
    .workgroup_processor_mode: 1
  - .args:
      - .offset:         0
        .size:           4
        .value_kind:     by_value
      - .offset:         4
        .size:           4
        .value_kind:     by_value
      - .offset:         8
        .size:           4
        .value_kind:     by_value
      - .address_space:  global
        .offset:         16
        .size:           8
        .value_kind:     global_buffer
      - .address_space:  global
        .offset:         24
        .size:           8
        .value_kind:     global_buffer
      - .offset:         32
        .size:           4
        .value_kind:     by_value
      - .offset:         40
        .size:           8
        .value_kind:     by_value
      - .address_space:  global
        .offset:         48
        .size:           8
        .value_kind:     global_buffer
      - .offset:         56
        .size:           4
        .value_kind:     by_value
      - .offset:         64
        .size:           8
        .value_kind:     by_value
      - .address_space:  global
        .offset:         72
        .size:           8
        .value_kind:     global_buffer
      - .address_space:  global
        .offset:         80
        .size:           8
        .value_kind:     global_buffer
      - .offset:         88
        .size:           4
        .value_kind:     by_value
      - .offset:         96
        .size:           8
        .value_kind:     by_value
      - .address_space:  global
        .offset:         104
        .size:           8
        .value_kind:     global_buffer
      - .offset:         112
        .size:           4
        .value_kind:     by_value
      - .offset:         120
        .size:           8
        .value_kind:     by_value
      - .offset:         128
        .size:           4
        .value_kind:     by_value
      - .offset:         132
        .size:           4
        .value_kind:     by_value
    .group_segment_fixed_size: 6144
    .kernarg_segment_align: 8
    .kernarg_segment_size: 136
    .language:       OpenCL C
    .language_version:
      - 2
      - 0
    .max_flat_workgroup_size: 256
    .name:           _ZN12_GLOBAL__N_120geam_min_plus_kernelIf15HIP_vector_typeIfLj2EES2_Li8ELi32ELi64ELi128ELi4ELi64ELi4ELi4ELi64ELc78ELc78ELb0ELb0ELb0EPKfKS4_KPfEEviiiT16_PT17_ilSA_ilS8_SA_ilPT18_ili26rocblas_geam_ex_operation_
    .private_segment_fixed_size: 0
    .sgpr_count:     27
    .sgpr_spill_count: 0
    .symbol:         _ZN12_GLOBAL__N_120geam_min_plus_kernelIf15HIP_vector_typeIfLj2EES2_Li8ELi32ELi64ELi128ELi4ELi64ELi4ELi4ELi64ELc78ELc78ELb0ELb0ELb0EPKfKS4_KPfEEviiiT16_PT17_ilSA_ilS8_SA_ilPT18_ili26rocblas_geam_ex_operation_.kd
    .uniform_work_group_size: 1
    .uses_dynamic_stack: false
    .vgpr_count:     153
    .vgpr_spill_count: 0
    .wavefront_size: 32
    .workgroup_processor_mode: 1
  - .args:
      - .offset:         0
        .size:           4
        .value_kind:     by_value
      - .offset:         4
        .size:           4
        .value_kind:     by_value
      - .offset:         8
        .size:           4
        .value_kind:     by_value
      - .offset:         12
        .size:           4
        .value_kind:     by_value
      - .address_space:  global
        .offset:         16
        .size:           8
        .value_kind:     global_buffer
      - .offset:         24
        .size:           4
        .value_kind:     by_value
      - .offset:         32
        .size:           8
        .value_kind:     by_value
      - .address_space:  global
        .offset:         40
        .size:           8
        .value_kind:     global_buffer
      - .offset:         48
        .size:           4
        .value_kind:     by_value
      - .offset:         56
        .size:           8
        .value_kind:     by_value
      - .offset:         64
        .size:           4
        .value_kind:     by_value
      - .address_space:  global
        .offset:         72
        .size:           8
        .value_kind:     global_buffer
      - .offset:         80
        .size:           4
        .value_kind:     by_value
      - .offset:         88
        .size:           8
        .value_kind:     by_value
      - .address_space:  global
        .offset:         96
        .size:           8
        .value_kind:     global_buffer
      - .offset:         104
        .size:           4
        .value_kind:     by_value
      - .offset:         112
        .size:           8
        .value_kind:     by_value
      - .offset:         120
        .size:           4
        .value_kind:     by_value
      - .offset:         124
        .size:           4
        .value_kind:     by_value
    .group_segment_fixed_size: 6144
    .kernarg_segment_align: 8
    .kernarg_segment_size: 128
    .language:       OpenCL C
    .language_version:
      - 2
      - 0
    .max_flat_workgroup_size: 256
    .name:           _ZN12_GLOBAL__N_120geam_min_plus_kernelIf15HIP_vector_typeIfLj2EES2_Li8ELi32ELi64ELi128ELi4ELi64ELi4ELi4ELi64ELc78ELc78ELb1ELb0ELb0EfKPKfKPfEEviiiT16_PT17_ilSA_ilS8_SA_ilPT18_ili26rocblas_geam_ex_operation_
    .private_segment_fixed_size: 0
    .sgpr_count:     26
    .sgpr_spill_count: 0
    .symbol:         _ZN12_GLOBAL__N_120geam_min_plus_kernelIf15HIP_vector_typeIfLj2EES2_Li8ELi32ELi64ELi128ELi4ELi64ELi4ELi4ELi64ELc78ELc78ELb1ELb0ELb0EfKPKfKPfEEviiiT16_PT17_ilSA_ilS8_SA_ilPT18_ili26rocblas_geam_ex_operation_.kd
    .uniform_work_group_size: 1
    .uses_dynamic_stack: false
    .vgpr_count:     157
    .vgpr_spill_count: 0
    .wavefront_size: 32
    .workgroup_processor_mode: 1
  - .args:
      - .offset:         0
        .size:           4
        .value_kind:     by_value
      - .offset:         4
        .size:           4
        .value_kind:     by_value
      - .offset:         8
        .size:           4
        .value_kind:     by_value
      - .offset:         12
        .size:           4
        .value_kind:     by_value
      - .address_space:  global
        .offset:         16
        .size:           8
        .value_kind:     global_buffer
      - .offset:         24
        .size:           4
        .value_kind:     by_value
      - .offset:         32
        .size:           8
        .value_kind:     by_value
      - .address_space:  global
        .offset:         40
        .size:           8
        .value_kind:     global_buffer
      - .offset:         48
        .size:           4
        .value_kind:     by_value
      - .offset:         56
        .size:           8
        .value_kind:     by_value
      - .offset:         64
        .size:           4
        .value_kind:     by_value
      - .address_space:  global
        .offset:         72
        .size:           8
        .value_kind:     global_buffer
      - .offset:         80
        .size:           4
        .value_kind:     by_value
      - .offset:         88
        .size:           8
        .value_kind:     by_value
      - .address_space:  global
        .offset:         96
        .size:           8
        .value_kind:     global_buffer
      - .offset:         104
        .size:           4
        .value_kind:     by_value
      - .offset:         112
        .size:           8
        .value_kind:     by_value
      - .offset:         120
        .size:           4
        .value_kind:     by_value
      - .offset:         124
        .size:           4
        .value_kind:     by_value
    .group_segment_fixed_size: 6144
    .kernarg_segment_align: 8
    .kernarg_segment_size: 128
    .language:       OpenCL C
    .language_version:
      - 2
      - 0
    .max_flat_workgroup_size: 256
    .name:           _ZN12_GLOBAL__N_120geam_min_plus_kernelIf15HIP_vector_typeIfLj2EES2_Li8ELi32ELi64ELi128ELi4ELi64ELi4ELi4ELi64ELc78ELc78ELb0ELb0ELb0EfKPKfKPfEEviiiT16_PT17_ilSA_ilS8_SA_ilPT18_ili26rocblas_geam_ex_operation_
    .private_segment_fixed_size: 0
    .sgpr_count:     27
    .sgpr_spill_count: 0
    .symbol:         _ZN12_GLOBAL__N_120geam_min_plus_kernelIf15HIP_vector_typeIfLj2EES2_Li8ELi32ELi64ELi128ELi4ELi64ELi4ELi4ELi64ELc78ELc78ELb0ELb0ELb0EfKPKfKPfEEviiiT16_PT17_ilSA_ilS8_SA_ilPT18_ili26rocblas_geam_ex_operation_.kd
    .uniform_work_group_size: 1
    .uses_dynamic_stack: false
    .vgpr_count:     153
    .vgpr_spill_count: 0
    .wavefront_size: 32
    .workgroup_processor_mode: 1
  - .args:
      - .offset:         0
        .size:           4
        .value_kind:     by_value
      - .offset:         4
        .size:           4
        .value_kind:     by_value
      - .offset:         8
        .size:           4
        .value_kind:     by_value
      - .address_space:  global
        .offset:         16
        .size:           8
        .value_kind:     global_buffer
      - .address_space:  global
        .offset:         24
        .size:           8
        .value_kind:     global_buffer
      - .offset:         32
        .size:           4
        .value_kind:     by_value
      - .offset:         40
        .size:           8
        .value_kind:     by_value
      - .address_space:  global
        .offset:         48
        .size:           8
        .value_kind:     global_buffer
      - .offset:         56
        .size:           4
        .value_kind:     by_value
      - .offset:         64
        .size:           8
        .value_kind:     by_value
      - .address_space:  global
        .offset:         72
        .size:           8
        .value_kind:     global_buffer
      - .address_space:  global
        .offset:         80
        .size:           8
        .value_kind:     global_buffer
      - .offset:         88
        .size:           4
        .value_kind:     by_value
      - .offset:         96
        .size:           8
        .value_kind:     by_value
      - .address_space:  global
        .offset:         104
        .size:           8
        .value_kind:     global_buffer
      - .offset:         112
        .size:           4
        .value_kind:     by_value
      - .offset:         120
        .size:           8
        .value_kind:     by_value
      - .offset:         128
        .size:           4
        .value_kind:     by_value
      - .offset:         132
        .size:           4
        .value_kind:     by_value
    .group_segment_fixed_size: 6144
    .kernarg_segment_align: 8
    .kernarg_segment_size: 136
    .language:       OpenCL C
    .language_version:
      - 2
      - 0
    .max_flat_workgroup_size: 256
    .name:           _ZN12_GLOBAL__N_120geam_min_plus_kernelIf15HIP_vector_typeIfLj2EES2_Li8ELi32ELi64ELi128ELi4ELi64ELi4ELi4ELi64ELc78ELc78ELb0ELb1ELb0EPKfKS4_KPfEEviiiT16_PT17_ilSA_ilS8_SA_ilPT18_ili26rocblas_geam_ex_operation_
    .private_segment_fixed_size: 0
    .sgpr_count:     31
    .sgpr_spill_count: 0
    .symbol:         _ZN12_GLOBAL__N_120geam_min_plus_kernelIf15HIP_vector_typeIfLj2EES2_Li8ELi32ELi64ELi128ELi4ELi64ELi4ELi4ELi64ELc78ELc78ELb0ELb1ELb0EPKfKS4_KPfEEviiiT16_PT17_ilSA_ilS8_SA_ilPT18_ili26rocblas_geam_ex_operation_.kd
    .uniform_work_group_size: 1
    .uses_dynamic_stack: false
    .vgpr_count:     152
    .vgpr_spill_count: 0
    .wavefront_size: 32
    .workgroup_processor_mode: 1
  - .args:
      - .offset:         0
        .size:           4
        .value_kind:     by_value
      - .offset:         4
        .size:           4
        .value_kind:     by_value
      - .offset:         8
        .size:           4
        .value_kind:     by_value
      - .offset:         12
        .size:           4
        .value_kind:     by_value
      - .address_space:  global
        .offset:         16
        .size:           8
        .value_kind:     global_buffer
      - .offset:         24
        .size:           4
        .value_kind:     by_value
      - .offset:         32
        .size:           8
        .value_kind:     by_value
      - .address_space:  global
        .offset:         40
        .size:           8
        .value_kind:     global_buffer
      - .offset:         48
        .size:           4
        .value_kind:     by_value
      - .offset:         56
        .size:           8
        .value_kind:     by_value
      - .offset:         64
        .size:           4
        .value_kind:     by_value
      - .address_space:  global
        .offset:         72
        .size:           8
        .value_kind:     global_buffer
      - .offset:         80
        .size:           4
        .value_kind:     by_value
      - .offset:         88
        .size:           8
        .value_kind:     by_value
      - .address_space:  global
        .offset:         96
        .size:           8
        .value_kind:     global_buffer
      - .offset:         104
        .size:           4
        .value_kind:     by_value
      - .offset:         112
        .size:           8
        .value_kind:     by_value
      - .offset:         120
        .size:           4
        .value_kind:     by_value
      - .offset:         124
        .size:           4
        .value_kind:     by_value
    .group_segment_fixed_size: 6144
    .kernarg_segment_align: 8
    .kernarg_segment_size: 128
    .language:       OpenCL C
    .language_version:
      - 2
      - 0
    .max_flat_workgroup_size: 256
    .name:           _ZN12_GLOBAL__N_120geam_min_plus_kernelIf15HIP_vector_typeIfLj2EES2_Li8ELi32ELi64ELi128ELi4ELi64ELi4ELi4ELi64ELc78ELc78ELb1ELb1ELb0EfKPKfKPfEEviiiT16_PT17_ilSA_ilS8_SA_ilPT18_ili26rocblas_geam_ex_operation_
    .private_segment_fixed_size: 0
    .sgpr_count:     28
    .sgpr_spill_count: 0
    .symbol:         _ZN12_GLOBAL__N_120geam_min_plus_kernelIf15HIP_vector_typeIfLj2EES2_Li8ELi32ELi64ELi128ELi4ELi64ELi4ELi4ELi64ELc78ELc78ELb1ELb1ELb0EfKPKfKPfEEviiiT16_PT17_ilSA_ilS8_SA_ilPT18_ili26rocblas_geam_ex_operation_.kd
    .uniform_work_group_size: 1
    .uses_dynamic_stack: false
    .vgpr_count:     155
    .vgpr_spill_count: 0
    .wavefront_size: 32
    .workgroup_processor_mode: 1
  - .args:
      - .offset:         0
        .size:           4
        .value_kind:     by_value
      - .offset:         4
        .size:           4
        .value_kind:     by_value
      - .offset:         8
        .size:           4
        .value_kind:     by_value
      - .offset:         12
        .size:           4
        .value_kind:     by_value
      - .address_space:  global
        .offset:         16
        .size:           8
        .value_kind:     global_buffer
      - .offset:         24
        .size:           4
        .value_kind:     by_value
      - .offset:         32
        .size:           8
        .value_kind:     by_value
      - .address_space:  global
        .offset:         40
        .size:           8
        .value_kind:     global_buffer
      - .offset:         48
        .size:           4
        .value_kind:     by_value
      - .offset:         56
        .size:           8
        .value_kind:     by_value
      - .offset:         64
        .size:           4
        .value_kind:     by_value
      - .address_space:  global
        .offset:         72
        .size:           8
        .value_kind:     global_buffer
      - .offset:         80
        .size:           4
        .value_kind:     by_value
      - .offset:         88
        .size:           8
        .value_kind:     by_value
      - .address_space:  global
        .offset:         96
        .size:           8
        .value_kind:     global_buffer
      - .offset:         104
        .size:           4
        .value_kind:     by_value
      - .offset:         112
        .size:           8
        .value_kind:     by_value
      - .offset:         120
        .size:           4
        .value_kind:     by_value
      - .offset:         124
        .size:           4
        .value_kind:     by_value
    .group_segment_fixed_size: 6144
    .kernarg_segment_align: 8
    .kernarg_segment_size: 128
    .language:       OpenCL C
    .language_version:
      - 2
      - 0
    .max_flat_workgroup_size: 256
    .name:           _ZN12_GLOBAL__N_120geam_min_plus_kernelIf15HIP_vector_typeIfLj2EES2_Li8ELi32ELi64ELi128ELi4ELi64ELi4ELi4ELi64ELc78ELc78ELb0ELb1ELb0EfKPKfKPfEEviiiT16_PT17_ilSA_ilS8_SA_ilPT18_ili26rocblas_geam_ex_operation_
    .private_segment_fixed_size: 0
    .sgpr_count:     31
    .sgpr_spill_count: 0
    .symbol:         _ZN12_GLOBAL__N_120geam_min_plus_kernelIf15HIP_vector_typeIfLj2EES2_Li8ELi32ELi64ELi128ELi4ELi64ELi4ELi4ELi64ELc78ELc78ELb0ELb1ELb0EfKPKfKPfEEviiiT16_PT17_ilSA_ilS8_SA_ilPT18_ili26rocblas_geam_ex_operation_.kd
    .uniform_work_group_size: 1
    .uses_dynamic_stack: false
    .vgpr_count:     152
    .vgpr_spill_count: 0
    .wavefront_size: 32
    .workgroup_processor_mode: 1
  - .args:
      - .offset:         0
        .size:           4
        .value_kind:     by_value
      - .offset:         4
        .size:           4
        .value_kind:     by_value
      - .offset:         8
        .size:           4
        .value_kind:     by_value
      - .address_space:  global
        .offset:         16
        .size:           8
        .value_kind:     global_buffer
      - .address_space:  global
        .offset:         24
        .size:           8
        .value_kind:     global_buffer
      - .offset:         32
        .size:           4
        .value_kind:     by_value
      - .offset:         40
        .size:           8
        .value_kind:     by_value
      - .address_space:  global
        .offset:         48
        .size:           8
        .value_kind:     global_buffer
      - .offset:         56
        .size:           4
        .value_kind:     by_value
      - .offset:         64
        .size:           8
        .value_kind:     by_value
      - .address_space:  global
        .offset:         72
        .size:           8
        .value_kind:     global_buffer
      - .address_space:  global
        .offset:         80
        .size:           8
        .value_kind:     global_buffer
      - .offset:         88
        .size:           4
        .value_kind:     by_value
      - .offset:         96
        .size:           8
        .value_kind:     by_value
      - .address_space:  global
        .offset:         104
        .size:           8
        .value_kind:     global_buffer
      - .offset:         112
        .size:           4
        .value_kind:     by_value
      - .offset:         120
        .size:           8
        .value_kind:     by_value
      - .offset:         128
        .size:           4
        .value_kind:     by_value
      - .offset:         132
        .size:           4
        .value_kind:     by_value
    .group_segment_fixed_size: 6144
    .kernarg_segment_align: 8
    .kernarg_segment_size: 136
    .language:       OpenCL C
    .language_version:
      - 2
      - 0
    .max_flat_workgroup_size: 256
    .name:           _ZN12_GLOBAL__N_120geam_min_plus_kernelIf15HIP_vector_typeIfLj2EES2_Li8ELi32ELi64ELi128ELi4ELi4ELi64ELi4ELi64ELc84ELc78ELb0ELb0ELb0EPKfKS4_KPfEEviiiT16_PT17_ilSA_ilS8_SA_ilPT18_ili26rocblas_geam_ex_operation_
    .private_segment_fixed_size: 0
    .sgpr_count:     27
    .sgpr_spill_count: 0
    .symbol:         _ZN12_GLOBAL__N_120geam_min_plus_kernelIf15HIP_vector_typeIfLj2EES2_Li8ELi32ELi64ELi128ELi4ELi4ELi64ELi4ELi64ELc84ELc78ELb0ELb0ELb0EPKfKS4_KPfEEviiiT16_PT17_ilSA_ilS8_SA_ilPT18_ili26rocblas_geam_ex_operation_.kd
    .uniform_work_group_size: 1
    .uses_dynamic_stack: false
    .vgpr_count:     151
    .vgpr_spill_count: 0
    .wavefront_size: 32
    .workgroup_processor_mode: 1
  - .args:
      - .offset:         0
        .size:           4
        .value_kind:     by_value
      - .offset:         4
        .size:           4
        .value_kind:     by_value
      - .offset:         8
        .size:           4
        .value_kind:     by_value
      - .offset:         12
        .size:           4
        .value_kind:     by_value
      - .address_space:  global
        .offset:         16
        .size:           8
        .value_kind:     global_buffer
      - .offset:         24
        .size:           4
        .value_kind:     by_value
      - .offset:         32
        .size:           8
        .value_kind:     by_value
      - .address_space:  global
        .offset:         40
        .size:           8
        .value_kind:     global_buffer
      - .offset:         48
        .size:           4
        .value_kind:     by_value
      - .offset:         56
        .size:           8
        .value_kind:     by_value
      - .offset:         64
        .size:           4
        .value_kind:     by_value
      - .address_space:  global
        .offset:         72
        .size:           8
        .value_kind:     global_buffer
      - .offset:         80
        .size:           4
        .value_kind:     by_value
      - .offset:         88
        .size:           8
        .value_kind:     by_value
      - .address_space:  global
        .offset:         96
        .size:           8
        .value_kind:     global_buffer
      - .offset:         104
        .size:           4
        .value_kind:     by_value
      - .offset:         112
        .size:           8
        .value_kind:     by_value
      - .offset:         120
        .size:           4
        .value_kind:     by_value
      - .offset:         124
        .size:           4
        .value_kind:     by_value
    .group_segment_fixed_size: 6144
    .kernarg_segment_align: 8
    .kernarg_segment_size: 128
    .language:       OpenCL C
    .language_version:
      - 2
      - 0
    .max_flat_workgroup_size: 256
    .name:           _ZN12_GLOBAL__N_120geam_min_plus_kernelIf15HIP_vector_typeIfLj2EES2_Li8ELi32ELi64ELi128ELi4ELi4ELi64ELi4ELi64ELc84ELc78ELb1ELb0ELb0EfKPKfKPfEEviiiT16_PT17_ilSA_ilS8_SA_ilPT18_ili26rocblas_geam_ex_operation_
    .private_segment_fixed_size: 0
    .sgpr_count:     24
    .sgpr_spill_count: 0
    .symbol:         _ZN12_GLOBAL__N_120geam_min_plus_kernelIf15HIP_vector_typeIfLj2EES2_Li8ELi32ELi64ELi128ELi4ELi4ELi64ELi4ELi64ELc84ELc78ELb1ELb0ELb0EfKPKfKPfEEviiiT16_PT17_ilSA_ilS8_SA_ilPT18_ili26rocblas_geam_ex_operation_.kd
    .uniform_work_group_size: 1
    .uses_dynamic_stack: false
    .vgpr_count:     157
    .vgpr_spill_count: 0
    .wavefront_size: 32
    .workgroup_processor_mode: 1
  - .args:
      - .offset:         0
        .size:           4
        .value_kind:     by_value
      - .offset:         4
        .size:           4
        .value_kind:     by_value
      - .offset:         8
        .size:           4
        .value_kind:     by_value
      - .offset:         12
        .size:           4
        .value_kind:     by_value
      - .address_space:  global
        .offset:         16
        .size:           8
        .value_kind:     global_buffer
      - .offset:         24
        .size:           4
        .value_kind:     by_value
      - .offset:         32
        .size:           8
        .value_kind:     by_value
      - .address_space:  global
        .offset:         40
        .size:           8
        .value_kind:     global_buffer
      - .offset:         48
        .size:           4
        .value_kind:     by_value
      - .offset:         56
        .size:           8
        .value_kind:     by_value
      - .offset:         64
        .size:           4
        .value_kind:     by_value
      - .address_space:  global
        .offset:         72
        .size:           8
        .value_kind:     global_buffer
      - .offset:         80
        .size:           4
        .value_kind:     by_value
      - .offset:         88
        .size:           8
        .value_kind:     by_value
      - .address_space:  global
        .offset:         96
        .size:           8
        .value_kind:     global_buffer
      - .offset:         104
        .size:           4
        .value_kind:     by_value
      - .offset:         112
        .size:           8
        .value_kind:     by_value
      - .offset:         120
        .size:           4
        .value_kind:     by_value
      - .offset:         124
        .size:           4
        .value_kind:     by_value
    .group_segment_fixed_size: 6144
    .kernarg_segment_align: 8
    .kernarg_segment_size: 128
    .language:       OpenCL C
    .language_version:
      - 2
      - 0
    .max_flat_workgroup_size: 256
    .name:           _ZN12_GLOBAL__N_120geam_min_plus_kernelIf15HIP_vector_typeIfLj2EES2_Li8ELi32ELi64ELi128ELi4ELi4ELi64ELi4ELi64ELc84ELc78ELb0ELb0ELb0EfKPKfKPfEEviiiT16_PT17_ilSA_ilS8_SA_ilPT18_ili26rocblas_geam_ex_operation_
    .private_segment_fixed_size: 0
    .sgpr_count:     26
    .sgpr_spill_count: 0
    .symbol:         _ZN12_GLOBAL__N_120geam_min_plus_kernelIf15HIP_vector_typeIfLj2EES2_Li8ELi32ELi64ELi128ELi4ELi4ELi64ELi4ELi64ELc84ELc78ELb0ELb0ELb0EfKPKfKPfEEviiiT16_PT17_ilSA_ilS8_SA_ilPT18_ili26rocblas_geam_ex_operation_.kd
    .uniform_work_group_size: 1
    .uses_dynamic_stack: false
    .vgpr_count:     151
    .vgpr_spill_count: 0
    .wavefront_size: 32
    .workgroup_processor_mode: 1
  - .args:
      - .offset:         0
        .size:           4
        .value_kind:     by_value
      - .offset:         4
        .size:           4
        .value_kind:     by_value
      - .offset:         8
        .size:           4
        .value_kind:     by_value
      - .address_space:  global
        .offset:         16
        .size:           8
        .value_kind:     global_buffer
      - .address_space:  global
        .offset:         24
        .size:           8
        .value_kind:     global_buffer
      - .offset:         32
        .size:           4
        .value_kind:     by_value
      - .offset:         40
        .size:           8
        .value_kind:     by_value
      - .address_space:  global
        .offset:         48
        .size:           8
        .value_kind:     global_buffer
      - .offset:         56
        .size:           4
        .value_kind:     by_value
      - .offset:         64
        .size:           8
        .value_kind:     by_value
      - .address_space:  global
        .offset:         72
        .size:           8
        .value_kind:     global_buffer
      - .address_space:  global
        .offset:         80
        .size:           8
        .value_kind:     global_buffer
      - .offset:         88
        .size:           4
        .value_kind:     by_value
      - .offset:         96
        .size:           8
        .value_kind:     by_value
      - .address_space:  global
        .offset:         104
        .size:           8
        .value_kind:     global_buffer
      - .offset:         112
        .size:           4
        .value_kind:     by_value
      - .offset:         120
        .size:           8
        .value_kind:     by_value
      - .offset:         128
        .size:           4
        .value_kind:     by_value
      - .offset:         132
        .size:           4
        .value_kind:     by_value
    .group_segment_fixed_size: 6144
    .kernarg_segment_align: 8
    .kernarg_segment_size: 136
    .language:       OpenCL C
    .language_version:
      - 2
      - 0
    .max_flat_workgroup_size: 256
    .name:           _ZN12_GLOBAL__N_120geam_min_plus_kernelIf15HIP_vector_typeIfLj2EES2_Li8ELi32ELi64ELi128ELi4ELi4ELi64ELi4ELi64ELc84ELc78ELb0ELb1ELb0EPKfKS4_KPfEEviiiT16_PT17_ilSA_ilS8_SA_ilPT18_ili26rocblas_geam_ex_operation_
    .private_segment_fixed_size: 0
    .sgpr_count:     30
    .sgpr_spill_count: 0
    .symbol:         _ZN12_GLOBAL__N_120geam_min_plus_kernelIf15HIP_vector_typeIfLj2EES2_Li8ELi32ELi64ELi128ELi4ELi4ELi64ELi4ELi64ELc84ELc78ELb0ELb1ELb0EPKfKS4_KPfEEviiiT16_PT17_ilSA_ilS8_SA_ilPT18_ili26rocblas_geam_ex_operation_.kd
    .uniform_work_group_size: 1
    .uses_dynamic_stack: false
    .vgpr_count:     152
    .vgpr_spill_count: 0
    .wavefront_size: 32
    .workgroup_processor_mode: 1
  - .args:
      - .offset:         0
        .size:           4
        .value_kind:     by_value
      - .offset:         4
        .size:           4
        .value_kind:     by_value
      - .offset:         8
        .size:           4
        .value_kind:     by_value
      - .offset:         12
        .size:           4
        .value_kind:     by_value
      - .address_space:  global
        .offset:         16
        .size:           8
        .value_kind:     global_buffer
      - .offset:         24
        .size:           4
        .value_kind:     by_value
      - .offset:         32
        .size:           8
        .value_kind:     by_value
      - .address_space:  global
        .offset:         40
        .size:           8
        .value_kind:     global_buffer
      - .offset:         48
        .size:           4
        .value_kind:     by_value
      - .offset:         56
        .size:           8
        .value_kind:     by_value
      - .offset:         64
        .size:           4
        .value_kind:     by_value
      - .address_space:  global
        .offset:         72
        .size:           8
        .value_kind:     global_buffer
      - .offset:         80
        .size:           4
        .value_kind:     by_value
      - .offset:         88
        .size:           8
        .value_kind:     by_value
      - .address_space:  global
        .offset:         96
        .size:           8
        .value_kind:     global_buffer
      - .offset:         104
        .size:           4
        .value_kind:     by_value
      - .offset:         112
        .size:           8
        .value_kind:     by_value
      - .offset:         120
        .size:           4
        .value_kind:     by_value
      - .offset:         124
        .size:           4
        .value_kind:     by_value
    .group_segment_fixed_size: 6144
    .kernarg_segment_align: 8
    .kernarg_segment_size: 128
    .language:       OpenCL C
    .language_version:
      - 2
      - 0
    .max_flat_workgroup_size: 256
    .name:           _ZN12_GLOBAL__N_120geam_min_plus_kernelIf15HIP_vector_typeIfLj2EES2_Li8ELi32ELi64ELi128ELi4ELi4ELi64ELi4ELi64ELc84ELc78ELb1ELb1ELb0EfKPKfKPfEEviiiT16_PT17_ilSA_ilS8_SA_ilPT18_ili26rocblas_geam_ex_operation_
    .private_segment_fixed_size: 0
    .sgpr_count:     27
    .sgpr_spill_count: 0
    .symbol:         _ZN12_GLOBAL__N_120geam_min_plus_kernelIf15HIP_vector_typeIfLj2EES2_Li8ELi32ELi64ELi128ELi4ELi4ELi64ELi4ELi64ELc84ELc78ELb1ELb1ELb0EfKPKfKPfEEviiiT16_PT17_ilSA_ilS8_SA_ilPT18_ili26rocblas_geam_ex_operation_.kd
    .uniform_work_group_size: 1
    .uses_dynamic_stack: false
    .vgpr_count:     156
    .vgpr_spill_count: 0
    .wavefront_size: 32
    .workgroup_processor_mode: 1
  - .args:
      - .offset:         0
        .size:           4
        .value_kind:     by_value
      - .offset:         4
        .size:           4
        .value_kind:     by_value
      - .offset:         8
        .size:           4
        .value_kind:     by_value
      - .offset:         12
        .size:           4
        .value_kind:     by_value
      - .address_space:  global
        .offset:         16
        .size:           8
        .value_kind:     global_buffer
      - .offset:         24
        .size:           4
        .value_kind:     by_value
      - .offset:         32
        .size:           8
        .value_kind:     by_value
      - .address_space:  global
        .offset:         40
        .size:           8
        .value_kind:     global_buffer
      - .offset:         48
        .size:           4
        .value_kind:     by_value
      - .offset:         56
        .size:           8
        .value_kind:     by_value
      - .offset:         64
        .size:           4
        .value_kind:     by_value
      - .address_space:  global
        .offset:         72
        .size:           8
        .value_kind:     global_buffer
      - .offset:         80
        .size:           4
        .value_kind:     by_value
      - .offset:         88
        .size:           8
        .value_kind:     by_value
      - .address_space:  global
        .offset:         96
        .size:           8
        .value_kind:     global_buffer
      - .offset:         104
        .size:           4
        .value_kind:     by_value
      - .offset:         112
        .size:           8
        .value_kind:     by_value
      - .offset:         120
        .size:           4
        .value_kind:     by_value
      - .offset:         124
        .size:           4
        .value_kind:     by_value
    .group_segment_fixed_size: 6144
    .kernarg_segment_align: 8
    .kernarg_segment_size: 128
    .language:       OpenCL C
    .language_version:
      - 2
      - 0
    .max_flat_workgroup_size: 256
    .name:           _ZN12_GLOBAL__N_120geam_min_plus_kernelIf15HIP_vector_typeIfLj2EES2_Li8ELi32ELi64ELi128ELi4ELi4ELi64ELi4ELi64ELc84ELc78ELb0ELb1ELb0EfKPKfKPfEEviiiT16_PT17_ilSA_ilS8_SA_ilPT18_ili26rocblas_geam_ex_operation_
    .private_segment_fixed_size: 0
    .sgpr_count:     30
    .sgpr_spill_count: 0
    .symbol:         _ZN12_GLOBAL__N_120geam_min_plus_kernelIf15HIP_vector_typeIfLj2EES2_Li8ELi32ELi64ELi128ELi4ELi4ELi64ELi4ELi64ELc84ELc78ELb0ELb1ELb0EfKPKfKPfEEviiiT16_PT17_ilSA_ilS8_SA_ilPT18_ili26rocblas_geam_ex_operation_.kd
    .uniform_work_group_size: 1
    .uses_dynamic_stack: false
    .vgpr_count:     152
    .vgpr_spill_count: 0
    .wavefront_size: 32
    .workgroup_processor_mode: 1
  - .args:
      - .offset:         0
        .size:           4
        .value_kind:     by_value
      - .offset:         4
        .size:           4
        .value_kind:     by_value
      - .offset:         8
        .size:           4
        .value_kind:     by_value
      - .address_space:  global
        .offset:         16
        .size:           8
        .value_kind:     global_buffer
      - .address_space:  global
        .offset:         24
        .size:           8
        .value_kind:     global_buffer
      - .offset:         32
        .size:           4
        .value_kind:     by_value
      - .offset:         40
        .size:           8
        .value_kind:     by_value
      - .address_space:  global
        .offset:         48
        .size:           8
        .value_kind:     global_buffer
      - .offset:         56
        .size:           4
        .value_kind:     by_value
      - .offset:         64
        .size:           8
        .value_kind:     by_value
      - .address_space:  global
        .offset:         72
        .size:           8
        .value_kind:     global_buffer
      - .address_space:  global
        .offset:         80
        .size:           8
        .value_kind:     global_buffer
      - .offset:         88
        .size:           4
        .value_kind:     by_value
      - .offset:         96
        .size:           8
        .value_kind:     by_value
      - .address_space:  global
        .offset:         104
        .size:           8
        .value_kind:     global_buffer
      - .offset:         112
        .size:           4
        .value_kind:     by_value
      - .offset:         120
        .size:           8
        .value_kind:     by_value
      - .offset:         128
        .size:           4
        .value_kind:     by_value
      - .offset:         132
        .size:           4
        .value_kind:     by_value
    .group_segment_fixed_size: 6144
    .kernarg_segment_align: 8
    .kernarg_segment_size: 136
    .language:       OpenCL C
    .language_version:
      - 2
      - 0
    .max_flat_workgroup_size: 256
    .name:           _ZN12_GLOBAL__N_120geam_min_plus_kernelIf15HIP_vector_typeIfLj2EES2_Li8ELi32ELi64ELi128ELi4ELi64ELi4ELi64ELi4ELc78ELc84ELb0ELb0ELb0EPKfKS4_KPfEEviiiT16_PT17_ilSA_ilS8_SA_ilPT18_ili26rocblas_geam_ex_operation_
    .private_segment_fixed_size: 0
    .sgpr_count:     27
    .sgpr_spill_count: 0
    .symbol:         _ZN12_GLOBAL__N_120geam_min_plus_kernelIf15HIP_vector_typeIfLj2EES2_Li8ELi32ELi64ELi128ELi4ELi64ELi4ELi64ELi4ELc78ELc84ELb0ELb0ELb0EPKfKS4_KPfEEviiiT16_PT17_ilSA_ilS8_SA_ilPT18_ili26rocblas_geam_ex_operation_.kd
    .uniform_work_group_size: 1
    .uses_dynamic_stack: false
    .vgpr_count:     149
    .vgpr_spill_count: 0
    .wavefront_size: 32
    .workgroup_processor_mode: 1
  - .args:
      - .offset:         0
        .size:           4
        .value_kind:     by_value
      - .offset:         4
        .size:           4
        .value_kind:     by_value
      - .offset:         8
        .size:           4
        .value_kind:     by_value
      - .offset:         12
        .size:           4
        .value_kind:     by_value
      - .address_space:  global
        .offset:         16
        .size:           8
        .value_kind:     global_buffer
      - .offset:         24
        .size:           4
        .value_kind:     by_value
      - .offset:         32
        .size:           8
        .value_kind:     by_value
      - .address_space:  global
        .offset:         40
        .size:           8
        .value_kind:     global_buffer
      - .offset:         48
        .size:           4
        .value_kind:     by_value
      - .offset:         56
        .size:           8
        .value_kind:     by_value
      - .offset:         64
        .size:           4
        .value_kind:     by_value
      - .address_space:  global
        .offset:         72
        .size:           8
        .value_kind:     global_buffer
      - .offset:         80
        .size:           4
        .value_kind:     by_value
      - .offset:         88
        .size:           8
        .value_kind:     by_value
      - .address_space:  global
        .offset:         96
        .size:           8
        .value_kind:     global_buffer
      - .offset:         104
        .size:           4
        .value_kind:     by_value
      - .offset:         112
        .size:           8
        .value_kind:     by_value
      - .offset:         120
        .size:           4
        .value_kind:     by_value
      - .offset:         124
        .size:           4
        .value_kind:     by_value
    .group_segment_fixed_size: 6144
    .kernarg_segment_align: 8
    .kernarg_segment_size: 128
    .language:       OpenCL C
    .language_version:
      - 2
      - 0
    .max_flat_workgroup_size: 256
    .name:           _ZN12_GLOBAL__N_120geam_min_plus_kernelIf15HIP_vector_typeIfLj2EES2_Li8ELi32ELi64ELi128ELi4ELi64ELi4ELi64ELi4ELc78ELc84ELb1ELb0ELb0EfKPKfKPfEEviiiT16_PT17_ilSA_ilS8_SA_ilPT18_ili26rocblas_geam_ex_operation_
    .private_segment_fixed_size: 0
    .sgpr_count:     26
    .sgpr_spill_count: 0
    .symbol:         _ZN12_GLOBAL__N_120geam_min_plus_kernelIf15HIP_vector_typeIfLj2EES2_Li8ELi32ELi64ELi128ELi4ELi64ELi4ELi64ELi4ELc78ELc84ELb1ELb0ELb0EfKPKfKPfEEviiiT16_PT17_ilSA_ilS8_SA_ilPT18_ili26rocblas_geam_ex_operation_.kd
    .uniform_work_group_size: 1
    .uses_dynamic_stack: false
    .vgpr_count:     149
    .vgpr_spill_count: 0
    .wavefront_size: 32
    .workgroup_processor_mode: 1
  - .args:
      - .offset:         0
        .size:           4
        .value_kind:     by_value
      - .offset:         4
        .size:           4
        .value_kind:     by_value
      - .offset:         8
        .size:           4
        .value_kind:     by_value
      - .offset:         12
        .size:           4
        .value_kind:     by_value
      - .address_space:  global
        .offset:         16
        .size:           8
        .value_kind:     global_buffer
      - .offset:         24
        .size:           4
        .value_kind:     by_value
      - .offset:         32
        .size:           8
        .value_kind:     by_value
      - .address_space:  global
        .offset:         40
        .size:           8
        .value_kind:     global_buffer
      - .offset:         48
        .size:           4
        .value_kind:     by_value
      - .offset:         56
        .size:           8
        .value_kind:     by_value
      - .offset:         64
        .size:           4
        .value_kind:     by_value
      - .address_space:  global
        .offset:         72
        .size:           8
        .value_kind:     global_buffer
      - .offset:         80
        .size:           4
        .value_kind:     by_value
      - .offset:         88
        .size:           8
        .value_kind:     by_value
      - .address_space:  global
        .offset:         96
        .size:           8
        .value_kind:     global_buffer
      - .offset:         104
        .size:           4
        .value_kind:     by_value
      - .offset:         112
        .size:           8
        .value_kind:     by_value
      - .offset:         120
        .size:           4
        .value_kind:     by_value
      - .offset:         124
        .size:           4
        .value_kind:     by_value
    .group_segment_fixed_size: 6144
    .kernarg_segment_align: 8
    .kernarg_segment_size: 128
    .language:       OpenCL C
    .language_version:
      - 2
      - 0
    .max_flat_workgroup_size: 256
    .name:           _ZN12_GLOBAL__N_120geam_min_plus_kernelIf15HIP_vector_typeIfLj2EES2_Li8ELi32ELi64ELi128ELi4ELi64ELi4ELi64ELi4ELc78ELc84ELb0ELb0ELb0EfKPKfKPfEEviiiT16_PT17_ilSA_ilS8_SA_ilPT18_ili26rocblas_geam_ex_operation_
    .private_segment_fixed_size: 0
    .sgpr_count:     28
    .sgpr_spill_count: 0
    .symbol:         _ZN12_GLOBAL__N_120geam_min_plus_kernelIf15HIP_vector_typeIfLj2EES2_Li8ELi32ELi64ELi128ELi4ELi64ELi4ELi64ELi4ELc78ELc84ELb0ELb0ELb0EfKPKfKPfEEviiiT16_PT17_ilSA_ilS8_SA_ilPT18_ili26rocblas_geam_ex_operation_.kd
    .uniform_work_group_size: 1
    .uses_dynamic_stack: false
    .vgpr_count:     149
    .vgpr_spill_count: 0
    .wavefront_size: 32
    .workgroup_processor_mode: 1
  - .args:
      - .offset:         0
        .size:           4
        .value_kind:     by_value
      - .offset:         4
        .size:           4
        .value_kind:     by_value
      - .offset:         8
        .size:           4
        .value_kind:     by_value
      - .address_space:  global
        .offset:         16
        .size:           8
        .value_kind:     global_buffer
      - .address_space:  global
        .offset:         24
        .size:           8
        .value_kind:     global_buffer
      - .offset:         32
        .size:           4
        .value_kind:     by_value
      - .offset:         40
        .size:           8
        .value_kind:     by_value
      - .address_space:  global
        .offset:         48
        .size:           8
        .value_kind:     global_buffer
      - .offset:         56
        .size:           4
        .value_kind:     by_value
      - .offset:         64
        .size:           8
        .value_kind:     by_value
      - .address_space:  global
        .offset:         72
        .size:           8
        .value_kind:     global_buffer
      - .address_space:  global
        .offset:         80
        .size:           8
        .value_kind:     global_buffer
      - .offset:         88
        .size:           4
        .value_kind:     by_value
      - .offset:         96
        .size:           8
        .value_kind:     by_value
      - .address_space:  global
        .offset:         104
        .size:           8
        .value_kind:     global_buffer
      - .offset:         112
        .size:           4
        .value_kind:     by_value
      - .offset:         120
        .size:           8
        .value_kind:     by_value
      - .offset:         128
        .size:           4
        .value_kind:     by_value
      - .offset:         132
        .size:           4
        .value_kind:     by_value
    .group_segment_fixed_size: 6144
    .kernarg_segment_align: 8
    .kernarg_segment_size: 136
    .language:       OpenCL C
    .language_version:
      - 2
      - 0
    .max_flat_workgroup_size: 256
    .name:           _ZN12_GLOBAL__N_120geam_min_plus_kernelIf15HIP_vector_typeIfLj2EES2_Li8ELi32ELi64ELi128ELi4ELi64ELi4ELi64ELi4ELc78ELc84ELb0ELb1ELb0EPKfKS4_KPfEEviiiT16_PT17_ilSA_ilS8_SA_ilPT18_ili26rocblas_geam_ex_operation_
    .private_segment_fixed_size: 0
    .sgpr_count:     32
    .sgpr_spill_count: 0
    .symbol:         _ZN12_GLOBAL__N_120geam_min_plus_kernelIf15HIP_vector_typeIfLj2EES2_Li8ELi32ELi64ELi128ELi4ELi64ELi4ELi64ELi4ELc78ELc84ELb0ELb1ELb0EPKfKS4_KPfEEviiiT16_PT17_ilSA_ilS8_SA_ilPT18_ili26rocblas_geam_ex_operation_.kd
    .uniform_work_group_size: 1
    .uses_dynamic_stack: false
    .vgpr_count:     148
    .vgpr_spill_count: 0
    .wavefront_size: 32
    .workgroup_processor_mode: 1
  - .args:
      - .offset:         0
        .size:           4
        .value_kind:     by_value
      - .offset:         4
        .size:           4
        .value_kind:     by_value
      - .offset:         8
        .size:           4
        .value_kind:     by_value
      - .offset:         12
        .size:           4
        .value_kind:     by_value
      - .address_space:  global
        .offset:         16
        .size:           8
        .value_kind:     global_buffer
      - .offset:         24
        .size:           4
        .value_kind:     by_value
      - .offset:         32
        .size:           8
        .value_kind:     by_value
      - .address_space:  global
        .offset:         40
        .size:           8
        .value_kind:     global_buffer
      - .offset:         48
        .size:           4
        .value_kind:     by_value
      - .offset:         56
        .size:           8
        .value_kind:     by_value
      - .offset:         64
        .size:           4
        .value_kind:     by_value
      - .address_space:  global
        .offset:         72
        .size:           8
        .value_kind:     global_buffer
      - .offset:         80
        .size:           4
        .value_kind:     by_value
      - .offset:         88
        .size:           8
        .value_kind:     by_value
      - .address_space:  global
        .offset:         96
        .size:           8
        .value_kind:     global_buffer
      - .offset:         104
        .size:           4
        .value_kind:     by_value
      - .offset:         112
        .size:           8
        .value_kind:     by_value
      - .offset:         120
        .size:           4
        .value_kind:     by_value
      - .offset:         124
        .size:           4
        .value_kind:     by_value
    .group_segment_fixed_size: 6144
    .kernarg_segment_align: 8
    .kernarg_segment_size: 128
    .language:       OpenCL C
    .language_version:
      - 2
      - 0
    .max_flat_workgroup_size: 256
    .name:           _ZN12_GLOBAL__N_120geam_min_plus_kernelIf15HIP_vector_typeIfLj2EES2_Li8ELi32ELi64ELi128ELi4ELi64ELi4ELi64ELi4ELc78ELc84ELb1ELb1ELb0EfKPKfKPfEEviiiT16_PT17_ilSA_ilS8_SA_ilPT18_ili26rocblas_geam_ex_operation_
    .private_segment_fixed_size: 0
    .sgpr_count:     29
    .sgpr_spill_count: 0
    .symbol:         _ZN12_GLOBAL__N_120geam_min_plus_kernelIf15HIP_vector_typeIfLj2EES2_Li8ELi32ELi64ELi128ELi4ELi64ELi4ELi64ELi4ELc78ELc84ELb1ELb1ELb0EfKPKfKPfEEviiiT16_PT17_ilSA_ilS8_SA_ilPT18_ili26rocblas_geam_ex_operation_.kd
    .uniform_work_group_size: 1
    .uses_dynamic_stack: false
    .vgpr_count:     148
    .vgpr_spill_count: 0
    .wavefront_size: 32
    .workgroup_processor_mode: 1
  - .args:
      - .offset:         0
        .size:           4
        .value_kind:     by_value
      - .offset:         4
        .size:           4
        .value_kind:     by_value
      - .offset:         8
        .size:           4
        .value_kind:     by_value
      - .offset:         12
        .size:           4
        .value_kind:     by_value
      - .address_space:  global
        .offset:         16
        .size:           8
        .value_kind:     global_buffer
      - .offset:         24
        .size:           4
        .value_kind:     by_value
      - .offset:         32
        .size:           8
        .value_kind:     by_value
      - .address_space:  global
        .offset:         40
        .size:           8
        .value_kind:     global_buffer
      - .offset:         48
        .size:           4
        .value_kind:     by_value
      - .offset:         56
        .size:           8
        .value_kind:     by_value
      - .offset:         64
        .size:           4
        .value_kind:     by_value
      - .address_space:  global
        .offset:         72
        .size:           8
        .value_kind:     global_buffer
      - .offset:         80
        .size:           4
        .value_kind:     by_value
      - .offset:         88
        .size:           8
        .value_kind:     by_value
      - .address_space:  global
        .offset:         96
        .size:           8
        .value_kind:     global_buffer
      - .offset:         104
        .size:           4
        .value_kind:     by_value
      - .offset:         112
        .size:           8
        .value_kind:     by_value
      - .offset:         120
        .size:           4
        .value_kind:     by_value
      - .offset:         124
        .size:           4
        .value_kind:     by_value
    .group_segment_fixed_size: 6144
    .kernarg_segment_align: 8
    .kernarg_segment_size: 128
    .language:       OpenCL C
    .language_version:
      - 2
      - 0
    .max_flat_workgroup_size: 256
    .name:           _ZN12_GLOBAL__N_120geam_min_plus_kernelIf15HIP_vector_typeIfLj2EES2_Li8ELi32ELi64ELi128ELi4ELi64ELi4ELi64ELi4ELc78ELc84ELb0ELb1ELb0EfKPKfKPfEEviiiT16_PT17_ilSA_ilS8_SA_ilPT18_ili26rocblas_geam_ex_operation_
    .private_segment_fixed_size: 0
    .sgpr_count:     32
    .sgpr_spill_count: 0
    .symbol:         _ZN12_GLOBAL__N_120geam_min_plus_kernelIf15HIP_vector_typeIfLj2EES2_Li8ELi32ELi64ELi128ELi4ELi64ELi4ELi64ELi4ELc78ELc84ELb0ELb1ELb0EfKPKfKPfEEviiiT16_PT17_ilSA_ilS8_SA_ilPT18_ili26rocblas_geam_ex_operation_.kd
    .uniform_work_group_size: 1
    .uses_dynamic_stack: false
    .vgpr_count:     148
    .vgpr_spill_count: 0
    .wavefront_size: 32
    .workgroup_processor_mode: 1
  - .args:
      - .offset:         0
        .size:           4
        .value_kind:     by_value
      - .offset:         4
        .size:           4
        .value_kind:     by_value
      - .offset:         8
        .size:           4
        .value_kind:     by_value
      - .address_space:  global
        .offset:         16
        .size:           8
        .value_kind:     global_buffer
      - .address_space:  global
        .offset:         24
        .size:           8
        .value_kind:     global_buffer
      - .offset:         32
        .size:           4
        .value_kind:     by_value
      - .offset:         40
        .size:           8
        .value_kind:     by_value
      - .address_space:  global
        .offset:         48
        .size:           8
        .value_kind:     global_buffer
      - .offset:         56
        .size:           4
        .value_kind:     by_value
      - .offset:         64
        .size:           8
        .value_kind:     by_value
      - .address_space:  global
        .offset:         72
        .size:           8
        .value_kind:     global_buffer
      - .address_space:  global
        .offset:         80
        .size:           8
        .value_kind:     global_buffer
      - .offset:         88
        .size:           4
        .value_kind:     by_value
      - .offset:         96
        .size:           8
        .value_kind:     by_value
      - .address_space:  global
        .offset:         104
        .size:           8
        .value_kind:     global_buffer
      - .offset:         112
        .size:           4
        .value_kind:     by_value
      - .offset:         120
        .size:           8
        .value_kind:     by_value
      - .offset:         128
        .size:           4
        .value_kind:     by_value
      - .offset:         132
        .size:           4
        .value_kind:     by_value
    .group_segment_fixed_size: 6144
    .kernarg_segment_align: 8
    .kernarg_segment_size: 136
    .language:       OpenCL C
    .language_version:
      - 2
      - 0
    .max_flat_workgroup_size: 256
    .name:           _ZN12_GLOBAL__N_120geam_min_plus_kernelIf15HIP_vector_typeIfLj2EES2_Li8ELi32ELi64ELi128ELi4ELi4ELi64ELi64ELi4ELc84ELc84ELb0ELb0ELb0EPKfKS4_KPfEEviiiT16_PT17_ilSA_ilS8_SA_ilPT18_ili26rocblas_geam_ex_operation_
    .private_segment_fixed_size: 0
    .sgpr_count:     27
    .sgpr_spill_count: 0
    .symbol:         _ZN12_GLOBAL__N_120geam_min_plus_kernelIf15HIP_vector_typeIfLj2EES2_Li8ELi32ELi64ELi128ELi4ELi4ELi64ELi64ELi4ELc84ELc84ELb0ELb0ELb0EPKfKS4_KPfEEviiiT16_PT17_ilSA_ilS8_SA_ilPT18_ili26rocblas_geam_ex_operation_.kd
    .uniform_work_group_size: 1
    .uses_dynamic_stack: false
    .vgpr_count:     151
    .vgpr_spill_count: 0
    .wavefront_size: 32
    .workgroup_processor_mode: 1
  - .args:
      - .offset:         0
        .size:           4
        .value_kind:     by_value
      - .offset:         4
        .size:           4
        .value_kind:     by_value
      - .offset:         8
        .size:           4
        .value_kind:     by_value
      - .offset:         12
        .size:           4
        .value_kind:     by_value
      - .address_space:  global
        .offset:         16
        .size:           8
        .value_kind:     global_buffer
      - .offset:         24
        .size:           4
        .value_kind:     by_value
      - .offset:         32
        .size:           8
        .value_kind:     by_value
      - .address_space:  global
        .offset:         40
        .size:           8
        .value_kind:     global_buffer
      - .offset:         48
        .size:           4
        .value_kind:     by_value
      - .offset:         56
        .size:           8
        .value_kind:     by_value
      - .offset:         64
        .size:           4
        .value_kind:     by_value
      - .address_space:  global
        .offset:         72
        .size:           8
        .value_kind:     global_buffer
      - .offset:         80
        .size:           4
        .value_kind:     by_value
      - .offset:         88
        .size:           8
        .value_kind:     by_value
      - .address_space:  global
        .offset:         96
        .size:           8
        .value_kind:     global_buffer
      - .offset:         104
        .size:           4
        .value_kind:     by_value
      - .offset:         112
        .size:           8
        .value_kind:     by_value
      - .offset:         120
        .size:           4
        .value_kind:     by_value
      - .offset:         124
        .size:           4
        .value_kind:     by_value
    .group_segment_fixed_size: 6144
    .kernarg_segment_align: 8
    .kernarg_segment_size: 128
    .language:       OpenCL C
    .language_version:
      - 2
      - 0
    .max_flat_workgroup_size: 256
    .name:           _ZN12_GLOBAL__N_120geam_min_plus_kernelIf15HIP_vector_typeIfLj2EES2_Li8ELi32ELi64ELi128ELi4ELi4ELi64ELi64ELi4ELc84ELc84ELb1ELb0ELb0EfKPKfKPfEEviiiT16_PT17_ilSA_ilS8_SA_ilPT18_ili26rocblas_geam_ex_operation_
    .private_segment_fixed_size: 0
    .sgpr_count:     25
    .sgpr_spill_count: 0
    .symbol:         _ZN12_GLOBAL__N_120geam_min_plus_kernelIf15HIP_vector_typeIfLj2EES2_Li8ELi32ELi64ELi128ELi4ELi4ELi64ELi64ELi4ELc84ELc84ELb1ELb0ELb0EfKPKfKPfEEviiiT16_PT17_ilSA_ilS8_SA_ilPT18_ili26rocblas_geam_ex_operation_.kd
    .uniform_work_group_size: 1
    .uses_dynamic_stack: false
    .vgpr_count:     153
    .vgpr_spill_count: 0
    .wavefront_size: 32
    .workgroup_processor_mode: 1
  - .args:
      - .offset:         0
        .size:           4
        .value_kind:     by_value
      - .offset:         4
        .size:           4
        .value_kind:     by_value
      - .offset:         8
        .size:           4
        .value_kind:     by_value
      - .offset:         12
        .size:           4
        .value_kind:     by_value
      - .address_space:  global
        .offset:         16
        .size:           8
        .value_kind:     global_buffer
      - .offset:         24
        .size:           4
        .value_kind:     by_value
      - .offset:         32
        .size:           8
        .value_kind:     by_value
      - .address_space:  global
        .offset:         40
        .size:           8
        .value_kind:     global_buffer
      - .offset:         48
        .size:           4
        .value_kind:     by_value
      - .offset:         56
        .size:           8
        .value_kind:     by_value
      - .offset:         64
        .size:           4
        .value_kind:     by_value
      - .address_space:  global
        .offset:         72
        .size:           8
        .value_kind:     global_buffer
      - .offset:         80
        .size:           4
        .value_kind:     by_value
      - .offset:         88
        .size:           8
        .value_kind:     by_value
      - .address_space:  global
        .offset:         96
        .size:           8
        .value_kind:     global_buffer
      - .offset:         104
        .size:           4
        .value_kind:     by_value
      - .offset:         112
        .size:           8
        .value_kind:     by_value
      - .offset:         120
        .size:           4
        .value_kind:     by_value
      - .offset:         124
        .size:           4
        .value_kind:     by_value
    .group_segment_fixed_size: 6144
    .kernarg_segment_align: 8
    .kernarg_segment_size: 128
    .language:       OpenCL C
    .language_version:
      - 2
      - 0
    .max_flat_workgroup_size: 256
    .name:           _ZN12_GLOBAL__N_120geam_min_plus_kernelIf15HIP_vector_typeIfLj2EES2_Li8ELi32ELi64ELi128ELi4ELi4ELi64ELi64ELi4ELc84ELc84ELb0ELb0ELb0EfKPKfKPfEEviiiT16_PT17_ilSA_ilS8_SA_ilPT18_ili26rocblas_geam_ex_operation_
    .private_segment_fixed_size: 0
    .sgpr_count:     27
    .sgpr_spill_count: 0
    .symbol:         _ZN12_GLOBAL__N_120geam_min_plus_kernelIf15HIP_vector_typeIfLj2EES2_Li8ELi32ELi64ELi128ELi4ELi4ELi64ELi64ELi4ELc84ELc84ELb0ELb0ELb0EfKPKfKPfEEviiiT16_PT17_ilSA_ilS8_SA_ilPT18_ili26rocblas_geam_ex_operation_.kd
    .uniform_work_group_size: 1
    .uses_dynamic_stack: false
    .vgpr_count:     151
    .vgpr_spill_count: 0
    .wavefront_size: 32
    .workgroup_processor_mode: 1
  - .args:
      - .offset:         0
        .size:           4
        .value_kind:     by_value
      - .offset:         4
        .size:           4
        .value_kind:     by_value
      - .offset:         8
        .size:           4
        .value_kind:     by_value
      - .address_space:  global
        .offset:         16
        .size:           8
        .value_kind:     global_buffer
      - .address_space:  global
        .offset:         24
        .size:           8
        .value_kind:     global_buffer
      - .offset:         32
        .size:           4
        .value_kind:     by_value
      - .offset:         40
        .size:           8
        .value_kind:     by_value
      - .address_space:  global
        .offset:         48
        .size:           8
        .value_kind:     global_buffer
      - .offset:         56
        .size:           4
        .value_kind:     by_value
      - .offset:         64
        .size:           8
        .value_kind:     by_value
      - .address_space:  global
        .offset:         72
        .size:           8
        .value_kind:     global_buffer
      - .address_space:  global
        .offset:         80
        .size:           8
        .value_kind:     global_buffer
      - .offset:         88
        .size:           4
        .value_kind:     by_value
      - .offset:         96
        .size:           8
        .value_kind:     by_value
      - .address_space:  global
        .offset:         104
        .size:           8
        .value_kind:     global_buffer
      - .offset:         112
        .size:           4
        .value_kind:     by_value
      - .offset:         120
        .size:           8
        .value_kind:     by_value
      - .offset:         128
        .size:           4
        .value_kind:     by_value
      - .offset:         132
        .size:           4
        .value_kind:     by_value
    .group_segment_fixed_size: 6144
    .kernarg_segment_align: 8
    .kernarg_segment_size: 136
    .language:       OpenCL C
    .language_version:
      - 2
      - 0
    .max_flat_workgroup_size: 256
    .name:           _ZN12_GLOBAL__N_120geam_min_plus_kernelIf15HIP_vector_typeIfLj2EES2_Li8ELi32ELi64ELi128ELi4ELi4ELi64ELi64ELi4ELc84ELc84ELb0ELb1ELb0EPKfKS4_KPfEEviiiT16_PT17_ilSA_ilS8_SA_ilPT18_ili26rocblas_geam_ex_operation_
    .private_segment_fixed_size: 0
    .sgpr_count:     31
    .sgpr_spill_count: 0
    .symbol:         _ZN12_GLOBAL__N_120geam_min_plus_kernelIf15HIP_vector_typeIfLj2EES2_Li8ELi32ELi64ELi128ELi4ELi4ELi64ELi64ELi4ELc84ELc84ELb0ELb1ELb0EPKfKS4_KPfEEviiiT16_PT17_ilSA_ilS8_SA_ilPT18_ili26rocblas_geam_ex_operation_.kd
    .uniform_work_group_size: 1
    .uses_dynamic_stack: false
    .vgpr_count:     151
    .vgpr_spill_count: 0
    .wavefront_size: 32
    .workgroup_processor_mode: 1
  - .args:
      - .offset:         0
        .size:           4
        .value_kind:     by_value
      - .offset:         4
        .size:           4
        .value_kind:     by_value
      - .offset:         8
        .size:           4
        .value_kind:     by_value
      - .offset:         12
        .size:           4
        .value_kind:     by_value
      - .address_space:  global
        .offset:         16
        .size:           8
        .value_kind:     global_buffer
      - .offset:         24
        .size:           4
        .value_kind:     by_value
      - .offset:         32
        .size:           8
        .value_kind:     by_value
      - .address_space:  global
        .offset:         40
        .size:           8
        .value_kind:     global_buffer
      - .offset:         48
        .size:           4
        .value_kind:     by_value
      - .offset:         56
        .size:           8
        .value_kind:     by_value
      - .offset:         64
        .size:           4
        .value_kind:     by_value
      - .address_space:  global
        .offset:         72
        .size:           8
        .value_kind:     global_buffer
      - .offset:         80
        .size:           4
        .value_kind:     by_value
      - .offset:         88
        .size:           8
        .value_kind:     by_value
      - .address_space:  global
        .offset:         96
        .size:           8
        .value_kind:     global_buffer
      - .offset:         104
        .size:           4
        .value_kind:     by_value
      - .offset:         112
        .size:           8
        .value_kind:     by_value
      - .offset:         120
        .size:           4
        .value_kind:     by_value
      - .offset:         124
        .size:           4
        .value_kind:     by_value
    .group_segment_fixed_size: 6144
    .kernarg_segment_align: 8
    .kernarg_segment_size: 128
    .language:       OpenCL C
    .language_version:
      - 2
      - 0
    .max_flat_workgroup_size: 256
    .name:           _ZN12_GLOBAL__N_120geam_min_plus_kernelIf15HIP_vector_typeIfLj2EES2_Li8ELi32ELi64ELi128ELi4ELi4ELi64ELi64ELi4ELc84ELc84ELb1ELb1ELb0EfKPKfKPfEEviiiT16_PT17_ilSA_ilS8_SA_ilPT18_ili26rocblas_geam_ex_operation_
    .private_segment_fixed_size: 0
    .sgpr_count:     28
    .sgpr_spill_count: 0
    .symbol:         _ZN12_GLOBAL__N_120geam_min_plus_kernelIf15HIP_vector_typeIfLj2EES2_Li8ELi32ELi64ELi128ELi4ELi4ELi64ELi64ELi4ELc84ELc84ELb1ELb1ELb0EfKPKfKPfEEviiiT16_PT17_ilSA_ilS8_SA_ilPT18_ili26rocblas_geam_ex_operation_.kd
    .uniform_work_group_size: 1
    .uses_dynamic_stack: false
    .vgpr_count:     151
    .vgpr_spill_count: 0
    .wavefront_size: 32
    .workgroup_processor_mode: 1
  - .args:
      - .offset:         0
        .size:           4
        .value_kind:     by_value
      - .offset:         4
        .size:           4
        .value_kind:     by_value
      - .offset:         8
        .size:           4
        .value_kind:     by_value
      - .offset:         12
        .size:           4
        .value_kind:     by_value
      - .address_space:  global
        .offset:         16
        .size:           8
        .value_kind:     global_buffer
      - .offset:         24
        .size:           4
        .value_kind:     by_value
      - .offset:         32
        .size:           8
        .value_kind:     by_value
      - .address_space:  global
        .offset:         40
        .size:           8
        .value_kind:     global_buffer
      - .offset:         48
        .size:           4
        .value_kind:     by_value
      - .offset:         56
        .size:           8
        .value_kind:     by_value
      - .offset:         64
        .size:           4
        .value_kind:     by_value
      - .address_space:  global
        .offset:         72
        .size:           8
        .value_kind:     global_buffer
      - .offset:         80
        .size:           4
        .value_kind:     by_value
      - .offset:         88
        .size:           8
        .value_kind:     by_value
      - .address_space:  global
        .offset:         96
        .size:           8
        .value_kind:     global_buffer
      - .offset:         104
        .size:           4
        .value_kind:     by_value
      - .offset:         112
        .size:           8
        .value_kind:     by_value
      - .offset:         120
        .size:           4
        .value_kind:     by_value
      - .offset:         124
        .size:           4
        .value_kind:     by_value
    .group_segment_fixed_size: 6144
    .kernarg_segment_align: 8
    .kernarg_segment_size: 128
    .language:       OpenCL C
    .language_version:
      - 2
      - 0
    .max_flat_workgroup_size: 256
    .name:           _ZN12_GLOBAL__N_120geam_min_plus_kernelIf15HIP_vector_typeIfLj2EES2_Li8ELi32ELi64ELi128ELi4ELi4ELi64ELi64ELi4ELc84ELc84ELb0ELb1ELb0EfKPKfKPfEEviiiT16_PT17_ilSA_ilS8_SA_ilPT18_ili26rocblas_geam_ex_operation_
    .private_segment_fixed_size: 0
    .sgpr_count:     31
    .sgpr_spill_count: 0
    .symbol:         _ZN12_GLOBAL__N_120geam_min_plus_kernelIf15HIP_vector_typeIfLj2EES2_Li8ELi32ELi64ELi128ELi4ELi4ELi64ELi64ELi4ELc84ELc84ELb0ELb1ELb0EfKPKfKPfEEviiiT16_PT17_ilSA_ilS8_SA_ilPT18_ili26rocblas_geam_ex_operation_.kd
    .uniform_work_group_size: 1
    .uses_dynamic_stack: false
    .vgpr_count:     151
    .vgpr_spill_count: 0
    .wavefront_size: 32
    .workgroup_processor_mode: 1
  - .args:
      - .offset:         0
        .size:           4
        .value_kind:     by_value
      - .offset:         4
        .size:           4
        .value_kind:     by_value
      - .offset:         8
        .size:           4
        .value_kind:     by_value
      - .address_space:  global
        .offset:         16
        .size:           8
        .value_kind:     global_buffer
      - .offset:         24
        .size:           8
        .value_kind:     by_value
      - .offset:         32
        .size:           4
        .value_kind:     by_value
      - .offset:         40
        .size:           8
        .value_kind:     by_value
      - .address_space:  global
        .offset:         48
        .size:           8
        .value_kind:     global_buffer
      - .offset:         56
        .size:           8
        .value_kind:     by_value
      - .offset:         64
        .size:           4
        .value_kind:     by_value
      - .offset:         72
        .size:           8
        .value_kind:     by_value
    .group_segment_fixed_size: 0
    .kernarg_segment_align: 8
    .kernarg_segment_size: 80
    .language:       OpenCL C
    .language_version:
      - 2
      - 0
    .max_flat_workgroup_size: 1024
    .name:           _ZN12_GLOBAL__N_120geam_ex_scale_kernelILi32ELi32EffPKfPfEEviiT2_T3_lilT4_lil
    .private_segment_fixed_size: 0
    .sgpr_count:     22
    .sgpr_spill_count: 0
    .symbol:         _ZN12_GLOBAL__N_120geam_ex_scale_kernelILi32ELi32EffPKfPfEEviiT2_T3_lilT4_lil.kd
    .uniform_work_group_size: 1
    .uses_dynamic_stack: false
    .vgpr_count:     8
    .vgpr_spill_count: 0
    .wavefront_size: 32
    .workgroup_processor_mode: 1
  - .args:
      - .offset:         0
        .size:           4
        .value_kind:     by_value
      - .offset:         4
        .size:           4
        .value_kind:     by_value
      - .address_space:  global
        .offset:         8
        .size:           8
        .value_kind:     global_buffer
      - .address_space:  global
        .offset:         16
        .size:           8
        .value_kind:     global_buffer
      - .offset:         24
        .size:           8
        .value_kind:     by_value
      - .offset:         32
        .size:           4
        .value_kind:     by_value
      - .offset:         40
        .size:           8
        .value_kind:     by_value
      - .address_space:  global
        .offset:         48
        .size:           8
        .value_kind:     global_buffer
      - .offset:         56
        .size:           8
        .value_kind:     by_value
      - .offset:         64
        .size:           4
        .value_kind:     by_value
      - .offset:         72
        .size:           8
        .value_kind:     by_value
    .group_segment_fixed_size: 0
    .kernarg_segment_align: 8
    .kernarg_segment_size: 80
    .language:       OpenCL C
    .language_version:
      - 2
      - 0
    .max_flat_workgroup_size: 1024
    .name:           _ZN12_GLOBAL__N_120geam_ex_scale_kernelILi32ELi32EfPKfS2_PfEEviiT2_T3_lilT4_lil
    .private_segment_fixed_size: 0
    .sgpr_count:     21
    .sgpr_spill_count: 0
    .symbol:         _ZN12_GLOBAL__N_120geam_ex_scale_kernelILi32ELi32EfPKfS2_PfEEviiT2_T3_lilT4_lil.kd
    .uniform_work_group_size: 1
    .uses_dynamic_stack: false
    .vgpr_count:     8
    .vgpr_spill_count: 0
    .wavefront_size: 32
    .workgroup_processor_mode: 1
  - .args:
      - .offset:         0
        .size:           4
        .value_kind:     by_value
      - .offset:         4
        .size:           4
        .value_kind:     by_value
      - .offset:         8
        .size:           4
        .value_kind:     by_value
      - .address_space:  global
        .offset:         16
        .size:           8
        .value_kind:     global_buffer
      - .offset:         24
        .size:           8
        .value_kind:     by_value
      - .offset:         32
        .size:           4
        .value_kind:     by_value
      - .offset:         40
        .size:           8
        .value_kind:     by_value
      - .address_space:  global
        .offset:         48
        .size:           8
        .value_kind:     global_buffer
      - .offset:         56
        .size:           8
        .value_kind:     by_value
      - .offset:         64
        .size:           4
        .value_kind:     by_value
      - .offset:         72
        .size:           8
        .value_kind:     by_value
    .group_segment_fixed_size: 0
    .kernarg_segment_align: 8
    .kernarg_segment_size: 80
    .language:       OpenCL C
    .language_version:
      - 2
      - 0
    .max_flat_workgroup_size: 1024
    .name:           _ZN12_GLOBAL__N_120geam_ex_round_kernelILi32ELi32EffPKfPfEEviiT2_T3_lilT4_lil
    .private_segment_fixed_size: 0
    .sgpr_count:     22
    .sgpr_spill_count: 0
    .symbol:         _ZN12_GLOBAL__N_120geam_ex_round_kernelILi32ELi32EffPKfPfEEviiT2_T3_lilT4_lil.kd
    .uniform_work_group_size: 1
    .uses_dynamic_stack: false
    .vgpr_count:     8
    .vgpr_spill_count: 0
    .wavefront_size: 32
    .workgroup_processor_mode: 1
  - .args:
      - .offset:         0
        .size:           4
        .value_kind:     by_value
      - .offset:         4
        .size:           4
        .value_kind:     by_value
      - .offset:         8
        .size:           4
        .value_kind:     by_value
      - .address_space:  global
        .offset:         16
        .size:           8
        .value_kind:     global_buffer
      - .address_space:  global
        .offset:         24
        .size:           8
        .value_kind:     global_buffer
      - .offset:         32
        .size:           4
        .value_kind:     by_value
      - .offset:         40
        .size:           8
        .value_kind:     by_value
      - .address_space:  global
        .offset:         48
        .size:           8
        .value_kind:     global_buffer
      - .offset:         56
        .size:           4
        .value_kind:     by_value
      - .offset:         64
        .size:           8
        .value_kind:     by_value
      - .address_space:  global
        .offset:         72
        .size:           8
        .value_kind:     global_buffer
      - .address_space:  global
        .offset:         80
        .size:           8
        .value_kind:     global_buffer
      - .offset:         88
        .size:           4
        .value_kind:     by_value
      - .offset:         96
        .size:           8
        .value_kind:     by_value
      - .address_space:  global
        .offset:         104
        .size:           8
        .value_kind:     global_buffer
      - .offset:         112
        .size:           4
        .value_kind:     by_value
      - .offset:         120
        .size:           8
        .value_kind:     by_value
      - .offset:         128
        .size:           4
        .value_kind:     by_value
      - .offset:         132
        .size:           4
        .value_kind:     by_value
    .group_segment_fixed_size: 10240
    .kernarg_segment_align: 8
    .kernarg_segment_size: 136
    .language:       OpenCL C
    .language_version:
      - 2
      - 0
    .max_flat_workgroup_size: 256
    .name:           _ZN12_GLOBAL__N_120geam_min_plus_kernelIf15HIP_vector_typeIfLj2EEfLi32ELi8ELi256ELi64ELi4ELi64ELi4ELi4ELi64ELc78ELc78ELb0ELb0ELb1EPKfS3_fEEviiiT16_PT17_ilS7_ilS5_S7_ilPT18_ili26rocblas_geam_ex_operation_
    .private_segment_fixed_size: 0
    .sgpr_count:     27
    .sgpr_spill_count: 0
    .symbol:         _ZN12_GLOBAL__N_120geam_min_plus_kernelIf15HIP_vector_typeIfLj2EEfLi32ELi8ELi256ELi64ELi4ELi64ELi4ELi4ELi64ELc78ELc78ELb0ELb0ELb1EPKfS3_fEEviiiT16_PT17_ilS7_ilS5_S7_ilPT18_ili26rocblas_geam_ex_operation_.kd
    .uniform_work_group_size: 1
    .uses_dynamic_stack: false
    .vgpr_count:     168
    .vgpr_spill_count: 0
    .wavefront_size: 32
    .workgroup_processor_mode: 1
  - .args:
      - .offset:         0
        .size:           4
        .value_kind:     by_value
      - .offset:         4
        .size:           4
        .value_kind:     by_value
      - .offset:         8
        .size:           4
        .value_kind:     by_value
      - .offset:         12
        .size:           4
        .value_kind:     by_value
      - .address_space:  global
        .offset:         16
        .size:           8
        .value_kind:     global_buffer
      - .offset:         24
        .size:           4
        .value_kind:     by_value
      - .offset:         32
        .size:           8
        .value_kind:     by_value
      - .address_space:  global
        .offset:         40
        .size:           8
        .value_kind:     global_buffer
      - .offset:         48
        .size:           4
        .value_kind:     by_value
      - .offset:         56
        .size:           8
        .value_kind:     by_value
      - .offset:         64
        .size:           4
        .value_kind:     by_value
      - .address_space:  global
        .offset:         72
        .size:           8
        .value_kind:     global_buffer
      - .offset:         80
        .size:           4
        .value_kind:     by_value
      - .offset:         88
        .size:           8
        .value_kind:     by_value
      - .address_space:  global
        .offset:         96
        .size:           8
        .value_kind:     global_buffer
      - .offset:         104
        .size:           4
        .value_kind:     by_value
      - .offset:         112
        .size:           8
        .value_kind:     by_value
      - .offset:         120
        .size:           4
        .value_kind:     by_value
      - .offset:         124
        .size:           4
        .value_kind:     by_value
    .group_segment_fixed_size: 10240
    .kernarg_segment_align: 8
    .kernarg_segment_size: 128
    .language:       OpenCL C
    .language_version:
      - 2
      - 0
    .max_flat_workgroup_size: 256
    .name:           _ZN12_GLOBAL__N_120geam_min_plus_kernelIf15HIP_vector_typeIfLj2EEfLi32ELi8ELi256ELi64ELi4ELi64ELi4ELi4ELi64ELc78ELc78ELb1ELb0ELb1EfKffEEviiiT16_PT17_ilS6_ilS4_S6_ilPT18_ili26rocblas_geam_ex_operation_
    .private_segment_fixed_size: 0
    .sgpr_count:     24
    .sgpr_spill_count: 0
    .symbol:         _ZN12_GLOBAL__N_120geam_min_plus_kernelIf15HIP_vector_typeIfLj2EEfLi32ELi8ELi256ELi64ELi4ELi64ELi4ELi4ELi64ELc78ELc78ELb1ELb0ELb1EfKffEEviiiT16_PT17_ilS6_ilS4_S6_ilPT18_ili26rocblas_geam_ex_operation_.kd
    .uniform_work_group_size: 1
    .uses_dynamic_stack: false
    .vgpr_count:     174
    .vgpr_spill_count: 0
    .wavefront_size: 32
    .workgroup_processor_mode: 1
  - .args:
      - .offset:         0
        .size:           4
        .value_kind:     by_value
      - .offset:         4
        .size:           4
        .value_kind:     by_value
      - .offset:         8
        .size:           4
        .value_kind:     by_value
      - .offset:         12
        .size:           4
        .value_kind:     by_value
      - .address_space:  global
        .offset:         16
        .size:           8
        .value_kind:     global_buffer
      - .offset:         24
        .size:           4
        .value_kind:     by_value
      - .offset:         32
        .size:           8
        .value_kind:     by_value
      - .address_space:  global
        .offset:         40
        .size:           8
        .value_kind:     global_buffer
      - .offset:         48
        .size:           4
        .value_kind:     by_value
      - .offset:         56
        .size:           8
        .value_kind:     by_value
      - .offset:         64
        .size:           4
        .value_kind:     by_value
      - .address_space:  global
        .offset:         72
        .size:           8
        .value_kind:     global_buffer
      - .offset:         80
        .size:           4
        .value_kind:     by_value
      - .offset:         88
        .size:           8
        .value_kind:     by_value
      - .address_space:  global
        .offset:         96
        .size:           8
        .value_kind:     global_buffer
      - .offset:         104
        .size:           4
        .value_kind:     by_value
      - .offset:         112
        .size:           8
        .value_kind:     by_value
      - .offset:         120
        .size:           4
        .value_kind:     by_value
      - .offset:         124
        .size:           4
        .value_kind:     by_value
    .group_segment_fixed_size: 10240
    .kernarg_segment_align: 8
    .kernarg_segment_size: 128
    .language:       OpenCL C
    .language_version:
      - 2
      - 0
    .max_flat_workgroup_size: 256
    .name:           _ZN12_GLOBAL__N_120geam_min_plus_kernelIf15HIP_vector_typeIfLj2EEfLi32ELi8ELi256ELi64ELi4ELi64ELi4ELi4ELi64ELc78ELc78ELb0ELb0ELb1EfKffEEviiiT16_PT17_ilS6_ilS4_S6_ilPT18_ili26rocblas_geam_ex_operation_
    .private_segment_fixed_size: 0
    .sgpr_count:     27
    .sgpr_spill_count: 0
    .symbol:         _ZN12_GLOBAL__N_120geam_min_plus_kernelIf15HIP_vector_typeIfLj2EEfLi32ELi8ELi256ELi64ELi4ELi64ELi4ELi4ELi64ELc78ELc78ELb0ELb0ELb1EfKffEEviiiT16_PT17_ilS6_ilS4_S6_ilPT18_ili26rocblas_geam_ex_operation_.kd
    .uniform_work_group_size: 1
    .uses_dynamic_stack: false
    .vgpr_count:     168
    .vgpr_spill_count: 0
    .wavefront_size: 32
    .workgroup_processor_mode: 1
  - .args:
      - .offset:         0
        .size:           4
        .value_kind:     by_value
      - .offset:         4
        .size:           4
        .value_kind:     by_value
      - .offset:         8
        .size:           4
        .value_kind:     by_value
      - .address_space:  global
        .offset:         16
        .size:           8
        .value_kind:     global_buffer
      - .address_space:  global
        .offset:         24
        .size:           8
        .value_kind:     global_buffer
      - .offset:         32
        .size:           4
        .value_kind:     by_value
      - .offset:         40
        .size:           8
        .value_kind:     by_value
      - .address_space:  global
        .offset:         48
        .size:           8
        .value_kind:     global_buffer
      - .offset:         56
        .size:           4
        .value_kind:     by_value
      - .offset:         64
        .size:           8
        .value_kind:     by_value
      - .address_space:  global
        .offset:         72
        .size:           8
        .value_kind:     global_buffer
      - .address_space:  global
        .offset:         80
        .size:           8
        .value_kind:     global_buffer
      - .offset:         88
        .size:           4
        .value_kind:     by_value
      - .offset:         96
        .size:           8
        .value_kind:     by_value
      - .address_space:  global
        .offset:         104
        .size:           8
        .value_kind:     global_buffer
      - .offset:         112
        .size:           4
        .value_kind:     by_value
      - .offset:         120
        .size:           8
        .value_kind:     by_value
      - .offset:         128
        .size:           4
        .value_kind:     by_value
      - .offset:         132
        .size:           4
        .value_kind:     by_value
    .group_segment_fixed_size: 10240
    .kernarg_segment_align: 8
    .kernarg_segment_size: 136
    .language:       OpenCL C
    .language_version:
      - 2
      - 0
    .max_flat_workgroup_size: 256
    .name:           _ZN12_GLOBAL__N_120geam_min_plus_kernelIf15HIP_vector_typeIfLj2EEfLi32ELi8ELi256ELi64ELi4ELi64ELi4ELi4ELi64ELc78ELc78ELb0ELb1ELb1EPKfS3_fEEviiiT16_PT17_ilS7_ilS5_S7_ilPT18_ili26rocblas_geam_ex_operation_
    .private_segment_fixed_size: 0
    .sgpr_count:     32
    .sgpr_spill_count: 0
    .symbol:         _ZN12_GLOBAL__N_120geam_min_plus_kernelIf15HIP_vector_typeIfLj2EEfLi32ELi8ELi256ELi64ELi4ELi64ELi4ELi4ELi64ELc78ELc78ELb0ELb1ELb1EPKfS3_fEEviiiT16_PT17_ilS7_ilS5_S7_ilPT18_ili26rocblas_geam_ex_operation_.kd
    .uniform_work_group_size: 1
    .uses_dynamic_stack: false
    .vgpr_count:     158
    .vgpr_spill_count: 0
    .wavefront_size: 32
    .workgroup_processor_mode: 1
  - .args:
      - .offset:         0
        .size:           4
        .value_kind:     by_value
      - .offset:         4
        .size:           4
        .value_kind:     by_value
      - .offset:         8
        .size:           4
        .value_kind:     by_value
      - .offset:         12
        .size:           4
        .value_kind:     by_value
      - .address_space:  global
        .offset:         16
        .size:           8
        .value_kind:     global_buffer
      - .offset:         24
        .size:           4
        .value_kind:     by_value
      - .offset:         32
        .size:           8
        .value_kind:     by_value
      - .address_space:  global
        .offset:         40
        .size:           8
        .value_kind:     global_buffer
      - .offset:         48
        .size:           4
        .value_kind:     by_value
      - .offset:         56
        .size:           8
        .value_kind:     by_value
      - .offset:         64
        .size:           4
        .value_kind:     by_value
      - .address_space:  global
        .offset:         72
        .size:           8
        .value_kind:     global_buffer
      - .offset:         80
        .size:           4
        .value_kind:     by_value
      - .offset:         88
        .size:           8
        .value_kind:     by_value
      - .address_space:  global
        .offset:         96
        .size:           8
        .value_kind:     global_buffer
      - .offset:         104
        .size:           4
        .value_kind:     by_value
      - .offset:         112
        .size:           8
        .value_kind:     by_value
      - .offset:         120
        .size:           4
        .value_kind:     by_value
      - .offset:         124
        .size:           4
        .value_kind:     by_value
    .group_segment_fixed_size: 10240
    .kernarg_segment_align: 8
    .kernarg_segment_size: 128
    .language:       OpenCL C
    .language_version:
      - 2
      - 0
    .max_flat_workgroup_size: 256
    .name:           _ZN12_GLOBAL__N_120geam_min_plus_kernelIf15HIP_vector_typeIfLj2EEfLi32ELi8ELi256ELi64ELi4ELi64ELi4ELi4ELi64ELc78ELc78ELb1ELb1ELb1EfKffEEviiiT16_PT17_ilS6_ilS4_S6_ilPT18_ili26rocblas_geam_ex_operation_
    .private_segment_fixed_size: 0
    .sgpr_count:     30
    .sgpr_spill_count: 0
    .symbol:         _ZN12_GLOBAL__N_120geam_min_plus_kernelIf15HIP_vector_typeIfLj2EEfLi32ELi8ELi256ELi64ELi4ELi64ELi4ELi4ELi64ELc78ELc78ELb1ELb1ELb1EfKffEEviiiT16_PT17_ilS6_ilS4_S6_ilPT18_ili26rocblas_geam_ex_operation_.kd
    .uniform_work_group_size: 1
    .uses_dynamic_stack: false
    .vgpr_count:     157
    .vgpr_spill_count: 0
    .wavefront_size: 32
    .workgroup_processor_mode: 1
  - .args:
      - .offset:         0
        .size:           4
        .value_kind:     by_value
      - .offset:         4
        .size:           4
        .value_kind:     by_value
      - .offset:         8
        .size:           4
        .value_kind:     by_value
      - .offset:         12
        .size:           4
        .value_kind:     by_value
      - .address_space:  global
        .offset:         16
        .size:           8
        .value_kind:     global_buffer
      - .offset:         24
        .size:           4
        .value_kind:     by_value
      - .offset:         32
        .size:           8
        .value_kind:     by_value
      - .address_space:  global
        .offset:         40
        .size:           8
        .value_kind:     global_buffer
      - .offset:         48
        .size:           4
        .value_kind:     by_value
      - .offset:         56
        .size:           8
        .value_kind:     by_value
      - .offset:         64
        .size:           4
        .value_kind:     by_value
      - .address_space:  global
        .offset:         72
        .size:           8
        .value_kind:     global_buffer
      - .offset:         80
        .size:           4
        .value_kind:     by_value
      - .offset:         88
        .size:           8
        .value_kind:     by_value
      - .address_space:  global
        .offset:         96
        .size:           8
        .value_kind:     global_buffer
      - .offset:         104
        .size:           4
        .value_kind:     by_value
      - .offset:         112
        .size:           8
        .value_kind:     by_value
      - .offset:         120
        .size:           4
        .value_kind:     by_value
      - .offset:         124
        .size:           4
        .value_kind:     by_value
    .group_segment_fixed_size: 10240
    .kernarg_segment_align: 8
    .kernarg_segment_size: 128
    .language:       OpenCL C
    .language_version:
      - 2
      - 0
    .max_flat_workgroup_size: 256
    .name:           _ZN12_GLOBAL__N_120geam_min_plus_kernelIf15HIP_vector_typeIfLj2EEfLi32ELi8ELi256ELi64ELi4ELi64ELi4ELi4ELi64ELc78ELc78ELb0ELb1ELb1EfKffEEviiiT16_PT17_ilS6_ilS4_S6_ilPT18_ili26rocblas_geam_ex_operation_
    .private_segment_fixed_size: 0
    .sgpr_count:     32
    .sgpr_spill_count: 0
    .symbol:         _ZN12_GLOBAL__N_120geam_min_plus_kernelIf15HIP_vector_typeIfLj2EEfLi32ELi8ELi256ELi64ELi4ELi64ELi4ELi4ELi64ELc78ELc78ELb0ELb1ELb1EfKffEEviiiT16_PT17_ilS6_ilS4_S6_ilPT18_ili26rocblas_geam_ex_operation_.kd
    .uniform_work_group_size: 1
    .uses_dynamic_stack: false
    .vgpr_count:     158
    .vgpr_spill_count: 0
    .wavefront_size: 32
    .workgroup_processor_mode: 1
  - .args:
      - .offset:         0
        .size:           4
        .value_kind:     by_value
      - .offset:         4
        .size:           4
        .value_kind:     by_value
      - .offset:         8
        .size:           4
        .value_kind:     by_value
      - .address_space:  global
        .offset:         16
        .size:           8
        .value_kind:     global_buffer
      - .address_space:  global
        .offset:         24
        .size:           8
        .value_kind:     global_buffer
      - .offset:         32
        .size:           4
        .value_kind:     by_value
      - .offset:         40
        .size:           8
        .value_kind:     by_value
      - .address_space:  global
        .offset:         48
        .size:           8
        .value_kind:     global_buffer
      - .offset:         56
        .size:           4
        .value_kind:     by_value
      - .offset:         64
        .size:           8
        .value_kind:     by_value
      - .address_space:  global
        .offset:         72
        .size:           8
        .value_kind:     global_buffer
      - .address_space:  global
        .offset:         80
        .size:           8
        .value_kind:     global_buffer
      - .offset:         88
        .size:           4
        .value_kind:     by_value
      - .offset:         96
        .size:           8
        .value_kind:     by_value
      - .address_space:  global
        .offset:         104
        .size:           8
        .value_kind:     global_buffer
      - .offset:         112
        .size:           4
        .value_kind:     by_value
      - .offset:         120
        .size:           8
        .value_kind:     by_value
      - .offset:         128
        .size:           4
        .value_kind:     by_value
      - .offset:         132
        .size:           4
        .value_kind:     by_value
    .group_segment_fixed_size: 8192
    .kernarg_segment_align: 8
    .kernarg_segment_size: 136
    .language:       OpenCL C
    .language_version:
      - 2
      - 0
    .max_flat_workgroup_size: 256
    .name:           _ZN12_GLOBAL__N_120geam_min_plus_kernelIf15HIP_vector_typeIfLj2EEfLi32ELi8ELi128ELi128ELi4ELi4ELi64ELi4ELi64ELc84ELc78ELb0ELb0ELb1EPKfS3_fEEviiiT16_PT17_ilS7_ilS5_S7_ilPT18_ili26rocblas_geam_ex_operation_
    .private_segment_fixed_size: 0
    .sgpr_count:     26
    .sgpr_spill_count: 0
    .symbol:         _ZN12_GLOBAL__N_120geam_min_plus_kernelIf15HIP_vector_typeIfLj2EEfLi32ELi8ELi128ELi128ELi4ELi4ELi64ELi4ELi64ELc84ELc78ELb0ELb0ELb1EPKfS3_fEEviiiT16_PT17_ilS7_ilS5_S7_ilPT18_ili26rocblas_geam_ex_operation_.kd
    .uniform_work_group_size: 1
    .uses_dynamic_stack: false
    .vgpr_count:     177
    .vgpr_spill_count: 0
    .wavefront_size: 32
    .workgroup_processor_mode: 1
  - .args:
      - .offset:         0
        .size:           4
        .value_kind:     by_value
      - .offset:         4
        .size:           4
        .value_kind:     by_value
      - .offset:         8
        .size:           4
        .value_kind:     by_value
      - .offset:         12
        .size:           4
        .value_kind:     by_value
      - .address_space:  global
        .offset:         16
        .size:           8
        .value_kind:     global_buffer
      - .offset:         24
        .size:           4
        .value_kind:     by_value
      - .offset:         32
        .size:           8
        .value_kind:     by_value
      - .address_space:  global
        .offset:         40
        .size:           8
        .value_kind:     global_buffer
      - .offset:         48
        .size:           4
        .value_kind:     by_value
      - .offset:         56
        .size:           8
        .value_kind:     by_value
      - .offset:         64
        .size:           4
        .value_kind:     by_value
      - .address_space:  global
        .offset:         72
        .size:           8
        .value_kind:     global_buffer
      - .offset:         80
        .size:           4
        .value_kind:     by_value
      - .offset:         88
        .size:           8
        .value_kind:     by_value
      - .address_space:  global
        .offset:         96
        .size:           8
        .value_kind:     global_buffer
      - .offset:         104
        .size:           4
        .value_kind:     by_value
      - .offset:         112
        .size:           8
        .value_kind:     by_value
      - .offset:         120
        .size:           4
        .value_kind:     by_value
      - .offset:         124
        .size:           4
        .value_kind:     by_value
    .group_segment_fixed_size: 8192
    .kernarg_segment_align: 8
    .kernarg_segment_size: 128
    .language:       OpenCL C
    .language_version:
      - 2
      - 0
    .max_flat_workgroup_size: 256
    .name:           _ZN12_GLOBAL__N_120geam_min_plus_kernelIf15HIP_vector_typeIfLj2EEfLi32ELi8ELi128ELi128ELi4ELi4ELi64ELi4ELi64ELc84ELc78ELb1ELb0ELb1EfKffEEviiiT16_PT17_ilS6_ilS4_S6_ilPT18_ili26rocblas_geam_ex_operation_
    .private_segment_fixed_size: 0
    .sgpr_count:     24
    .sgpr_spill_count: 0
    .symbol:         _ZN12_GLOBAL__N_120geam_min_plus_kernelIf15HIP_vector_typeIfLj2EEfLi32ELi8ELi128ELi128ELi4ELi4ELi64ELi4ELi64ELc84ELc78ELb1ELb0ELb1EfKffEEviiiT16_PT17_ilS6_ilS4_S6_ilPT18_ili26rocblas_geam_ex_operation_.kd
    .uniform_work_group_size: 1
    .uses_dynamic_stack: false
    .vgpr_count:     187
    .vgpr_spill_count: 0
    .wavefront_size: 32
    .workgroup_processor_mode: 1
  - .args:
      - .offset:         0
        .size:           4
        .value_kind:     by_value
      - .offset:         4
        .size:           4
        .value_kind:     by_value
      - .offset:         8
        .size:           4
        .value_kind:     by_value
      - .offset:         12
        .size:           4
        .value_kind:     by_value
      - .address_space:  global
        .offset:         16
        .size:           8
        .value_kind:     global_buffer
      - .offset:         24
        .size:           4
        .value_kind:     by_value
      - .offset:         32
        .size:           8
        .value_kind:     by_value
      - .address_space:  global
        .offset:         40
        .size:           8
        .value_kind:     global_buffer
      - .offset:         48
        .size:           4
        .value_kind:     by_value
      - .offset:         56
        .size:           8
        .value_kind:     by_value
      - .offset:         64
        .size:           4
        .value_kind:     by_value
      - .address_space:  global
        .offset:         72
        .size:           8
        .value_kind:     global_buffer
      - .offset:         80
        .size:           4
        .value_kind:     by_value
      - .offset:         88
        .size:           8
        .value_kind:     by_value
      - .address_space:  global
        .offset:         96
        .size:           8
        .value_kind:     global_buffer
      - .offset:         104
        .size:           4
        .value_kind:     by_value
      - .offset:         112
        .size:           8
        .value_kind:     by_value
      - .offset:         120
        .size:           4
        .value_kind:     by_value
      - .offset:         124
        .size:           4
        .value_kind:     by_value
    .group_segment_fixed_size: 8192
    .kernarg_segment_align: 8
    .kernarg_segment_size: 128
    .language:       OpenCL C
    .language_version:
      - 2
      - 0
    .max_flat_workgroup_size: 256
    .name:           _ZN12_GLOBAL__N_120geam_min_plus_kernelIf15HIP_vector_typeIfLj2EEfLi32ELi8ELi128ELi128ELi4ELi4ELi64ELi4ELi64ELc84ELc78ELb0ELb0ELb1EfKffEEviiiT16_PT17_ilS6_ilS4_S6_ilPT18_ili26rocblas_geam_ex_operation_
    .private_segment_fixed_size: 0
    .sgpr_count:     26
    .sgpr_spill_count: 0
    .symbol:         _ZN12_GLOBAL__N_120geam_min_plus_kernelIf15HIP_vector_typeIfLj2EEfLi32ELi8ELi128ELi128ELi4ELi4ELi64ELi4ELi64ELc84ELc78ELb0ELb0ELb1EfKffEEviiiT16_PT17_ilS6_ilS4_S6_ilPT18_ili26rocblas_geam_ex_operation_.kd
    .uniform_work_group_size: 1
    .uses_dynamic_stack: false
    .vgpr_count:     177
    .vgpr_spill_count: 0
    .wavefront_size: 32
    .workgroup_processor_mode: 1
  - .args:
      - .offset:         0
        .size:           4
        .value_kind:     by_value
      - .offset:         4
        .size:           4
        .value_kind:     by_value
      - .offset:         8
        .size:           4
        .value_kind:     by_value
      - .address_space:  global
        .offset:         16
        .size:           8
        .value_kind:     global_buffer
      - .address_space:  global
        .offset:         24
        .size:           8
        .value_kind:     global_buffer
      - .offset:         32
        .size:           4
        .value_kind:     by_value
      - .offset:         40
        .size:           8
        .value_kind:     by_value
      - .address_space:  global
        .offset:         48
        .size:           8
        .value_kind:     global_buffer
      - .offset:         56
        .size:           4
        .value_kind:     by_value
      - .offset:         64
        .size:           8
        .value_kind:     by_value
      - .address_space:  global
        .offset:         72
        .size:           8
        .value_kind:     global_buffer
      - .address_space:  global
        .offset:         80
        .size:           8
        .value_kind:     global_buffer
      - .offset:         88
        .size:           4
        .value_kind:     by_value
      - .offset:         96
        .size:           8
        .value_kind:     by_value
      - .address_space:  global
        .offset:         104
        .size:           8
        .value_kind:     global_buffer
      - .offset:         112
        .size:           4
        .value_kind:     by_value
      - .offset:         120
        .size:           8
        .value_kind:     by_value
      - .offset:         128
        .size:           4
        .value_kind:     by_value
      - .offset:         132
        .size:           4
        .value_kind:     by_value
    .group_segment_fixed_size: 8192
    .kernarg_segment_align: 8
    .kernarg_segment_size: 136
    .language:       OpenCL C
    .language_version:
      - 2
      - 0
    .max_flat_workgroup_size: 256
    .name:           _ZN12_GLOBAL__N_120geam_min_plus_kernelIf15HIP_vector_typeIfLj2EEfLi32ELi8ELi128ELi128ELi4ELi4ELi64ELi4ELi64ELc84ELc78ELb0ELb1ELb1EPKfS3_fEEviiiT16_PT17_ilS7_ilS5_S7_ilPT18_ili26rocblas_geam_ex_operation_
    .private_segment_fixed_size: 0
    .sgpr_count:     31
    .sgpr_spill_count: 0
    .symbol:         _ZN12_GLOBAL__N_120geam_min_plus_kernelIf15HIP_vector_typeIfLj2EEfLi32ELi8ELi128ELi128ELi4ELi4ELi64ELi4ELi64ELc84ELc78ELb0ELb1ELb1EPKfS3_fEEviiiT16_PT17_ilS7_ilS5_S7_ilPT18_ili26rocblas_geam_ex_operation_.kd
    .uniform_work_group_size: 1
    .uses_dynamic_stack: false
    .vgpr_count:     176
    .vgpr_spill_count: 0
    .wavefront_size: 32
    .workgroup_processor_mode: 1
  - .args:
      - .offset:         0
        .size:           4
        .value_kind:     by_value
      - .offset:         4
        .size:           4
        .value_kind:     by_value
      - .offset:         8
        .size:           4
        .value_kind:     by_value
      - .offset:         12
        .size:           4
        .value_kind:     by_value
      - .address_space:  global
        .offset:         16
        .size:           8
        .value_kind:     global_buffer
      - .offset:         24
        .size:           4
        .value_kind:     by_value
      - .offset:         32
        .size:           8
        .value_kind:     by_value
      - .address_space:  global
        .offset:         40
        .size:           8
        .value_kind:     global_buffer
      - .offset:         48
        .size:           4
        .value_kind:     by_value
      - .offset:         56
        .size:           8
        .value_kind:     by_value
      - .offset:         64
        .size:           4
        .value_kind:     by_value
      - .address_space:  global
        .offset:         72
        .size:           8
        .value_kind:     global_buffer
      - .offset:         80
        .size:           4
        .value_kind:     by_value
      - .offset:         88
        .size:           8
        .value_kind:     by_value
      - .address_space:  global
        .offset:         96
        .size:           8
        .value_kind:     global_buffer
      - .offset:         104
        .size:           4
        .value_kind:     by_value
      - .offset:         112
        .size:           8
        .value_kind:     by_value
      - .offset:         120
        .size:           4
        .value_kind:     by_value
      - .offset:         124
        .size:           4
        .value_kind:     by_value
    .group_segment_fixed_size: 8192
    .kernarg_segment_align: 8
    .kernarg_segment_size: 128
    .language:       OpenCL C
    .language_version:
      - 2
      - 0
    .max_flat_workgroup_size: 256
    .name:           _ZN12_GLOBAL__N_120geam_min_plus_kernelIf15HIP_vector_typeIfLj2EEfLi32ELi8ELi128ELi128ELi4ELi4ELi64ELi4ELi64ELc84ELc78ELb1ELb1ELb1EfKffEEviiiT16_PT17_ilS6_ilS4_S6_ilPT18_ili26rocblas_geam_ex_operation_
    .private_segment_fixed_size: 0
    .sgpr_count:     28
    .sgpr_spill_count: 0
    .symbol:         _ZN12_GLOBAL__N_120geam_min_plus_kernelIf15HIP_vector_typeIfLj2EEfLi32ELi8ELi128ELi128ELi4ELi4ELi64ELi4ELi64ELc84ELc78ELb1ELb1ELb1EfKffEEviiiT16_PT17_ilS6_ilS4_S6_ilPT18_ili26rocblas_geam_ex_operation_.kd
    .uniform_work_group_size: 1
    .uses_dynamic_stack: false
    .vgpr_count:     177
    .vgpr_spill_count: 0
    .wavefront_size: 32
    .workgroup_processor_mode: 1
  - .args:
      - .offset:         0
        .size:           4
        .value_kind:     by_value
      - .offset:         4
        .size:           4
        .value_kind:     by_value
      - .offset:         8
        .size:           4
        .value_kind:     by_value
      - .offset:         12
        .size:           4
        .value_kind:     by_value
      - .address_space:  global
        .offset:         16
        .size:           8
        .value_kind:     global_buffer
      - .offset:         24
        .size:           4
        .value_kind:     by_value
      - .offset:         32
        .size:           8
        .value_kind:     by_value
      - .address_space:  global
        .offset:         40
        .size:           8
        .value_kind:     global_buffer
      - .offset:         48
        .size:           4
        .value_kind:     by_value
      - .offset:         56
        .size:           8
        .value_kind:     by_value
      - .offset:         64
        .size:           4
        .value_kind:     by_value
      - .address_space:  global
        .offset:         72
        .size:           8
        .value_kind:     global_buffer
      - .offset:         80
        .size:           4
        .value_kind:     by_value
      - .offset:         88
        .size:           8
        .value_kind:     by_value
      - .address_space:  global
        .offset:         96
        .size:           8
        .value_kind:     global_buffer
      - .offset:         104
        .size:           4
        .value_kind:     by_value
      - .offset:         112
        .size:           8
        .value_kind:     by_value
      - .offset:         120
        .size:           4
        .value_kind:     by_value
      - .offset:         124
        .size:           4
        .value_kind:     by_value
    .group_segment_fixed_size: 8192
    .kernarg_segment_align: 8
    .kernarg_segment_size: 128
    .language:       OpenCL C
    .language_version:
      - 2
      - 0
    .max_flat_workgroup_size: 256
    .name:           _ZN12_GLOBAL__N_120geam_min_plus_kernelIf15HIP_vector_typeIfLj2EEfLi32ELi8ELi128ELi128ELi4ELi4ELi64ELi4ELi64ELc84ELc78ELb0ELb1ELb1EfKffEEviiiT16_PT17_ilS6_ilS4_S6_ilPT18_ili26rocblas_geam_ex_operation_
    .private_segment_fixed_size: 0
    .sgpr_count:     31
    .sgpr_spill_count: 0
    .symbol:         _ZN12_GLOBAL__N_120geam_min_plus_kernelIf15HIP_vector_typeIfLj2EEfLi32ELi8ELi128ELi128ELi4ELi4ELi64ELi4ELi64ELc84ELc78ELb0ELb1ELb1EfKffEEviiiT16_PT17_ilS6_ilS4_S6_ilPT18_ili26rocblas_geam_ex_operation_.kd
    .uniform_work_group_size: 1
    .uses_dynamic_stack: false
    .vgpr_count:     176
    .vgpr_spill_count: 0
    .wavefront_size: 32
    .workgroup_processor_mode: 1
  - .args:
      - .offset:         0
        .size:           4
        .value_kind:     by_value
      - .offset:         4
        .size:           4
        .value_kind:     by_value
      - .offset:         8
        .size:           4
        .value_kind:     by_value
      - .address_space:  global
        .offset:         16
        .size:           8
        .value_kind:     global_buffer
      - .address_space:  global
        .offset:         24
        .size:           8
        .value_kind:     global_buffer
      - .offset:         32
        .size:           4
        .value_kind:     by_value
      - .offset:         40
        .size:           8
        .value_kind:     by_value
      - .address_space:  global
        .offset:         48
        .size:           8
        .value_kind:     global_buffer
      - .offset:         56
        .size:           4
        .value_kind:     by_value
      - .offset:         64
        .size:           8
        .value_kind:     by_value
      - .address_space:  global
        .offset:         72
        .size:           8
        .value_kind:     global_buffer
      - .address_space:  global
        .offset:         80
        .size:           8
        .value_kind:     global_buffer
      - .offset:         88
        .size:           4
        .value_kind:     by_value
      - .offset:         96
        .size:           8
        .value_kind:     by_value
      - .address_space:  global
        .offset:         104
        .size:           8
        .value_kind:     global_buffer
      - .offset:         112
        .size:           4
        .value_kind:     by_value
      - .offset:         120
        .size:           8
        .value_kind:     by_value
      - .offset:         128
        .size:           4
        .value_kind:     by_value
      - .offset:         132
        .size:           4
        .value_kind:     by_value
    .group_segment_fixed_size: 10240
    .kernarg_segment_align: 8
    .kernarg_segment_size: 136
    .language:       OpenCL C
    .language_version:
      - 2
      - 0
    .max_flat_workgroup_size: 256
    .name:           _ZN12_GLOBAL__N_120geam_min_plus_kernelIf15HIP_vector_typeIfLj2EEfLi8ELi32ELi64ELi256ELi4ELi64ELi4ELi64ELi4ELc78ELc84ELb0ELb0ELb1EPKfS3_fEEviiiT16_PT17_ilS7_ilS5_S7_ilPT18_ili26rocblas_geam_ex_operation_
    .private_segment_fixed_size: 0
    .sgpr_count:     27
    .sgpr_spill_count: 0
    .symbol:         _ZN12_GLOBAL__N_120geam_min_plus_kernelIf15HIP_vector_typeIfLj2EEfLi8ELi32ELi64ELi256ELi4ELi64ELi4ELi64ELi4ELc78ELc84ELb0ELb0ELb1EPKfS3_fEEviiiT16_PT17_ilS7_ilS5_S7_ilPT18_ili26rocblas_geam_ex_operation_.kd
    .uniform_work_group_size: 1
    .uses_dynamic_stack: false
    .vgpr_count:     171
    .vgpr_spill_count: 0
    .wavefront_size: 32
    .workgroup_processor_mode: 1
  - .args:
      - .offset:         0
        .size:           4
        .value_kind:     by_value
      - .offset:         4
        .size:           4
        .value_kind:     by_value
      - .offset:         8
        .size:           4
        .value_kind:     by_value
      - .offset:         12
        .size:           4
        .value_kind:     by_value
      - .address_space:  global
        .offset:         16
        .size:           8
        .value_kind:     global_buffer
      - .offset:         24
        .size:           4
        .value_kind:     by_value
      - .offset:         32
        .size:           8
        .value_kind:     by_value
      - .address_space:  global
        .offset:         40
        .size:           8
        .value_kind:     global_buffer
      - .offset:         48
        .size:           4
        .value_kind:     by_value
      - .offset:         56
        .size:           8
        .value_kind:     by_value
      - .offset:         64
        .size:           4
        .value_kind:     by_value
      - .address_space:  global
        .offset:         72
        .size:           8
        .value_kind:     global_buffer
      - .offset:         80
        .size:           4
        .value_kind:     by_value
      - .offset:         88
        .size:           8
        .value_kind:     by_value
      - .address_space:  global
        .offset:         96
        .size:           8
        .value_kind:     global_buffer
      - .offset:         104
        .size:           4
        .value_kind:     by_value
      - .offset:         112
        .size:           8
        .value_kind:     by_value
      - .offset:         120
        .size:           4
        .value_kind:     by_value
      - .offset:         124
        .size:           4
        .value_kind:     by_value
    .group_segment_fixed_size: 10240
    .kernarg_segment_align: 8
    .kernarg_segment_size: 128
    .language:       OpenCL C
    .language_version:
      - 2
      - 0
    .max_flat_workgroup_size: 256
    .name:           _ZN12_GLOBAL__N_120geam_min_plus_kernelIf15HIP_vector_typeIfLj2EEfLi8ELi32ELi64ELi256ELi4ELi64ELi4ELi64ELi4ELc78ELc84ELb1ELb0ELb1EfKffEEviiiT16_PT17_ilS6_ilS4_S6_ilPT18_ili26rocblas_geam_ex_operation_
    .private_segment_fixed_size: 0
    .sgpr_count:     24
    .sgpr_spill_count: 0
    .symbol:         _ZN12_GLOBAL__N_120geam_min_plus_kernelIf15HIP_vector_typeIfLj2EEfLi8ELi32ELi64ELi256ELi4ELi64ELi4ELi64ELi4ELc78ELc84ELb1ELb0ELb1EfKffEEviiiT16_PT17_ilS6_ilS4_S6_ilPT18_ili26rocblas_geam_ex_operation_.kd
    .uniform_work_group_size: 1
    .uses_dynamic_stack: false
    .vgpr_count:     178
    .vgpr_spill_count: 0
    .wavefront_size: 32
    .workgroup_processor_mode: 1
  - .args:
      - .offset:         0
        .size:           4
        .value_kind:     by_value
      - .offset:         4
        .size:           4
        .value_kind:     by_value
      - .offset:         8
        .size:           4
        .value_kind:     by_value
      - .offset:         12
        .size:           4
        .value_kind:     by_value
      - .address_space:  global
        .offset:         16
        .size:           8
        .value_kind:     global_buffer
      - .offset:         24
        .size:           4
        .value_kind:     by_value
      - .offset:         32
        .size:           8
        .value_kind:     by_value
      - .address_space:  global
        .offset:         40
        .size:           8
        .value_kind:     global_buffer
      - .offset:         48
        .size:           4
        .value_kind:     by_value
      - .offset:         56
        .size:           8
        .value_kind:     by_value
      - .offset:         64
        .size:           4
        .value_kind:     by_value
      - .address_space:  global
        .offset:         72
        .size:           8
        .value_kind:     global_buffer
      - .offset:         80
        .size:           4
        .value_kind:     by_value
      - .offset:         88
        .size:           8
        .value_kind:     by_value
      - .address_space:  global
        .offset:         96
        .size:           8
        .value_kind:     global_buffer
      - .offset:         104
        .size:           4
        .value_kind:     by_value
      - .offset:         112
        .size:           8
        .value_kind:     by_value
      - .offset:         120
        .size:           4
        .value_kind:     by_value
      - .offset:         124
        .size:           4
        .value_kind:     by_value
    .group_segment_fixed_size: 10240
    .kernarg_segment_align: 8
    .kernarg_segment_size: 128
    .language:       OpenCL C
    .language_version:
      - 2
      - 0
    .max_flat_workgroup_size: 256
    .name:           _ZN12_GLOBAL__N_120geam_min_plus_kernelIf15HIP_vector_typeIfLj2EEfLi8ELi32ELi64ELi256ELi4ELi64ELi4ELi64ELi4ELc78ELc84ELb0ELb0ELb1EfKffEEviiiT16_PT17_ilS6_ilS4_S6_ilPT18_ili26rocblas_geam_ex_operation_
    .private_segment_fixed_size: 0
    .sgpr_count:     28
    .sgpr_spill_count: 0
    .symbol:         _ZN12_GLOBAL__N_120geam_min_plus_kernelIf15HIP_vector_typeIfLj2EEfLi8ELi32ELi64ELi256ELi4ELi64ELi4ELi64ELi4ELc78ELc84ELb0ELb0ELb1EfKffEEviiiT16_PT17_ilS6_ilS4_S6_ilPT18_ili26rocblas_geam_ex_operation_.kd
    .uniform_work_group_size: 1
    .uses_dynamic_stack: false
    .vgpr_count:     171
    .vgpr_spill_count: 0
    .wavefront_size: 32
    .workgroup_processor_mode: 1
  - .args:
      - .offset:         0
        .size:           4
        .value_kind:     by_value
      - .offset:         4
        .size:           4
        .value_kind:     by_value
      - .offset:         8
        .size:           4
        .value_kind:     by_value
      - .address_space:  global
        .offset:         16
        .size:           8
        .value_kind:     global_buffer
      - .address_space:  global
        .offset:         24
        .size:           8
        .value_kind:     global_buffer
      - .offset:         32
        .size:           4
        .value_kind:     by_value
      - .offset:         40
        .size:           8
        .value_kind:     by_value
      - .address_space:  global
        .offset:         48
        .size:           8
        .value_kind:     global_buffer
      - .offset:         56
        .size:           4
        .value_kind:     by_value
      - .offset:         64
        .size:           8
        .value_kind:     by_value
      - .address_space:  global
        .offset:         72
        .size:           8
        .value_kind:     global_buffer
      - .address_space:  global
        .offset:         80
        .size:           8
        .value_kind:     global_buffer
      - .offset:         88
        .size:           4
        .value_kind:     by_value
      - .offset:         96
        .size:           8
        .value_kind:     by_value
      - .address_space:  global
        .offset:         104
        .size:           8
        .value_kind:     global_buffer
      - .offset:         112
        .size:           4
        .value_kind:     by_value
      - .offset:         120
        .size:           8
        .value_kind:     by_value
      - .offset:         128
        .size:           4
        .value_kind:     by_value
      - .offset:         132
        .size:           4
        .value_kind:     by_value
    .group_segment_fixed_size: 10240
    .kernarg_segment_align: 8
    .kernarg_segment_size: 136
    .language:       OpenCL C
    .language_version:
      - 2
      - 0
    .max_flat_workgroup_size: 256
    .name:           _ZN12_GLOBAL__N_120geam_min_plus_kernelIf15HIP_vector_typeIfLj2EEfLi8ELi32ELi64ELi256ELi4ELi64ELi4ELi64ELi4ELc78ELc84ELb0ELb1ELb1EPKfS3_fEEviiiT16_PT17_ilS7_ilS5_S7_ilPT18_ili26rocblas_geam_ex_operation_
    .private_segment_fixed_size: 0
    .sgpr_count:     34
    .sgpr_spill_count: 0
    .symbol:         _ZN12_GLOBAL__N_120geam_min_plus_kernelIf15HIP_vector_typeIfLj2EEfLi8ELi32ELi64ELi256ELi4ELi64ELi4ELi64ELi4ELc78ELc84ELb0ELb1ELb1EPKfS3_fEEviiiT16_PT17_ilS7_ilS5_S7_ilPT18_ili26rocblas_geam_ex_operation_.kd
    .uniform_work_group_size: 1
    .uses_dynamic_stack: false
    .vgpr_count:     155
    .vgpr_spill_count: 0
    .wavefront_size: 32
    .workgroup_processor_mode: 1
  - .args:
      - .offset:         0
        .size:           4
        .value_kind:     by_value
      - .offset:         4
        .size:           4
        .value_kind:     by_value
      - .offset:         8
        .size:           4
        .value_kind:     by_value
      - .offset:         12
        .size:           4
        .value_kind:     by_value
      - .address_space:  global
        .offset:         16
        .size:           8
        .value_kind:     global_buffer
      - .offset:         24
        .size:           4
        .value_kind:     by_value
      - .offset:         32
        .size:           8
        .value_kind:     by_value
      - .address_space:  global
        .offset:         40
        .size:           8
        .value_kind:     global_buffer
      - .offset:         48
        .size:           4
        .value_kind:     by_value
      - .offset:         56
        .size:           8
        .value_kind:     by_value
      - .offset:         64
        .size:           4
        .value_kind:     by_value
      - .address_space:  global
        .offset:         72
        .size:           8
        .value_kind:     global_buffer
      - .offset:         80
        .size:           4
        .value_kind:     by_value
      - .offset:         88
        .size:           8
        .value_kind:     by_value
      - .address_space:  global
        .offset:         96
        .size:           8
        .value_kind:     global_buffer
      - .offset:         104
        .size:           4
        .value_kind:     by_value
      - .offset:         112
        .size:           8
        .value_kind:     by_value
      - .offset:         120
        .size:           4
        .value_kind:     by_value
      - .offset:         124
        .size:           4
        .value_kind:     by_value
    .group_segment_fixed_size: 10240
    .kernarg_segment_align: 8
    .kernarg_segment_size: 128
    .language:       OpenCL C
    .language_version:
      - 2
      - 0
    .max_flat_workgroup_size: 256
    .name:           _ZN12_GLOBAL__N_120geam_min_plus_kernelIf15HIP_vector_typeIfLj2EEfLi8ELi32ELi64ELi256ELi4ELi64ELi4ELi64ELi4ELc78ELc84ELb1ELb1ELb1EfKffEEviiiT16_PT17_ilS6_ilS4_S6_ilPT18_ili26rocblas_geam_ex_operation_
    .private_segment_fixed_size: 0
    .sgpr_count:     31
    .sgpr_spill_count: 0
    .symbol:         _ZN12_GLOBAL__N_120geam_min_plus_kernelIf15HIP_vector_typeIfLj2EEfLi8ELi32ELi64ELi256ELi4ELi64ELi4ELi64ELi4ELc78ELc84ELb1ELb1ELb1EfKffEEviiiT16_PT17_ilS6_ilS4_S6_ilPT18_ili26rocblas_geam_ex_operation_.kd
    .uniform_work_group_size: 1
    .uses_dynamic_stack: false
    .vgpr_count:     159
    .vgpr_spill_count: 0
    .wavefront_size: 32
    .workgroup_processor_mode: 1
  - .args:
      - .offset:         0
        .size:           4
        .value_kind:     by_value
      - .offset:         4
        .size:           4
        .value_kind:     by_value
      - .offset:         8
        .size:           4
        .value_kind:     by_value
      - .offset:         12
        .size:           4
        .value_kind:     by_value
      - .address_space:  global
        .offset:         16
        .size:           8
        .value_kind:     global_buffer
      - .offset:         24
        .size:           4
        .value_kind:     by_value
      - .offset:         32
        .size:           8
        .value_kind:     by_value
      - .address_space:  global
        .offset:         40
        .size:           8
        .value_kind:     global_buffer
      - .offset:         48
        .size:           4
        .value_kind:     by_value
      - .offset:         56
        .size:           8
        .value_kind:     by_value
      - .offset:         64
        .size:           4
        .value_kind:     by_value
      - .address_space:  global
        .offset:         72
        .size:           8
        .value_kind:     global_buffer
      - .offset:         80
        .size:           4
        .value_kind:     by_value
      - .offset:         88
        .size:           8
        .value_kind:     by_value
      - .address_space:  global
        .offset:         96
        .size:           8
        .value_kind:     global_buffer
      - .offset:         104
        .size:           4
        .value_kind:     by_value
      - .offset:         112
        .size:           8
        .value_kind:     by_value
      - .offset:         120
        .size:           4
        .value_kind:     by_value
      - .offset:         124
        .size:           4
        .value_kind:     by_value
    .group_segment_fixed_size: 10240
    .kernarg_segment_align: 8
    .kernarg_segment_size: 128
    .language:       OpenCL C
    .language_version:
      - 2
      - 0
    .max_flat_workgroup_size: 256
    .name:           _ZN12_GLOBAL__N_120geam_min_plus_kernelIf15HIP_vector_typeIfLj2EEfLi8ELi32ELi64ELi256ELi4ELi64ELi4ELi64ELi4ELc78ELc84ELb0ELb1ELb1EfKffEEviiiT16_PT17_ilS6_ilS4_S6_ilPT18_ili26rocblas_geam_ex_operation_
    .private_segment_fixed_size: 0
    .sgpr_count:     34
    .sgpr_spill_count: 0
    .symbol:         _ZN12_GLOBAL__N_120geam_min_plus_kernelIf15HIP_vector_typeIfLj2EEfLi8ELi32ELi64ELi256ELi4ELi64ELi4ELi64ELi4ELc78ELc84ELb0ELb1ELb1EfKffEEviiiT16_PT17_ilS6_ilS4_S6_ilPT18_ili26rocblas_geam_ex_operation_.kd
    .uniform_work_group_size: 1
    .uses_dynamic_stack: false
    .vgpr_count:     155
    .vgpr_spill_count: 0
    .wavefront_size: 32
    .workgroup_processor_mode: 1
  - .args:
      - .offset:         0
        .size:           4
        .value_kind:     by_value
      - .offset:         4
        .size:           4
        .value_kind:     by_value
      - .offset:         8
        .size:           4
        .value_kind:     by_value
      - .address_space:  global
        .offset:         16
        .size:           8
        .value_kind:     global_buffer
      - .address_space:  global
        .offset:         24
        .size:           8
        .value_kind:     global_buffer
      - .offset:         32
        .size:           4
        .value_kind:     by_value
      - .offset:         40
        .size:           8
        .value_kind:     by_value
      - .address_space:  global
        .offset:         48
        .size:           8
        .value_kind:     global_buffer
      - .offset:         56
        .size:           4
        .value_kind:     by_value
      - .offset:         64
        .size:           8
        .value_kind:     by_value
      - .address_space:  global
        .offset:         72
        .size:           8
        .value_kind:     global_buffer
      - .address_space:  global
        .offset:         80
        .size:           8
        .value_kind:     global_buffer
      - .offset:         88
        .size:           4
        .value_kind:     by_value
      - .offset:         96
        .size:           8
        .value_kind:     by_value
      - .address_space:  global
        .offset:         104
        .size:           8
        .value_kind:     global_buffer
      - .offset:         112
        .size:           4
        .value_kind:     by_value
      - .offset:         120
        .size:           8
        .value_kind:     by_value
      - .offset:         128
        .size:           4
        .value_kind:     by_value
      - .offset:         132
        .size:           4
        .value_kind:     by_value
    .group_segment_fixed_size: 10240
    .kernarg_segment_align: 8
    .kernarg_segment_size: 136
    .language:       OpenCL C
    .language_version:
      - 2
      - 0
    .max_flat_workgroup_size: 256
    .name:           _ZN12_GLOBAL__N_120geam_min_plus_kernelIf15HIP_vector_typeIfLj2EEfLi8ELi32ELi64ELi256ELi4ELi4ELi64ELi64ELi4ELc84ELc84ELb0ELb0ELb1EPKfS3_fEEviiiT16_PT17_ilS7_ilS5_S7_ilPT18_ili26rocblas_geam_ex_operation_
    .private_segment_fixed_size: 0
    .sgpr_count:     27
    .sgpr_spill_count: 0
    .symbol:         _ZN12_GLOBAL__N_120geam_min_plus_kernelIf15HIP_vector_typeIfLj2EEfLi8ELi32ELi64ELi256ELi4ELi4ELi64ELi64ELi4ELc84ELc84ELb0ELb0ELb1EPKfS3_fEEviiiT16_PT17_ilS7_ilS5_S7_ilPT18_ili26rocblas_geam_ex_operation_.kd
    .uniform_work_group_size: 1
    .uses_dynamic_stack: false
    .vgpr_count:     168
    .vgpr_spill_count: 0
    .wavefront_size: 32
    .workgroup_processor_mode: 1
  - .args:
      - .offset:         0
        .size:           4
        .value_kind:     by_value
      - .offset:         4
        .size:           4
        .value_kind:     by_value
      - .offset:         8
        .size:           4
        .value_kind:     by_value
      - .offset:         12
        .size:           4
        .value_kind:     by_value
      - .address_space:  global
        .offset:         16
        .size:           8
        .value_kind:     global_buffer
      - .offset:         24
        .size:           4
        .value_kind:     by_value
      - .offset:         32
        .size:           8
        .value_kind:     by_value
      - .address_space:  global
        .offset:         40
        .size:           8
        .value_kind:     global_buffer
      - .offset:         48
        .size:           4
        .value_kind:     by_value
      - .offset:         56
        .size:           8
        .value_kind:     by_value
      - .offset:         64
        .size:           4
        .value_kind:     by_value
      - .address_space:  global
        .offset:         72
        .size:           8
        .value_kind:     global_buffer
      - .offset:         80
        .size:           4
        .value_kind:     by_value
      - .offset:         88
        .size:           8
        .value_kind:     by_value
      - .address_space:  global
        .offset:         96
        .size:           8
        .value_kind:     global_buffer
      - .offset:         104
        .size:           4
        .value_kind:     by_value
      - .offset:         112
        .size:           8
        .value_kind:     by_value
      - .offset:         120
        .size:           4
        .value_kind:     by_value
      - .offset:         124
        .size:           4
        .value_kind:     by_value
    .group_segment_fixed_size: 10240
    .kernarg_segment_align: 8
    .kernarg_segment_size: 128
    .language:       OpenCL C
    .language_version:
      - 2
      - 0
    .max_flat_workgroup_size: 256
    .name:           _ZN12_GLOBAL__N_120geam_min_plus_kernelIf15HIP_vector_typeIfLj2EEfLi8ELi32ELi64ELi256ELi4ELi4ELi64ELi64ELi4ELc84ELc84ELb1ELb0ELb1EfKffEEviiiT16_PT17_ilS6_ilS4_S6_ilPT18_ili26rocblas_geam_ex_operation_
    .private_segment_fixed_size: 0
    .sgpr_count:     24
    .sgpr_spill_count: 0
    .symbol:         _ZN12_GLOBAL__N_120geam_min_plus_kernelIf15HIP_vector_typeIfLj2EEfLi8ELi32ELi64ELi256ELi4ELi4ELi64ELi64ELi4ELc84ELc84ELb1ELb0ELb1EfKffEEviiiT16_PT17_ilS6_ilS4_S6_ilPT18_ili26rocblas_geam_ex_operation_.kd
    .uniform_work_group_size: 1
    .uses_dynamic_stack: false
    .vgpr_count:     174
    .vgpr_spill_count: 0
    .wavefront_size: 32
    .workgroup_processor_mode: 1
  - .args:
      - .offset:         0
        .size:           4
        .value_kind:     by_value
      - .offset:         4
        .size:           4
        .value_kind:     by_value
      - .offset:         8
        .size:           4
        .value_kind:     by_value
      - .offset:         12
        .size:           4
        .value_kind:     by_value
      - .address_space:  global
        .offset:         16
        .size:           8
        .value_kind:     global_buffer
      - .offset:         24
        .size:           4
        .value_kind:     by_value
      - .offset:         32
        .size:           8
        .value_kind:     by_value
      - .address_space:  global
        .offset:         40
        .size:           8
        .value_kind:     global_buffer
      - .offset:         48
        .size:           4
        .value_kind:     by_value
      - .offset:         56
        .size:           8
        .value_kind:     by_value
      - .offset:         64
        .size:           4
        .value_kind:     by_value
      - .address_space:  global
        .offset:         72
        .size:           8
        .value_kind:     global_buffer
      - .offset:         80
        .size:           4
        .value_kind:     by_value
      - .offset:         88
        .size:           8
        .value_kind:     by_value
      - .address_space:  global
        .offset:         96
        .size:           8
        .value_kind:     global_buffer
      - .offset:         104
        .size:           4
        .value_kind:     by_value
      - .offset:         112
        .size:           8
        .value_kind:     by_value
      - .offset:         120
        .size:           4
        .value_kind:     by_value
      - .offset:         124
        .size:           4
        .value_kind:     by_value
    .group_segment_fixed_size: 10240
    .kernarg_segment_align: 8
    .kernarg_segment_size: 128
    .language:       OpenCL C
    .language_version:
      - 2
      - 0
    .max_flat_workgroup_size: 256
    .name:           _ZN12_GLOBAL__N_120geam_min_plus_kernelIf15HIP_vector_typeIfLj2EEfLi8ELi32ELi64ELi256ELi4ELi4ELi64ELi64ELi4ELc84ELc84ELb0ELb0ELb1EfKffEEviiiT16_PT17_ilS6_ilS4_S6_ilPT18_ili26rocblas_geam_ex_operation_
    .private_segment_fixed_size: 0
    .sgpr_count:     27
    .sgpr_spill_count: 0
    .symbol:         _ZN12_GLOBAL__N_120geam_min_plus_kernelIf15HIP_vector_typeIfLj2EEfLi8ELi32ELi64ELi256ELi4ELi4ELi64ELi64ELi4ELc84ELc84ELb0ELb0ELb1EfKffEEviiiT16_PT17_ilS6_ilS4_S6_ilPT18_ili26rocblas_geam_ex_operation_.kd
    .uniform_work_group_size: 1
    .uses_dynamic_stack: false
    .vgpr_count:     168
    .vgpr_spill_count: 0
    .wavefront_size: 32
    .workgroup_processor_mode: 1
  - .args:
      - .offset:         0
        .size:           4
        .value_kind:     by_value
      - .offset:         4
        .size:           4
        .value_kind:     by_value
      - .offset:         8
        .size:           4
        .value_kind:     by_value
      - .address_space:  global
        .offset:         16
        .size:           8
        .value_kind:     global_buffer
      - .address_space:  global
        .offset:         24
        .size:           8
        .value_kind:     global_buffer
      - .offset:         32
        .size:           4
        .value_kind:     by_value
      - .offset:         40
        .size:           8
        .value_kind:     by_value
      - .address_space:  global
        .offset:         48
        .size:           8
        .value_kind:     global_buffer
      - .offset:         56
        .size:           4
        .value_kind:     by_value
      - .offset:         64
        .size:           8
        .value_kind:     by_value
      - .address_space:  global
        .offset:         72
        .size:           8
        .value_kind:     global_buffer
      - .address_space:  global
        .offset:         80
        .size:           8
        .value_kind:     global_buffer
      - .offset:         88
        .size:           4
        .value_kind:     by_value
      - .offset:         96
        .size:           8
        .value_kind:     by_value
      - .address_space:  global
        .offset:         104
        .size:           8
        .value_kind:     global_buffer
      - .offset:         112
        .size:           4
        .value_kind:     by_value
      - .offset:         120
        .size:           8
        .value_kind:     by_value
      - .offset:         128
        .size:           4
        .value_kind:     by_value
      - .offset:         132
        .size:           4
        .value_kind:     by_value
    .group_segment_fixed_size: 10240
    .kernarg_segment_align: 8
    .kernarg_segment_size: 136
    .language:       OpenCL C
    .language_version:
      - 2
      - 0
    .max_flat_workgroup_size: 256
    .name:           _ZN12_GLOBAL__N_120geam_min_plus_kernelIf15HIP_vector_typeIfLj2EEfLi8ELi32ELi64ELi256ELi4ELi4ELi64ELi64ELi4ELc84ELc84ELb0ELb1ELb1EPKfS3_fEEviiiT16_PT17_ilS7_ilS5_S7_ilPT18_ili26rocblas_geam_ex_operation_
    .private_segment_fixed_size: 0
    .sgpr_count:     32
    .sgpr_spill_count: 0
    .symbol:         _ZN12_GLOBAL__N_120geam_min_plus_kernelIf15HIP_vector_typeIfLj2EEfLi8ELi32ELi64ELi256ELi4ELi4ELi64ELi64ELi4ELc84ELc84ELb0ELb1ELb1EPKfS3_fEEviiiT16_PT17_ilS7_ilS5_S7_ilPT18_ili26rocblas_geam_ex_operation_.kd
    .uniform_work_group_size: 1
    .uses_dynamic_stack: false
    .vgpr_count:     158
    .vgpr_spill_count: 0
    .wavefront_size: 32
    .workgroup_processor_mode: 1
  - .args:
      - .offset:         0
        .size:           4
        .value_kind:     by_value
      - .offset:         4
        .size:           4
        .value_kind:     by_value
      - .offset:         8
        .size:           4
        .value_kind:     by_value
      - .offset:         12
        .size:           4
        .value_kind:     by_value
      - .address_space:  global
        .offset:         16
        .size:           8
        .value_kind:     global_buffer
      - .offset:         24
        .size:           4
        .value_kind:     by_value
      - .offset:         32
        .size:           8
        .value_kind:     by_value
      - .address_space:  global
        .offset:         40
        .size:           8
        .value_kind:     global_buffer
      - .offset:         48
        .size:           4
        .value_kind:     by_value
      - .offset:         56
        .size:           8
        .value_kind:     by_value
      - .offset:         64
        .size:           4
        .value_kind:     by_value
      - .address_space:  global
        .offset:         72
        .size:           8
        .value_kind:     global_buffer
      - .offset:         80
        .size:           4
        .value_kind:     by_value
      - .offset:         88
        .size:           8
        .value_kind:     by_value
      - .address_space:  global
        .offset:         96
        .size:           8
        .value_kind:     global_buffer
      - .offset:         104
        .size:           4
        .value_kind:     by_value
      - .offset:         112
        .size:           8
        .value_kind:     by_value
      - .offset:         120
        .size:           4
        .value_kind:     by_value
      - .offset:         124
        .size:           4
        .value_kind:     by_value
    .group_segment_fixed_size: 10240
    .kernarg_segment_align: 8
    .kernarg_segment_size: 128
    .language:       OpenCL C
    .language_version:
      - 2
      - 0
    .max_flat_workgroup_size: 256
    .name:           _ZN12_GLOBAL__N_120geam_min_plus_kernelIf15HIP_vector_typeIfLj2EEfLi8ELi32ELi64ELi256ELi4ELi4ELi64ELi64ELi4ELc84ELc84ELb1ELb1ELb1EfKffEEviiiT16_PT17_ilS6_ilS4_S6_ilPT18_ili26rocblas_geam_ex_operation_
    .private_segment_fixed_size: 0
    .sgpr_count:     32
    .sgpr_spill_count: 0
    .symbol:         _ZN12_GLOBAL__N_120geam_min_plus_kernelIf15HIP_vector_typeIfLj2EEfLi8ELi32ELi64ELi256ELi4ELi4ELi64ELi64ELi4ELc84ELc84ELb1ELb1ELb1EfKffEEviiiT16_PT17_ilS6_ilS4_S6_ilPT18_ili26rocblas_geam_ex_operation_.kd
    .uniform_work_group_size: 1
    .uses_dynamic_stack: false
    .vgpr_count:     157
    .vgpr_spill_count: 0
    .wavefront_size: 32
    .workgroup_processor_mode: 1
  - .args:
      - .offset:         0
        .size:           4
        .value_kind:     by_value
      - .offset:         4
        .size:           4
        .value_kind:     by_value
      - .offset:         8
        .size:           4
        .value_kind:     by_value
      - .offset:         12
        .size:           4
        .value_kind:     by_value
      - .address_space:  global
        .offset:         16
        .size:           8
        .value_kind:     global_buffer
      - .offset:         24
        .size:           4
        .value_kind:     by_value
      - .offset:         32
        .size:           8
        .value_kind:     by_value
      - .address_space:  global
        .offset:         40
        .size:           8
        .value_kind:     global_buffer
      - .offset:         48
        .size:           4
        .value_kind:     by_value
      - .offset:         56
        .size:           8
        .value_kind:     by_value
      - .offset:         64
        .size:           4
        .value_kind:     by_value
      - .address_space:  global
        .offset:         72
        .size:           8
        .value_kind:     global_buffer
      - .offset:         80
        .size:           4
        .value_kind:     by_value
      - .offset:         88
        .size:           8
        .value_kind:     by_value
      - .address_space:  global
        .offset:         96
        .size:           8
        .value_kind:     global_buffer
      - .offset:         104
        .size:           4
        .value_kind:     by_value
      - .offset:         112
        .size:           8
        .value_kind:     by_value
      - .offset:         120
        .size:           4
        .value_kind:     by_value
      - .offset:         124
        .size:           4
        .value_kind:     by_value
    .group_segment_fixed_size: 10240
    .kernarg_segment_align: 8
    .kernarg_segment_size: 128
    .language:       OpenCL C
    .language_version:
      - 2
      - 0
    .max_flat_workgroup_size: 256
    .name:           _ZN12_GLOBAL__N_120geam_min_plus_kernelIf15HIP_vector_typeIfLj2EEfLi8ELi32ELi64ELi256ELi4ELi4ELi64ELi64ELi4ELc84ELc84ELb0ELb1ELb1EfKffEEviiiT16_PT17_ilS6_ilS4_S6_ilPT18_ili26rocblas_geam_ex_operation_
    .private_segment_fixed_size: 0
    .sgpr_count:     32
    .sgpr_spill_count: 0
    .symbol:         _ZN12_GLOBAL__N_120geam_min_plus_kernelIf15HIP_vector_typeIfLj2EEfLi8ELi32ELi64ELi256ELi4ELi4ELi64ELi64ELi4ELc84ELc84ELb0ELb1ELb1EfKffEEviiiT16_PT17_ilS6_ilS4_S6_ilPT18_ili26rocblas_geam_ex_operation_.kd
    .uniform_work_group_size: 1
    .uses_dynamic_stack: false
    .vgpr_count:     158
    .vgpr_spill_count: 0
    .wavefront_size: 32
    .workgroup_processor_mode: 1
  - .args:
      - .offset:         0
        .size:           4
        .value_kind:     by_value
      - .offset:         4
        .size:           4
        .value_kind:     by_value
      - .offset:         8
        .size:           4
        .value_kind:     by_value
      - .address_space:  global
        .offset:         16
        .size:           8
        .value_kind:     global_buffer
      - .address_space:  global
        .offset:         24
        .size:           8
        .value_kind:     global_buffer
      - .offset:         32
        .size:           4
        .value_kind:     by_value
      - .offset:         40
        .size:           8
        .value_kind:     by_value
      - .address_space:  global
        .offset:         48
        .size:           8
        .value_kind:     global_buffer
      - .offset:         56
        .size:           4
        .value_kind:     by_value
      - .offset:         64
        .size:           8
        .value_kind:     by_value
      - .address_space:  global
        .offset:         72
        .size:           8
        .value_kind:     global_buffer
      - .address_space:  global
        .offset:         80
        .size:           8
        .value_kind:     global_buffer
      - .offset:         88
        .size:           4
        .value_kind:     by_value
      - .offset:         96
        .size:           8
        .value_kind:     by_value
      - .address_space:  global
        .offset:         104
        .size:           8
        .value_kind:     global_buffer
      - .offset:         112
        .size:           4
        .value_kind:     by_value
      - .offset:         120
        .size:           8
        .value_kind:     by_value
      - .offset:         128
        .size:           4
        .value_kind:     by_value
      - .offset:         132
        .size:           4
        .value_kind:     by_value
    .group_segment_fixed_size: 6144
    .kernarg_segment_align: 8
    .kernarg_segment_size: 136
    .language:       OpenCL C
    .language_version:
      - 2
      - 0
    .max_flat_workgroup_size: 256
    .name:           _ZN12_GLOBAL__N_120geam_min_plus_kernelIf15HIP_vector_typeIfLj2EES2_Li8ELi32ELi64ELi128ELi4ELi64ELi4ELi4ELi64ELc78ELc78ELb0ELb0ELb0EPKfS3_fEEviiiT16_PT17_ilS7_ilS5_S7_ilPT18_ili26rocblas_geam_ex_operation_
    .private_segment_fixed_size: 0
    .sgpr_count:     27
    .sgpr_spill_count: 0
    .symbol:         _ZN12_GLOBAL__N_120geam_min_plus_kernelIf15HIP_vector_typeIfLj2EES2_Li8ELi32ELi64ELi128ELi4ELi64ELi4ELi4ELi64ELc78ELc78ELb0ELb0ELb0EPKfS3_fEEviiiT16_PT17_ilS7_ilS5_S7_ilPT18_ili26rocblas_geam_ex_operation_.kd
    .uniform_work_group_size: 1
    .uses_dynamic_stack: false
    .vgpr_count:     113
    .vgpr_spill_count: 0
    .wavefront_size: 32
    .workgroup_processor_mode: 1
  - .args:
      - .offset:         0
        .size:           4
        .value_kind:     by_value
      - .offset:         4
        .size:           4
        .value_kind:     by_value
      - .offset:         8
        .size:           4
        .value_kind:     by_value
      - .offset:         12
        .size:           4
        .value_kind:     by_value
      - .address_space:  global
        .offset:         16
        .size:           8
        .value_kind:     global_buffer
      - .offset:         24
        .size:           4
        .value_kind:     by_value
      - .offset:         32
        .size:           8
        .value_kind:     by_value
      - .address_space:  global
        .offset:         40
        .size:           8
        .value_kind:     global_buffer
      - .offset:         48
        .size:           4
        .value_kind:     by_value
      - .offset:         56
        .size:           8
        .value_kind:     by_value
      - .offset:         64
        .size:           4
        .value_kind:     by_value
      - .address_space:  global
        .offset:         72
        .size:           8
        .value_kind:     global_buffer
      - .offset:         80
        .size:           4
        .value_kind:     by_value
      - .offset:         88
        .size:           8
        .value_kind:     by_value
      - .address_space:  global
        .offset:         96
        .size:           8
        .value_kind:     global_buffer
      - .offset:         104
        .size:           4
        .value_kind:     by_value
      - .offset:         112
        .size:           8
        .value_kind:     by_value
      - .offset:         120
        .size:           4
        .value_kind:     by_value
      - .offset:         124
        .size:           4
        .value_kind:     by_value
    .group_segment_fixed_size: 6144
    .kernarg_segment_align: 8
    .kernarg_segment_size: 128
    .language:       OpenCL C
    .language_version:
      - 2
      - 0
    .max_flat_workgroup_size: 256
    .name:           _ZN12_GLOBAL__N_120geam_min_plus_kernelIf15HIP_vector_typeIfLj2EES2_Li8ELi32ELi64ELi128ELi4ELi64ELi4ELi4ELi64ELc78ELc78ELb1ELb0ELb0EfKffEEviiiT16_PT17_ilS6_ilS4_S6_ilPT18_ili26rocblas_geam_ex_operation_
    .private_segment_fixed_size: 0
    .sgpr_count:     26
    .sgpr_spill_count: 0
    .symbol:         _ZN12_GLOBAL__N_120geam_min_plus_kernelIf15HIP_vector_typeIfLj2EES2_Li8ELi32ELi64ELi128ELi4ELi64ELi4ELi4ELi64ELc78ELc78ELb1ELb0ELb0EfKffEEviiiT16_PT17_ilS6_ilS4_S6_ilPT18_ili26rocblas_geam_ex_operation_.kd
    .uniform_work_group_size: 1
    .uses_dynamic_stack: false
    .vgpr_count:     117
    .vgpr_spill_count: 0
    .wavefront_size: 32
    .workgroup_processor_mode: 1
  - .args:
      - .offset:         0
        .size:           4
        .value_kind:     by_value
      - .offset:         4
        .size:           4
        .value_kind:     by_value
      - .offset:         8
        .size:           4
        .value_kind:     by_value
      - .offset:         12
        .size:           4
        .value_kind:     by_value
      - .address_space:  global
        .offset:         16
        .size:           8
        .value_kind:     global_buffer
      - .offset:         24
        .size:           4
        .value_kind:     by_value
      - .offset:         32
        .size:           8
        .value_kind:     by_value
      - .address_space:  global
        .offset:         40
        .size:           8
        .value_kind:     global_buffer
      - .offset:         48
        .size:           4
        .value_kind:     by_value
      - .offset:         56
        .size:           8
        .value_kind:     by_value
      - .offset:         64
        .size:           4
        .value_kind:     by_value
      - .address_space:  global
        .offset:         72
        .size:           8
        .value_kind:     global_buffer
      - .offset:         80
        .size:           4
        .value_kind:     by_value
      - .offset:         88
        .size:           8
        .value_kind:     by_value
      - .address_space:  global
        .offset:         96
        .size:           8
        .value_kind:     global_buffer
      - .offset:         104
        .size:           4
        .value_kind:     by_value
      - .offset:         112
        .size:           8
        .value_kind:     by_value
      - .offset:         120
        .size:           4
        .value_kind:     by_value
      - .offset:         124
        .size:           4
        .value_kind:     by_value
    .group_segment_fixed_size: 6144
    .kernarg_segment_align: 8
    .kernarg_segment_size: 128
    .language:       OpenCL C
    .language_version:
      - 2
      - 0
    .max_flat_workgroup_size: 256
    .name:           _ZN12_GLOBAL__N_120geam_min_plus_kernelIf15HIP_vector_typeIfLj2EES2_Li8ELi32ELi64ELi128ELi4ELi64ELi4ELi4ELi64ELc78ELc78ELb0ELb0ELb0EfKffEEviiiT16_PT17_ilS6_ilS4_S6_ilPT18_ili26rocblas_geam_ex_operation_
    .private_segment_fixed_size: 0
    .sgpr_count:     28
    .sgpr_spill_count: 0
    .symbol:         _ZN12_GLOBAL__N_120geam_min_plus_kernelIf15HIP_vector_typeIfLj2EES2_Li8ELi32ELi64ELi128ELi4ELi64ELi4ELi4ELi64ELc78ELc78ELb0ELb0ELb0EfKffEEviiiT16_PT17_ilS6_ilS4_S6_ilPT18_ili26rocblas_geam_ex_operation_.kd
    .uniform_work_group_size: 1
    .uses_dynamic_stack: false
    .vgpr_count:     113
    .vgpr_spill_count: 0
    .wavefront_size: 32
    .workgroup_processor_mode: 1
  - .args:
      - .offset:         0
        .size:           4
        .value_kind:     by_value
      - .offset:         4
        .size:           4
        .value_kind:     by_value
      - .offset:         8
        .size:           4
        .value_kind:     by_value
      - .address_space:  global
        .offset:         16
        .size:           8
        .value_kind:     global_buffer
      - .address_space:  global
        .offset:         24
        .size:           8
        .value_kind:     global_buffer
      - .offset:         32
        .size:           4
        .value_kind:     by_value
      - .offset:         40
        .size:           8
        .value_kind:     by_value
      - .address_space:  global
        .offset:         48
        .size:           8
        .value_kind:     global_buffer
      - .offset:         56
        .size:           4
        .value_kind:     by_value
      - .offset:         64
        .size:           8
        .value_kind:     by_value
      - .address_space:  global
        .offset:         72
        .size:           8
        .value_kind:     global_buffer
      - .address_space:  global
        .offset:         80
        .size:           8
        .value_kind:     global_buffer
      - .offset:         88
        .size:           4
        .value_kind:     by_value
      - .offset:         96
        .size:           8
        .value_kind:     by_value
      - .address_space:  global
        .offset:         104
        .size:           8
        .value_kind:     global_buffer
      - .offset:         112
        .size:           4
        .value_kind:     by_value
      - .offset:         120
        .size:           8
        .value_kind:     by_value
      - .offset:         128
        .size:           4
        .value_kind:     by_value
      - .offset:         132
        .size:           4
        .value_kind:     by_value
    .group_segment_fixed_size: 6144
    .kernarg_segment_align: 8
    .kernarg_segment_size: 136
    .language:       OpenCL C
    .language_version:
      - 2
      - 0
    .max_flat_workgroup_size: 256
    .name:           _ZN12_GLOBAL__N_120geam_min_plus_kernelIf15HIP_vector_typeIfLj2EES2_Li8ELi32ELi64ELi128ELi4ELi64ELi4ELi4ELi64ELc78ELc78ELb0ELb1ELb0EPKfS3_fEEviiiT16_PT17_ilS7_ilS5_S7_ilPT18_ili26rocblas_geam_ex_operation_
    .private_segment_fixed_size: 0
    .sgpr_count:     31
    .sgpr_spill_count: 0
    .symbol:         _ZN12_GLOBAL__N_120geam_min_plus_kernelIf15HIP_vector_typeIfLj2EES2_Li8ELi32ELi64ELi128ELi4ELi64ELi4ELi4ELi64ELc78ELc78ELb0ELb1ELb0EPKfS3_fEEviiiT16_PT17_ilS7_ilS5_S7_ilPT18_ili26rocblas_geam_ex_operation_.kd
    .uniform_work_group_size: 1
    .uses_dynamic_stack: false
    .vgpr_count:     112
    .vgpr_spill_count: 0
    .wavefront_size: 32
    .workgroup_processor_mode: 1
  - .args:
      - .offset:         0
        .size:           4
        .value_kind:     by_value
      - .offset:         4
        .size:           4
        .value_kind:     by_value
      - .offset:         8
        .size:           4
        .value_kind:     by_value
      - .offset:         12
        .size:           4
        .value_kind:     by_value
      - .address_space:  global
        .offset:         16
        .size:           8
        .value_kind:     global_buffer
      - .offset:         24
        .size:           4
        .value_kind:     by_value
      - .offset:         32
        .size:           8
        .value_kind:     by_value
      - .address_space:  global
        .offset:         40
        .size:           8
        .value_kind:     global_buffer
      - .offset:         48
        .size:           4
        .value_kind:     by_value
      - .offset:         56
        .size:           8
        .value_kind:     by_value
      - .offset:         64
        .size:           4
        .value_kind:     by_value
      - .address_space:  global
        .offset:         72
        .size:           8
        .value_kind:     global_buffer
      - .offset:         80
        .size:           4
        .value_kind:     by_value
      - .offset:         88
        .size:           8
        .value_kind:     by_value
      - .address_space:  global
        .offset:         96
        .size:           8
        .value_kind:     global_buffer
      - .offset:         104
        .size:           4
        .value_kind:     by_value
      - .offset:         112
        .size:           8
        .value_kind:     by_value
      - .offset:         120
        .size:           4
        .value_kind:     by_value
      - .offset:         124
        .size:           4
        .value_kind:     by_value
    .group_segment_fixed_size: 6144
    .kernarg_segment_align: 8
    .kernarg_segment_size: 128
    .language:       OpenCL C
    .language_version:
      - 2
      - 0
    .max_flat_workgroup_size: 256
    .name:           _ZN12_GLOBAL__N_120geam_min_plus_kernelIf15HIP_vector_typeIfLj2EES2_Li8ELi32ELi64ELi128ELi4ELi64ELi4ELi4ELi64ELc78ELc78ELb1ELb1ELb0EfKffEEviiiT16_PT17_ilS6_ilS4_S6_ilPT18_ili26rocblas_geam_ex_operation_
    .private_segment_fixed_size: 0
    .sgpr_count:     28
    .sgpr_spill_count: 0
    .symbol:         _ZN12_GLOBAL__N_120geam_min_plus_kernelIf15HIP_vector_typeIfLj2EES2_Li8ELi32ELi64ELi128ELi4ELi64ELi4ELi4ELi64ELc78ELc78ELb1ELb1ELb0EfKffEEviiiT16_PT17_ilS6_ilS4_S6_ilPT18_ili26rocblas_geam_ex_operation_.kd
    .uniform_work_group_size: 1
    .uses_dynamic_stack: false
    .vgpr_count:     115
    .vgpr_spill_count: 0
    .wavefront_size: 32
    .workgroup_processor_mode: 1
  - .args:
      - .offset:         0
        .size:           4
        .value_kind:     by_value
      - .offset:         4
        .size:           4
        .value_kind:     by_value
      - .offset:         8
        .size:           4
        .value_kind:     by_value
      - .offset:         12
        .size:           4
        .value_kind:     by_value
      - .address_space:  global
        .offset:         16
        .size:           8
        .value_kind:     global_buffer
      - .offset:         24
        .size:           4
        .value_kind:     by_value
      - .offset:         32
        .size:           8
        .value_kind:     by_value
      - .address_space:  global
        .offset:         40
        .size:           8
        .value_kind:     global_buffer
      - .offset:         48
        .size:           4
        .value_kind:     by_value
      - .offset:         56
        .size:           8
        .value_kind:     by_value
      - .offset:         64
        .size:           4
        .value_kind:     by_value
      - .address_space:  global
        .offset:         72
        .size:           8
        .value_kind:     global_buffer
      - .offset:         80
        .size:           4
        .value_kind:     by_value
      - .offset:         88
        .size:           8
        .value_kind:     by_value
      - .address_space:  global
        .offset:         96
        .size:           8
        .value_kind:     global_buffer
      - .offset:         104
        .size:           4
        .value_kind:     by_value
      - .offset:         112
        .size:           8
        .value_kind:     by_value
      - .offset:         120
        .size:           4
        .value_kind:     by_value
      - .offset:         124
        .size:           4
        .value_kind:     by_value
    .group_segment_fixed_size: 6144
    .kernarg_segment_align: 8
    .kernarg_segment_size: 128
    .language:       OpenCL C
    .language_version:
      - 2
      - 0
    .max_flat_workgroup_size: 256
    .name:           _ZN12_GLOBAL__N_120geam_min_plus_kernelIf15HIP_vector_typeIfLj2EES2_Li8ELi32ELi64ELi128ELi4ELi64ELi4ELi4ELi64ELc78ELc78ELb0ELb1ELb0EfKffEEviiiT16_PT17_ilS6_ilS4_S6_ilPT18_ili26rocblas_geam_ex_operation_
    .private_segment_fixed_size: 0
    .sgpr_count:     31
    .sgpr_spill_count: 0
    .symbol:         _ZN12_GLOBAL__N_120geam_min_plus_kernelIf15HIP_vector_typeIfLj2EES2_Li8ELi32ELi64ELi128ELi4ELi64ELi4ELi4ELi64ELc78ELc78ELb0ELb1ELb0EfKffEEviiiT16_PT17_ilS6_ilS4_S6_ilPT18_ili26rocblas_geam_ex_operation_.kd
    .uniform_work_group_size: 1
    .uses_dynamic_stack: false
    .vgpr_count:     112
    .vgpr_spill_count: 0
    .wavefront_size: 32
    .workgroup_processor_mode: 1
  - .args:
      - .offset:         0
        .size:           4
        .value_kind:     by_value
      - .offset:         4
        .size:           4
        .value_kind:     by_value
      - .offset:         8
        .size:           4
        .value_kind:     by_value
      - .address_space:  global
        .offset:         16
        .size:           8
        .value_kind:     global_buffer
      - .address_space:  global
        .offset:         24
        .size:           8
        .value_kind:     global_buffer
      - .offset:         32
        .size:           4
        .value_kind:     by_value
      - .offset:         40
        .size:           8
        .value_kind:     by_value
      - .address_space:  global
        .offset:         48
        .size:           8
        .value_kind:     global_buffer
      - .offset:         56
        .size:           4
        .value_kind:     by_value
      - .offset:         64
        .size:           8
        .value_kind:     by_value
      - .address_space:  global
        .offset:         72
        .size:           8
        .value_kind:     global_buffer
      - .address_space:  global
        .offset:         80
        .size:           8
        .value_kind:     global_buffer
      - .offset:         88
        .size:           4
        .value_kind:     by_value
      - .offset:         96
        .size:           8
        .value_kind:     by_value
      - .address_space:  global
        .offset:         104
        .size:           8
        .value_kind:     global_buffer
      - .offset:         112
        .size:           4
        .value_kind:     by_value
      - .offset:         120
        .size:           8
        .value_kind:     by_value
      - .offset:         128
        .size:           4
        .value_kind:     by_value
      - .offset:         132
        .size:           4
        .value_kind:     by_value
    .group_segment_fixed_size: 6144
    .kernarg_segment_align: 8
    .kernarg_segment_size: 136
    .language:       OpenCL C
    .language_version:
      - 2
      - 0
    .max_flat_workgroup_size: 256
    .name:           _ZN12_GLOBAL__N_120geam_min_plus_kernelIf15HIP_vector_typeIfLj2EES2_Li8ELi32ELi64ELi128ELi4ELi4ELi64ELi4ELi64ELc84ELc78ELb0ELb0ELb0EPKfS3_fEEviiiT16_PT17_ilS7_ilS5_S7_ilPT18_ili26rocblas_geam_ex_operation_
    .private_segment_fixed_size: 0
    .sgpr_count:     26
    .sgpr_spill_count: 0
    .symbol:         _ZN12_GLOBAL__N_120geam_min_plus_kernelIf15HIP_vector_typeIfLj2EES2_Li8ELi32ELi64ELi128ELi4ELi4ELi64ELi4ELi64ELc84ELc78ELb0ELb0ELb0EPKfS3_fEEviiiT16_PT17_ilS7_ilS5_S7_ilPT18_ili26rocblas_geam_ex_operation_.kd
    .uniform_work_group_size: 1
    .uses_dynamic_stack: false
    .vgpr_count:     111
    .vgpr_spill_count: 0
    .wavefront_size: 32
    .workgroup_processor_mode: 1
  - .args:
      - .offset:         0
        .size:           4
        .value_kind:     by_value
      - .offset:         4
        .size:           4
        .value_kind:     by_value
      - .offset:         8
        .size:           4
        .value_kind:     by_value
      - .offset:         12
        .size:           4
        .value_kind:     by_value
      - .address_space:  global
        .offset:         16
        .size:           8
        .value_kind:     global_buffer
      - .offset:         24
        .size:           4
        .value_kind:     by_value
      - .offset:         32
        .size:           8
        .value_kind:     by_value
      - .address_space:  global
        .offset:         40
        .size:           8
        .value_kind:     global_buffer
      - .offset:         48
        .size:           4
        .value_kind:     by_value
      - .offset:         56
        .size:           8
        .value_kind:     by_value
      - .offset:         64
        .size:           4
        .value_kind:     by_value
      - .address_space:  global
        .offset:         72
        .size:           8
        .value_kind:     global_buffer
      - .offset:         80
        .size:           4
        .value_kind:     by_value
      - .offset:         88
        .size:           8
        .value_kind:     by_value
      - .address_space:  global
        .offset:         96
        .size:           8
        .value_kind:     global_buffer
      - .offset:         104
        .size:           4
        .value_kind:     by_value
      - .offset:         112
        .size:           8
        .value_kind:     by_value
      - .offset:         120
        .size:           4
        .value_kind:     by_value
      - .offset:         124
        .size:           4
        .value_kind:     by_value
    .group_segment_fixed_size: 6144
    .kernarg_segment_align: 8
    .kernarg_segment_size: 128
    .language:       OpenCL C
    .language_version:
      - 2
      - 0
    .max_flat_workgroup_size: 256
    .name:           _ZN12_GLOBAL__N_120geam_min_plus_kernelIf15HIP_vector_typeIfLj2EES2_Li8ELi32ELi64ELi128ELi4ELi4ELi64ELi4ELi64ELc84ELc78ELb1ELb0ELb0EfKffEEviiiT16_PT17_ilS6_ilS4_S6_ilPT18_ili26rocblas_geam_ex_operation_
    .private_segment_fixed_size: 0
    .sgpr_count:     25
    .sgpr_spill_count: 0
    .symbol:         _ZN12_GLOBAL__N_120geam_min_plus_kernelIf15HIP_vector_typeIfLj2EES2_Li8ELi32ELi64ELi128ELi4ELi4ELi64ELi4ELi64ELc84ELc78ELb1ELb0ELb0EfKffEEviiiT16_PT17_ilS6_ilS4_S6_ilPT18_ili26rocblas_geam_ex_operation_.kd
    .uniform_work_group_size: 1
    .uses_dynamic_stack: false
    .vgpr_count:     117
    .vgpr_spill_count: 0
    .wavefront_size: 32
    .workgroup_processor_mode: 1
  - .args:
      - .offset:         0
        .size:           4
        .value_kind:     by_value
      - .offset:         4
        .size:           4
        .value_kind:     by_value
      - .offset:         8
        .size:           4
        .value_kind:     by_value
      - .offset:         12
        .size:           4
        .value_kind:     by_value
      - .address_space:  global
        .offset:         16
        .size:           8
        .value_kind:     global_buffer
      - .offset:         24
        .size:           4
        .value_kind:     by_value
      - .offset:         32
        .size:           8
        .value_kind:     by_value
      - .address_space:  global
        .offset:         40
        .size:           8
        .value_kind:     global_buffer
      - .offset:         48
        .size:           4
        .value_kind:     by_value
      - .offset:         56
        .size:           8
        .value_kind:     by_value
      - .offset:         64
        .size:           4
        .value_kind:     by_value
      - .address_space:  global
        .offset:         72
        .size:           8
        .value_kind:     global_buffer
      - .offset:         80
        .size:           4
        .value_kind:     by_value
      - .offset:         88
        .size:           8
        .value_kind:     by_value
      - .address_space:  global
        .offset:         96
        .size:           8
        .value_kind:     global_buffer
      - .offset:         104
        .size:           4
        .value_kind:     by_value
      - .offset:         112
        .size:           8
        .value_kind:     by_value
      - .offset:         120
        .size:           4
        .value_kind:     by_value
      - .offset:         124
        .size:           4
        .value_kind:     by_value
    .group_segment_fixed_size: 6144
    .kernarg_segment_align: 8
    .kernarg_segment_size: 128
    .language:       OpenCL C
    .language_version:
      - 2
      - 0
    .max_flat_workgroup_size: 256
    .name:           _ZN12_GLOBAL__N_120geam_min_plus_kernelIf15HIP_vector_typeIfLj2EES2_Li8ELi32ELi64ELi128ELi4ELi4ELi64ELi4ELi64ELc84ELc78ELb0ELb0ELb0EfKffEEviiiT16_PT17_ilS6_ilS4_S6_ilPT18_ili26rocblas_geam_ex_operation_
    .private_segment_fixed_size: 0
    .sgpr_count:     27
    .sgpr_spill_count: 0
    .symbol:         _ZN12_GLOBAL__N_120geam_min_plus_kernelIf15HIP_vector_typeIfLj2EES2_Li8ELi32ELi64ELi128ELi4ELi4ELi64ELi4ELi64ELc84ELc78ELb0ELb0ELb0EfKffEEviiiT16_PT17_ilS6_ilS4_S6_ilPT18_ili26rocblas_geam_ex_operation_.kd
    .uniform_work_group_size: 1
    .uses_dynamic_stack: false
    .vgpr_count:     111
    .vgpr_spill_count: 0
    .wavefront_size: 32
    .workgroup_processor_mode: 1
  - .args:
      - .offset:         0
        .size:           4
        .value_kind:     by_value
      - .offset:         4
        .size:           4
        .value_kind:     by_value
      - .offset:         8
        .size:           4
        .value_kind:     by_value
      - .address_space:  global
        .offset:         16
        .size:           8
        .value_kind:     global_buffer
      - .address_space:  global
        .offset:         24
        .size:           8
        .value_kind:     global_buffer
      - .offset:         32
        .size:           4
        .value_kind:     by_value
      - .offset:         40
        .size:           8
        .value_kind:     by_value
      - .address_space:  global
        .offset:         48
        .size:           8
        .value_kind:     global_buffer
      - .offset:         56
        .size:           4
        .value_kind:     by_value
      - .offset:         64
        .size:           8
        .value_kind:     by_value
      - .address_space:  global
        .offset:         72
        .size:           8
        .value_kind:     global_buffer
      - .address_space:  global
        .offset:         80
        .size:           8
        .value_kind:     global_buffer
      - .offset:         88
        .size:           4
        .value_kind:     by_value
      - .offset:         96
        .size:           8
        .value_kind:     by_value
      - .address_space:  global
        .offset:         104
        .size:           8
        .value_kind:     global_buffer
      - .offset:         112
        .size:           4
        .value_kind:     by_value
      - .offset:         120
        .size:           8
        .value_kind:     by_value
      - .offset:         128
        .size:           4
        .value_kind:     by_value
      - .offset:         132
        .size:           4
        .value_kind:     by_value
    .group_segment_fixed_size: 6144
    .kernarg_segment_align: 8
    .kernarg_segment_size: 136
    .language:       OpenCL C
    .language_version:
      - 2
      - 0
    .max_flat_workgroup_size: 256
    .name:           _ZN12_GLOBAL__N_120geam_min_plus_kernelIf15HIP_vector_typeIfLj2EES2_Li8ELi32ELi64ELi128ELi4ELi4ELi64ELi4ELi64ELc84ELc78ELb0ELb1ELb0EPKfS3_fEEviiiT16_PT17_ilS7_ilS5_S7_ilPT18_ili26rocblas_geam_ex_operation_
    .private_segment_fixed_size: 0
    .sgpr_count:     30
    .sgpr_spill_count: 0
    .symbol:         _ZN12_GLOBAL__N_120geam_min_plus_kernelIf15HIP_vector_typeIfLj2EES2_Li8ELi32ELi64ELi128ELi4ELi4ELi64ELi4ELi64ELc84ELc78ELb0ELb1ELb0EPKfS3_fEEviiiT16_PT17_ilS7_ilS5_S7_ilPT18_ili26rocblas_geam_ex_operation_.kd
    .uniform_work_group_size: 1
    .uses_dynamic_stack: false
    .vgpr_count:     112
    .vgpr_spill_count: 0
    .wavefront_size: 32
    .workgroup_processor_mode: 1
  - .args:
      - .offset:         0
        .size:           4
        .value_kind:     by_value
      - .offset:         4
        .size:           4
        .value_kind:     by_value
      - .offset:         8
        .size:           4
        .value_kind:     by_value
      - .offset:         12
        .size:           4
        .value_kind:     by_value
      - .address_space:  global
        .offset:         16
        .size:           8
        .value_kind:     global_buffer
      - .offset:         24
        .size:           4
        .value_kind:     by_value
      - .offset:         32
        .size:           8
        .value_kind:     by_value
      - .address_space:  global
        .offset:         40
        .size:           8
        .value_kind:     global_buffer
      - .offset:         48
        .size:           4
        .value_kind:     by_value
      - .offset:         56
        .size:           8
        .value_kind:     by_value
      - .offset:         64
        .size:           4
        .value_kind:     by_value
      - .address_space:  global
        .offset:         72
        .size:           8
        .value_kind:     global_buffer
      - .offset:         80
        .size:           4
        .value_kind:     by_value
      - .offset:         88
        .size:           8
        .value_kind:     by_value
      - .address_space:  global
        .offset:         96
        .size:           8
        .value_kind:     global_buffer
      - .offset:         104
        .size:           4
        .value_kind:     by_value
      - .offset:         112
        .size:           8
        .value_kind:     by_value
      - .offset:         120
        .size:           4
        .value_kind:     by_value
      - .offset:         124
        .size:           4
        .value_kind:     by_value
    .group_segment_fixed_size: 6144
    .kernarg_segment_align: 8
    .kernarg_segment_size: 128
    .language:       OpenCL C
    .language_version:
      - 2
      - 0
    .max_flat_workgroup_size: 256
    .name:           _ZN12_GLOBAL__N_120geam_min_plus_kernelIf15HIP_vector_typeIfLj2EES2_Li8ELi32ELi64ELi128ELi4ELi4ELi64ELi4ELi64ELc84ELc78ELb1ELb1ELb0EfKffEEviiiT16_PT17_ilS6_ilS4_S6_ilPT18_ili26rocblas_geam_ex_operation_
    .private_segment_fixed_size: 0
    .sgpr_count:     27
    .sgpr_spill_count: 0
    .symbol:         _ZN12_GLOBAL__N_120geam_min_plus_kernelIf15HIP_vector_typeIfLj2EES2_Li8ELi32ELi64ELi128ELi4ELi4ELi64ELi4ELi64ELc84ELc78ELb1ELb1ELb0EfKffEEviiiT16_PT17_ilS6_ilS4_S6_ilPT18_ili26rocblas_geam_ex_operation_.kd
    .uniform_work_group_size: 1
    .uses_dynamic_stack: false
    .vgpr_count:     116
    .vgpr_spill_count: 0
    .wavefront_size: 32
    .workgroup_processor_mode: 1
  - .args:
      - .offset:         0
        .size:           4
        .value_kind:     by_value
      - .offset:         4
        .size:           4
        .value_kind:     by_value
      - .offset:         8
        .size:           4
        .value_kind:     by_value
      - .offset:         12
        .size:           4
        .value_kind:     by_value
      - .address_space:  global
        .offset:         16
        .size:           8
        .value_kind:     global_buffer
      - .offset:         24
        .size:           4
        .value_kind:     by_value
      - .offset:         32
        .size:           8
        .value_kind:     by_value
      - .address_space:  global
        .offset:         40
        .size:           8
        .value_kind:     global_buffer
      - .offset:         48
        .size:           4
        .value_kind:     by_value
      - .offset:         56
        .size:           8
        .value_kind:     by_value
      - .offset:         64
        .size:           4
        .value_kind:     by_value
      - .address_space:  global
        .offset:         72
        .size:           8
        .value_kind:     global_buffer
      - .offset:         80
        .size:           4
        .value_kind:     by_value
      - .offset:         88
        .size:           8
        .value_kind:     by_value
      - .address_space:  global
        .offset:         96
        .size:           8
        .value_kind:     global_buffer
      - .offset:         104
        .size:           4
        .value_kind:     by_value
      - .offset:         112
        .size:           8
        .value_kind:     by_value
      - .offset:         120
        .size:           4
        .value_kind:     by_value
      - .offset:         124
        .size:           4
        .value_kind:     by_value
    .group_segment_fixed_size: 6144
    .kernarg_segment_align: 8
    .kernarg_segment_size: 128
    .language:       OpenCL C
    .language_version:
      - 2
      - 0
    .max_flat_workgroup_size: 256
    .name:           _ZN12_GLOBAL__N_120geam_min_plus_kernelIf15HIP_vector_typeIfLj2EES2_Li8ELi32ELi64ELi128ELi4ELi4ELi64ELi4ELi64ELc84ELc78ELb0ELb1ELb0EfKffEEviiiT16_PT17_ilS6_ilS4_S6_ilPT18_ili26rocblas_geam_ex_operation_
    .private_segment_fixed_size: 0
    .sgpr_count:     30
    .sgpr_spill_count: 0
    .symbol:         _ZN12_GLOBAL__N_120geam_min_plus_kernelIf15HIP_vector_typeIfLj2EES2_Li8ELi32ELi64ELi128ELi4ELi4ELi64ELi4ELi64ELc84ELc78ELb0ELb1ELb0EfKffEEviiiT16_PT17_ilS6_ilS4_S6_ilPT18_ili26rocblas_geam_ex_operation_.kd
    .uniform_work_group_size: 1
    .uses_dynamic_stack: false
    .vgpr_count:     112
    .vgpr_spill_count: 0
    .wavefront_size: 32
    .workgroup_processor_mode: 1
  - .args:
      - .offset:         0
        .size:           4
        .value_kind:     by_value
      - .offset:         4
        .size:           4
        .value_kind:     by_value
      - .offset:         8
        .size:           4
        .value_kind:     by_value
      - .address_space:  global
        .offset:         16
        .size:           8
        .value_kind:     global_buffer
      - .address_space:  global
        .offset:         24
        .size:           8
        .value_kind:     global_buffer
      - .offset:         32
        .size:           4
        .value_kind:     by_value
      - .offset:         40
        .size:           8
        .value_kind:     by_value
      - .address_space:  global
        .offset:         48
        .size:           8
        .value_kind:     global_buffer
      - .offset:         56
        .size:           4
        .value_kind:     by_value
      - .offset:         64
        .size:           8
        .value_kind:     by_value
      - .address_space:  global
        .offset:         72
        .size:           8
        .value_kind:     global_buffer
      - .address_space:  global
        .offset:         80
        .size:           8
        .value_kind:     global_buffer
      - .offset:         88
        .size:           4
        .value_kind:     by_value
      - .offset:         96
        .size:           8
        .value_kind:     by_value
      - .address_space:  global
        .offset:         104
        .size:           8
        .value_kind:     global_buffer
      - .offset:         112
        .size:           4
        .value_kind:     by_value
      - .offset:         120
        .size:           8
        .value_kind:     by_value
      - .offset:         128
        .size:           4
        .value_kind:     by_value
      - .offset:         132
        .size:           4
        .value_kind:     by_value
    .group_segment_fixed_size: 6144
    .kernarg_segment_align: 8
    .kernarg_segment_size: 136
    .language:       OpenCL C
    .language_version:
      - 2
      - 0
    .max_flat_workgroup_size: 256
    .name:           _ZN12_GLOBAL__N_120geam_min_plus_kernelIf15HIP_vector_typeIfLj2EES2_Li8ELi32ELi64ELi128ELi4ELi64ELi4ELi64ELi4ELc78ELc84ELb0ELb0ELb0EPKfS3_fEEviiiT16_PT17_ilS7_ilS5_S7_ilPT18_ili26rocblas_geam_ex_operation_
    .private_segment_fixed_size: 0
    .sgpr_count:     28
    .sgpr_spill_count: 0
    .symbol:         _ZN12_GLOBAL__N_120geam_min_plus_kernelIf15HIP_vector_typeIfLj2EES2_Li8ELi32ELi64ELi128ELi4ELi64ELi4ELi64ELi4ELc78ELc84ELb0ELb0ELb0EPKfS3_fEEviiiT16_PT17_ilS7_ilS5_S7_ilPT18_ili26rocblas_geam_ex_operation_.kd
    .uniform_work_group_size: 1
    .uses_dynamic_stack: false
    .vgpr_count:     149
    .vgpr_spill_count: 0
    .wavefront_size: 32
    .workgroup_processor_mode: 1
  - .args:
      - .offset:         0
        .size:           4
        .value_kind:     by_value
      - .offset:         4
        .size:           4
        .value_kind:     by_value
      - .offset:         8
        .size:           4
        .value_kind:     by_value
      - .offset:         12
        .size:           4
        .value_kind:     by_value
      - .address_space:  global
        .offset:         16
        .size:           8
        .value_kind:     global_buffer
      - .offset:         24
        .size:           4
        .value_kind:     by_value
      - .offset:         32
        .size:           8
        .value_kind:     by_value
      - .address_space:  global
        .offset:         40
        .size:           8
        .value_kind:     global_buffer
      - .offset:         48
        .size:           4
        .value_kind:     by_value
      - .offset:         56
        .size:           8
        .value_kind:     by_value
      - .offset:         64
        .size:           4
        .value_kind:     by_value
      - .address_space:  global
        .offset:         72
        .size:           8
        .value_kind:     global_buffer
      - .offset:         80
        .size:           4
        .value_kind:     by_value
      - .offset:         88
        .size:           8
        .value_kind:     by_value
      - .address_space:  global
        .offset:         96
        .size:           8
        .value_kind:     global_buffer
      - .offset:         104
        .size:           4
        .value_kind:     by_value
      - .offset:         112
        .size:           8
        .value_kind:     by_value
      - .offset:         120
        .size:           4
        .value_kind:     by_value
      - .offset:         124
        .size:           4
        .value_kind:     by_value
    .group_segment_fixed_size: 6144
    .kernarg_segment_align: 8
    .kernarg_segment_size: 128
    .language:       OpenCL C
    .language_version:
      - 2
      - 0
    .max_flat_workgroup_size: 256
    .name:           _ZN12_GLOBAL__N_120geam_min_plus_kernelIf15HIP_vector_typeIfLj2EES2_Li8ELi32ELi64ELi128ELi4ELi64ELi4ELi64ELi4ELc78ELc84ELb1ELb0ELb0EfKffEEviiiT16_PT17_ilS6_ilS4_S6_ilPT18_ili26rocblas_geam_ex_operation_
    .private_segment_fixed_size: 0
    .sgpr_count:     27
    .sgpr_spill_count: 0
    .symbol:         _ZN12_GLOBAL__N_120geam_min_plus_kernelIf15HIP_vector_typeIfLj2EES2_Li8ELi32ELi64ELi128ELi4ELi64ELi4ELi64ELi4ELc78ELc84ELb1ELb0ELb0EfKffEEviiiT16_PT17_ilS6_ilS4_S6_ilPT18_ili26rocblas_geam_ex_operation_.kd
    .uniform_work_group_size: 1
    .uses_dynamic_stack: false
    .vgpr_count:     149
    .vgpr_spill_count: 0
    .wavefront_size: 32
    .workgroup_processor_mode: 1
  - .args:
      - .offset:         0
        .size:           4
        .value_kind:     by_value
      - .offset:         4
        .size:           4
        .value_kind:     by_value
      - .offset:         8
        .size:           4
        .value_kind:     by_value
      - .offset:         12
        .size:           4
        .value_kind:     by_value
      - .address_space:  global
        .offset:         16
        .size:           8
        .value_kind:     global_buffer
      - .offset:         24
        .size:           4
        .value_kind:     by_value
      - .offset:         32
        .size:           8
        .value_kind:     by_value
      - .address_space:  global
        .offset:         40
        .size:           8
        .value_kind:     global_buffer
      - .offset:         48
        .size:           4
        .value_kind:     by_value
      - .offset:         56
        .size:           8
        .value_kind:     by_value
      - .offset:         64
        .size:           4
        .value_kind:     by_value
      - .address_space:  global
        .offset:         72
        .size:           8
        .value_kind:     global_buffer
      - .offset:         80
        .size:           4
        .value_kind:     by_value
      - .offset:         88
        .size:           8
        .value_kind:     by_value
      - .address_space:  global
        .offset:         96
        .size:           8
        .value_kind:     global_buffer
      - .offset:         104
        .size:           4
        .value_kind:     by_value
      - .offset:         112
        .size:           8
        .value_kind:     by_value
      - .offset:         120
        .size:           4
        .value_kind:     by_value
      - .offset:         124
        .size:           4
        .value_kind:     by_value
    .group_segment_fixed_size: 6144
    .kernarg_segment_align: 8
    .kernarg_segment_size: 128
    .language:       OpenCL C
    .language_version:
      - 2
      - 0
    .max_flat_workgroup_size: 256
    .name:           _ZN12_GLOBAL__N_120geam_min_plus_kernelIf15HIP_vector_typeIfLj2EES2_Li8ELi32ELi64ELi128ELi4ELi64ELi4ELi64ELi4ELc78ELc84ELb0ELb0ELb0EfKffEEviiiT16_PT17_ilS6_ilS4_S6_ilPT18_ili26rocblas_geam_ex_operation_
    .private_segment_fixed_size: 0
    .sgpr_count:     29
    .sgpr_spill_count: 0
    .symbol:         _ZN12_GLOBAL__N_120geam_min_plus_kernelIf15HIP_vector_typeIfLj2EES2_Li8ELi32ELi64ELi128ELi4ELi64ELi4ELi64ELi4ELc78ELc84ELb0ELb0ELb0EfKffEEviiiT16_PT17_ilS6_ilS4_S6_ilPT18_ili26rocblas_geam_ex_operation_.kd
    .uniform_work_group_size: 1
    .uses_dynamic_stack: false
    .vgpr_count:     149
    .vgpr_spill_count: 0
    .wavefront_size: 32
    .workgroup_processor_mode: 1
  - .args:
      - .offset:         0
        .size:           4
        .value_kind:     by_value
      - .offset:         4
        .size:           4
        .value_kind:     by_value
      - .offset:         8
        .size:           4
        .value_kind:     by_value
      - .address_space:  global
        .offset:         16
        .size:           8
        .value_kind:     global_buffer
      - .address_space:  global
        .offset:         24
        .size:           8
        .value_kind:     global_buffer
      - .offset:         32
        .size:           4
        .value_kind:     by_value
      - .offset:         40
        .size:           8
        .value_kind:     by_value
      - .address_space:  global
        .offset:         48
        .size:           8
        .value_kind:     global_buffer
      - .offset:         56
        .size:           4
        .value_kind:     by_value
      - .offset:         64
        .size:           8
        .value_kind:     by_value
      - .address_space:  global
        .offset:         72
        .size:           8
        .value_kind:     global_buffer
      - .address_space:  global
        .offset:         80
        .size:           8
        .value_kind:     global_buffer
      - .offset:         88
        .size:           4
        .value_kind:     by_value
      - .offset:         96
        .size:           8
        .value_kind:     by_value
      - .address_space:  global
        .offset:         104
        .size:           8
        .value_kind:     global_buffer
      - .offset:         112
        .size:           4
        .value_kind:     by_value
      - .offset:         120
        .size:           8
        .value_kind:     by_value
      - .offset:         128
        .size:           4
        .value_kind:     by_value
      - .offset:         132
        .size:           4
        .value_kind:     by_value
    .group_segment_fixed_size: 6144
    .kernarg_segment_align: 8
    .kernarg_segment_size: 136
    .language:       OpenCL C
    .language_version:
      - 2
      - 0
    .max_flat_workgroup_size: 256
    .name:           _ZN12_GLOBAL__N_120geam_min_plus_kernelIf15HIP_vector_typeIfLj2EES2_Li8ELi32ELi64ELi128ELi4ELi64ELi4ELi64ELi4ELc78ELc84ELb0ELb1ELb0EPKfS3_fEEviiiT16_PT17_ilS7_ilS5_S7_ilPT18_ili26rocblas_geam_ex_operation_
    .private_segment_fixed_size: 0
    .sgpr_count:     33
    .sgpr_spill_count: 0
    .symbol:         _ZN12_GLOBAL__N_120geam_min_plus_kernelIf15HIP_vector_typeIfLj2EES2_Li8ELi32ELi64ELi128ELi4ELi64ELi4ELi64ELi4ELc78ELc84ELb0ELb1ELb0EPKfS3_fEEviiiT16_PT17_ilS7_ilS5_S7_ilPT18_ili26rocblas_geam_ex_operation_.kd
    .uniform_work_group_size: 1
    .uses_dynamic_stack: false
    .vgpr_count:     108
    .vgpr_spill_count: 0
    .wavefront_size: 32
    .workgroup_processor_mode: 1
  - .args:
      - .offset:         0
        .size:           4
        .value_kind:     by_value
      - .offset:         4
        .size:           4
        .value_kind:     by_value
      - .offset:         8
        .size:           4
        .value_kind:     by_value
      - .offset:         12
        .size:           4
        .value_kind:     by_value
      - .address_space:  global
        .offset:         16
        .size:           8
        .value_kind:     global_buffer
      - .offset:         24
        .size:           4
        .value_kind:     by_value
      - .offset:         32
        .size:           8
        .value_kind:     by_value
      - .address_space:  global
        .offset:         40
        .size:           8
        .value_kind:     global_buffer
      - .offset:         48
        .size:           4
        .value_kind:     by_value
      - .offset:         56
        .size:           8
        .value_kind:     by_value
      - .offset:         64
        .size:           4
        .value_kind:     by_value
      - .address_space:  global
        .offset:         72
        .size:           8
        .value_kind:     global_buffer
      - .offset:         80
        .size:           4
        .value_kind:     by_value
      - .offset:         88
        .size:           8
        .value_kind:     by_value
      - .address_space:  global
        .offset:         96
        .size:           8
        .value_kind:     global_buffer
      - .offset:         104
        .size:           4
        .value_kind:     by_value
      - .offset:         112
        .size:           8
        .value_kind:     by_value
      - .offset:         120
        .size:           4
        .value_kind:     by_value
      - .offset:         124
        .size:           4
        .value_kind:     by_value
    .group_segment_fixed_size: 6144
    .kernarg_segment_align: 8
    .kernarg_segment_size: 128
    .language:       OpenCL C
    .language_version:
      - 2
      - 0
    .max_flat_workgroup_size: 256
    .name:           _ZN12_GLOBAL__N_120geam_min_plus_kernelIf15HIP_vector_typeIfLj2EES2_Li8ELi32ELi64ELi128ELi4ELi64ELi4ELi64ELi4ELc78ELc84ELb1ELb1ELb0EfKffEEviiiT16_PT17_ilS6_ilS4_S6_ilPT18_ili26rocblas_geam_ex_operation_
    .private_segment_fixed_size: 0
    .sgpr_count:     30
    .sgpr_spill_count: 0
    .symbol:         _ZN12_GLOBAL__N_120geam_min_plus_kernelIf15HIP_vector_typeIfLj2EES2_Li8ELi32ELi64ELi128ELi4ELi64ELi4ELi64ELi4ELc78ELc84ELb1ELb1ELb0EfKffEEviiiT16_PT17_ilS6_ilS4_S6_ilPT18_ili26rocblas_geam_ex_operation_.kd
    .uniform_work_group_size: 1
    .uses_dynamic_stack: false
    .vgpr_count:     108
    .vgpr_spill_count: 0
    .wavefront_size: 32
    .workgroup_processor_mode: 1
  - .args:
      - .offset:         0
        .size:           4
        .value_kind:     by_value
      - .offset:         4
        .size:           4
        .value_kind:     by_value
      - .offset:         8
        .size:           4
        .value_kind:     by_value
      - .offset:         12
        .size:           4
        .value_kind:     by_value
      - .address_space:  global
        .offset:         16
        .size:           8
        .value_kind:     global_buffer
      - .offset:         24
        .size:           4
        .value_kind:     by_value
      - .offset:         32
        .size:           8
        .value_kind:     by_value
      - .address_space:  global
        .offset:         40
        .size:           8
        .value_kind:     global_buffer
      - .offset:         48
        .size:           4
        .value_kind:     by_value
      - .offset:         56
        .size:           8
        .value_kind:     by_value
      - .offset:         64
        .size:           4
        .value_kind:     by_value
      - .address_space:  global
        .offset:         72
        .size:           8
        .value_kind:     global_buffer
      - .offset:         80
        .size:           4
        .value_kind:     by_value
      - .offset:         88
        .size:           8
        .value_kind:     by_value
      - .address_space:  global
        .offset:         96
        .size:           8
        .value_kind:     global_buffer
      - .offset:         104
        .size:           4
        .value_kind:     by_value
      - .offset:         112
        .size:           8
        .value_kind:     by_value
      - .offset:         120
        .size:           4
        .value_kind:     by_value
      - .offset:         124
        .size:           4
        .value_kind:     by_value
    .group_segment_fixed_size: 6144
    .kernarg_segment_align: 8
    .kernarg_segment_size: 128
    .language:       OpenCL C
    .language_version:
      - 2
      - 0
    .max_flat_workgroup_size: 256
    .name:           _ZN12_GLOBAL__N_120geam_min_plus_kernelIf15HIP_vector_typeIfLj2EES2_Li8ELi32ELi64ELi128ELi4ELi64ELi4ELi64ELi4ELc78ELc84ELb0ELb1ELb0EfKffEEviiiT16_PT17_ilS6_ilS4_S6_ilPT18_ili26rocblas_geam_ex_operation_
    .private_segment_fixed_size: 0
    .sgpr_count:     33
    .sgpr_spill_count: 0
    .symbol:         _ZN12_GLOBAL__N_120geam_min_plus_kernelIf15HIP_vector_typeIfLj2EES2_Li8ELi32ELi64ELi128ELi4ELi64ELi4ELi64ELi4ELc78ELc84ELb0ELb1ELb0EfKffEEviiiT16_PT17_ilS6_ilS4_S6_ilPT18_ili26rocblas_geam_ex_operation_.kd
    .uniform_work_group_size: 1
    .uses_dynamic_stack: false
    .vgpr_count:     108
    .vgpr_spill_count: 0
    .wavefront_size: 32
    .workgroup_processor_mode: 1
  - .args:
      - .offset:         0
        .size:           4
        .value_kind:     by_value
      - .offset:         4
        .size:           4
        .value_kind:     by_value
      - .offset:         8
        .size:           4
        .value_kind:     by_value
      - .address_space:  global
        .offset:         16
        .size:           8
        .value_kind:     global_buffer
      - .address_space:  global
        .offset:         24
        .size:           8
        .value_kind:     global_buffer
      - .offset:         32
        .size:           4
        .value_kind:     by_value
      - .offset:         40
        .size:           8
        .value_kind:     by_value
      - .address_space:  global
        .offset:         48
        .size:           8
        .value_kind:     global_buffer
      - .offset:         56
        .size:           4
        .value_kind:     by_value
      - .offset:         64
        .size:           8
        .value_kind:     by_value
      - .address_space:  global
        .offset:         72
        .size:           8
        .value_kind:     global_buffer
      - .address_space:  global
        .offset:         80
        .size:           8
        .value_kind:     global_buffer
      - .offset:         88
        .size:           4
        .value_kind:     by_value
      - .offset:         96
        .size:           8
        .value_kind:     by_value
      - .address_space:  global
        .offset:         104
        .size:           8
        .value_kind:     global_buffer
      - .offset:         112
        .size:           4
        .value_kind:     by_value
      - .offset:         120
        .size:           8
        .value_kind:     by_value
      - .offset:         128
        .size:           4
        .value_kind:     by_value
      - .offset:         132
        .size:           4
        .value_kind:     by_value
    .group_segment_fixed_size: 6144
    .kernarg_segment_align: 8
    .kernarg_segment_size: 136
    .language:       OpenCL C
    .language_version:
      - 2
      - 0
    .max_flat_workgroup_size: 256
    .name:           _ZN12_GLOBAL__N_120geam_min_plus_kernelIf15HIP_vector_typeIfLj2EES2_Li8ELi32ELi64ELi128ELi4ELi4ELi64ELi64ELi4ELc84ELc84ELb0ELb0ELb0EPKfS3_fEEviiiT16_PT17_ilS7_ilS5_S7_ilPT18_ili26rocblas_geam_ex_operation_
    .private_segment_fixed_size: 0
    .sgpr_count:     27
    .sgpr_spill_count: 0
    .symbol:         _ZN12_GLOBAL__N_120geam_min_plus_kernelIf15HIP_vector_typeIfLj2EES2_Li8ELi32ELi64ELi128ELi4ELi4ELi64ELi64ELi4ELc84ELc84ELb0ELb0ELb0EPKfS3_fEEviiiT16_PT17_ilS7_ilS5_S7_ilPT18_ili26rocblas_geam_ex_operation_.kd
    .uniform_work_group_size: 1
    .uses_dynamic_stack: false
    .vgpr_count:     151
    .vgpr_spill_count: 0
    .wavefront_size: 32
    .workgroup_processor_mode: 1
  - .args:
      - .offset:         0
        .size:           4
        .value_kind:     by_value
      - .offset:         4
        .size:           4
        .value_kind:     by_value
      - .offset:         8
        .size:           4
        .value_kind:     by_value
      - .offset:         12
        .size:           4
        .value_kind:     by_value
      - .address_space:  global
        .offset:         16
        .size:           8
        .value_kind:     global_buffer
      - .offset:         24
        .size:           4
        .value_kind:     by_value
      - .offset:         32
        .size:           8
        .value_kind:     by_value
      - .address_space:  global
        .offset:         40
        .size:           8
        .value_kind:     global_buffer
      - .offset:         48
        .size:           4
        .value_kind:     by_value
      - .offset:         56
        .size:           8
        .value_kind:     by_value
      - .offset:         64
        .size:           4
        .value_kind:     by_value
      - .address_space:  global
        .offset:         72
        .size:           8
        .value_kind:     global_buffer
      - .offset:         80
        .size:           4
        .value_kind:     by_value
      - .offset:         88
        .size:           8
        .value_kind:     by_value
      - .address_space:  global
        .offset:         96
        .size:           8
        .value_kind:     global_buffer
      - .offset:         104
        .size:           4
        .value_kind:     by_value
      - .offset:         112
        .size:           8
        .value_kind:     by_value
      - .offset:         120
        .size:           4
        .value_kind:     by_value
      - .offset:         124
        .size:           4
        .value_kind:     by_value
    .group_segment_fixed_size: 6144
    .kernarg_segment_align: 8
    .kernarg_segment_size: 128
    .language:       OpenCL C
    .language_version:
      - 2
      - 0
    .max_flat_workgroup_size: 256
    .name:           _ZN12_GLOBAL__N_120geam_min_plus_kernelIf15HIP_vector_typeIfLj2EES2_Li8ELi32ELi64ELi128ELi4ELi4ELi64ELi64ELi4ELc84ELc84ELb1ELb0ELb0EfKffEEviiiT16_PT17_ilS6_ilS4_S6_ilPT18_ili26rocblas_geam_ex_operation_
    .private_segment_fixed_size: 0
    .sgpr_count:     26
    .sgpr_spill_count: 0
    .symbol:         _ZN12_GLOBAL__N_120geam_min_plus_kernelIf15HIP_vector_typeIfLj2EES2_Li8ELi32ELi64ELi128ELi4ELi4ELi64ELi64ELi4ELc84ELc84ELb1ELb0ELb0EfKffEEviiiT16_PT17_ilS6_ilS4_S6_ilPT18_ili26rocblas_geam_ex_operation_.kd
    .uniform_work_group_size: 1
    .uses_dynamic_stack: false
    .vgpr_count:     153
    .vgpr_spill_count: 0
    .wavefront_size: 32
    .workgroup_processor_mode: 1
  - .args:
      - .offset:         0
        .size:           4
        .value_kind:     by_value
      - .offset:         4
        .size:           4
        .value_kind:     by_value
      - .offset:         8
        .size:           4
        .value_kind:     by_value
      - .offset:         12
        .size:           4
        .value_kind:     by_value
      - .address_space:  global
        .offset:         16
        .size:           8
        .value_kind:     global_buffer
      - .offset:         24
        .size:           4
        .value_kind:     by_value
      - .offset:         32
        .size:           8
        .value_kind:     by_value
      - .address_space:  global
        .offset:         40
        .size:           8
        .value_kind:     global_buffer
      - .offset:         48
        .size:           4
        .value_kind:     by_value
      - .offset:         56
        .size:           8
        .value_kind:     by_value
      - .offset:         64
        .size:           4
        .value_kind:     by_value
      - .address_space:  global
        .offset:         72
        .size:           8
        .value_kind:     global_buffer
      - .offset:         80
        .size:           4
        .value_kind:     by_value
      - .offset:         88
        .size:           8
        .value_kind:     by_value
      - .address_space:  global
        .offset:         96
        .size:           8
        .value_kind:     global_buffer
      - .offset:         104
        .size:           4
        .value_kind:     by_value
      - .offset:         112
        .size:           8
        .value_kind:     by_value
      - .offset:         120
        .size:           4
        .value_kind:     by_value
      - .offset:         124
        .size:           4
        .value_kind:     by_value
    .group_segment_fixed_size: 6144
    .kernarg_segment_align: 8
    .kernarg_segment_size: 128
    .language:       OpenCL C
    .language_version:
      - 2
      - 0
    .max_flat_workgroup_size: 256
    .name:           _ZN12_GLOBAL__N_120geam_min_plus_kernelIf15HIP_vector_typeIfLj2EES2_Li8ELi32ELi64ELi128ELi4ELi4ELi64ELi64ELi4ELc84ELc84ELb0ELb0ELb0EfKffEEviiiT16_PT17_ilS6_ilS4_S6_ilPT18_ili26rocblas_geam_ex_operation_
    .private_segment_fixed_size: 0
    .sgpr_count:     28
    .sgpr_spill_count: 0
    .symbol:         _ZN12_GLOBAL__N_120geam_min_plus_kernelIf15HIP_vector_typeIfLj2EES2_Li8ELi32ELi64ELi128ELi4ELi4ELi64ELi64ELi4ELc84ELc84ELb0ELb0ELb0EfKffEEviiiT16_PT17_ilS6_ilS4_S6_ilPT18_ili26rocblas_geam_ex_operation_.kd
    .uniform_work_group_size: 1
    .uses_dynamic_stack: false
    .vgpr_count:     151
    .vgpr_spill_count: 0
    .wavefront_size: 32
    .workgroup_processor_mode: 1
  - .args:
      - .offset:         0
        .size:           4
        .value_kind:     by_value
      - .offset:         4
        .size:           4
        .value_kind:     by_value
      - .offset:         8
        .size:           4
        .value_kind:     by_value
      - .address_space:  global
        .offset:         16
        .size:           8
        .value_kind:     global_buffer
      - .address_space:  global
        .offset:         24
        .size:           8
        .value_kind:     global_buffer
      - .offset:         32
        .size:           4
        .value_kind:     by_value
      - .offset:         40
        .size:           8
        .value_kind:     by_value
      - .address_space:  global
        .offset:         48
        .size:           8
        .value_kind:     global_buffer
      - .offset:         56
        .size:           4
        .value_kind:     by_value
      - .offset:         64
        .size:           8
        .value_kind:     by_value
      - .address_space:  global
        .offset:         72
        .size:           8
        .value_kind:     global_buffer
      - .address_space:  global
        .offset:         80
        .size:           8
        .value_kind:     global_buffer
      - .offset:         88
        .size:           4
        .value_kind:     by_value
      - .offset:         96
        .size:           8
        .value_kind:     by_value
      - .address_space:  global
        .offset:         104
        .size:           8
        .value_kind:     global_buffer
      - .offset:         112
        .size:           4
        .value_kind:     by_value
      - .offset:         120
        .size:           8
        .value_kind:     by_value
      - .offset:         128
        .size:           4
        .value_kind:     by_value
      - .offset:         132
        .size:           4
        .value_kind:     by_value
    .group_segment_fixed_size: 6144
    .kernarg_segment_align: 8
    .kernarg_segment_size: 136
    .language:       OpenCL C
    .language_version:
      - 2
      - 0
    .max_flat_workgroup_size: 256
    .name:           _ZN12_GLOBAL__N_120geam_min_plus_kernelIf15HIP_vector_typeIfLj2EES2_Li8ELi32ELi64ELi128ELi4ELi4ELi64ELi64ELi4ELc84ELc84ELb0ELb1ELb0EPKfS3_fEEviiiT16_PT17_ilS7_ilS5_S7_ilPT18_ili26rocblas_geam_ex_operation_
    .private_segment_fixed_size: 0
    .sgpr_count:     31
    .sgpr_spill_count: 0
    .symbol:         _ZN12_GLOBAL__N_120geam_min_plus_kernelIf15HIP_vector_typeIfLj2EES2_Li8ELi32ELi64ELi128ELi4ELi4ELi64ELi64ELi4ELc84ELc84ELb0ELb1ELb0EPKfS3_fEEviiiT16_PT17_ilS7_ilS5_S7_ilPT18_ili26rocblas_geam_ex_operation_.kd
    .uniform_work_group_size: 1
    .uses_dynamic_stack: false
    .vgpr_count:     111
    .vgpr_spill_count: 0
    .wavefront_size: 32
    .workgroup_processor_mode: 1
  - .args:
      - .offset:         0
        .size:           4
        .value_kind:     by_value
      - .offset:         4
        .size:           4
        .value_kind:     by_value
      - .offset:         8
        .size:           4
        .value_kind:     by_value
      - .offset:         12
        .size:           4
        .value_kind:     by_value
      - .address_space:  global
        .offset:         16
        .size:           8
        .value_kind:     global_buffer
      - .offset:         24
        .size:           4
        .value_kind:     by_value
      - .offset:         32
        .size:           8
        .value_kind:     by_value
      - .address_space:  global
        .offset:         40
        .size:           8
        .value_kind:     global_buffer
      - .offset:         48
        .size:           4
        .value_kind:     by_value
      - .offset:         56
        .size:           8
        .value_kind:     by_value
      - .offset:         64
        .size:           4
        .value_kind:     by_value
      - .address_space:  global
        .offset:         72
        .size:           8
        .value_kind:     global_buffer
      - .offset:         80
        .size:           4
        .value_kind:     by_value
      - .offset:         88
        .size:           8
        .value_kind:     by_value
      - .address_space:  global
        .offset:         96
        .size:           8
        .value_kind:     global_buffer
      - .offset:         104
        .size:           4
        .value_kind:     by_value
      - .offset:         112
        .size:           8
        .value_kind:     by_value
      - .offset:         120
        .size:           4
        .value_kind:     by_value
      - .offset:         124
        .size:           4
        .value_kind:     by_value
    .group_segment_fixed_size: 6144
    .kernarg_segment_align: 8
    .kernarg_segment_size: 128
    .language:       OpenCL C
    .language_version:
      - 2
      - 0
    .max_flat_workgroup_size: 256
    .name:           _ZN12_GLOBAL__N_120geam_min_plus_kernelIf15HIP_vector_typeIfLj2EES2_Li8ELi32ELi64ELi128ELi4ELi4ELi64ELi64ELi4ELc84ELc84ELb1ELb1ELb0EfKffEEviiiT16_PT17_ilS6_ilS4_S6_ilPT18_ili26rocblas_geam_ex_operation_
    .private_segment_fixed_size: 0
    .sgpr_count:     28
    .sgpr_spill_count: 0
    .symbol:         _ZN12_GLOBAL__N_120geam_min_plus_kernelIf15HIP_vector_typeIfLj2EES2_Li8ELi32ELi64ELi128ELi4ELi4ELi64ELi64ELi4ELc84ELc84ELb1ELb1ELb0EfKffEEviiiT16_PT17_ilS6_ilS4_S6_ilPT18_ili26rocblas_geam_ex_operation_.kd
    .uniform_work_group_size: 1
    .uses_dynamic_stack: false
    .vgpr_count:     111
    .vgpr_spill_count: 0
    .wavefront_size: 32
    .workgroup_processor_mode: 1
  - .args:
      - .offset:         0
        .size:           4
        .value_kind:     by_value
      - .offset:         4
        .size:           4
        .value_kind:     by_value
      - .offset:         8
        .size:           4
        .value_kind:     by_value
      - .offset:         12
        .size:           4
        .value_kind:     by_value
      - .address_space:  global
        .offset:         16
        .size:           8
        .value_kind:     global_buffer
      - .offset:         24
        .size:           4
        .value_kind:     by_value
      - .offset:         32
        .size:           8
        .value_kind:     by_value
      - .address_space:  global
        .offset:         40
        .size:           8
        .value_kind:     global_buffer
      - .offset:         48
        .size:           4
        .value_kind:     by_value
      - .offset:         56
        .size:           8
        .value_kind:     by_value
      - .offset:         64
        .size:           4
        .value_kind:     by_value
      - .address_space:  global
        .offset:         72
        .size:           8
        .value_kind:     global_buffer
      - .offset:         80
        .size:           4
        .value_kind:     by_value
      - .offset:         88
        .size:           8
        .value_kind:     by_value
      - .address_space:  global
        .offset:         96
        .size:           8
        .value_kind:     global_buffer
      - .offset:         104
        .size:           4
        .value_kind:     by_value
      - .offset:         112
        .size:           8
        .value_kind:     by_value
      - .offset:         120
        .size:           4
        .value_kind:     by_value
      - .offset:         124
        .size:           4
        .value_kind:     by_value
    .group_segment_fixed_size: 6144
    .kernarg_segment_align: 8
    .kernarg_segment_size: 128
    .language:       OpenCL C
    .language_version:
      - 2
      - 0
    .max_flat_workgroup_size: 256
    .name:           _ZN12_GLOBAL__N_120geam_min_plus_kernelIf15HIP_vector_typeIfLj2EES2_Li8ELi32ELi64ELi128ELi4ELi4ELi64ELi64ELi4ELc84ELc84ELb0ELb1ELb0EfKffEEviiiT16_PT17_ilS6_ilS4_S6_ilPT18_ili26rocblas_geam_ex_operation_
    .private_segment_fixed_size: 0
    .sgpr_count:     31
    .sgpr_spill_count: 0
    .symbol:         _ZN12_GLOBAL__N_120geam_min_plus_kernelIf15HIP_vector_typeIfLj2EES2_Li8ELi32ELi64ELi128ELi4ELi4ELi64ELi64ELi4ELc84ELc84ELb0ELb1ELb0EfKffEEviiiT16_PT17_ilS6_ilS4_S6_ilPT18_ili26rocblas_geam_ex_operation_.kd
    .uniform_work_group_size: 1
    .uses_dynamic_stack: false
    .vgpr_count:     111
    .vgpr_spill_count: 0
    .wavefront_size: 32
    .workgroup_processor_mode: 1
  - .args:
      - .offset:         0
        .size:           4
        .value_kind:     by_value
      - .offset:         4
        .size:           4
        .value_kind:     by_value
      - .offset:         8
        .size:           8
        .value_kind:     by_value
      - .address_space:  global
        .offset:         16
        .size:           8
        .value_kind:     global_buffer
      - .offset:         24
        .size:           8
        .value_kind:     by_value
      - .offset:         32
        .size:           4
        .value_kind:     by_value
      - .offset:         40
        .size:           8
        .value_kind:     by_value
      - .address_space:  global
        .offset:         48
        .size:           8
        .value_kind:     global_buffer
      - .offset:         56
        .size:           8
        .value_kind:     by_value
      - .offset:         64
        .size:           4
        .value_kind:     by_value
      - .offset:         72
        .size:           8
        .value_kind:     by_value
    .group_segment_fixed_size: 0
    .kernarg_segment_align: 8
    .kernarg_segment_size: 80
    .language:       OpenCL C
    .language_version:
      - 2
      - 0
    .max_flat_workgroup_size: 1024
    .name:           _ZN12_GLOBAL__N_120geam_ex_scale_kernelILi32ELi32EddPKPKdPKPdEEviiT2_T3_lilT4_lil
    .private_segment_fixed_size: 0
    .sgpr_count:     19
    .sgpr_spill_count: 0
    .symbol:         _ZN12_GLOBAL__N_120geam_ex_scale_kernelILi32ELi32EddPKPKdPKPdEEviiT2_T3_lilT4_lil.kd
    .uniform_work_group_size: 1
    .uses_dynamic_stack: false
    .vgpr_count:     8
    .vgpr_spill_count: 0
    .wavefront_size: 32
    .workgroup_processor_mode: 1
  - .args:
      - .offset:         0
        .size:           4
        .value_kind:     by_value
      - .offset:         4
        .size:           4
        .value_kind:     by_value
      - .address_space:  global
        .offset:         8
        .size:           8
        .value_kind:     global_buffer
      - .address_space:  global
        .offset:         16
        .size:           8
        .value_kind:     global_buffer
      - .offset:         24
        .size:           8
        .value_kind:     by_value
      - .offset:         32
        .size:           4
        .value_kind:     by_value
      - .offset:         40
        .size:           8
        .value_kind:     by_value
      - .address_space:  global
        .offset:         48
        .size:           8
        .value_kind:     global_buffer
      - .offset:         56
        .size:           8
        .value_kind:     by_value
      - .offset:         64
        .size:           4
        .value_kind:     by_value
      - .offset:         72
        .size:           8
        .value_kind:     by_value
    .group_segment_fixed_size: 0
    .kernarg_segment_align: 8
    .kernarg_segment_size: 80
    .language:       OpenCL C
    .language_version:
      - 2
      - 0
    .max_flat_workgroup_size: 1024
    .name:           _ZN12_GLOBAL__N_120geam_ex_scale_kernelILi32ELi32EdPKdPKS2_PKPdEEviiT2_T3_lilT4_lil
    .private_segment_fixed_size: 0
    .sgpr_count:     19
    .sgpr_spill_count: 0
    .symbol:         _ZN12_GLOBAL__N_120geam_ex_scale_kernelILi32ELi32EdPKdPKS2_PKPdEEviiT2_T3_lilT4_lil.kd
    .uniform_work_group_size: 1
    .uses_dynamic_stack: false
    .vgpr_count:     8
    .vgpr_spill_count: 0
    .wavefront_size: 32
    .workgroup_processor_mode: 1
  - .args:
      - .offset:         0
        .size:           4
        .value_kind:     by_value
      - .offset:         4
        .size:           4
        .value_kind:     by_value
      - .offset:         8
        .size:           8
        .value_kind:     by_value
      - .address_space:  global
        .offset:         16
        .size:           8
        .value_kind:     global_buffer
      - .offset:         24
        .size:           8
        .value_kind:     by_value
      - .offset:         32
        .size:           4
        .value_kind:     by_value
      - .offset:         40
        .size:           8
        .value_kind:     by_value
      - .address_space:  global
        .offset:         48
        .size:           8
        .value_kind:     global_buffer
      - .offset:         56
        .size:           8
        .value_kind:     by_value
      - .offset:         64
        .size:           4
        .value_kind:     by_value
      - .offset:         72
        .size:           8
        .value_kind:     by_value
    .group_segment_fixed_size: 0
    .kernarg_segment_align: 8
    .kernarg_segment_size: 80
    .language:       OpenCL C
    .language_version:
      - 2
      - 0
    .max_flat_workgroup_size: 1024
    .name:           _ZN12_GLOBAL__N_120geam_ex_round_kernelILi32ELi32EddPKPKdPKPdEEviiT2_T3_lilT4_lil
    .private_segment_fixed_size: 0
    .sgpr_count:     19
    .sgpr_spill_count: 0
    .symbol:         _ZN12_GLOBAL__N_120geam_ex_round_kernelILi32ELi32EddPKPKdPKPdEEviiT2_T3_lilT4_lil.kd
    .uniform_work_group_size: 1
    .uses_dynamic_stack: false
    .vgpr_count:     8
    .vgpr_spill_count: 0
    .wavefront_size: 32
    .workgroup_processor_mode: 1
  - .args:
      - .offset:         0
        .size:           4
        .value_kind:     by_value
      - .offset:         4
        .size:           4
        .value_kind:     by_value
      - .offset:         8
        .size:           4
        .value_kind:     by_value
      - .address_space:  global
        .offset:         16
        .size:           8
        .value_kind:     global_buffer
      - .address_space:  global
        .offset:         24
        .size:           8
        .value_kind:     global_buffer
      - .offset:         32
        .size:           4
        .value_kind:     by_value
      - .offset:         40
        .size:           8
        .value_kind:     by_value
      - .address_space:  global
        .offset:         48
        .size:           8
        .value_kind:     global_buffer
      - .offset:         56
        .size:           4
        .value_kind:     by_value
      - .offset:         64
        .size:           8
        .value_kind:     by_value
      - .address_space:  global
        .offset:         72
        .size:           8
        .value_kind:     global_buffer
      - .address_space:  global
        .offset:         80
        .size:           8
        .value_kind:     global_buffer
      - .offset:         88
        .size:           4
        .value_kind:     by_value
      - .offset:         96
        .size:           8
        .value_kind:     by_value
      - .address_space:  global
        .offset:         104
        .size:           8
        .value_kind:     global_buffer
      - .offset:         112
        .size:           4
        .value_kind:     by_value
      - .offset:         120
        .size:           8
        .value_kind:     by_value
      - .offset:         128
        .size:           4
        .value_kind:     by_value
      - .offset:         132
        .size:           4
        .value_kind:     by_value
    .group_segment_fixed_size: 20480
    .kernarg_segment_align: 8
    .kernarg_segment_size: 136
    .language:       OpenCL C
    .language_version:
      - 2
      - 0
    .max_flat_workgroup_size: 256
    .name:           _ZN12_GLOBAL__N_120geam_min_plus_kernelId15HIP_vector_typeIdLj2EEdLi32ELi8ELi256ELi64ELi4ELi64ELi4ELi4ELi64ELc78ELc78ELb0ELb0ELb1EPKdKS4_KPdEEviiiT16_PT17_ilSA_ilS8_SA_ilPT18_ili26rocblas_geam_ex_operation_
    .private_segment_fixed_size: 0
    .sgpr_count:     28
    .sgpr_spill_count: 0
    .symbol:         _ZN12_GLOBAL__N_120geam_min_plus_kernelId15HIP_vector_typeIdLj2EEdLi32ELi8ELi256ELi64ELi4ELi64ELi4ELi4ELi64ELc78ELc78ELb0ELb0ELb1EPKdKS4_KPdEEviiiT16_PT17_ilSA_ilS8_SA_ilPT18_ili26rocblas_geam_ex_operation_.kd
    .uniform_work_group_size: 1
    .uses_dynamic_stack: false
    .vgpr_count:     226
    .vgpr_spill_count: 0
    .wavefront_size: 32
    .workgroup_processor_mode: 1
  - .args:
      - .offset:         0
        .size:           4
        .value_kind:     by_value
      - .offset:         4
        .size:           4
        .value_kind:     by_value
      - .offset:         8
        .size:           4
        .value_kind:     by_value
      - .offset:         16
        .size:           8
        .value_kind:     by_value
      - .address_space:  global
        .offset:         24
        .size:           8
        .value_kind:     global_buffer
      - .offset:         32
        .size:           4
        .value_kind:     by_value
      - .offset:         40
        .size:           8
        .value_kind:     by_value
      - .address_space:  global
        .offset:         48
        .size:           8
        .value_kind:     global_buffer
      - .offset:         56
        .size:           4
        .value_kind:     by_value
      - .offset:         64
        .size:           8
        .value_kind:     by_value
      - .offset:         72
        .size:           8
        .value_kind:     by_value
      - .address_space:  global
        .offset:         80
        .size:           8
        .value_kind:     global_buffer
      - .offset:         88
        .size:           4
        .value_kind:     by_value
      - .offset:         96
        .size:           8
        .value_kind:     by_value
      - .address_space:  global
        .offset:         104
        .size:           8
        .value_kind:     global_buffer
      - .offset:         112
        .size:           4
        .value_kind:     by_value
      - .offset:         120
        .size:           8
        .value_kind:     by_value
      - .offset:         128
        .size:           4
        .value_kind:     by_value
      - .offset:         132
        .size:           4
        .value_kind:     by_value
    .group_segment_fixed_size: 20480
    .kernarg_segment_align: 8
    .kernarg_segment_size: 136
    .language:       OpenCL C
    .language_version:
      - 2
      - 0
    .max_flat_workgroup_size: 256
    .name:           _ZN12_GLOBAL__N_120geam_min_plus_kernelId15HIP_vector_typeIdLj2EEdLi32ELi8ELi256ELi64ELi4ELi64ELi4ELi4ELi64ELc78ELc78ELb1ELb0ELb1EdKPKdKPdEEviiiT16_PT17_ilSA_ilS8_SA_ilPT18_ili26rocblas_geam_ex_operation_
    .private_segment_fixed_size: 0
    .sgpr_count:     24
    .sgpr_spill_count: 0
    .symbol:         _ZN12_GLOBAL__N_120geam_min_plus_kernelId15HIP_vector_typeIdLj2EEdLi32ELi8ELi256ELi64ELi4ELi64ELi4ELi4ELi64ELc78ELc78ELb1ELb0ELb1EdKPKdKPdEEviiiT16_PT17_ilSA_ilS8_SA_ilPT18_ili26rocblas_geam_ex_operation_.kd
    .uniform_work_group_size: 1
    .uses_dynamic_stack: false
    .vgpr_count:     221
    .vgpr_spill_count: 0
    .wavefront_size: 32
    .workgroup_processor_mode: 1
  - .args:
      - .offset:         0
        .size:           4
        .value_kind:     by_value
      - .offset:         4
        .size:           4
        .value_kind:     by_value
      - .offset:         8
        .size:           4
        .value_kind:     by_value
      - .offset:         16
        .size:           8
        .value_kind:     by_value
      - .address_space:  global
        .offset:         24
        .size:           8
        .value_kind:     global_buffer
      - .offset:         32
        .size:           4
        .value_kind:     by_value
      - .offset:         40
        .size:           8
        .value_kind:     by_value
      - .address_space:  global
        .offset:         48
        .size:           8
        .value_kind:     global_buffer
      - .offset:         56
        .size:           4
        .value_kind:     by_value
      - .offset:         64
        .size:           8
        .value_kind:     by_value
      - .offset:         72
        .size:           8
        .value_kind:     by_value
      - .address_space:  global
        .offset:         80
        .size:           8
        .value_kind:     global_buffer
      - .offset:         88
        .size:           4
        .value_kind:     by_value
      - .offset:         96
        .size:           8
        .value_kind:     by_value
      - .address_space:  global
        .offset:         104
        .size:           8
        .value_kind:     global_buffer
      - .offset:         112
        .size:           4
        .value_kind:     by_value
      - .offset:         120
        .size:           8
        .value_kind:     by_value
      - .offset:         128
        .size:           4
        .value_kind:     by_value
      - .offset:         132
        .size:           4
        .value_kind:     by_value
    .group_segment_fixed_size: 20480
    .kernarg_segment_align: 8
    .kernarg_segment_size: 136
    .language:       OpenCL C
    .language_version:
      - 2
      - 0
    .max_flat_workgroup_size: 256
    .name:           _ZN12_GLOBAL__N_120geam_min_plus_kernelId15HIP_vector_typeIdLj2EEdLi32ELi8ELi256ELi64ELi4ELi64ELi4ELi4ELi64ELc78ELc78ELb0ELb0ELb1EdKPKdKPdEEviiiT16_PT17_ilSA_ilS8_SA_ilPT18_ili26rocblas_geam_ex_operation_
    .private_segment_fixed_size: 0
    .sgpr_count:     27
    .sgpr_spill_count: 0
    .symbol:         _ZN12_GLOBAL__N_120geam_min_plus_kernelId15HIP_vector_typeIdLj2EEdLi32ELi8ELi256ELi64ELi4ELi64ELi4ELi4ELi64ELc78ELc78ELb0ELb0ELb1EdKPKdKPdEEviiiT16_PT17_ilSA_ilS8_SA_ilPT18_ili26rocblas_geam_ex_operation_.kd
    .uniform_work_group_size: 1
    .uses_dynamic_stack: false
    .vgpr_count:     226
    .vgpr_spill_count: 0
    .wavefront_size: 32
    .workgroup_processor_mode: 1
  - .args:
      - .offset:         0
        .size:           4
        .value_kind:     by_value
      - .offset:         4
        .size:           4
        .value_kind:     by_value
      - .offset:         8
        .size:           4
        .value_kind:     by_value
      - .address_space:  global
        .offset:         16
        .size:           8
        .value_kind:     global_buffer
      - .address_space:  global
        .offset:         24
        .size:           8
        .value_kind:     global_buffer
      - .offset:         32
        .size:           4
        .value_kind:     by_value
      - .offset:         40
        .size:           8
        .value_kind:     by_value
      - .address_space:  global
        .offset:         48
        .size:           8
        .value_kind:     global_buffer
      - .offset:         56
        .size:           4
        .value_kind:     by_value
      - .offset:         64
        .size:           8
        .value_kind:     by_value
      - .address_space:  global
        .offset:         72
        .size:           8
        .value_kind:     global_buffer
      - .address_space:  global
        .offset:         80
        .size:           8
        .value_kind:     global_buffer
      - .offset:         88
        .size:           4
        .value_kind:     by_value
      - .offset:         96
        .size:           8
        .value_kind:     by_value
      - .address_space:  global
        .offset:         104
        .size:           8
        .value_kind:     global_buffer
      - .offset:         112
        .size:           4
        .value_kind:     by_value
      - .offset:         120
        .size:           8
        .value_kind:     by_value
      - .offset:         128
        .size:           4
        .value_kind:     by_value
      - .offset:         132
        .size:           4
        .value_kind:     by_value
    .group_segment_fixed_size: 20480
    .kernarg_segment_align: 8
    .kernarg_segment_size: 136
    .language:       OpenCL C
    .language_version:
      - 2
      - 0
    .max_flat_workgroup_size: 256
    .name:           _ZN12_GLOBAL__N_120geam_min_plus_kernelId15HIP_vector_typeIdLj2EEdLi32ELi8ELi256ELi64ELi4ELi64ELi4ELi4ELi64ELc78ELc78ELb0ELb1ELb1EPKdKS4_KPdEEviiiT16_PT17_ilSA_ilS8_SA_ilPT18_ili26rocblas_geam_ex_operation_
    .private_segment_fixed_size: 0
    .sgpr_count:     33
    .sgpr_spill_count: 0
    .symbol:         _ZN12_GLOBAL__N_120geam_min_plus_kernelId15HIP_vector_typeIdLj2EEdLi32ELi8ELi256ELi64ELi4ELi64ELi4ELi4ELi64ELc78ELc78ELb0ELb1ELb1EPKdKS4_KPdEEviiiT16_PT17_ilSA_ilS8_SA_ilPT18_ili26rocblas_geam_ex_operation_.kd
    .uniform_work_group_size: 1
    .uses_dynamic_stack: false
    .vgpr_count:     223
    .vgpr_spill_count: 0
    .wavefront_size: 32
    .workgroup_processor_mode: 1
  - .args:
      - .offset:         0
        .size:           4
        .value_kind:     by_value
      - .offset:         4
        .size:           4
        .value_kind:     by_value
      - .offset:         8
        .size:           4
        .value_kind:     by_value
      - .offset:         16
        .size:           8
        .value_kind:     by_value
      - .address_space:  global
        .offset:         24
        .size:           8
        .value_kind:     global_buffer
      - .offset:         32
        .size:           4
        .value_kind:     by_value
      - .offset:         40
        .size:           8
        .value_kind:     by_value
      - .address_space:  global
        .offset:         48
        .size:           8
        .value_kind:     global_buffer
      - .offset:         56
        .size:           4
        .value_kind:     by_value
      - .offset:         64
        .size:           8
        .value_kind:     by_value
      - .offset:         72
        .size:           8
        .value_kind:     by_value
      - .address_space:  global
        .offset:         80
        .size:           8
        .value_kind:     global_buffer
      - .offset:         88
        .size:           4
        .value_kind:     by_value
      - .offset:         96
        .size:           8
        .value_kind:     by_value
      - .address_space:  global
        .offset:         104
        .size:           8
        .value_kind:     global_buffer
      - .offset:         112
        .size:           4
        .value_kind:     by_value
      - .offset:         120
        .size:           8
        .value_kind:     by_value
      - .offset:         128
        .size:           4
        .value_kind:     by_value
      - .offset:         132
        .size:           4
        .value_kind:     by_value
    .group_segment_fixed_size: 20480
    .kernarg_segment_align: 8
    .kernarg_segment_size: 136
    .language:       OpenCL C
    .language_version:
      - 2
      - 0
    .max_flat_workgroup_size: 256
    .name:           _ZN12_GLOBAL__N_120geam_min_plus_kernelId15HIP_vector_typeIdLj2EEdLi32ELi8ELi256ELi64ELi4ELi64ELi4ELi4ELi64ELc78ELc78ELb1ELb1ELb1EdKPKdKPdEEviiiT16_PT17_ilSA_ilS8_SA_ilPT18_ili26rocblas_geam_ex_operation_
    .private_segment_fixed_size: 0
    .sgpr_count:     30
    .sgpr_spill_count: 0
    .symbol:         _ZN12_GLOBAL__N_120geam_min_plus_kernelId15HIP_vector_typeIdLj2EEdLi32ELi8ELi256ELi64ELi4ELi64ELi4ELi4ELi64ELc78ELc78ELb1ELb1ELb1EdKPKdKPdEEviiiT16_PT17_ilSA_ilS8_SA_ilPT18_ili26rocblas_geam_ex_operation_.kd
    .uniform_work_group_size: 1
    .uses_dynamic_stack: false
    .vgpr_count:     229
    .vgpr_spill_count: 0
    .wavefront_size: 32
    .workgroup_processor_mode: 1
  - .args:
      - .offset:         0
        .size:           4
        .value_kind:     by_value
      - .offset:         4
        .size:           4
        .value_kind:     by_value
      - .offset:         8
        .size:           4
        .value_kind:     by_value
      - .offset:         16
        .size:           8
        .value_kind:     by_value
      - .address_space:  global
        .offset:         24
        .size:           8
        .value_kind:     global_buffer
      - .offset:         32
        .size:           4
        .value_kind:     by_value
      - .offset:         40
        .size:           8
        .value_kind:     by_value
      - .address_space:  global
        .offset:         48
        .size:           8
        .value_kind:     global_buffer
      - .offset:         56
        .size:           4
        .value_kind:     by_value
      - .offset:         64
        .size:           8
        .value_kind:     by_value
      - .offset:         72
        .size:           8
        .value_kind:     by_value
      - .address_space:  global
        .offset:         80
        .size:           8
        .value_kind:     global_buffer
      - .offset:         88
        .size:           4
        .value_kind:     by_value
      - .offset:         96
        .size:           8
        .value_kind:     by_value
      - .address_space:  global
        .offset:         104
        .size:           8
        .value_kind:     global_buffer
      - .offset:         112
        .size:           4
        .value_kind:     by_value
      - .offset:         120
        .size:           8
        .value_kind:     by_value
      - .offset:         128
        .size:           4
        .value_kind:     by_value
      - .offset:         132
        .size:           4
        .value_kind:     by_value
    .group_segment_fixed_size: 20480
    .kernarg_segment_align: 8
    .kernarg_segment_size: 136
    .language:       OpenCL C
    .language_version:
      - 2
      - 0
    .max_flat_workgroup_size: 256
    .name:           _ZN12_GLOBAL__N_120geam_min_plus_kernelId15HIP_vector_typeIdLj2EEdLi32ELi8ELi256ELi64ELi4ELi64ELi4ELi4ELi64ELc78ELc78ELb0ELb1ELb1EdKPKdKPdEEviiiT16_PT17_ilSA_ilS8_SA_ilPT18_ili26rocblas_geam_ex_operation_
    .private_segment_fixed_size: 0
    .sgpr_count:     33
    .sgpr_spill_count: 0
    .symbol:         _ZN12_GLOBAL__N_120geam_min_plus_kernelId15HIP_vector_typeIdLj2EEdLi32ELi8ELi256ELi64ELi4ELi64ELi4ELi4ELi64ELc78ELc78ELb0ELb1ELb1EdKPKdKPdEEviiiT16_PT17_ilSA_ilS8_SA_ilPT18_ili26rocblas_geam_ex_operation_.kd
    .uniform_work_group_size: 1
    .uses_dynamic_stack: false
    .vgpr_count:     223
    .vgpr_spill_count: 0
    .wavefront_size: 32
    .workgroup_processor_mode: 1
  - .args:
      - .offset:         0
        .size:           4
        .value_kind:     by_value
      - .offset:         4
        .size:           4
        .value_kind:     by_value
      - .offset:         8
        .size:           4
        .value_kind:     by_value
      - .address_space:  global
        .offset:         16
        .size:           8
        .value_kind:     global_buffer
      - .address_space:  global
        .offset:         24
        .size:           8
        .value_kind:     global_buffer
      - .offset:         32
        .size:           4
        .value_kind:     by_value
      - .offset:         40
        .size:           8
        .value_kind:     by_value
      - .address_space:  global
        .offset:         48
        .size:           8
        .value_kind:     global_buffer
      - .offset:         56
        .size:           4
        .value_kind:     by_value
      - .offset:         64
        .size:           8
        .value_kind:     by_value
      - .address_space:  global
        .offset:         72
        .size:           8
        .value_kind:     global_buffer
      - .address_space:  global
        .offset:         80
        .size:           8
        .value_kind:     global_buffer
      - .offset:         88
        .size:           4
        .value_kind:     by_value
      - .offset:         96
        .size:           8
        .value_kind:     by_value
      - .address_space:  global
        .offset:         104
        .size:           8
        .value_kind:     global_buffer
      - .offset:         112
        .size:           4
        .value_kind:     by_value
      - .offset:         120
        .size:           8
        .value_kind:     by_value
      - .offset:         128
        .size:           4
        .value_kind:     by_value
      - .offset:         132
        .size:           4
        .value_kind:     by_value
    .group_segment_fixed_size: 16384
    .kernarg_segment_align: 8
    .kernarg_segment_size: 136
    .language:       OpenCL C
    .language_version:
      - 2
      - 0
    .max_flat_workgroup_size: 256
    .name:           _ZN12_GLOBAL__N_120geam_min_plus_kernelId15HIP_vector_typeIdLj2EEdLi32ELi8ELi128ELi128ELi4ELi4ELi64ELi4ELi64ELc84ELc78ELb0ELb0ELb1EPKdKS4_KPdEEviiiT16_PT17_ilSA_ilS8_SA_ilPT18_ili26rocblas_geam_ex_operation_
    .private_segment_fixed_size: 184
    .sgpr_count:     34
    .sgpr_spill_count: 0
    .symbol:         _ZN12_GLOBAL__N_120geam_min_plus_kernelId15HIP_vector_typeIdLj2EEdLi32ELi8ELi128ELi128ELi4ELi4ELi64ELi4ELi64ELc84ELc78ELb0ELb0ELb1EPKdKS4_KPdEEviiiT16_PT17_ilSA_ilS8_SA_ilPT18_ili26rocblas_geam_ex_operation_.kd
    .uniform_work_group_size: 1
    .uses_dynamic_stack: false
    .vgpr_count:     256
    .vgpr_spill_count: 45
    .wavefront_size: 32
    .workgroup_processor_mode: 1
  - .args:
      - .offset:         0
        .size:           4
        .value_kind:     by_value
      - .offset:         4
        .size:           4
        .value_kind:     by_value
      - .offset:         8
        .size:           4
        .value_kind:     by_value
      - .offset:         16
        .size:           8
        .value_kind:     by_value
      - .address_space:  global
        .offset:         24
        .size:           8
        .value_kind:     global_buffer
      - .offset:         32
        .size:           4
        .value_kind:     by_value
      - .offset:         40
        .size:           8
        .value_kind:     by_value
      - .address_space:  global
        .offset:         48
        .size:           8
        .value_kind:     global_buffer
      - .offset:         56
        .size:           4
        .value_kind:     by_value
      - .offset:         64
        .size:           8
        .value_kind:     by_value
      - .offset:         72
        .size:           8
        .value_kind:     by_value
      - .address_space:  global
        .offset:         80
        .size:           8
        .value_kind:     global_buffer
      - .offset:         88
        .size:           4
        .value_kind:     by_value
      - .offset:         96
        .size:           8
        .value_kind:     by_value
      - .address_space:  global
        .offset:         104
        .size:           8
        .value_kind:     global_buffer
      - .offset:         112
        .size:           4
        .value_kind:     by_value
      - .offset:         120
        .size:           8
        .value_kind:     by_value
      - .offset:         128
        .size:           4
        .value_kind:     by_value
      - .offset:         132
        .size:           4
        .value_kind:     by_value
    .group_segment_fixed_size: 16384
    .kernarg_segment_align: 8
    .kernarg_segment_size: 136
    .language:       OpenCL C
    .language_version:
      - 2
      - 0
    .max_flat_workgroup_size: 256
    .name:           _ZN12_GLOBAL__N_120geam_min_plus_kernelId15HIP_vector_typeIdLj2EEdLi32ELi8ELi128ELi128ELi4ELi4ELi64ELi4ELi64ELc84ELc78ELb1ELb0ELb1EdKPKdKPdEEviiiT16_PT17_ilSA_ilS8_SA_ilPT18_ili26rocblas_geam_ex_operation_
    .private_segment_fixed_size: 0
    .sgpr_count:     24
    .sgpr_spill_count: 0
    .symbol:         _ZN12_GLOBAL__N_120geam_min_plus_kernelId15HIP_vector_typeIdLj2EEdLi32ELi8ELi128ELi128ELi4ELi4ELi64ELi4ELi64ELc84ELc78ELb1ELb0ELb1EdKPKdKPdEEviiiT16_PT17_ilSA_ilS8_SA_ilPT18_ili26rocblas_geam_ex_operation_.kd
    .uniform_work_group_size: 1
    .uses_dynamic_stack: false
    .vgpr_count:     249
    .vgpr_spill_count: 0
    .wavefront_size: 32
    .workgroup_processor_mode: 1
  - .args:
      - .offset:         0
        .size:           4
        .value_kind:     by_value
      - .offset:         4
        .size:           4
        .value_kind:     by_value
      - .offset:         8
        .size:           4
        .value_kind:     by_value
      - .offset:         16
        .size:           8
        .value_kind:     by_value
      - .address_space:  global
        .offset:         24
        .size:           8
        .value_kind:     global_buffer
      - .offset:         32
        .size:           4
        .value_kind:     by_value
      - .offset:         40
        .size:           8
        .value_kind:     by_value
      - .address_space:  global
        .offset:         48
        .size:           8
        .value_kind:     global_buffer
      - .offset:         56
        .size:           4
        .value_kind:     by_value
      - .offset:         64
        .size:           8
        .value_kind:     by_value
      - .offset:         72
        .size:           8
        .value_kind:     by_value
      - .address_space:  global
        .offset:         80
        .size:           8
        .value_kind:     global_buffer
      - .offset:         88
        .size:           4
        .value_kind:     by_value
      - .offset:         96
        .size:           8
        .value_kind:     by_value
      - .address_space:  global
        .offset:         104
        .size:           8
        .value_kind:     global_buffer
      - .offset:         112
        .size:           4
        .value_kind:     by_value
      - .offset:         120
        .size:           8
        .value_kind:     by_value
      - .offset:         128
        .size:           4
        .value_kind:     by_value
      - .offset:         132
        .size:           4
        .value_kind:     by_value
    .group_segment_fixed_size: 16384
    .kernarg_segment_align: 8
    .kernarg_segment_size: 136
    .language:       OpenCL C
    .language_version:
      - 2
      - 0
    .max_flat_workgroup_size: 256
    .name:           _ZN12_GLOBAL__N_120geam_min_plus_kernelId15HIP_vector_typeIdLj2EEdLi32ELi8ELi128ELi128ELi4ELi4ELi64ELi4ELi64ELc84ELc78ELb0ELb0ELb1EdKPKdKPdEEviiiT16_PT17_ilSA_ilS8_SA_ilPT18_ili26rocblas_geam_ex_operation_
    .private_segment_fixed_size: 184
    .sgpr_count:     30
    .sgpr_spill_count: 0
    .symbol:         _ZN12_GLOBAL__N_120geam_min_plus_kernelId15HIP_vector_typeIdLj2EEdLi32ELi8ELi128ELi128ELi4ELi4ELi64ELi4ELi64ELc84ELc78ELb0ELb0ELb1EdKPKdKPdEEviiiT16_PT17_ilSA_ilS8_SA_ilPT18_ili26rocblas_geam_ex_operation_.kd
    .uniform_work_group_size: 1
    .uses_dynamic_stack: false
    .vgpr_count:     256
    .vgpr_spill_count: 45
    .wavefront_size: 32
    .workgroup_processor_mode: 1
  - .args:
      - .offset:         0
        .size:           4
        .value_kind:     by_value
      - .offset:         4
        .size:           4
        .value_kind:     by_value
      - .offset:         8
        .size:           4
        .value_kind:     by_value
      - .address_space:  global
        .offset:         16
        .size:           8
        .value_kind:     global_buffer
      - .address_space:  global
        .offset:         24
        .size:           8
        .value_kind:     global_buffer
      - .offset:         32
        .size:           4
        .value_kind:     by_value
      - .offset:         40
        .size:           8
        .value_kind:     by_value
      - .address_space:  global
        .offset:         48
        .size:           8
        .value_kind:     global_buffer
      - .offset:         56
        .size:           4
        .value_kind:     by_value
      - .offset:         64
        .size:           8
        .value_kind:     by_value
      - .address_space:  global
        .offset:         72
        .size:           8
        .value_kind:     global_buffer
      - .address_space:  global
        .offset:         80
        .size:           8
        .value_kind:     global_buffer
      - .offset:         88
        .size:           4
        .value_kind:     by_value
      - .offset:         96
        .size:           8
        .value_kind:     by_value
      - .address_space:  global
        .offset:         104
        .size:           8
        .value_kind:     global_buffer
      - .offset:         112
        .size:           4
        .value_kind:     by_value
      - .offset:         120
        .size:           8
        .value_kind:     by_value
      - .offset:         128
        .size:           4
        .value_kind:     by_value
      - .offset:         132
        .size:           4
        .value_kind:     by_value
    .group_segment_fixed_size: 16384
    .kernarg_segment_align: 8
    .kernarg_segment_size: 136
    .language:       OpenCL C
    .language_version:
      - 2
      - 0
    .max_flat_workgroup_size: 256
    .name:           _ZN12_GLOBAL__N_120geam_min_plus_kernelId15HIP_vector_typeIdLj2EEdLi32ELi8ELi128ELi128ELi4ELi4ELi64ELi4ELi64ELc84ELc78ELb0ELb1ELb1EPKdKS4_KPdEEviiiT16_PT17_ilSA_ilS8_SA_ilPT18_ili26rocblas_geam_ex_operation_
    .private_segment_fixed_size: 120
    .sgpr_count:     42
    .sgpr_spill_count: 0
    .symbol:         _ZN12_GLOBAL__N_120geam_min_plus_kernelId15HIP_vector_typeIdLj2EEdLi32ELi8ELi128ELi128ELi4ELi4ELi64ELi4ELi64ELc84ELc78ELb0ELb1ELb1EPKdKS4_KPdEEviiiT16_PT17_ilSA_ilS8_SA_ilPT18_ili26rocblas_geam_ex_operation_.kd
    .uniform_work_group_size: 1
    .uses_dynamic_stack: false
    .vgpr_count:     256
    .vgpr_spill_count: 33
    .wavefront_size: 32
    .workgroup_processor_mode: 1
  - .args:
      - .offset:         0
        .size:           4
        .value_kind:     by_value
      - .offset:         4
        .size:           4
        .value_kind:     by_value
      - .offset:         8
        .size:           4
        .value_kind:     by_value
      - .offset:         16
        .size:           8
        .value_kind:     by_value
      - .address_space:  global
        .offset:         24
        .size:           8
        .value_kind:     global_buffer
      - .offset:         32
        .size:           4
        .value_kind:     by_value
      - .offset:         40
        .size:           8
        .value_kind:     by_value
      - .address_space:  global
        .offset:         48
        .size:           8
        .value_kind:     global_buffer
      - .offset:         56
        .size:           4
        .value_kind:     by_value
      - .offset:         64
        .size:           8
        .value_kind:     by_value
      - .offset:         72
        .size:           8
        .value_kind:     by_value
      - .address_space:  global
        .offset:         80
        .size:           8
        .value_kind:     global_buffer
      - .offset:         88
        .size:           4
        .value_kind:     by_value
      - .offset:         96
        .size:           8
        .value_kind:     by_value
      - .address_space:  global
        .offset:         104
        .size:           8
        .value_kind:     global_buffer
      - .offset:         112
        .size:           4
        .value_kind:     by_value
      - .offset:         120
        .size:           8
        .value_kind:     by_value
      - .offset:         128
        .size:           4
        .value_kind:     by_value
      - .offset:         132
        .size:           4
        .value_kind:     by_value
    .group_segment_fixed_size: 16384
    .kernarg_segment_align: 8
    .kernarg_segment_size: 136
    .language:       OpenCL C
    .language_version:
      - 2
      - 0
    .max_flat_workgroup_size: 256
    .name:           _ZN12_GLOBAL__N_120geam_min_plus_kernelId15HIP_vector_typeIdLj2EEdLi32ELi8ELi128ELi128ELi4ELi4ELi64ELi4ELi64ELc84ELc78ELb1ELb1ELb1EdKPKdKPdEEviiiT16_PT17_ilSA_ilS8_SA_ilPT18_ili26rocblas_geam_ex_operation_
    .private_segment_fixed_size: 196
    .sgpr_count:     34
    .sgpr_spill_count: 0
    .symbol:         _ZN12_GLOBAL__N_120geam_min_plus_kernelId15HIP_vector_typeIdLj2EEdLi32ELi8ELi128ELi128ELi4ELi4ELi64ELi4ELi64ELc84ELc78ELb1ELb1ELb1EdKPKdKPdEEviiiT16_PT17_ilSA_ilS8_SA_ilPT18_ili26rocblas_geam_ex_operation_.kd
    .uniform_work_group_size: 1
    .uses_dynamic_stack: false
    .vgpr_count:     256
    .vgpr_spill_count: 48
    .wavefront_size: 32
    .workgroup_processor_mode: 1
  - .args:
      - .offset:         0
        .size:           4
        .value_kind:     by_value
      - .offset:         4
        .size:           4
        .value_kind:     by_value
      - .offset:         8
        .size:           4
        .value_kind:     by_value
      - .offset:         16
        .size:           8
        .value_kind:     by_value
      - .address_space:  global
        .offset:         24
        .size:           8
        .value_kind:     global_buffer
      - .offset:         32
        .size:           4
        .value_kind:     by_value
      - .offset:         40
        .size:           8
        .value_kind:     by_value
      - .address_space:  global
        .offset:         48
        .size:           8
        .value_kind:     global_buffer
      - .offset:         56
        .size:           4
        .value_kind:     by_value
      - .offset:         64
        .size:           8
        .value_kind:     by_value
      - .offset:         72
        .size:           8
        .value_kind:     by_value
      - .address_space:  global
        .offset:         80
        .size:           8
        .value_kind:     global_buffer
      - .offset:         88
        .size:           4
        .value_kind:     by_value
      - .offset:         96
        .size:           8
        .value_kind:     by_value
      - .address_space:  global
        .offset:         104
        .size:           8
        .value_kind:     global_buffer
      - .offset:         112
        .size:           4
        .value_kind:     by_value
      - .offset:         120
        .size:           8
        .value_kind:     by_value
      - .offset:         128
        .size:           4
        .value_kind:     by_value
      - .offset:         132
        .size:           4
        .value_kind:     by_value
    .group_segment_fixed_size: 16384
    .kernarg_segment_align: 8
    .kernarg_segment_size: 136
    .language:       OpenCL C
    .language_version:
      - 2
      - 0
    .max_flat_workgroup_size: 256
    .name:           _ZN12_GLOBAL__N_120geam_min_plus_kernelId15HIP_vector_typeIdLj2EEdLi32ELi8ELi128ELi128ELi4ELi4ELi64ELi4ELi64ELc84ELc78ELb0ELb1ELb1EdKPKdKPdEEviiiT16_PT17_ilSA_ilS8_SA_ilPT18_ili26rocblas_geam_ex_operation_
    .private_segment_fixed_size: 120
    .sgpr_count:     42
    .sgpr_spill_count: 0
    .symbol:         _ZN12_GLOBAL__N_120geam_min_plus_kernelId15HIP_vector_typeIdLj2EEdLi32ELi8ELi128ELi128ELi4ELi4ELi64ELi4ELi64ELc84ELc78ELb0ELb1ELb1EdKPKdKPdEEviiiT16_PT17_ilSA_ilS8_SA_ilPT18_ili26rocblas_geam_ex_operation_.kd
    .uniform_work_group_size: 1
    .uses_dynamic_stack: false
    .vgpr_count:     256
    .vgpr_spill_count: 33
    .wavefront_size: 32
    .workgroup_processor_mode: 1
  - .args:
      - .offset:         0
        .size:           4
        .value_kind:     by_value
      - .offset:         4
        .size:           4
        .value_kind:     by_value
      - .offset:         8
        .size:           4
        .value_kind:     by_value
      - .address_space:  global
        .offset:         16
        .size:           8
        .value_kind:     global_buffer
      - .address_space:  global
        .offset:         24
        .size:           8
        .value_kind:     global_buffer
      - .offset:         32
        .size:           4
        .value_kind:     by_value
      - .offset:         40
        .size:           8
        .value_kind:     by_value
      - .address_space:  global
        .offset:         48
        .size:           8
        .value_kind:     global_buffer
      - .offset:         56
        .size:           4
        .value_kind:     by_value
      - .offset:         64
        .size:           8
        .value_kind:     by_value
      - .address_space:  global
        .offset:         72
        .size:           8
        .value_kind:     global_buffer
      - .address_space:  global
        .offset:         80
        .size:           8
        .value_kind:     global_buffer
      - .offset:         88
        .size:           4
        .value_kind:     by_value
      - .offset:         96
        .size:           8
        .value_kind:     by_value
      - .address_space:  global
        .offset:         104
        .size:           8
        .value_kind:     global_buffer
      - .offset:         112
        .size:           4
        .value_kind:     by_value
      - .offset:         120
        .size:           8
        .value_kind:     by_value
      - .offset:         128
        .size:           4
        .value_kind:     by_value
      - .offset:         132
        .size:           4
        .value_kind:     by_value
    .group_segment_fixed_size: 20480
    .kernarg_segment_align: 8
    .kernarg_segment_size: 136
    .language:       OpenCL C
    .language_version:
      - 2
      - 0
    .max_flat_workgroup_size: 256
    .name:           _ZN12_GLOBAL__N_120geam_min_plus_kernelId15HIP_vector_typeIdLj2EEdLi8ELi32ELi64ELi256ELi4ELi64ELi4ELi64ELi4ELc78ELc84ELb0ELb0ELb1EPKdKS4_KPdEEviiiT16_PT17_ilSA_ilS8_SA_ilPT18_ili26rocblas_geam_ex_operation_
    .private_segment_fixed_size: 0
    .sgpr_count:     28
    .sgpr_spill_count: 0
    .symbol:         _ZN12_GLOBAL__N_120geam_min_plus_kernelId15HIP_vector_typeIdLj2EEdLi8ELi32ELi64ELi256ELi4ELi64ELi4ELi64ELi4ELc78ELc84ELb0ELb0ELb1EPKdKS4_KPdEEviiiT16_PT17_ilSA_ilS8_SA_ilPT18_ili26rocblas_geam_ex_operation_.kd
    .uniform_work_group_size: 1
    .uses_dynamic_stack: false
    .vgpr_count:     230
    .vgpr_spill_count: 0
    .wavefront_size: 32
    .workgroup_processor_mode: 1
  - .args:
      - .offset:         0
        .size:           4
        .value_kind:     by_value
      - .offset:         4
        .size:           4
        .value_kind:     by_value
      - .offset:         8
        .size:           4
        .value_kind:     by_value
      - .offset:         16
        .size:           8
        .value_kind:     by_value
      - .address_space:  global
        .offset:         24
        .size:           8
        .value_kind:     global_buffer
      - .offset:         32
        .size:           4
        .value_kind:     by_value
      - .offset:         40
        .size:           8
        .value_kind:     by_value
      - .address_space:  global
        .offset:         48
        .size:           8
        .value_kind:     global_buffer
      - .offset:         56
        .size:           4
        .value_kind:     by_value
      - .offset:         64
        .size:           8
        .value_kind:     by_value
      - .offset:         72
        .size:           8
        .value_kind:     by_value
      - .address_space:  global
        .offset:         80
        .size:           8
        .value_kind:     global_buffer
      - .offset:         88
        .size:           4
        .value_kind:     by_value
      - .offset:         96
        .size:           8
        .value_kind:     by_value
      - .address_space:  global
        .offset:         104
        .size:           8
        .value_kind:     global_buffer
      - .offset:         112
        .size:           4
        .value_kind:     by_value
      - .offset:         120
        .size:           8
        .value_kind:     by_value
      - .offset:         128
        .size:           4
        .value_kind:     by_value
      - .offset:         132
        .size:           4
        .value_kind:     by_value
    .group_segment_fixed_size: 20480
    .kernarg_segment_align: 8
    .kernarg_segment_size: 136
    .language:       OpenCL C
    .language_version:
      - 2
      - 0
    .max_flat_workgroup_size: 256
    .name:           _ZN12_GLOBAL__N_120geam_min_plus_kernelId15HIP_vector_typeIdLj2EEdLi8ELi32ELi64ELi256ELi4ELi64ELi4ELi64ELi4ELc78ELc84ELb1ELb0ELb1EdKPKdKPdEEviiiT16_PT17_ilSA_ilS8_SA_ilPT18_ili26rocblas_geam_ex_operation_
    .private_segment_fixed_size: 0
    .sgpr_count:     26
    .sgpr_spill_count: 0
    .symbol:         _ZN12_GLOBAL__N_120geam_min_plus_kernelId15HIP_vector_typeIdLj2EEdLi8ELi32ELi64ELi256ELi4ELi64ELi4ELi64ELi4ELc78ELc84ELb1ELb0ELb1EdKPKdKPdEEviiiT16_PT17_ilSA_ilS8_SA_ilPT18_ili26rocblas_geam_ex_operation_.kd
    .uniform_work_group_size: 1
    .uses_dynamic_stack: false
    .vgpr_count:     221
    .vgpr_spill_count: 0
    .wavefront_size: 32
    .workgroup_processor_mode: 1
  - .args:
      - .offset:         0
        .size:           4
        .value_kind:     by_value
      - .offset:         4
        .size:           4
        .value_kind:     by_value
      - .offset:         8
        .size:           4
        .value_kind:     by_value
      - .offset:         16
        .size:           8
        .value_kind:     by_value
      - .address_space:  global
        .offset:         24
        .size:           8
        .value_kind:     global_buffer
      - .offset:         32
        .size:           4
        .value_kind:     by_value
      - .offset:         40
        .size:           8
        .value_kind:     by_value
      - .address_space:  global
        .offset:         48
        .size:           8
        .value_kind:     global_buffer
      - .offset:         56
        .size:           4
        .value_kind:     by_value
      - .offset:         64
        .size:           8
        .value_kind:     by_value
      - .offset:         72
        .size:           8
        .value_kind:     by_value
      - .address_space:  global
        .offset:         80
        .size:           8
        .value_kind:     global_buffer
      - .offset:         88
        .size:           4
        .value_kind:     by_value
      - .offset:         96
        .size:           8
        .value_kind:     by_value
      - .address_space:  global
        .offset:         104
        .size:           8
        .value_kind:     global_buffer
      - .offset:         112
        .size:           4
        .value_kind:     by_value
      - .offset:         120
        .size:           8
        .value_kind:     by_value
      - .offset:         128
        .size:           4
        .value_kind:     by_value
      - .offset:         132
        .size:           4
        .value_kind:     by_value
    .group_segment_fixed_size: 20480
    .kernarg_segment_align: 8
    .kernarg_segment_size: 136
    .language:       OpenCL C
    .language_version:
      - 2
      - 0
    .max_flat_workgroup_size: 256
    .name:           _ZN12_GLOBAL__N_120geam_min_plus_kernelId15HIP_vector_typeIdLj2EEdLi8ELi32ELi64ELi256ELi4ELi64ELi4ELi64ELi4ELc78ELc84ELb0ELb0ELb1EdKPKdKPdEEviiiT16_PT17_ilSA_ilS8_SA_ilPT18_ili26rocblas_geam_ex_operation_
    .private_segment_fixed_size: 0
    .sgpr_count:     27
    .sgpr_spill_count: 0
    .symbol:         _ZN12_GLOBAL__N_120geam_min_plus_kernelId15HIP_vector_typeIdLj2EEdLi8ELi32ELi64ELi256ELi4ELi64ELi4ELi64ELi4ELc78ELc84ELb0ELb0ELb1EdKPKdKPdEEviiiT16_PT17_ilSA_ilS8_SA_ilPT18_ili26rocblas_geam_ex_operation_.kd
    .uniform_work_group_size: 1
    .uses_dynamic_stack: false
    .vgpr_count:     230
    .vgpr_spill_count: 0
    .wavefront_size: 32
    .workgroup_processor_mode: 1
  - .args:
      - .offset:         0
        .size:           4
        .value_kind:     by_value
      - .offset:         4
        .size:           4
        .value_kind:     by_value
      - .offset:         8
        .size:           4
        .value_kind:     by_value
      - .address_space:  global
        .offset:         16
        .size:           8
        .value_kind:     global_buffer
      - .address_space:  global
        .offset:         24
        .size:           8
        .value_kind:     global_buffer
      - .offset:         32
        .size:           4
        .value_kind:     by_value
      - .offset:         40
        .size:           8
        .value_kind:     by_value
      - .address_space:  global
        .offset:         48
        .size:           8
        .value_kind:     global_buffer
      - .offset:         56
        .size:           4
        .value_kind:     by_value
      - .offset:         64
        .size:           8
        .value_kind:     by_value
      - .address_space:  global
        .offset:         72
        .size:           8
        .value_kind:     global_buffer
      - .address_space:  global
        .offset:         80
        .size:           8
        .value_kind:     global_buffer
      - .offset:         88
        .size:           4
        .value_kind:     by_value
      - .offset:         96
        .size:           8
        .value_kind:     by_value
      - .address_space:  global
        .offset:         104
        .size:           8
        .value_kind:     global_buffer
      - .offset:         112
        .size:           4
        .value_kind:     by_value
      - .offset:         120
        .size:           8
        .value_kind:     by_value
      - .offset:         128
        .size:           4
        .value_kind:     by_value
      - .offset:         132
        .size:           4
        .value_kind:     by_value
    .group_segment_fixed_size: 20480
    .kernarg_segment_align: 8
    .kernarg_segment_size: 136
    .language:       OpenCL C
    .language_version:
      - 2
      - 0
    .max_flat_workgroup_size: 256
    .name:           _ZN12_GLOBAL__N_120geam_min_plus_kernelId15HIP_vector_typeIdLj2EEdLi8ELi32ELi64ELi256ELi4ELi64ELi4ELi64ELi4ELc78ELc84ELb0ELb1ELb1EPKdKS4_KPdEEviiiT16_PT17_ilSA_ilS8_SA_ilPT18_ili26rocblas_geam_ex_operation_
    .private_segment_fixed_size: 0
    .sgpr_count:     36
    .sgpr_spill_count: 0
    .symbol:         _ZN12_GLOBAL__N_120geam_min_plus_kernelId15HIP_vector_typeIdLj2EEdLi8ELi32ELi64ELi256ELi4ELi64ELi4ELi64ELi4ELc78ELc84ELb0ELb1ELb1EPKdKS4_KPdEEviiiT16_PT17_ilSA_ilS8_SA_ilPT18_ili26rocblas_geam_ex_operation_.kd
    .uniform_work_group_size: 1
    .uses_dynamic_stack: false
    .vgpr_count:     226
    .vgpr_spill_count: 0
    .wavefront_size: 32
    .workgroup_processor_mode: 1
  - .args:
      - .offset:         0
        .size:           4
        .value_kind:     by_value
      - .offset:         4
        .size:           4
        .value_kind:     by_value
      - .offset:         8
        .size:           4
        .value_kind:     by_value
      - .offset:         16
        .size:           8
        .value_kind:     by_value
      - .address_space:  global
        .offset:         24
        .size:           8
        .value_kind:     global_buffer
      - .offset:         32
        .size:           4
        .value_kind:     by_value
      - .offset:         40
        .size:           8
        .value_kind:     by_value
      - .address_space:  global
        .offset:         48
        .size:           8
        .value_kind:     global_buffer
      - .offset:         56
        .size:           4
        .value_kind:     by_value
      - .offset:         64
        .size:           8
        .value_kind:     by_value
      - .offset:         72
        .size:           8
        .value_kind:     by_value
      - .address_space:  global
        .offset:         80
        .size:           8
        .value_kind:     global_buffer
      - .offset:         88
        .size:           4
        .value_kind:     by_value
      - .offset:         96
        .size:           8
        .value_kind:     by_value
      - .address_space:  global
        .offset:         104
        .size:           8
        .value_kind:     global_buffer
      - .offset:         112
        .size:           4
        .value_kind:     by_value
      - .offset:         120
        .size:           8
        .value_kind:     by_value
      - .offset:         128
        .size:           4
        .value_kind:     by_value
      - .offset:         132
        .size:           4
        .value_kind:     by_value
    .group_segment_fixed_size: 20480
    .kernarg_segment_align: 8
    .kernarg_segment_size: 136
    .language:       OpenCL C
    .language_version:
      - 2
      - 0
    .max_flat_workgroup_size: 256
    .name:           _ZN12_GLOBAL__N_120geam_min_plus_kernelId15HIP_vector_typeIdLj2EEdLi8ELi32ELi64ELi256ELi4ELi64ELi4ELi64ELi4ELc78ELc84ELb1ELb1ELb1EdKPKdKPdEEviiiT16_PT17_ilSA_ilS8_SA_ilPT18_ili26rocblas_geam_ex_operation_
    .private_segment_fixed_size: 0
    .sgpr_count:     31
    .sgpr_spill_count: 0
    .symbol:         _ZN12_GLOBAL__N_120geam_min_plus_kernelId15HIP_vector_typeIdLj2EEdLi8ELi32ELi64ELi256ELi4ELi64ELi4ELi64ELi4ELc78ELc84ELb1ELb1ELb1EdKPKdKPdEEviiiT16_PT17_ilSA_ilS8_SA_ilPT18_ili26rocblas_geam_ex_operation_.kd
    .uniform_work_group_size: 1
    .uses_dynamic_stack: false
    .vgpr_count:     232
    .vgpr_spill_count: 0
    .wavefront_size: 32
    .workgroup_processor_mode: 1
  - .args:
      - .offset:         0
        .size:           4
        .value_kind:     by_value
      - .offset:         4
        .size:           4
        .value_kind:     by_value
      - .offset:         8
        .size:           4
        .value_kind:     by_value
      - .offset:         16
        .size:           8
        .value_kind:     by_value
      - .address_space:  global
        .offset:         24
        .size:           8
        .value_kind:     global_buffer
      - .offset:         32
        .size:           4
        .value_kind:     by_value
      - .offset:         40
        .size:           8
        .value_kind:     by_value
      - .address_space:  global
        .offset:         48
        .size:           8
        .value_kind:     global_buffer
      - .offset:         56
        .size:           4
        .value_kind:     by_value
      - .offset:         64
        .size:           8
        .value_kind:     by_value
      - .offset:         72
        .size:           8
        .value_kind:     by_value
      - .address_space:  global
        .offset:         80
        .size:           8
        .value_kind:     global_buffer
      - .offset:         88
        .size:           4
        .value_kind:     by_value
      - .offset:         96
        .size:           8
        .value_kind:     by_value
      - .address_space:  global
        .offset:         104
        .size:           8
        .value_kind:     global_buffer
      - .offset:         112
        .size:           4
        .value_kind:     by_value
      - .offset:         120
        .size:           8
        .value_kind:     by_value
      - .offset:         128
        .size:           4
        .value_kind:     by_value
      - .offset:         132
        .size:           4
        .value_kind:     by_value
    .group_segment_fixed_size: 20480
    .kernarg_segment_align: 8
    .kernarg_segment_size: 136
    .language:       OpenCL C
    .language_version:
      - 2
      - 0
    .max_flat_workgroup_size: 256
    .name:           _ZN12_GLOBAL__N_120geam_min_plus_kernelId15HIP_vector_typeIdLj2EEdLi8ELi32ELi64ELi256ELi4ELi64ELi4ELi64ELi4ELc78ELc84ELb0ELb1ELb1EdKPKdKPdEEviiiT16_PT17_ilSA_ilS8_SA_ilPT18_ili26rocblas_geam_ex_operation_
    .private_segment_fixed_size: 0
    .sgpr_count:     36
    .sgpr_spill_count: 0
    .symbol:         _ZN12_GLOBAL__N_120geam_min_plus_kernelId15HIP_vector_typeIdLj2EEdLi8ELi32ELi64ELi256ELi4ELi64ELi4ELi64ELi4ELc78ELc84ELb0ELb1ELb1EdKPKdKPdEEviiiT16_PT17_ilSA_ilS8_SA_ilPT18_ili26rocblas_geam_ex_operation_.kd
    .uniform_work_group_size: 1
    .uses_dynamic_stack: false
    .vgpr_count:     226
    .vgpr_spill_count: 0
    .wavefront_size: 32
    .workgroup_processor_mode: 1
  - .args:
      - .offset:         0
        .size:           4
        .value_kind:     by_value
      - .offset:         4
        .size:           4
        .value_kind:     by_value
      - .offset:         8
        .size:           4
        .value_kind:     by_value
      - .address_space:  global
        .offset:         16
        .size:           8
        .value_kind:     global_buffer
      - .address_space:  global
        .offset:         24
        .size:           8
        .value_kind:     global_buffer
      - .offset:         32
        .size:           4
        .value_kind:     by_value
      - .offset:         40
        .size:           8
        .value_kind:     by_value
      - .address_space:  global
        .offset:         48
        .size:           8
        .value_kind:     global_buffer
      - .offset:         56
        .size:           4
        .value_kind:     by_value
      - .offset:         64
        .size:           8
        .value_kind:     by_value
      - .address_space:  global
        .offset:         72
        .size:           8
        .value_kind:     global_buffer
      - .address_space:  global
        .offset:         80
        .size:           8
        .value_kind:     global_buffer
      - .offset:         88
        .size:           4
        .value_kind:     by_value
      - .offset:         96
        .size:           8
        .value_kind:     by_value
      - .address_space:  global
        .offset:         104
        .size:           8
        .value_kind:     global_buffer
      - .offset:         112
        .size:           4
        .value_kind:     by_value
      - .offset:         120
        .size:           8
        .value_kind:     by_value
      - .offset:         128
        .size:           4
        .value_kind:     by_value
      - .offset:         132
        .size:           4
        .value_kind:     by_value
    .group_segment_fixed_size: 20480
    .kernarg_segment_align: 8
    .kernarg_segment_size: 136
    .language:       OpenCL C
    .language_version:
      - 2
      - 0
    .max_flat_workgroup_size: 256
    .name:           _ZN12_GLOBAL__N_120geam_min_plus_kernelId15HIP_vector_typeIdLj2EEdLi8ELi32ELi64ELi256ELi4ELi4ELi64ELi64ELi4ELc84ELc84ELb0ELb0ELb1EPKdKS4_KPdEEviiiT16_PT17_ilSA_ilS8_SA_ilPT18_ili26rocblas_geam_ex_operation_
    .private_segment_fixed_size: 0
    .sgpr_count:     28
    .sgpr_spill_count: 0
    .symbol:         _ZN12_GLOBAL__N_120geam_min_plus_kernelId15HIP_vector_typeIdLj2EEdLi8ELi32ELi64ELi256ELi4ELi4ELi64ELi64ELi4ELc84ELc84ELb0ELb0ELb1EPKdKS4_KPdEEviiiT16_PT17_ilSA_ilS8_SA_ilPT18_ili26rocblas_geam_ex_operation_.kd
    .uniform_work_group_size: 1
    .uses_dynamic_stack: false
    .vgpr_count:     226
    .vgpr_spill_count: 0
    .wavefront_size: 32
    .workgroup_processor_mode: 1
  - .args:
      - .offset:         0
        .size:           4
        .value_kind:     by_value
      - .offset:         4
        .size:           4
        .value_kind:     by_value
      - .offset:         8
        .size:           4
        .value_kind:     by_value
      - .offset:         16
        .size:           8
        .value_kind:     by_value
      - .address_space:  global
        .offset:         24
        .size:           8
        .value_kind:     global_buffer
      - .offset:         32
        .size:           4
        .value_kind:     by_value
      - .offset:         40
        .size:           8
        .value_kind:     by_value
      - .address_space:  global
        .offset:         48
        .size:           8
        .value_kind:     global_buffer
      - .offset:         56
        .size:           4
        .value_kind:     by_value
      - .offset:         64
        .size:           8
        .value_kind:     by_value
      - .offset:         72
        .size:           8
        .value_kind:     by_value
      - .address_space:  global
        .offset:         80
        .size:           8
        .value_kind:     global_buffer
      - .offset:         88
        .size:           4
        .value_kind:     by_value
      - .offset:         96
        .size:           8
        .value_kind:     by_value
      - .address_space:  global
        .offset:         104
        .size:           8
        .value_kind:     global_buffer
      - .offset:         112
        .size:           4
        .value_kind:     by_value
      - .offset:         120
        .size:           8
        .value_kind:     by_value
      - .offset:         128
        .size:           4
        .value_kind:     by_value
      - .offset:         132
        .size:           4
        .value_kind:     by_value
    .group_segment_fixed_size: 20480
    .kernarg_segment_align: 8
    .kernarg_segment_size: 136
    .language:       OpenCL C
    .language_version:
      - 2
      - 0
    .max_flat_workgroup_size: 256
    .name:           _ZN12_GLOBAL__N_120geam_min_plus_kernelId15HIP_vector_typeIdLj2EEdLi8ELi32ELi64ELi256ELi4ELi4ELi64ELi64ELi4ELc84ELc84ELb1ELb0ELb1EdKPKdKPdEEviiiT16_PT17_ilSA_ilS8_SA_ilPT18_ili26rocblas_geam_ex_operation_
    .private_segment_fixed_size: 0
    .sgpr_count:     24
    .sgpr_spill_count: 0
    .symbol:         _ZN12_GLOBAL__N_120geam_min_plus_kernelId15HIP_vector_typeIdLj2EEdLi8ELi32ELi64ELi256ELi4ELi4ELi64ELi64ELi4ELc84ELc84ELb1ELb0ELb1EdKPKdKPdEEviiiT16_PT17_ilSA_ilS8_SA_ilPT18_ili26rocblas_geam_ex_operation_.kd
    .uniform_work_group_size: 1
    .uses_dynamic_stack: false
    .vgpr_count:     221
    .vgpr_spill_count: 0
    .wavefront_size: 32
    .workgroup_processor_mode: 1
  - .args:
      - .offset:         0
        .size:           4
        .value_kind:     by_value
      - .offset:         4
        .size:           4
        .value_kind:     by_value
      - .offset:         8
        .size:           4
        .value_kind:     by_value
      - .offset:         16
        .size:           8
        .value_kind:     by_value
      - .address_space:  global
        .offset:         24
        .size:           8
        .value_kind:     global_buffer
      - .offset:         32
        .size:           4
        .value_kind:     by_value
      - .offset:         40
        .size:           8
        .value_kind:     by_value
      - .address_space:  global
        .offset:         48
        .size:           8
        .value_kind:     global_buffer
      - .offset:         56
        .size:           4
        .value_kind:     by_value
      - .offset:         64
        .size:           8
        .value_kind:     by_value
      - .offset:         72
        .size:           8
        .value_kind:     by_value
      - .address_space:  global
        .offset:         80
        .size:           8
        .value_kind:     global_buffer
      - .offset:         88
        .size:           4
        .value_kind:     by_value
      - .offset:         96
        .size:           8
        .value_kind:     by_value
      - .address_space:  global
        .offset:         104
        .size:           8
        .value_kind:     global_buffer
      - .offset:         112
        .size:           4
        .value_kind:     by_value
      - .offset:         120
        .size:           8
        .value_kind:     by_value
      - .offset:         128
        .size:           4
        .value_kind:     by_value
      - .offset:         132
        .size:           4
        .value_kind:     by_value
    .group_segment_fixed_size: 20480
    .kernarg_segment_align: 8
    .kernarg_segment_size: 136
    .language:       OpenCL C
    .language_version:
      - 2
      - 0
    .max_flat_workgroup_size: 256
    .name:           _ZN12_GLOBAL__N_120geam_min_plus_kernelId15HIP_vector_typeIdLj2EEdLi8ELi32ELi64ELi256ELi4ELi4ELi64ELi64ELi4ELc84ELc84ELb0ELb0ELb1EdKPKdKPdEEviiiT16_PT17_ilSA_ilS8_SA_ilPT18_ili26rocblas_geam_ex_operation_
    .private_segment_fixed_size: 0
    .sgpr_count:     27
    .sgpr_spill_count: 0
    .symbol:         _ZN12_GLOBAL__N_120geam_min_plus_kernelId15HIP_vector_typeIdLj2EEdLi8ELi32ELi64ELi256ELi4ELi4ELi64ELi64ELi4ELc84ELc84ELb0ELb0ELb1EdKPKdKPdEEviiiT16_PT17_ilSA_ilS8_SA_ilPT18_ili26rocblas_geam_ex_operation_.kd
    .uniform_work_group_size: 1
    .uses_dynamic_stack: false
    .vgpr_count:     226
    .vgpr_spill_count: 0
    .wavefront_size: 32
    .workgroup_processor_mode: 1
  - .args:
      - .offset:         0
        .size:           4
        .value_kind:     by_value
      - .offset:         4
        .size:           4
        .value_kind:     by_value
      - .offset:         8
        .size:           4
        .value_kind:     by_value
      - .address_space:  global
        .offset:         16
        .size:           8
        .value_kind:     global_buffer
      - .address_space:  global
        .offset:         24
        .size:           8
        .value_kind:     global_buffer
      - .offset:         32
        .size:           4
        .value_kind:     by_value
      - .offset:         40
        .size:           8
        .value_kind:     by_value
      - .address_space:  global
        .offset:         48
        .size:           8
        .value_kind:     global_buffer
      - .offset:         56
        .size:           4
        .value_kind:     by_value
      - .offset:         64
        .size:           8
        .value_kind:     by_value
      - .address_space:  global
        .offset:         72
        .size:           8
        .value_kind:     global_buffer
      - .address_space:  global
        .offset:         80
        .size:           8
        .value_kind:     global_buffer
      - .offset:         88
        .size:           4
        .value_kind:     by_value
      - .offset:         96
        .size:           8
        .value_kind:     by_value
      - .address_space:  global
        .offset:         104
        .size:           8
        .value_kind:     global_buffer
      - .offset:         112
        .size:           4
        .value_kind:     by_value
      - .offset:         120
        .size:           8
        .value_kind:     by_value
      - .offset:         128
        .size:           4
        .value_kind:     by_value
      - .offset:         132
        .size:           4
        .value_kind:     by_value
    .group_segment_fixed_size: 20480
    .kernarg_segment_align: 8
    .kernarg_segment_size: 136
    .language:       OpenCL C
    .language_version:
      - 2
      - 0
    .max_flat_workgroup_size: 256
    .name:           _ZN12_GLOBAL__N_120geam_min_plus_kernelId15HIP_vector_typeIdLj2EEdLi8ELi32ELi64ELi256ELi4ELi4ELi64ELi64ELi4ELc84ELc84ELb0ELb1ELb1EPKdKS4_KPdEEviiiT16_PT17_ilSA_ilS8_SA_ilPT18_ili26rocblas_geam_ex_operation_
    .private_segment_fixed_size: 0
    .sgpr_count:     33
    .sgpr_spill_count: 0
    .symbol:         _ZN12_GLOBAL__N_120geam_min_plus_kernelId15HIP_vector_typeIdLj2EEdLi8ELi32ELi64ELi256ELi4ELi4ELi64ELi64ELi4ELc84ELc84ELb0ELb1ELb1EPKdKS4_KPdEEviiiT16_PT17_ilSA_ilS8_SA_ilPT18_ili26rocblas_geam_ex_operation_.kd
    .uniform_work_group_size: 1
    .uses_dynamic_stack: false
    .vgpr_count:     223
    .vgpr_spill_count: 0
    .wavefront_size: 32
    .workgroup_processor_mode: 1
  - .args:
      - .offset:         0
        .size:           4
        .value_kind:     by_value
      - .offset:         4
        .size:           4
        .value_kind:     by_value
      - .offset:         8
        .size:           4
        .value_kind:     by_value
      - .offset:         16
        .size:           8
        .value_kind:     by_value
      - .address_space:  global
        .offset:         24
        .size:           8
        .value_kind:     global_buffer
      - .offset:         32
        .size:           4
        .value_kind:     by_value
      - .offset:         40
        .size:           8
        .value_kind:     by_value
      - .address_space:  global
        .offset:         48
        .size:           8
        .value_kind:     global_buffer
      - .offset:         56
        .size:           4
        .value_kind:     by_value
      - .offset:         64
        .size:           8
        .value_kind:     by_value
      - .offset:         72
        .size:           8
        .value_kind:     by_value
      - .address_space:  global
        .offset:         80
        .size:           8
        .value_kind:     global_buffer
      - .offset:         88
        .size:           4
        .value_kind:     by_value
      - .offset:         96
        .size:           8
        .value_kind:     by_value
      - .address_space:  global
        .offset:         104
        .size:           8
        .value_kind:     global_buffer
      - .offset:         112
        .size:           4
        .value_kind:     by_value
      - .offset:         120
        .size:           8
        .value_kind:     by_value
      - .offset:         128
        .size:           4
        .value_kind:     by_value
      - .offset:         132
        .size:           4
        .value_kind:     by_value
    .group_segment_fixed_size: 20480
    .kernarg_segment_align: 8
    .kernarg_segment_size: 136
    .language:       OpenCL C
    .language_version:
      - 2
      - 0
    .max_flat_workgroup_size: 256
    .name:           _ZN12_GLOBAL__N_120geam_min_plus_kernelId15HIP_vector_typeIdLj2EEdLi8ELi32ELi64ELi256ELi4ELi4ELi64ELi64ELi4ELc84ELc84ELb1ELb1ELb1EdKPKdKPdEEviiiT16_PT17_ilSA_ilS8_SA_ilPT18_ili26rocblas_geam_ex_operation_
    .private_segment_fixed_size: 0
    .sgpr_count:     32
    .sgpr_spill_count: 0
    .symbol:         _ZN12_GLOBAL__N_120geam_min_plus_kernelId15HIP_vector_typeIdLj2EEdLi8ELi32ELi64ELi256ELi4ELi4ELi64ELi64ELi4ELc84ELc84ELb1ELb1ELb1EdKPKdKPdEEviiiT16_PT17_ilSA_ilS8_SA_ilPT18_ili26rocblas_geam_ex_operation_.kd
    .uniform_work_group_size: 1
    .uses_dynamic_stack: false
    .vgpr_count:     229
    .vgpr_spill_count: 0
    .wavefront_size: 32
    .workgroup_processor_mode: 1
  - .args:
      - .offset:         0
        .size:           4
        .value_kind:     by_value
      - .offset:         4
        .size:           4
        .value_kind:     by_value
      - .offset:         8
        .size:           4
        .value_kind:     by_value
      - .offset:         16
        .size:           8
        .value_kind:     by_value
      - .address_space:  global
        .offset:         24
        .size:           8
        .value_kind:     global_buffer
      - .offset:         32
        .size:           4
        .value_kind:     by_value
      - .offset:         40
        .size:           8
        .value_kind:     by_value
      - .address_space:  global
        .offset:         48
        .size:           8
        .value_kind:     global_buffer
      - .offset:         56
        .size:           4
        .value_kind:     by_value
      - .offset:         64
        .size:           8
        .value_kind:     by_value
      - .offset:         72
        .size:           8
        .value_kind:     by_value
      - .address_space:  global
        .offset:         80
        .size:           8
        .value_kind:     global_buffer
      - .offset:         88
        .size:           4
        .value_kind:     by_value
      - .offset:         96
        .size:           8
        .value_kind:     by_value
      - .address_space:  global
        .offset:         104
        .size:           8
        .value_kind:     global_buffer
      - .offset:         112
        .size:           4
        .value_kind:     by_value
      - .offset:         120
        .size:           8
        .value_kind:     by_value
      - .offset:         128
        .size:           4
        .value_kind:     by_value
      - .offset:         132
        .size:           4
        .value_kind:     by_value
    .group_segment_fixed_size: 20480
    .kernarg_segment_align: 8
    .kernarg_segment_size: 136
    .language:       OpenCL C
    .language_version:
      - 2
      - 0
    .max_flat_workgroup_size: 256
    .name:           _ZN12_GLOBAL__N_120geam_min_plus_kernelId15HIP_vector_typeIdLj2EEdLi8ELi32ELi64ELi256ELi4ELi4ELi64ELi64ELi4ELc84ELc84ELb0ELb1ELb1EdKPKdKPdEEviiiT16_PT17_ilSA_ilS8_SA_ilPT18_ili26rocblas_geam_ex_operation_
    .private_segment_fixed_size: 0
    .sgpr_count:     33
    .sgpr_spill_count: 0
    .symbol:         _ZN12_GLOBAL__N_120geam_min_plus_kernelId15HIP_vector_typeIdLj2EEdLi8ELi32ELi64ELi256ELi4ELi4ELi64ELi64ELi4ELc84ELc84ELb0ELb1ELb1EdKPKdKPdEEviiiT16_PT17_ilSA_ilS8_SA_ilPT18_ili26rocblas_geam_ex_operation_.kd
    .uniform_work_group_size: 1
    .uses_dynamic_stack: false
    .vgpr_count:     223
    .vgpr_spill_count: 0
    .wavefront_size: 32
    .workgroup_processor_mode: 1
  - .args:
      - .offset:         0
        .size:           4
        .value_kind:     by_value
      - .offset:         4
        .size:           4
        .value_kind:     by_value
      - .offset:         8
        .size:           4
        .value_kind:     by_value
      - .address_space:  global
        .offset:         16
        .size:           8
        .value_kind:     global_buffer
      - .address_space:  global
        .offset:         24
        .size:           8
        .value_kind:     global_buffer
      - .offset:         32
        .size:           4
        .value_kind:     by_value
      - .offset:         40
        .size:           8
        .value_kind:     by_value
      - .address_space:  global
        .offset:         48
        .size:           8
        .value_kind:     global_buffer
      - .offset:         56
        .size:           4
        .value_kind:     by_value
      - .offset:         64
        .size:           8
        .value_kind:     by_value
      - .address_space:  global
        .offset:         72
        .size:           8
        .value_kind:     global_buffer
      - .address_space:  global
        .offset:         80
        .size:           8
        .value_kind:     global_buffer
      - .offset:         88
        .size:           4
        .value_kind:     by_value
      - .offset:         96
        .size:           8
        .value_kind:     by_value
      - .address_space:  global
        .offset:         104
        .size:           8
        .value_kind:     global_buffer
      - .offset:         112
        .size:           4
        .value_kind:     by_value
      - .offset:         120
        .size:           8
        .value_kind:     by_value
      - .offset:         128
        .size:           4
        .value_kind:     by_value
      - .offset:         132
        .size:           4
        .value_kind:     by_value
    .group_segment_fixed_size: 16384
    .kernarg_segment_align: 8
    .kernarg_segment_size: 136
    .language:       OpenCL C
    .language_version:
      - 2
      - 0
    .max_flat_workgroup_size: 256
    .name:           _ZN12_GLOBAL__N_120geam_min_plus_kernelIdddLi4ELi64ELi128ELi128ELi4ELi64ELi4ELi4ELi64ELc78ELc78ELb0ELb0ELb0EPKdKS2_KPdEEviiiT16_PT17_ilS8_ilS6_S8_ilPT18_ili26rocblas_geam_ex_operation_
    .private_segment_fixed_size: 528
    .sgpr_count:     31
    .sgpr_spill_count: 0
    .symbol:         _ZN12_GLOBAL__N_120geam_min_plus_kernelIdddLi4ELi64ELi128ELi128ELi4ELi64ELi4ELi4ELi64ELc78ELc78ELb0ELb0ELb0EPKdKS2_KPdEEviiiT16_PT17_ilS8_ilS6_S8_ilPT18_ili26rocblas_geam_ex_operation_.kd
    .uniform_work_group_size: 1
    .uses_dynamic_stack: false
    .vgpr_count:     227
    .vgpr_spill_count: 0
    .wavefront_size: 32
    .workgroup_processor_mode: 1
  - .args:
      - .offset:         0
        .size:           4
        .value_kind:     by_value
      - .offset:         4
        .size:           4
        .value_kind:     by_value
      - .offset:         8
        .size:           4
        .value_kind:     by_value
      - .offset:         16
        .size:           8
        .value_kind:     by_value
      - .address_space:  global
        .offset:         24
        .size:           8
        .value_kind:     global_buffer
      - .offset:         32
        .size:           4
        .value_kind:     by_value
      - .offset:         40
        .size:           8
        .value_kind:     by_value
      - .address_space:  global
        .offset:         48
        .size:           8
        .value_kind:     global_buffer
      - .offset:         56
        .size:           4
        .value_kind:     by_value
      - .offset:         64
        .size:           8
        .value_kind:     by_value
      - .offset:         72
        .size:           8
        .value_kind:     by_value
      - .address_space:  global
        .offset:         80
        .size:           8
        .value_kind:     global_buffer
      - .offset:         88
        .size:           4
        .value_kind:     by_value
      - .offset:         96
        .size:           8
        .value_kind:     by_value
      - .address_space:  global
        .offset:         104
        .size:           8
        .value_kind:     global_buffer
      - .offset:         112
        .size:           4
        .value_kind:     by_value
      - .offset:         120
        .size:           8
        .value_kind:     by_value
      - .offset:         128
        .size:           4
        .value_kind:     by_value
      - .offset:         132
        .size:           4
        .value_kind:     by_value
    .group_segment_fixed_size: 16384
    .kernarg_segment_align: 8
    .kernarg_segment_size: 136
    .language:       OpenCL C
    .language_version:
      - 2
      - 0
    .max_flat_workgroup_size: 256
    .name:           _ZN12_GLOBAL__N_120geam_min_plus_kernelIdddLi4ELi64ELi128ELi128ELi4ELi64ELi4ELi4ELi64ELc78ELc78ELb1ELb0ELb0EdKPKdKPdEEviiiT16_PT17_ilS8_ilS6_S8_ilPT18_ili26rocblas_geam_ex_operation_
    .private_segment_fixed_size: 528
    .sgpr_count:     28
    .sgpr_spill_count: 0
    .symbol:         _ZN12_GLOBAL__N_120geam_min_plus_kernelIdddLi4ELi64ELi128ELi128ELi4ELi64ELi4ELi4ELi64ELc78ELc78ELb1ELb0ELb0EdKPKdKPdEEviiiT16_PT17_ilS8_ilS6_S8_ilPT18_ili26rocblas_geam_ex_operation_.kd
    .uniform_work_group_size: 1
    .uses_dynamic_stack: false
    .vgpr_count:     229
    .vgpr_spill_count: 0
    .wavefront_size: 32
    .workgroup_processor_mode: 1
  - .args:
      - .offset:         0
        .size:           4
        .value_kind:     by_value
      - .offset:         4
        .size:           4
        .value_kind:     by_value
      - .offset:         8
        .size:           4
        .value_kind:     by_value
      - .offset:         16
        .size:           8
        .value_kind:     by_value
      - .address_space:  global
        .offset:         24
        .size:           8
        .value_kind:     global_buffer
      - .offset:         32
        .size:           4
        .value_kind:     by_value
      - .offset:         40
        .size:           8
        .value_kind:     by_value
      - .address_space:  global
        .offset:         48
        .size:           8
        .value_kind:     global_buffer
      - .offset:         56
        .size:           4
        .value_kind:     by_value
      - .offset:         64
        .size:           8
        .value_kind:     by_value
      - .offset:         72
        .size:           8
        .value_kind:     by_value
      - .address_space:  global
        .offset:         80
        .size:           8
        .value_kind:     global_buffer
      - .offset:         88
        .size:           4
        .value_kind:     by_value
      - .offset:         96
        .size:           8
        .value_kind:     by_value
      - .address_space:  global
        .offset:         104
        .size:           8
        .value_kind:     global_buffer
      - .offset:         112
        .size:           4
        .value_kind:     by_value
      - .offset:         120
        .size:           8
        .value_kind:     by_value
      - .offset:         128
        .size:           4
        .value_kind:     by_value
      - .offset:         132
        .size:           4
        .value_kind:     by_value
    .group_segment_fixed_size: 16384
    .kernarg_segment_align: 8
    .kernarg_segment_size: 136
    .language:       OpenCL C
    .language_version:
      - 2
      - 0
    .max_flat_workgroup_size: 256
    .name:           _ZN12_GLOBAL__N_120geam_min_plus_kernelIdddLi4ELi64ELi128ELi128ELi4ELi64ELi4ELi4ELi64ELc78ELc78ELb0ELb0ELb0EdKPKdKPdEEviiiT16_PT17_ilS8_ilS6_S8_ilPT18_ili26rocblas_geam_ex_operation_
    .private_segment_fixed_size: 528
    .sgpr_count:     31
    .sgpr_spill_count: 0
    .symbol:         _ZN12_GLOBAL__N_120geam_min_plus_kernelIdddLi4ELi64ELi128ELi128ELi4ELi64ELi4ELi4ELi64ELc78ELc78ELb0ELb0ELb0EdKPKdKPdEEviiiT16_PT17_ilS8_ilS6_S8_ilPT18_ili26rocblas_geam_ex_operation_.kd
    .uniform_work_group_size: 1
    .uses_dynamic_stack: false
    .vgpr_count:     227
    .vgpr_spill_count: 0
    .wavefront_size: 32
    .workgroup_processor_mode: 1
  - .args:
      - .offset:         0
        .size:           4
        .value_kind:     by_value
      - .offset:         4
        .size:           4
        .value_kind:     by_value
      - .offset:         8
        .size:           4
        .value_kind:     by_value
      - .address_space:  global
        .offset:         16
        .size:           8
        .value_kind:     global_buffer
      - .address_space:  global
        .offset:         24
        .size:           8
        .value_kind:     global_buffer
      - .offset:         32
        .size:           4
        .value_kind:     by_value
      - .offset:         40
        .size:           8
        .value_kind:     by_value
      - .address_space:  global
        .offset:         48
        .size:           8
        .value_kind:     global_buffer
      - .offset:         56
        .size:           4
        .value_kind:     by_value
      - .offset:         64
        .size:           8
        .value_kind:     by_value
      - .address_space:  global
        .offset:         72
        .size:           8
        .value_kind:     global_buffer
      - .address_space:  global
        .offset:         80
        .size:           8
        .value_kind:     global_buffer
      - .offset:         88
        .size:           4
        .value_kind:     by_value
      - .offset:         96
        .size:           8
        .value_kind:     by_value
      - .address_space:  global
        .offset:         104
        .size:           8
        .value_kind:     global_buffer
      - .offset:         112
        .size:           4
        .value_kind:     by_value
      - .offset:         120
        .size:           8
        .value_kind:     by_value
      - .offset:         128
        .size:           4
        .value_kind:     by_value
      - .offset:         132
        .size:           4
        .value_kind:     by_value
    .group_segment_fixed_size: 16384
    .kernarg_segment_align: 8
    .kernarg_segment_size: 136
    .language:       OpenCL C
    .language_version:
      - 2
      - 0
    .max_flat_workgroup_size: 256
    .name:           _ZN12_GLOBAL__N_120geam_min_plus_kernelIdddLi4ELi64ELi128ELi128ELi4ELi64ELi4ELi4ELi64ELc78ELc78ELb0ELb1ELb0EPKdKS2_KPdEEviiiT16_PT17_ilS8_ilS6_S8_ilPT18_ili26rocblas_geam_ex_operation_
    .private_segment_fixed_size: 528
    .sgpr_count:     52
    .sgpr_spill_count: 0
    .symbol:         _ZN12_GLOBAL__N_120geam_min_plus_kernelIdddLi4ELi64ELi128ELi128ELi4ELi64ELi4ELi4ELi64ELc78ELc78ELb0ELb1ELb0EPKdKS2_KPdEEviiiT16_PT17_ilS8_ilS6_S8_ilPT18_ili26rocblas_geam_ex_operation_.kd
    .uniform_work_group_size: 1
    .uses_dynamic_stack: false
    .vgpr_count:     225
    .vgpr_spill_count: 0
    .wavefront_size: 32
    .workgroup_processor_mode: 1
  - .args:
      - .offset:         0
        .size:           4
        .value_kind:     by_value
      - .offset:         4
        .size:           4
        .value_kind:     by_value
      - .offset:         8
        .size:           4
        .value_kind:     by_value
      - .offset:         16
        .size:           8
        .value_kind:     by_value
      - .address_space:  global
        .offset:         24
        .size:           8
        .value_kind:     global_buffer
      - .offset:         32
        .size:           4
        .value_kind:     by_value
      - .offset:         40
        .size:           8
        .value_kind:     by_value
      - .address_space:  global
        .offset:         48
        .size:           8
        .value_kind:     global_buffer
      - .offset:         56
        .size:           4
        .value_kind:     by_value
      - .offset:         64
        .size:           8
        .value_kind:     by_value
      - .offset:         72
        .size:           8
        .value_kind:     by_value
      - .address_space:  global
        .offset:         80
        .size:           8
        .value_kind:     global_buffer
      - .offset:         88
        .size:           4
        .value_kind:     by_value
      - .offset:         96
        .size:           8
        .value_kind:     by_value
      - .address_space:  global
        .offset:         104
        .size:           8
        .value_kind:     global_buffer
      - .offset:         112
        .size:           4
        .value_kind:     by_value
      - .offset:         120
        .size:           8
        .value_kind:     by_value
      - .offset:         128
        .size:           4
        .value_kind:     by_value
      - .offset:         132
        .size:           4
        .value_kind:     by_value
    .group_segment_fixed_size: 16384
    .kernarg_segment_align: 8
    .kernarg_segment_size: 136
    .language:       OpenCL C
    .language_version:
      - 2
      - 0
    .max_flat_workgroup_size: 256
    .name:           _ZN12_GLOBAL__N_120geam_min_plus_kernelIdddLi4ELi64ELi128ELi128ELi4ELi64ELi4ELi4ELi64ELc78ELc78ELb1ELb1ELb0EdKPKdKPdEEviiiT16_PT17_ilS8_ilS6_S8_ilPT18_ili26rocblas_geam_ex_operation_
    .private_segment_fixed_size: 528
    .sgpr_count:     52
    .sgpr_spill_count: 0
    .symbol:         _ZN12_GLOBAL__N_120geam_min_plus_kernelIdddLi4ELi64ELi128ELi128ELi4ELi64ELi4ELi4ELi64ELc78ELc78ELb1ELb1ELb0EdKPKdKPdEEviiiT16_PT17_ilS8_ilS6_S8_ilPT18_ili26rocblas_geam_ex_operation_.kd
    .uniform_work_group_size: 1
    .uses_dynamic_stack: false
    .vgpr_count:     227
    .vgpr_spill_count: 0
    .wavefront_size: 32
    .workgroup_processor_mode: 1
  - .args:
      - .offset:         0
        .size:           4
        .value_kind:     by_value
      - .offset:         4
        .size:           4
        .value_kind:     by_value
      - .offset:         8
        .size:           4
        .value_kind:     by_value
      - .offset:         16
        .size:           8
        .value_kind:     by_value
      - .address_space:  global
        .offset:         24
        .size:           8
        .value_kind:     global_buffer
      - .offset:         32
        .size:           4
        .value_kind:     by_value
      - .offset:         40
        .size:           8
        .value_kind:     by_value
      - .address_space:  global
        .offset:         48
        .size:           8
        .value_kind:     global_buffer
      - .offset:         56
        .size:           4
        .value_kind:     by_value
      - .offset:         64
        .size:           8
        .value_kind:     by_value
      - .offset:         72
        .size:           8
        .value_kind:     by_value
      - .address_space:  global
        .offset:         80
        .size:           8
        .value_kind:     global_buffer
      - .offset:         88
        .size:           4
        .value_kind:     by_value
      - .offset:         96
        .size:           8
        .value_kind:     by_value
      - .address_space:  global
        .offset:         104
        .size:           8
        .value_kind:     global_buffer
      - .offset:         112
        .size:           4
        .value_kind:     by_value
      - .offset:         120
        .size:           8
        .value_kind:     by_value
      - .offset:         128
        .size:           4
        .value_kind:     by_value
      - .offset:         132
        .size:           4
        .value_kind:     by_value
    .group_segment_fixed_size: 16384
    .kernarg_segment_align: 8
    .kernarg_segment_size: 136
    .language:       OpenCL C
    .language_version:
      - 2
      - 0
    .max_flat_workgroup_size: 256
    .name:           _ZN12_GLOBAL__N_120geam_min_plus_kernelIdddLi4ELi64ELi128ELi128ELi4ELi64ELi4ELi4ELi64ELc78ELc78ELb0ELb1ELb0EdKPKdKPdEEviiiT16_PT17_ilS8_ilS6_S8_ilPT18_ili26rocblas_geam_ex_operation_
    .private_segment_fixed_size: 528
    .sgpr_count:     52
    .sgpr_spill_count: 0
    .symbol:         _ZN12_GLOBAL__N_120geam_min_plus_kernelIdddLi4ELi64ELi128ELi128ELi4ELi64ELi4ELi4ELi64ELc78ELc78ELb0ELb1ELb0EdKPKdKPdEEviiiT16_PT17_ilS8_ilS6_S8_ilPT18_ili26rocblas_geam_ex_operation_.kd
    .uniform_work_group_size: 1
    .uses_dynamic_stack: false
    .vgpr_count:     225
    .vgpr_spill_count: 0
    .wavefront_size: 32
    .workgroup_processor_mode: 1
  - .args:
      - .offset:         0
        .size:           4
        .value_kind:     by_value
      - .offset:         4
        .size:           4
        .value_kind:     by_value
      - .offset:         8
        .size:           4
        .value_kind:     by_value
      - .address_space:  global
        .offset:         16
        .size:           8
        .value_kind:     global_buffer
      - .address_space:  global
        .offset:         24
        .size:           8
        .value_kind:     global_buffer
      - .offset:         32
        .size:           4
        .value_kind:     by_value
      - .offset:         40
        .size:           8
        .value_kind:     by_value
      - .address_space:  global
        .offset:         48
        .size:           8
        .value_kind:     global_buffer
      - .offset:         56
        .size:           4
        .value_kind:     by_value
      - .offset:         64
        .size:           8
        .value_kind:     by_value
      - .address_space:  global
        .offset:         72
        .size:           8
        .value_kind:     global_buffer
      - .address_space:  global
        .offset:         80
        .size:           8
        .value_kind:     global_buffer
      - .offset:         88
        .size:           4
        .value_kind:     by_value
      - .offset:         96
        .size:           8
        .value_kind:     by_value
      - .address_space:  global
        .offset:         104
        .size:           8
        .value_kind:     global_buffer
      - .offset:         112
        .size:           4
        .value_kind:     by_value
      - .offset:         120
        .size:           8
        .value_kind:     by_value
      - .offset:         128
        .size:           4
        .value_kind:     by_value
      - .offset:         132
        .size:           4
        .value_kind:     by_value
    .group_segment_fixed_size: 16384
    .kernarg_segment_align: 8
    .kernarg_segment_size: 136
    .language:       OpenCL C
    .language_version:
      - 2
      - 0
    .max_flat_workgroup_size: 256
    .name:           _ZN12_GLOBAL__N_120geam_min_plus_kernelIdddLi4ELi64ELi128ELi128ELi4ELi4ELi64ELi4ELi64ELc84ELc78ELb0ELb0ELb0EPKdKS2_KPdEEviiiT16_PT17_ilS8_ilS6_S8_ilPT18_ili26rocblas_geam_ex_operation_
    .private_segment_fixed_size: 528
    .sgpr_count:     31
    .sgpr_spill_count: 0
    .symbol:         _ZN12_GLOBAL__N_120geam_min_plus_kernelIdddLi4ELi64ELi128ELi128ELi4ELi4ELi64ELi4ELi64ELc84ELc78ELb0ELb0ELb0EPKdKS2_KPdEEviiiT16_PT17_ilS8_ilS6_S8_ilPT18_ili26rocblas_geam_ex_operation_.kd
    .uniform_work_group_size: 1
    .uses_dynamic_stack: false
    .vgpr_count:     229
    .vgpr_spill_count: 0
    .wavefront_size: 32
    .workgroup_processor_mode: 1
  - .args:
      - .offset:         0
        .size:           4
        .value_kind:     by_value
      - .offset:         4
        .size:           4
        .value_kind:     by_value
      - .offset:         8
        .size:           4
        .value_kind:     by_value
      - .offset:         16
        .size:           8
        .value_kind:     by_value
      - .address_space:  global
        .offset:         24
        .size:           8
        .value_kind:     global_buffer
      - .offset:         32
        .size:           4
        .value_kind:     by_value
      - .offset:         40
        .size:           8
        .value_kind:     by_value
      - .address_space:  global
        .offset:         48
        .size:           8
        .value_kind:     global_buffer
      - .offset:         56
        .size:           4
        .value_kind:     by_value
      - .offset:         64
        .size:           8
        .value_kind:     by_value
      - .offset:         72
        .size:           8
        .value_kind:     by_value
      - .address_space:  global
        .offset:         80
        .size:           8
        .value_kind:     global_buffer
      - .offset:         88
        .size:           4
        .value_kind:     by_value
      - .offset:         96
        .size:           8
        .value_kind:     by_value
      - .address_space:  global
        .offset:         104
        .size:           8
        .value_kind:     global_buffer
      - .offset:         112
        .size:           4
        .value_kind:     by_value
      - .offset:         120
        .size:           8
        .value_kind:     by_value
      - .offset:         128
        .size:           4
        .value_kind:     by_value
      - .offset:         132
        .size:           4
        .value_kind:     by_value
    .group_segment_fixed_size: 16384
    .kernarg_segment_align: 8
    .kernarg_segment_size: 136
    .language:       OpenCL C
    .language_version:
      - 2
      - 0
    .max_flat_workgroup_size: 256
    .name:           _ZN12_GLOBAL__N_120geam_min_plus_kernelIdddLi4ELi64ELi128ELi128ELi4ELi4ELi64ELi4ELi64ELc84ELc78ELb1ELb0ELb0EdKPKdKPdEEviiiT16_PT17_ilS8_ilS6_S8_ilPT18_ili26rocblas_geam_ex_operation_
    .private_segment_fixed_size: 528
    .sgpr_count:     28
    .sgpr_spill_count: 0
    .symbol:         _ZN12_GLOBAL__N_120geam_min_plus_kernelIdddLi4ELi64ELi128ELi128ELi4ELi4ELi64ELi4ELi64ELc84ELc78ELb1ELb0ELb0EdKPKdKPdEEviiiT16_PT17_ilS8_ilS6_S8_ilPT18_ili26rocblas_geam_ex_operation_.kd
    .uniform_work_group_size: 1
    .uses_dynamic_stack: false
    .vgpr_count:     233
    .vgpr_spill_count: 0
    .wavefront_size: 32
    .workgroup_processor_mode: 1
  - .args:
      - .offset:         0
        .size:           4
        .value_kind:     by_value
      - .offset:         4
        .size:           4
        .value_kind:     by_value
      - .offset:         8
        .size:           4
        .value_kind:     by_value
      - .offset:         16
        .size:           8
        .value_kind:     by_value
      - .address_space:  global
        .offset:         24
        .size:           8
        .value_kind:     global_buffer
      - .offset:         32
        .size:           4
        .value_kind:     by_value
      - .offset:         40
        .size:           8
        .value_kind:     by_value
      - .address_space:  global
        .offset:         48
        .size:           8
        .value_kind:     global_buffer
      - .offset:         56
        .size:           4
        .value_kind:     by_value
      - .offset:         64
        .size:           8
        .value_kind:     by_value
      - .offset:         72
        .size:           8
        .value_kind:     by_value
      - .address_space:  global
        .offset:         80
        .size:           8
        .value_kind:     global_buffer
      - .offset:         88
        .size:           4
        .value_kind:     by_value
      - .offset:         96
        .size:           8
        .value_kind:     by_value
      - .address_space:  global
        .offset:         104
        .size:           8
        .value_kind:     global_buffer
      - .offset:         112
        .size:           4
        .value_kind:     by_value
      - .offset:         120
        .size:           8
        .value_kind:     by_value
      - .offset:         128
        .size:           4
        .value_kind:     by_value
      - .offset:         132
        .size:           4
        .value_kind:     by_value
    .group_segment_fixed_size: 16384
    .kernarg_segment_align: 8
    .kernarg_segment_size: 136
    .language:       OpenCL C
    .language_version:
      - 2
      - 0
    .max_flat_workgroup_size: 256
    .name:           _ZN12_GLOBAL__N_120geam_min_plus_kernelIdddLi4ELi64ELi128ELi128ELi4ELi4ELi64ELi4ELi64ELc84ELc78ELb0ELb0ELb0EdKPKdKPdEEviiiT16_PT17_ilS8_ilS6_S8_ilPT18_ili26rocblas_geam_ex_operation_
    .private_segment_fixed_size: 528
    .sgpr_count:     31
    .sgpr_spill_count: 0
    .symbol:         _ZN12_GLOBAL__N_120geam_min_plus_kernelIdddLi4ELi64ELi128ELi128ELi4ELi4ELi64ELi4ELi64ELc84ELc78ELb0ELb0ELb0EdKPKdKPdEEviiiT16_PT17_ilS8_ilS6_S8_ilPT18_ili26rocblas_geam_ex_operation_.kd
    .uniform_work_group_size: 1
    .uses_dynamic_stack: false
    .vgpr_count:     229
    .vgpr_spill_count: 0
    .wavefront_size: 32
    .workgroup_processor_mode: 1
  - .args:
      - .offset:         0
        .size:           4
        .value_kind:     by_value
      - .offset:         4
        .size:           4
        .value_kind:     by_value
      - .offset:         8
        .size:           4
        .value_kind:     by_value
      - .address_space:  global
        .offset:         16
        .size:           8
        .value_kind:     global_buffer
      - .address_space:  global
        .offset:         24
        .size:           8
        .value_kind:     global_buffer
      - .offset:         32
        .size:           4
        .value_kind:     by_value
      - .offset:         40
        .size:           8
        .value_kind:     by_value
      - .address_space:  global
        .offset:         48
        .size:           8
        .value_kind:     global_buffer
      - .offset:         56
        .size:           4
        .value_kind:     by_value
      - .offset:         64
        .size:           8
        .value_kind:     by_value
      - .address_space:  global
        .offset:         72
        .size:           8
        .value_kind:     global_buffer
      - .address_space:  global
        .offset:         80
        .size:           8
        .value_kind:     global_buffer
      - .offset:         88
        .size:           4
        .value_kind:     by_value
      - .offset:         96
        .size:           8
        .value_kind:     by_value
      - .address_space:  global
        .offset:         104
        .size:           8
        .value_kind:     global_buffer
      - .offset:         112
        .size:           4
        .value_kind:     by_value
      - .offset:         120
        .size:           8
        .value_kind:     by_value
      - .offset:         128
        .size:           4
        .value_kind:     by_value
      - .offset:         132
        .size:           4
        .value_kind:     by_value
    .group_segment_fixed_size: 16384
    .kernarg_segment_align: 8
    .kernarg_segment_size: 136
    .language:       OpenCL C
    .language_version:
      - 2
      - 0
    .max_flat_workgroup_size: 256
    .name:           _ZN12_GLOBAL__N_120geam_min_plus_kernelIdddLi4ELi64ELi128ELi128ELi4ELi4ELi64ELi4ELi64ELc84ELc78ELb0ELb1ELb0EPKdKS2_KPdEEviiiT16_PT17_ilS8_ilS6_S8_ilPT18_ili26rocblas_geam_ex_operation_
    .private_segment_fixed_size: 528
    .sgpr_count:     52
    .sgpr_spill_count: 0
    .symbol:         _ZN12_GLOBAL__N_120geam_min_plus_kernelIdddLi4ELi64ELi128ELi128ELi4ELi4ELi64ELi4ELi64ELc84ELc78ELb0ELb1ELb0EPKdKS2_KPdEEviiiT16_PT17_ilS8_ilS6_S8_ilPT18_ili26rocblas_geam_ex_operation_.kd
    .uniform_work_group_size: 1
    .uses_dynamic_stack: false
    .vgpr_count:     226
    .vgpr_spill_count: 0
    .wavefront_size: 32
    .workgroup_processor_mode: 1
  - .args:
      - .offset:         0
        .size:           4
        .value_kind:     by_value
      - .offset:         4
        .size:           4
        .value_kind:     by_value
      - .offset:         8
        .size:           4
        .value_kind:     by_value
      - .offset:         16
        .size:           8
        .value_kind:     by_value
      - .address_space:  global
        .offset:         24
        .size:           8
        .value_kind:     global_buffer
      - .offset:         32
        .size:           4
        .value_kind:     by_value
      - .offset:         40
        .size:           8
        .value_kind:     by_value
      - .address_space:  global
        .offset:         48
        .size:           8
        .value_kind:     global_buffer
      - .offset:         56
        .size:           4
        .value_kind:     by_value
      - .offset:         64
        .size:           8
        .value_kind:     by_value
      - .offset:         72
        .size:           8
        .value_kind:     by_value
      - .address_space:  global
        .offset:         80
        .size:           8
        .value_kind:     global_buffer
      - .offset:         88
        .size:           4
        .value_kind:     by_value
      - .offset:         96
        .size:           8
        .value_kind:     by_value
      - .address_space:  global
        .offset:         104
        .size:           8
        .value_kind:     global_buffer
      - .offset:         112
        .size:           4
        .value_kind:     by_value
      - .offset:         120
        .size:           8
        .value_kind:     by_value
      - .offset:         128
        .size:           4
        .value_kind:     by_value
      - .offset:         132
        .size:           4
        .value_kind:     by_value
    .group_segment_fixed_size: 16384
    .kernarg_segment_align: 8
    .kernarg_segment_size: 136
    .language:       OpenCL C
    .language_version:
      - 2
      - 0
    .max_flat_workgroup_size: 256
    .name:           _ZN12_GLOBAL__N_120geam_min_plus_kernelIdddLi4ELi64ELi128ELi128ELi4ELi4ELi64ELi4ELi64ELc84ELc78ELb1ELb1ELb0EdKPKdKPdEEviiiT16_PT17_ilS8_ilS6_S8_ilPT18_ili26rocblas_geam_ex_operation_
    .private_segment_fixed_size: 528
    .sgpr_count:     52
    .sgpr_spill_count: 0
    .symbol:         _ZN12_GLOBAL__N_120geam_min_plus_kernelIdddLi4ELi64ELi128ELi128ELi4ELi4ELi64ELi4ELi64ELc84ELc78ELb1ELb1ELb0EdKPKdKPdEEviiiT16_PT17_ilS8_ilS6_S8_ilPT18_ili26rocblas_geam_ex_operation_.kd
    .uniform_work_group_size: 1
    .uses_dynamic_stack: false
    .vgpr_count:     230
    .vgpr_spill_count: 0
    .wavefront_size: 32
    .workgroup_processor_mode: 1
  - .args:
      - .offset:         0
        .size:           4
        .value_kind:     by_value
      - .offset:         4
        .size:           4
        .value_kind:     by_value
      - .offset:         8
        .size:           4
        .value_kind:     by_value
      - .offset:         16
        .size:           8
        .value_kind:     by_value
      - .address_space:  global
        .offset:         24
        .size:           8
        .value_kind:     global_buffer
      - .offset:         32
        .size:           4
        .value_kind:     by_value
      - .offset:         40
        .size:           8
        .value_kind:     by_value
      - .address_space:  global
        .offset:         48
        .size:           8
        .value_kind:     global_buffer
      - .offset:         56
        .size:           4
        .value_kind:     by_value
      - .offset:         64
        .size:           8
        .value_kind:     by_value
      - .offset:         72
        .size:           8
        .value_kind:     by_value
      - .address_space:  global
        .offset:         80
        .size:           8
        .value_kind:     global_buffer
      - .offset:         88
        .size:           4
        .value_kind:     by_value
      - .offset:         96
        .size:           8
        .value_kind:     by_value
      - .address_space:  global
        .offset:         104
        .size:           8
        .value_kind:     global_buffer
      - .offset:         112
        .size:           4
        .value_kind:     by_value
      - .offset:         120
        .size:           8
        .value_kind:     by_value
      - .offset:         128
        .size:           4
        .value_kind:     by_value
      - .offset:         132
        .size:           4
        .value_kind:     by_value
    .group_segment_fixed_size: 16384
    .kernarg_segment_align: 8
    .kernarg_segment_size: 136
    .language:       OpenCL C
    .language_version:
      - 2
      - 0
    .max_flat_workgroup_size: 256
    .name:           _ZN12_GLOBAL__N_120geam_min_plus_kernelIdddLi4ELi64ELi128ELi128ELi4ELi4ELi64ELi4ELi64ELc84ELc78ELb0ELb1ELb0EdKPKdKPdEEviiiT16_PT17_ilS8_ilS6_S8_ilPT18_ili26rocblas_geam_ex_operation_
    .private_segment_fixed_size: 528
    .sgpr_count:     52
    .sgpr_spill_count: 0
    .symbol:         _ZN12_GLOBAL__N_120geam_min_plus_kernelIdddLi4ELi64ELi128ELi128ELi4ELi4ELi64ELi4ELi64ELc84ELc78ELb0ELb1ELb0EdKPKdKPdEEviiiT16_PT17_ilS8_ilS6_S8_ilPT18_ili26rocblas_geam_ex_operation_.kd
    .uniform_work_group_size: 1
    .uses_dynamic_stack: false
    .vgpr_count:     226
    .vgpr_spill_count: 0
    .wavefront_size: 32
    .workgroup_processor_mode: 1
  - .args:
      - .offset:         0
        .size:           4
        .value_kind:     by_value
      - .offset:         4
        .size:           4
        .value_kind:     by_value
      - .offset:         8
        .size:           4
        .value_kind:     by_value
      - .address_space:  global
        .offset:         16
        .size:           8
        .value_kind:     global_buffer
      - .address_space:  global
        .offset:         24
        .size:           8
        .value_kind:     global_buffer
      - .offset:         32
        .size:           4
        .value_kind:     by_value
      - .offset:         40
        .size:           8
        .value_kind:     by_value
      - .address_space:  global
        .offset:         48
        .size:           8
        .value_kind:     global_buffer
      - .offset:         56
        .size:           4
        .value_kind:     by_value
      - .offset:         64
        .size:           8
        .value_kind:     by_value
      - .address_space:  global
        .offset:         72
        .size:           8
        .value_kind:     global_buffer
      - .address_space:  global
        .offset:         80
        .size:           8
        .value_kind:     global_buffer
      - .offset:         88
        .size:           4
        .value_kind:     by_value
      - .offset:         96
        .size:           8
        .value_kind:     by_value
      - .address_space:  global
        .offset:         104
        .size:           8
        .value_kind:     global_buffer
      - .offset:         112
        .size:           4
        .value_kind:     by_value
      - .offset:         120
        .size:           8
        .value_kind:     by_value
      - .offset:         128
        .size:           4
        .value_kind:     by_value
      - .offset:         132
        .size:           4
        .value_kind:     by_value
    .group_segment_fixed_size: 16384
    .kernarg_segment_align: 8
    .kernarg_segment_size: 136
    .language:       OpenCL C
    .language_version:
      - 2
      - 0
    .max_flat_workgroup_size: 256
    .name:           _ZN12_GLOBAL__N_120geam_min_plus_kernelIdddLi4ELi64ELi128ELi128ELi4ELi64ELi4ELi64ELi4ELc78ELc84ELb0ELb0ELb0EPKdKS2_KPdEEviiiT16_PT17_ilS8_ilS6_S8_ilPT18_ili26rocblas_geam_ex_operation_
    .private_segment_fixed_size: 528
    .sgpr_count:     32
    .sgpr_spill_count: 0
    .symbol:         _ZN12_GLOBAL__N_120geam_min_plus_kernelIdddLi4ELi64ELi128ELi128ELi4ELi64ELi4ELi64ELi4ELc78ELc84ELb0ELb0ELb0EPKdKS2_KPdEEviiiT16_PT17_ilS8_ilS6_S8_ilPT18_ili26rocblas_geam_ex_operation_.kd
    .uniform_work_group_size: 1
    .uses_dynamic_stack: false
    .vgpr_count:     223
    .vgpr_spill_count: 0
    .wavefront_size: 32
    .workgroup_processor_mode: 1
  - .args:
      - .offset:         0
        .size:           4
        .value_kind:     by_value
      - .offset:         4
        .size:           4
        .value_kind:     by_value
      - .offset:         8
        .size:           4
        .value_kind:     by_value
      - .offset:         16
        .size:           8
        .value_kind:     by_value
      - .address_space:  global
        .offset:         24
        .size:           8
        .value_kind:     global_buffer
      - .offset:         32
        .size:           4
        .value_kind:     by_value
      - .offset:         40
        .size:           8
        .value_kind:     by_value
      - .address_space:  global
        .offset:         48
        .size:           8
        .value_kind:     global_buffer
      - .offset:         56
        .size:           4
        .value_kind:     by_value
      - .offset:         64
        .size:           8
        .value_kind:     by_value
      - .offset:         72
        .size:           8
        .value_kind:     by_value
      - .address_space:  global
        .offset:         80
        .size:           8
        .value_kind:     global_buffer
      - .offset:         88
        .size:           4
        .value_kind:     by_value
      - .offset:         96
        .size:           8
        .value_kind:     by_value
      - .address_space:  global
        .offset:         104
        .size:           8
        .value_kind:     global_buffer
      - .offset:         112
        .size:           4
        .value_kind:     by_value
      - .offset:         120
        .size:           8
        .value_kind:     by_value
      - .offset:         128
        .size:           4
        .value_kind:     by_value
      - .offset:         132
        .size:           4
        .value_kind:     by_value
    .group_segment_fixed_size: 16384
    .kernarg_segment_align: 8
    .kernarg_segment_size: 136
    .language:       OpenCL C
    .language_version:
      - 2
      - 0
    .max_flat_workgroup_size: 256
    .name:           _ZN12_GLOBAL__N_120geam_min_plus_kernelIdddLi4ELi64ELi128ELi128ELi4ELi64ELi4ELi64ELi4ELc78ELc84ELb1ELb0ELb0EdKPKdKPdEEviiiT16_PT17_ilS8_ilS6_S8_ilPT18_ili26rocblas_geam_ex_operation_
    .private_segment_fixed_size: 528
    .sgpr_count:     29
    .sgpr_spill_count: 0
    .symbol:         _ZN12_GLOBAL__N_120geam_min_plus_kernelIdddLi4ELi64ELi128ELi128ELi4ELi64ELi4ELi64ELi4ELc78ELc84ELb1ELb0ELb0EdKPKdKPdEEviiiT16_PT17_ilS8_ilS6_S8_ilPT18_ili26rocblas_geam_ex_operation_.kd
    .uniform_work_group_size: 1
    .uses_dynamic_stack: false
    .vgpr_count:     223
    .vgpr_spill_count: 0
    .wavefront_size: 32
    .workgroup_processor_mode: 1
  - .args:
      - .offset:         0
        .size:           4
        .value_kind:     by_value
      - .offset:         4
        .size:           4
        .value_kind:     by_value
      - .offset:         8
        .size:           4
        .value_kind:     by_value
      - .offset:         16
        .size:           8
        .value_kind:     by_value
      - .address_space:  global
        .offset:         24
        .size:           8
        .value_kind:     global_buffer
      - .offset:         32
        .size:           4
        .value_kind:     by_value
      - .offset:         40
        .size:           8
        .value_kind:     by_value
      - .address_space:  global
        .offset:         48
        .size:           8
        .value_kind:     global_buffer
      - .offset:         56
        .size:           4
        .value_kind:     by_value
      - .offset:         64
        .size:           8
        .value_kind:     by_value
      - .offset:         72
        .size:           8
        .value_kind:     by_value
      - .address_space:  global
        .offset:         80
        .size:           8
        .value_kind:     global_buffer
      - .offset:         88
        .size:           4
        .value_kind:     by_value
      - .offset:         96
        .size:           8
        .value_kind:     by_value
      - .address_space:  global
        .offset:         104
        .size:           8
        .value_kind:     global_buffer
      - .offset:         112
        .size:           4
        .value_kind:     by_value
      - .offset:         120
        .size:           8
        .value_kind:     by_value
      - .offset:         128
        .size:           4
        .value_kind:     by_value
      - .offset:         132
        .size:           4
        .value_kind:     by_value
    .group_segment_fixed_size: 16384
    .kernarg_segment_align: 8
    .kernarg_segment_size: 136
    .language:       OpenCL C
    .language_version:
      - 2
      - 0
    .max_flat_workgroup_size: 256
    .name:           _ZN12_GLOBAL__N_120geam_min_plus_kernelIdddLi4ELi64ELi128ELi128ELi4ELi64ELi4ELi64ELi4ELc78ELc84ELb0ELb0ELb0EdKPKdKPdEEviiiT16_PT17_ilS8_ilS6_S8_ilPT18_ili26rocblas_geam_ex_operation_
    .private_segment_fixed_size: 528
    .sgpr_count:     32
    .sgpr_spill_count: 0
    .symbol:         _ZN12_GLOBAL__N_120geam_min_plus_kernelIdddLi4ELi64ELi128ELi128ELi4ELi64ELi4ELi64ELi4ELc78ELc84ELb0ELb0ELb0EdKPKdKPdEEviiiT16_PT17_ilS8_ilS6_S8_ilPT18_ili26rocblas_geam_ex_operation_.kd
    .uniform_work_group_size: 1
    .uses_dynamic_stack: false
    .vgpr_count:     223
    .vgpr_spill_count: 0
    .wavefront_size: 32
    .workgroup_processor_mode: 1
  - .args:
      - .offset:         0
        .size:           4
        .value_kind:     by_value
      - .offset:         4
        .size:           4
        .value_kind:     by_value
      - .offset:         8
        .size:           4
        .value_kind:     by_value
      - .address_space:  global
        .offset:         16
        .size:           8
        .value_kind:     global_buffer
      - .address_space:  global
        .offset:         24
        .size:           8
        .value_kind:     global_buffer
      - .offset:         32
        .size:           4
        .value_kind:     by_value
      - .offset:         40
        .size:           8
        .value_kind:     by_value
      - .address_space:  global
        .offset:         48
        .size:           8
        .value_kind:     global_buffer
      - .offset:         56
        .size:           4
        .value_kind:     by_value
      - .offset:         64
        .size:           8
        .value_kind:     by_value
      - .address_space:  global
        .offset:         72
        .size:           8
        .value_kind:     global_buffer
      - .address_space:  global
        .offset:         80
        .size:           8
        .value_kind:     global_buffer
      - .offset:         88
        .size:           4
        .value_kind:     by_value
      - .offset:         96
        .size:           8
        .value_kind:     by_value
      - .address_space:  global
        .offset:         104
        .size:           8
        .value_kind:     global_buffer
      - .offset:         112
        .size:           4
        .value_kind:     by_value
      - .offset:         120
        .size:           8
        .value_kind:     by_value
      - .offset:         128
        .size:           4
        .value_kind:     by_value
      - .offset:         132
        .size:           4
        .value_kind:     by_value
    .group_segment_fixed_size: 16384
    .kernarg_segment_align: 8
    .kernarg_segment_size: 136
    .language:       OpenCL C
    .language_version:
      - 2
      - 0
    .max_flat_workgroup_size: 256
    .name:           _ZN12_GLOBAL__N_120geam_min_plus_kernelIdddLi4ELi64ELi128ELi128ELi4ELi64ELi4ELi64ELi4ELc78ELc84ELb0ELb1ELb0EPKdKS2_KPdEEviiiT16_PT17_ilS8_ilS6_S8_ilPT18_ili26rocblas_geam_ex_operation_
    .private_segment_fixed_size: 528
    .sgpr_count:     52
    .sgpr_spill_count: 0
    .symbol:         _ZN12_GLOBAL__N_120geam_min_plus_kernelIdddLi4ELi64ELi128ELi128ELi4ELi64ELi4ELi64ELi4ELc78ELc84ELb0ELb1ELb0EPKdKS2_KPdEEviiiT16_PT17_ilS8_ilS6_S8_ilPT18_ili26rocblas_geam_ex_operation_.kd
    .uniform_work_group_size: 1
    .uses_dynamic_stack: false
    .vgpr_count:     222
    .vgpr_spill_count: 0
    .wavefront_size: 32
    .workgroup_processor_mode: 1
  - .args:
      - .offset:         0
        .size:           4
        .value_kind:     by_value
      - .offset:         4
        .size:           4
        .value_kind:     by_value
      - .offset:         8
        .size:           4
        .value_kind:     by_value
      - .offset:         16
        .size:           8
        .value_kind:     by_value
      - .address_space:  global
        .offset:         24
        .size:           8
        .value_kind:     global_buffer
      - .offset:         32
        .size:           4
        .value_kind:     by_value
      - .offset:         40
        .size:           8
        .value_kind:     by_value
      - .address_space:  global
        .offset:         48
        .size:           8
        .value_kind:     global_buffer
      - .offset:         56
        .size:           4
        .value_kind:     by_value
      - .offset:         64
        .size:           8
        .value_kind:     by_value
      - .offset:         72
        .size:           8
        .value_kind:     by_value
      - .address_space:  global
        .offset:         80
        .size:           8
        .value_kind:     global_buffer
      - .offset:         88
        .size:           4
        .value_kind:     by_value
      - .offset:         96
        .size:           8
        .value_kind:     by_value
      - .address_space:  global
        .offset:         104
        .size:           8
        .value_kind:     global_buffer
      - .offset:         112
        .size:           4
        .value_kind:     by_value
      - .offset:         120
        .size:           8
        .value_kind:     by_value
      - .offset:         128
        .size:           4
        .value_kind:     by_value
      - .offset:         132
        .size:           4
        .value_kind:     by_value
    .group_segment_fixed_size: 16384
    .kernarg_segment_align: 8
    .kernarg_segment_size: 136
    .language:       OpenCL C
    .language_version:
      - 2
      - 0
    .max_flat_workgroup_size: 256
    .name:           _ZN12_GLOBAL__N_120geam_min_plus_kernelIdddLi4ELi64ELi128ELi128ELi4ELi64ELi4ELi64ELi4ELc78ELc84ELb1ELb1ELb0EdKPKdKPdEEviiiT16_PT17_ilS8_ilS6_S8_ilPT18_ili26rocblas_geam_ex_operation_
    .private_segment_fixed_size: 528
    .sgpr_count:     52
    .sgpr_spill_count: 0
    .symbol:         _ZN12_GLOBAL__N_120geam_min_plus_kernelIdddLi4ELi64ELi128ELi128ELi4ELi64ELi4ELi64ELi4ELc78ELc84ELb1ELb1ELb0EdKPKdKPdEEviiiT16_PT17_ilS8_ilS6_S8_ilPT18_ili26rocblas_geam_ex_operation_.kd
    .uniform_work_group_size: 1
    .uses_dynamic_stack: false
    .vgpr_count:     222
    .vgpr_spill_count: 0
    .wavefront_size: 32
    .workgroup_processor_mode: 1
  - .args:
      - .offset:         0
        .size:           4
        .value_kind:     by_value
      - .offset:         4
        .size:           4
        .value_kind:     by_value
      - .offset:         8
        .size:           4
        .value_kind:     by_value
      - .offset:         16
        .size:           8
        .value_kind:     by_value
      - .address_space:  global
        .offset:         24
        .size:           8
        .value_kind:     global_buffer
      - .offset:         32
        .size:           4
        .value_kind:     by_value
      - .offset:         40
        .size:           8
        .value_kind:     by_value
      - .address_space:  global
        .offset:         48
        .size:           8
        .value_kind:     global_buffer
      - .offset:         56
        .size:           4
        .value_kind:     by_value
      - .offset:         64
        .size:           8
        .value_kind:     by_value
      - .offset:         72
        .size:           8
        .value_kind:     by_value
      - .address_space:  global
        .offset:         80
        .size:           8
        .value_kind:     global_buffer
      - .offset:         88
        .size:           4
        .value_kind:     by_value
      - .offset:         96
        .size:           8
        .value_kind:     by_value
      - .address_space:  global
        .offset:         104
        .size:           8
        .value_kind:     global_buffer
      - .offset:         112
        .size:           4
        .value_kind:     by_value
      - .offset:         120
        .size:           8
        .value_kind:     by_value
      - .offset:         128
        .size:           4
        .value_kind:     by_value
      - .offset:         132
        .size:           4
        .value_kind:     by_value
    .group_segment_fixed_size: 16384
    .kernarg_segment_align: 8
    .kernarg_segment_size: 136
    .language:       OpenCL C
    .language_version:
      - 2
      - 0
    .max_flat_workgroup_size: 256
    .name:           _ZN12_GLOBAL__N_120geam_min_plus_kernelIdddLi4ELi64ELi128ELi128ELi4ELi64ELi4ELi64ELi4ELc78ELc84ELb0ELb1ELb0EdKPKdKPdEEviiiT16_PT17_ilS8_ilS6_S8_ilPT18_ili26rocblas_geam_ex_operation_
    .private_segment_fixed_size: 528
    .sgpr_count:     52
    .sgpr_spill_count: 0
    .symbol:         _ZN12_GLOBAL__N_120geam_min_plus_kernelIdddLi4ELi64ELi128ELi128ELi4ELi64ELi4ELi64ELi4ELc78ELc84ELb0ELb1ELb0EdKPKdKPdEEviiiT16_PT17_ilS8_ilS6_S8_ilPT18_ili26rocblas_geam_ex_operation_.kd
    .uniform_work_group_size: 1
    .uses_dynamic_stack: false
    .vgpr_count:     222
    .vgpr_spill_count: 0
    .wavefront_size: 32
    .workgroup_processor_mode: 1
  - .args:
      - .offset:         0
        .size:           4
        .value_kind:     by_value
      - .offset:         4
        .size:           4
        .value_kind:     by_value
      - .offset:         8
        .size:           4
        .value_kind:     by_value
      - .address_space:  global
        .offset:         16
        .size:           8
        .value_kind:     global_buffer
      - .address_space:  global
        .offset:         24
        .size:           8
        .value_kind:     global_buffer
      - .offset:         32
        .size:           4
        .value_kind:     by_value
      - .offset:         40
        .size:           8
        .value_kind:     by_value
      - .address_space:  global
        .offset:         48
        .size:           8
        .value_kind:     global_buffer
      - .offset:         56
        .size:           4
        .value_kind:     by_value
      - .offset:         64
        .size:           8
        .value_kind:     by_value
      - .address_space:  global
        .offset:         72
        .size:           8
        .value_kind:     global_buffer
      - .address_space:  global
        .offset:         80
        .size:           8
        .value_kind:     global_buffer
      - .offset:         88
        .size:           4
        .value_kind:     by_value
      - .offset:         96
        .size:           8
        .value_kind:     by_value
      - .address_space:  global
        .offset:         104
        .size:           8
        .value_kind:     global_buffer
      - .offset:         112
        .size:           4
        .value_kind:     by_value
      - .offset:         120
        .size:           8
        .value_kind:     by_value
      - .offset:         128
        .size:           4
        .value_kind:     by_value
      - .offset:         132
        .size:           4
        .value_kind:     by_value
    .group_segment_fixed_size: 16384
    .kernarg_segment_align: 8
    .kernarg_segment_size: 136
    .language:       OpenCL C
    .language_version:
      - 2
      - 0
    .max_flat_workgroup_size: 256
    .name:           _ZN12_GLOBAL__N_120geam_min_plus_kernelIdddLi4ELi64ELi128ELi128ELi4ELi4ELi64ELi64ELi4ELc84ELc84ELb0ELb0ELb0EPKdKS2_KPdEEviiiT16_PT17_ilS8_ilS6_S8_ilPT18_ili26rocblas_geam_ex_operation_
    .private_segment_fixed_size: 528
    .sgpr_count:     31
    .sgpr_spill_count: 0
    .symbol:         _ZN12_GLOBAL__N_120geam_min_plus_kernelIdddLi4ELi64ELi128ELi128ELi4ELi4ELi64ELi64ELi4ELc84ELc84ELb0ELb0ELb0EPKdKS2_KPdEEviiiT16_PT17_ilS8_ilS6_S8_ilPT18_ili26rocblas_geam_ex_operation_.kd
    .uniform_work_group_size: 1
    .uses_dynamic_stack: false
    .vgpr_count:     227
    .vgpr_spill_count: 0
    .wavefront_size: 32
    .workgroup_processor_mode: 1
  - .args:
      - .offset:         0
        .size:           4
        .value_kind:     by_value
      - .offset:         4
        .size:           4
        .value_kind:     by_value
      - .offset:         8
        .size:           4
        .value_kind:     by_value
      - .offset:         16
        .size:           8
        .value_kind:     by_value
      - .address_space:  global
        .offset:         24
        .size:           8
        .value_kind:     global_buffer
      - .offset:         32
        .size:           4
        .value_kind:     by_value
      - .offset:         40
        .size:           8
        .value_kind:     by_value
      - .address_space:  global
        .offset:         48
        .size:           8
        .value_kind:     global_buffer
      - .offset:         56
        .size:           4
        .value_kind:     by_value
      - .offset:         64
        .size:           8
        .value_kind:     by_value
      - .offset:         72
        .size:           8
        .value_kind:     by_value
      - .address_space:  global
        .offset:         80
        .size:           8
        .value_kind:     global_buffer
      - .offset:         88
        .size:           4
        .value_kind:     by_value
      - .offset:         96
        .size:           8
        .value_kind:     by_value
      - .address_space:  global
        .offset:         104
        .size:           8
        .value_kind:     global_buffer
      - .offset:         112
        .size:           4
        .value_kind:     by_value
      - .offset:         120
        .size:           8
        .value_kind:     by_value
      - .offset:         128
        .size:           4
        .value_kind:     by_value
      - .offset:         132
        .size:           4
        .value_kind:     by_value
    .group_segment_fixed_size: 16384
    .kernarg_segment_align: 8
    .kernarg_segment_size: 136
    .language:       OpenCL C
    .language_version:
      - 2
      - 0
    .max_flat_workgroup_size: 256
    .name:           _ZN12_GLOBAL__N_120geam_min_plus_kernelIdddLi4ELi64ELi128ELi128ELi4ELi4ELi64ELi64ELi4ELc84ELc84ELb1ELb0ELb0EdKPKdKPdEEviiiT16_PT17_ilS8_ilS6_S8_ilPT18_ili26rocblas_geam_ex_operation_
    .private_segment_fixed_size: 528
    .sgpr_count:     28
    .sgpr_spill_count: 0
    .symbol:         _ZN12_GLOBAL__N_120geam_min_plus_kernelIdddLi4ELi64ELi128ELi128ELi4ELi4ELi64ELi64ELi4ELc84ELc84ELb1ELb0ELb0EdKPKdKPdEEviiiT16_PT17_ilS8_ilS6_S8_ilPT18_ili26rocblas_geam_ex_operation_.kd
    .uniform_work_group_size: 1
    .uses_dynamic_stack: false
    .vgpr_count:     229
    .vgpr_spill_count: 0
    .wavefront_size: 32
    .workgroup_processor_mode: 1
  - .args:
      - .offset:         0
        .size:           4
        .value_kind:     by_value
      - .offset:         4
        .size:           4
        .value_kind:     by_value
      - .offset:         8
        .size:           4
        .value_kind:     by_value
      - .offset:         16
        .size:           8
        .value_kind:     by_value
      - .address_space:  global
        .offset:         24
        .size:           8
        .value_kind:     global_buffer
      - .offset:         32
        .size:           4
        .value_kind:     by_value
      - .offset:         40
        .size:           8
        .value_kind:     by_value
      - .address_space:  global
        .offset:         48
        .size:           8
        .value_kind:     global_buffer
      - .offset:         56
        .size:           4
        .value_kind:     by_value
      - .offset:         64
        .size:           8
        .value_kind:     by_value
      - .offset:         72
        .size:           8
        .value_kind:     by_value
      - .address_space:  global
        .offset:         80
        .size:           8
        .value_kind:     global_buffer
      - .offset:         88
        .size:           4
        .value_kind:     by_value
      - .offset:         96
        .size:           8
        .value_kind:     by_value
      - .address_space:  global
        .offset:         104
        .size:           8
        .value_kind:     global_buffer
      - .offset:         112
        .size:           4
        .value_kind:     by_value
      - .offset:         120
        .size:           8
        .value_kind:     by_value
      - .offset:         128
        .size:           4
        .value_kind:     by_value
      - .offset:         132
        .size:           4
        .value_kind:     by_value
    .group_segment_fixed_size: 16384
    .kernarg_segment_align: 8
    .kernarg_segment_size: 136
    .language:       OpenCL C
    .language_version:
      - 2
      - 0
    .max_flat_workgroup_size: 256
    .name:           _ZN12_GLOBAL__N_120geam_min_plus_kernelIdddLi4ELi64ELi128ELi128ELi4ELi4ELi64ELi64ELi4ELc84ELc84ELb0ELb0ELb0EdKPKdKPdEEviiiT16_PT17_ilS8_ilS6_S8_ilPT18_ili26rocblas_geam_ex_operation_
    .private_segment_fixed_size: 528
    .sgpr_count:     31
    .sgpr_spill_count: 0
    .symbol:         _ZN12_GLOBAL__N_120geam_min_plus_kernelIdddLi4ELi64ELi128ELi128ELi4ELi4ELi64ELi64ELi4ELc84ELc84ELb0ELb0ELb0EdKPKdKPdEEviiiT16_PT17_ilS8_ilS6_S8_ilPT18_ili26rocblas_geam_ex_operation_.kd
    .uniform_work_group_size: 1
    .uses_dynamic_stack: false
    .vgpr_count:     227
    .vgpr_spill_count: 0
    .wavefront_size: 32
    .workgroup_processor_mode: 1
  - .args:
      - .offset:         0
        .size:           4
        .value_kind:     by_value
      - .offset:         4
        .size:           4
        .value_kind:     by_value
      - .offset:         8
        .size:           4
        .value_kind:     by_value
      - .address_space:  global
        .offset:         16
        .size:           8
        .value_kind:     global_buffer
      - .address_space:  global
        .offset:         24
        .size:           8
        .value_kind:     global_buffer
      - .offset:         32
        .size:           4
        .value_kind:     by_value
      - .offset:         40
        .size:           8
        .value_kind:     by_value
      - .address_space:  global
        .offset:         48
        .size:           8
        .value_kind:     global_buffer
      - .offset:         56
        .size:           4
        .value_kind:     by_value
      - .offset:         64
        .size:           8
        .value_kind:     by_value
      - .address_space:  global
        .offset:         72
        .size:           8
        .value_kind:     global_buffer
      - .address_space:  global
        .offset:         80
        .size:           8
        .value_kind:     global_buffer
      - .offset:         88
        .size:           4
        .value_kind:     by_value
      - .offset:         96
        .size:           8
        .value_kind:     by_value
      - .address_space:  global
        .offset:         104
        .size:           8
        .value_kind:     global_buffer
      - .offset:         112
        .size:           4
        .value_kind:     by_value
      - .offset:         120
        .size:           8
        .value_kind:     by_value
      - .offset:         128
        .size:           4
        .value_kind:     by_value
      - .offset:         132
        .size:           4
        .value_kind:     by_value
    .group_segment_fixed_size: 16384
    .kernarg_segment_align: 8
    .kernarg_segment_size: 136
    .language:       OpenCL C
    .language_version:
      - 2
      - 0
    .max_flat_workgroup_size: 256
    .name:           _ZN12_GLOBAL__N_120geam_min_plus_kernelIdddLi4ELi64ELi128ELi128ELi4ELi4ELi64ELi64ELi4ELc84ELc84ELb0ELb1ELb0EPKdKS2_KPdEEviiiT16_PT17_ilS8_ilS6_S8_ilPT18_ili26rocblas_geam_ex_operation_
    .private_segment_fixed_size: 528
    .sgpr_count:     52
    .sgpr_spill_count: 0
    .symbol:         _ZN12_GLOBAL__N_120geam_min_plus_kernelIdddLi4ELi64ELi128ELi128ELi4ELi4ELi64ELi64ELi4ELc84ELc84ELb0ELb1ELb0EPKdKS2_KPdEEviiiT16_PT17_ilS8_ilS6_S8_ilPT18_ili26rocblas_geam_ex_operation_.kd
    .uniform_work_group_size: 1
    .uses_dynamic_stack: false
    .vgpr_count:     225
    .vgpr_spill_count: 0
    .wavefront_size: 32
    .workgroup_processor_mode: 1
  - .args:
      - .offset:         0
        .size:           4
        .value_kind:     by_value
      - .offset:         4
        .size:           4
        .value_kind:     by_value
      - .offset:         8
        .size:           4
        .value_kind:     by_value
      - .offset:         16
        .size:           8
        .value_kind:     by_value
      - .address_space:  global
        .offset:         24
        .size:           8
        .value_kind:     global_buffer
      - .offset:         32
        .size:           4
        .value_kind:     by_value
      - .offset:         40
        .size:           8
        .value_kind:     by_value
      - .address_space:  global
        .offset:         48
        .size:           8
        .value_kind:     global_buffer
      - .offset:         56
        .size:           4
        .value_kind:     by_value
      - .offset:         64
        .size:           8
        .value_kind:     by_value
      - .offset:         72
        .size:           8
        .value_kind:     by_value
      - .address_space:  global
        .offset:         80
        .size:           8
        .value_kind:     global_buffer
      - .offset:         88
        .size:           4
        .value_kind:     by_value
      - .offset:         96
        .size:           8
        .value_kind:     by_value
      - .address_space:  global
        .offset:         104
        .size:           8
        .value_kind:     global_buffer
      - .offset:         112
        .size:           4
        .value_kind:     by_value
      - .offset:         120
        .size:           8
        .value_kind:     by_value
      - .offset:         128
        .size:           4
        .value_kind:     by_value
      - .offset:         132
        .size:           4
        .value_kind:     by_value
    .group_segment_fixed_size: 16384
    .kernarg_segment_align: 8
    .kernarg_segment_size: 136
    .language:       OpenCL C
    .language_version:
      - 2
      - 0
    .max_flat_workgroup_size: 256
    .name:           _ZN12_GLOBAL__N_120geam_min_plus_kernelIdddLi4ELi64ELi128ELi128ELi4ELi4ELi64ELi64ELi4ELc84ELc84ELb1ELb1ELb0EdKPKdKPdEEviiiT16_PT17_ilS8_ilS6_S8_ilPT18_ili26rocblas_geam_ex_operation_
    .private_segment_fixed_size: 528
    .sgpr_count:     52
    .sgpr_spill_count: 0
    .symbol:         _ZN12_GLOBAL__N_120geam_min_plus_kernelIdddLi4ELi64ELi128ELi128ELi4ELi4ELi64ELi64ELi4ELc84ELc84ELb1ELb1ELb0EdKPKdKPdEEviiiT16_PT17_ilS8_ilS6_S8_ilPT18_ili26rocblas_geam_ex_operation_.kd
    .uniform_work_group_size: 1
    .uses_dynamic_stack: false
    .vgpr_count:     227
    .vgpr_spill_count: 0
    .wavefront_size: 32
    .workgroup_processor_mode: 1
  - .args:
      - .offset:         0
        .size:           4
        .value_kind:     by_value
      - .offset:         4
        .size:           4
        .value_kind:     by_value
      - .offset:         8
        .size:           4
        .value_kind:     by_value
      - .offset:         16
        .size:           8
        .value_kind:     by_value
      - .address_space:  global
        .offset:         24
        .size:           8
        .value_kind:     global_buffer
      - .offset:         32
        .size:           4
        .value_kind:     by_value
      - .offset:         40
        .size:           8
        .value_kind:     by_value
      - .address_space:  global
        .offset:         48
        .size:           8
        .value_kind:     global_buffer
      - .offset:         56
        .size:           4
        .value_kind:     by_value
      - .offset:         64
        .size:           8
        .value_kind:     by_value
      - .offset:         72
        .size:           8
        .value_kind:     by_value
      - .address_space:  global
        .offset:         80
        .size:           8
        .value_kind:     global_buffer
      - .offset:         88
        .size:           4
        .value_kind:     by_value
      - .offset:         96
        .size:           8
        .value_kind:     by_value
      - .address_space:  global
        .offset:         104
        .size:           8
        .value_kind:     global_buffer
      - .offset:         112
        .size:           4
        .value_kind:     by_value
      - .offset:         120
        .size:           8
        .value_kind:     by_value
      - .offset:         128
        .size:           4
        .value_kind:     by_value
      - .offset:         132
        .size:           4
        .value_kind:     by_value
    .group_segment_fixed_size: 16384
    .kernarg_segment_align: 8
    .kernarg_segment_size: 136
    .language:       OpenCL C
    .language_version:
      - 2
      - 0
    .max_flat_workgroup_size: 256
    .name:           _ZN12_GLOBAL__N_120geam_min_plus_kernelIdddLi4ELi64ELi128ELi128ELi4ELi4ELi64ELi64ELi4ELc84ELc84ELb0ELb1ELb0EdKPKdKPdEEviiiT16_PT17_ilS8_ilS6_S8_ilPT18_ili26rocblas_geam_ex_operation_
    .private_segment_fixed_size: 528
    .sgpr_count:     52
    .sgpr_spill_count: 0
    .symbol:         _ZN12_GLOBAL__N_120geam_min_plus_kernelIdddLi4ELi64ELi128ELi128ELi4ELi4ELi64ELi64ELi4ELc84ELc84ELb0ELb1ELb0EdKPKdKPdEEviiiT16_PT17_ilS8_ilS6_S8_ilPT18_ili26rocblas_geam_ex_operation_.kd
    .uniform_work_group_size: 1
    .uses_dynamic_stack: false
    .vgpr_count:     225
    .vgpr_spill_count: 0
    .wavefront_size: 32
    .workgroup_processor_mode: 1
  - .args:
      - .offset:         0
        .size:           4
        .value_kind:     by_value
      - .offset:         4
        .size:           4
        .value_kind:     by_value
      - .offset:         8
        .size:           8
        .value_kind:     by_value
      - .address_space:  global
        .offset:         16
        .size:           8
        .value_kind:     global_buffer
      - .offset:         24
        .size:           8
        .value_kind:     by_value
      - .offset:         32
        .size:           4
        .value_kind:     by_value
      - .offset:         40
        .size:           8
        .value_kind:     by_value
      - .address_space:  global
        .offset:         48
        .size:           8
        .value_kind:     global_buffer
      - .offset:         56
        .size:           8
        .value_kind:     by_value
      - .offset:         64
        .size:           4
        .value_kind:     by_value
      - .offset:         72
        .size:           8
        .value_kind:     by_value
    .group_segment_fixed_size: 0
    .kernarg_segment_align: 8
    .kernarg_segment_size: 80
    .language:       OpenCL C
    .language_version:
      - 2
      - 0
    .max_flat_workgroup_size: 1024
    .name:           _ZN12_GLOBAL__N_120geam_ex_scale_kernelILi32ELi32EddPKdPdEEviiT2_T3_lilT4_lil
    .private_segment_fixed_size: 0
    .sgpr_count:     22
    .sgpr_spill_count: 0
    .symbol:         _ZN12_GLOBAL__N_120geam_ex_scale_kernelILi32ELi32EddPKdPdEEviiT2_T3_lilT4_lil.kd
    .uniform_work_group_size: 1
    .uses_dynamic_stack: false
    .vgpr_count:     8
    .vgpr_spill_count: 0
    .wavefront_size: 32
    .workgroup_processor_mode: 1
  - .args:
      - .offset:         0
        .size:           4
        .value_kind:     by_value
      - .offset:         4
        .size:           4
        .value_kind:     by_value
      - .address_space:  global
        .offset:         8
        .size:           8
        .value_kind:     global_buffer
      - .address_space:  global
        .offset:         16
        .size:           8
        .value_kind:     global_buffer
      - .offset:         24
        .size:           8
        .value_kind:     by_value
      - .offset:         32
        .size:           4
        .value_kind:     by_value
      - .offset:         40
        .size:           8
        .value_kind:     by_value
      - .address_space:  global
        .offset:         48
        .size:           8
        .value_kind:     global_buffer
      - .offset:         56
        .size:           8
        .value_kind:     by_value
      - .offset:         64
        .size:           4
        .value_kind:     by_value
      - .offset:         72
        .size:           8
        .value_kind:     by_value
    .group_segment_fixed_size: 0
    .kernarg_segment_align: 8
    .kernarg_segment_size: 80
    .language:       OpenCL C
    .language_version:
      - 2
      - 0
    .max_flat_workgroup_size: 1024
    .name:           _ZN12_GLOBAL__N_120geam_ex_scale_kernelILi32ELi32EdPKdS2_PdEEviiT2_T3_lilT4_lil
    .private_segment_fixed_size: 0
    .sgpr_count:     22
    .sgpr_spill_count: 0
    .symbol:         _ZN12_GLOBAL__N_120geam_ex_scale_kernelILi32ELi32EdPKdS2_PdEEviiT2_T3_lilT4_lil.kd
    .uniform_work_group_size: 1
    .uses_dynamic_stack: false
    .vgpr_count:     8
    .vgpr_spill_count: 0
    .wavefront_size: 32
    .workgroup_processor_mode: 1
  - .args:
      - .offset:         0
        .size:           4
        .value_kind:     by_value
      - .offset:         4
        .size:           4
        .value_kind:     by_value
      - .offset:         8
        .size:           8
        .value_kind:     by_value
      - .address_space:  global
        .offset:         16
        .size:           8
        .value_kind:     global_buffer
      - .offset:         24
        .size:           8
        .value_kind:     by_value
      - .offset:         32
        .size:           4
        .value_kind:     by_value
      - .offset:         40
        .size:           8
        .value_kind:     by_value
      - .address_space:  global
        .offset:         48
        .size:           8
        .value_kind:     global_buffer
      - .offset:         56
        .size:           8
        .value_kind:     by_value
      - .offset:         64
        .size:           4
        .value_kind:     by_value
      - .offset:         72
        .size:           8
        .value_kind:     by_value
    .group_segment_fixed_size: 0
    .kernarg_segment_align: 8
    .kernarg_segment_size: 80
    .language:       OpenCL C
    .language_version:
      - 2
      - 0
    .max_flat_workgroup_size: 1024
    .name:           _ZN12_GLOBAL__N_120geam_ex_round_kernelILi32ELi32EddPKdPdEEviiT2_T3_lilT4_lil
    .private_segment_fixed_size: 0
    .sgpr_count:     22
    .sgpr_spill_count: 0
    .symbol:         _ZN12_GLOBAL__N_120geam_ex_round_kernelILi32ELi32EddPKdPdEEviiT2_T3_lilT4_lil.kd
    .uniform_work_group_size: 1
    .uses_dynamic_stack: false
    .vgpr_count:     8
    .vgpr_spill_count: 0
    .wavefront_size: 32
    .workgroup_processor_mode: 1
  - .args:
      - .offset:         0
        .size:           4
        .value_kind:     by_value
      - .offset:         4
        .size:           4
        .value_kind:     by_value
      - .offset:         8
        .size:           4
        .value_kind:     by_value
      - .address_space:  global
        .offset:         16
        .size:           8
        .value_kind:     global_buffer
      - .address_space:  global
        .offset:         24
        .size:           8
        .value_kind:     global_buffer
      - .offset:         32
        .size:           4
        .value_kind:     by_value
      - .offset:         40
        .size:           8
        .value_kind:     by_value
      - .address_space:  global
        .offset:         48
        .size:           8
        .value_kind:     global_buffer
      - .offset:         56
        .size:           4
        .value_kind:     by_value
      - .offset:         64
        .size:           8
        .value_kind:     by_value
      - .address_space:  global
        .offset:         72
        .size:           8
        .value_kind:     global_buffer
      - .address_space:  global
        .offset:         80
        .size:           8
        .value_kind:     global_buffer
      - .offset:         88
        .size:           4
        .value_kind:     by_value
      - .offset:         96
        .size:           8
        .value_kind:     by_value
      - .address_space:  global
        .offset:         104
        .size:           8
        .value_kind:     global_buffer
      - .offset:         112
        .size:           4
        .value_kind:     by_value
      - .offset:         120
        .size:           8
        .value_kind:     by_value
      - .offset:         128
        .size:           4
        .value_kind:     by_value
      - .offset:         132
        .size:           4
        .value_kind:     by_value
    .group_segment_fixed_size: 20480
    .kernarg_segment_align: 8
    .kernarg_segment_size: 136
    .language:       OpenCL C
    .language_version:
      - 2
      - 0
    .max_flat_workgroup_size: 256
    .name:           _ZN12_GLOBAL__N_120geam_min_plus_kernelId15HIP_vector_typeIdLj2EEdLi32ELi8ELi256ELi64ELi4ELi64ELi4ELi4ELi64ELc78ELc78ELb0ELb0ELb1EPKdS3_dEEviiiT16_PT17_ilS7_ilS5_S7_ilPT18_ili26rocblas_geam_ex_operation_
    .private_segment_fixed_size: 0
    .sgpr_count:     28
    .sgpr_spill_count: 0
    .symbol:         _ZN12_GLOBAL__N_120geam_min_plus_kernelId15HIP_vector_typeIdLj2EEdLi32ELi8ELi256ELi64ELi4ELi64ELi4ELi4ELi64ELc78ELc78ELb0ELb0ELb1EPKdS3_dEEviiiT16_PT17_ilS7_ilS5_S7_ilPT18_ili26rocblas_geam_ex_operation_.kd
    .uniform_work_group_size: 1
    .uses_dynamic_stack: false
    .vgpr_count:     227
    .vgpr_spill_count: 0
    .wavefront_size: 32
    .workgroup_processor_mode: 1
  - .args:
      - .offset:         0
        .size:           4
        .value_kind:     by_value
      - .offset:         4
        .size:           4
        .value_kind:     by_value
      - .offset:         8
        .size:           4
        .value_kind:     by_value
      - .offset:         16
        .size:           8
        .value_kind:     by_value
      - .address_space:  global
        .offset:         24
        .size:           8
        .value_kind:     global_buffer
      - .offset:         32
        .size:           4
        .value_kind:     by_value
      - .offset:         40
        .size:           8
        .value_kind:     by_value
      - .address_space:  global
        .offset:         48
        .size:           8
        .value_kind:     global_buffer
      - .offset:         56
        .size:           4
        .value_kind:     by_value
      - .offset:         64
        .size:           8
        .value_kind:     by_value
      - .offset:         72
        .size:           8
        .value_kind:     by_value
      - .address_space:  global
        .offset:         80
        .size:           8
        .value_kind:     global_buffer
      - .offset:         88
        .size:           4
        .value_kind:     by_value
      - .offset:         96
        .size:           8
        .value_kind:     by_value
      - .address_space:  global
        .offset:         104
        .size:           8
        .value_kind:     global_buffer
      - .offset:         112
        .size:           4
        .value_kind:     by_value
      - .offset:         120
        .size:           8
        .value_kind:     by_value
      - .offset:         128
        .size:           4
        .value_kind:     by_value
      - .offset:         132
        .size:           4
        .value_kind:     by_value
    .group_segment_fixed_size: 20480
    .kernarg_segment_align: 8
    .kernarg_segment_size: 136
    .language:       OpenCL C
    .language_version:
      - 2
      - 0
    .max_flat_workgroup_size: 256
    .name:           _ZN12_GLOBAL__N_120geam_min_plus_kernelId15HIP_vector_typeIdLj2EEdLi32ELi8ELi256ELi64ELi4ELi64ELi4ELi4ELi64ELc78ELc78ELb1ELb0ELb1EdKddEEviiiT16_PT17_ilS6_ilS4_S6_ilPT18_ili26rocblas_geam_ex_operation_
    .private_segment_fixed_size: 0
    .sgpr_count:     25
    .sgpr_spill_count: 0
    .symbol:         _ZN12_GLOBAL__N_120geam_min_plus_kernelId15HIP_vector_typeIdLj2EEdLi32ELi8ELi256ELi64ELi4ELi64ELi4ELi4ELi64ELc78ELc78ELb1ELb0ELb1EdKddEEviiiT16_PT17_ilS6_ilS4_S6_ilPT18_ili26rocblas_geam_ex_operation_.kd
    .uniform_work_group_size: 1
    .uses_dynamic_stack: false
    .vgpr_count:     221
    .vgpr_spill_count: 0
    .wavefront_size: 32
    .workgroup_processor_mode: 1
  - .args:
      - .offset:         0
        .size:           4
        .value_kind:     by_value
      - .offset:         4
        .size:           4
        .value_kind:     by_value
      - .offset:         8
        .size:           4
        .value_kind:     by_value
      - .offset:         16
        .size:           8
        .value_kind:     by_value
      - .address_space:  global
        .offset:         24
        .size:           8
        .value_kind:     global_buffer
      - .offset:         32
        .size:           4
        .value_kind:     by_value
      - .offset:         40
        .size:           8
        .value_kind:     by_value
      - .address_space:  global
        .offset:         48
        .size:           8
        .value_kind:     global_buffer
      - .offset:         56
        .size:           4
        .value_kind:     by_value
      - .offset:         64
        .size:           8
        .value_kind:     by_value
      - .offset:         72
        .size:           8
        .value_kind:     by_value
      - .address_space:  global
        .offset:         80
        .size:           8
        .value_kind:     global_buffer
      - .offset:         88
        .size:           4
        .value_kind:     by_value
      - .offset:         96
        .size:           8
        .value_kind:     by_value
      - .address_space:  global
        .offset:         104
        .size:           8
        .value_kind:     global_buffer
      - .offset:         112
        .size:           4
        .value_kind:     by_value
      - .offset:         120
        .size:           8
        .value_kind:     by_value
      - .offset:         128
        .size:           4
        .value_kind:     by_value
      - .offset:         132
        .size:           4
        .value_kind:     by_value
    .group_segment_fixed_size: 20480
    .kernarg_segment_align: 8
    .kernarg_segment_size: 136
    .language:       OpenCL C
    .language_version:
      - 2
      - 0
    .max_flat_workgroup_size: 256
    .name:           _ZN12_GLOBAL__N_120geam_min_plus_kernelId15HIP_vector_typeIdLj2EEdLi32ELi8ELi256ELi64ELi4ELi64ELi4ELi4ELi64ELc78ELc78ELb0ELb0ELb1EdKddEEviiiT16_PT17_ilS6_ilS4_S6_ilPT18_ili26rocblas_geam_ex_operation_
    .private_segment_fixed_size: 0
    .sgpr_count:     27
    .sgpr_spill_count: 0
    .symbol:         _ZN12_GLOBAL__N_120geam_min_plus_kernelId15HIP_vector_typeIdLj2EEdLi32ELi8ELi256ELi64ELi4ELi64ELi4ELi4ELi64ELc78ELc78ELb0ELb0ELb1EdKddEEviiiT16_PT17_ilS6_ilS4_S6_ilPT18_ili26rocblas_geam_ex_operation_.kd
    .uniform_work_group_size: 1
    .uses_dynamic_stack: false
    .vgpr_count:     227
    .vgpr_spill_count: 0
    .wavefront_size: 32
    .workgroup_processor_mode: 1
  - .args:
      - .offset:         0
        .size:           4
        .value_kind:     by_value
      - .offset:         4
        .size:           4
        .value_kind:     by_value
      - .offset:         8
        .size:           4
        .value_kind:     by_value
      - .address_space:  global
        .offset:         16
        .size:           8
        .value_kind:     global_buffer
      - .address_space:  global
        .offset:         24
        .size:           8
        .value_kind:     global_buffer
      - .offset:         32
        .size:           4
        .value_kind:     by_value
      - .offset:         40
        .size:           8
        .value_kind:     by_value
      - .address_space:  global
        .offset:         48
        .size:           8
        .value_kind:     global_buffer
      - .offset:         56
        .size:           4
        .value_kind:     by_value
      - .offset:         64
        .size:           8
        .value_kind:     by_value
      - .address_space:  global
        .offset:         72
        .size:           8
        .value_kind:     global_buffer
      - .address_space:  global
        .offset:         80
        .size:           8
        .value_kind:     global_buffer
      - .offset:         88
        .size:           4
        .value_kind:     by_value
      - .offset:         96
        .size:           8
        .value_kind:     by_value
      - .address_space:  global
        .offset:         104
        .size:           8
        .value_kind:     global_buffer
      - .offset:         112
        .size:           4
        .value_kind:     by_value
      - .offset:         120
        .size:           8
        .value_kind:     by_value
      - .offset:         128
        .size:           4
        .value_kind:     by_value
      - .offset:         132
        .size:           4
        .value_kind:     by_value
    .group_segment_fixed_size: 20480
    .kernarg_segment_align: 8
    .kernarg_segment_size: 136
    .language:       OpenCL C
    .language_version:
      - 2
      - 0
    .max_flat_workgroup_size: 256
    .name:           _ZN12_GLOBAL__N_120geam_min_plus_kernelId15HIP_vector_typeIdLj2EEdLi32ELi8ELi256ELi64ELi4ELi64ELi4ELi4ELi64ELc78ELc78ELb0ELb1ELb1EPKdS3_dEEviiiT16_PT17_ilS7_ilS5_S7_ilPT18_ili26rocblas_geam_ex_operation_
    .private_segment_fixed_size: 0
    .sgpr_count:     34
    .sgpr_spill_count: 0
    .symbol:         _ZN12_GLOBAL__N_120geam_min_plus_kernelId15HIP_vector_typeIdLj2EEdLi32ELi8ELi256ELi64ELi4ELi64ELi4ELi4ELi64ELc78ELc78ELb0ELb1ELb1EPKdS3_dEEviiiT16_PT17_ilS7_ilS5_S7_ilPT18_ili26rocblas_geam_ex_operation_.kd
    .uniform_work_group_size: 1
    .uses_dynamic_stack: false
    .vgpr_count:     223
    .vgpr_spill_count: 0
    .wavefront_size: 32
    .workgroup_processor_mode: 1
  - .args:
      - .offset:         0
        .size:           4
        .value_kind:     by_value
      - .offset:         4
        .size:           4
        .value_kind:     by_value
      - .offset:         8
        .size:           4
        .value_kind:     by_value
      - .offset:         16
        .size:           8
        .value_kind:     by_value
      - .address_space:  global
        .offset:         24
        .size:           8
        .value_kind:     global_buffer
      - .offset:         32
        .size:           4
        .value_kind:     by_value
      - .offset:         40
        .size:           8
        .value_kind:     by_value
      - .address_space:  global
        .offset:         48
        .size:           8
        .value_kind:     global_buffer
      - .offset:         56
        .size:           4
        .value_kind:     by_value
      - .offset:         64
        .size:           8
        .value_kind:     by_value
      - .offset:         72
        .size:           8
        .value_kind:     by_value
      - .address_space:  global
        .offset:         80
        .size:           8
        .value_kind:     global_buffer
      - .offset:         88
        .size:           4
        .value_kind:     by_value
      - .offset:         96
        .size:           8
        .value_kind:     by_value
      - .address_space:  global
        .offset:         104
        .size:           8
        .value_kind:     global_buffer
      - .offset:         112
        .size:           4
        .value_kind:     by_value
      - .offset:         120
        .size:           8
        .value_kind:     by_value
      - .offset:         128
        .size:           4
        .value_kind:     by_value
      - .offset:         132
        .size:           4
        .value_kind:     by_value
    .group_segment_fixed_size: 20480
    .kernarg_segment_align: 8
    .kernarg_segment_size: 136
    .language:       OpenCL C
    .language_version:
      - 2
      - 0
    .max_flat_workgroup_size: 256
    .name:           _ZN12_GLOBAL__N_120geam_min_plus_kernelId15HIP_vector_typeIdLj2EEdLi32ELi8ELi256ELi64ELi4ELi64ELi4ELi4ELi64ELc78ELc78ELb1ELb1ELb1EdKddEEviiiT16_PT17_ilS6_ilS4_S6_ilPT18_ili26rocblas_geam_ex_operation_
    .private_segment_fixed_size: 0
    .sgpr_count:     31
    .sgpr_spill_count: 0
    .symbol:         _ZN12_GLOBAL__N_120geam_min_plus_kernelId15HIP_vector_typeIdLj2EEdLi32ELi8ELi256ELi64ELi4ELi64ELi4ELi4ELi64ELc78ELc78ELb1ELb1ELb1EdKddEEviiiT16_PT17_ilS6_ilS4_S6_ilPT18_ili26rocblas_geam_ex_operation_.kd
    .uniform_work_group_size: 1
    .uses_dynamic_stack: false
    .vgpr_count:     229
    .vgpr_spill_count: 0
    .wavefront_size: 32
    .workgroup_processor_mode: 1
  - .args:
      - .offset:         0
        .size:           4
        .value_kind:     by_value
      - .offset:         4
        .size:           4
        .value_kind:     by_value
      - .offset:         8
        .size:           4
        .value_kind:     by_value
      - .offset:         16
        .size:           8
        .value_kind:     by_value
      - .address_space:  global
        .offset:         24
        .size:           8
        .value_kind:     global_buffer
      - .offset:         32
        .size:           4
        .value_kind:     by_value
      - .offset:         40
        .size:           8
        .value_kind:     by_value
      - .address_space:  global
        .offset:         48
        .size:           8
        .value_kind:     global_buffer
      - .offset:         56
        .size:           4
        .value_kind:     by_value
      - .offset:         64
        .size:           8
        .value_kind:     by_value
      - .offset:         72
        .size:           8
        .value_kind:     by_value
      - .address_space:  global
        .offset:         80
        .size:           8
        .value_kind:     global_buffer
      - .offset:         88
        .size:           4
        .value_kind:     by_value
      - .offset:         96
        .size:           8
        .value_kind:     by_value
      - .address_space:  global
        .offset:         104
        .size:           8
        .value_kind:     global_buffer
      - .offset:         112
        .size:           4
        .value_kind:     by_value
      - .offset:         120
        .size:           8
        .value_kind:     by_value
      - .offset:         128
        .size:           4
        .value_kind:     by_value
      - .offset:         132
        .size:           4
        .value_kind:     by_value
    .group_segment_fixed_size: 20480
    .kernarg_segment_align: 8
    .kernarg_segment_size: 136
    .language:       OpenCL C
    .language_version:
      - 2
      - 0
    .max_flat_workgroup_size: 256
    .name:           _ZN12_GLOBAL__N_120geam_min_plus_kernelId15HIP_vector_typeIdLj2EEdLi32ELi8ELi256ELi64ELi4ELi64ELi4ELi4ELi64ELc78ELc78ELb0ELb1ELb1EdKddEEviiiT16_PT17_ilS6_ilS4_S6_ilPT18_ili26rocblas_geam_ex_operation_
    .private_segment_fixed_size: 0
    .sgpr_count:     34
    .sgpr_spill_count: 0
    .symbol:         _ZN12_GLOBAL__N_120geam_min_plus_kernelId15HIP_vector_typeIdLj2EEdLi32ELi8ELi256ELi64ELi4ELi64ELi4ELi4ELi64ELc78ELc78ELb0ELb1ELb1EdKddEEviiiT16_PT17_ilS6_ilS4_S6_ilPT18_ili26rocblas_geam_ex_operation_.kd
    .uniform_work_group_size: 1
    .uses_dynamic_stack: false
    .vgpr_count:     223
    .vgpr_spill_count: 0
    .wavefront_size: 32
    .workgroup_processor_mode: 1
  - .args:
      - .offset:         0
        .size:           4
        .value_kind:     by_value
      - .offset:         4
        .size:           4
        .value_kind:     by_value
      - .offset:         8
        .size:           4
        .value_kind:     by_value
      - .address_space:  global
        .offset:         16
        .size:           8
        .value_kind:     global_buffer
      - .address_space:  global
        .offset:         24
        .size:           8
        .value_kind:     global_buffer
      - .offset:         32
        .size:           4
        .value_kind:     by_value
      - .offset:         40
        .size:           8
        .value_kind:     by_value
      - .address_space:  global
        .offset:         48
        .size:           8
        .value_kind:     global_buffer
      - .offset:         56
        .size:           4
        .value_kind:     by_value
      - .offset:         64
        .size:           8
        .value_kind:     by_value
      - .address_space:  global
        .offset:         72
        .size:           8
        .value_kind:     global_buffer
      - .address_space:  global
        .offset:         80
        .size:           8
        .value_kind:     global_buffer
      - .offset:         88
        .size:           4
        .value_kind:     by_value
      - .offset:         96
        .size:           8
        .value_kind:     by_value
      - .address_space:  global
        .offset:         104
        .size:           8
        .value_kind:     global_buffer
      - .offset:         112
        .size:           4
        .value_kind:     by_value
      - .offset:         120
        .size:           8
        .value_kind:     by_value
      - .offset:         128
        .size:           4
        .value_kind:     by_value
      - .offset:         132
        .size:           4
        .value_kind:     by_value
    .group_segment_fixed_size: 16384
    .kernarg_segment_align: 8
    .kernarg_segment_size: 136
    .language:       OpenCL C
    .language_version:
      - 2
      - 0
    .max_flat_workgroup_size: 256
    .name:           _ZN12_GLOBAL__N_120geam_min_plus_kernelId15HIP_vector_typeIdLj2EEdLi32ELi8ELi128ELi128ELi4ELi4ELi64ELi4ELi64ELc84ELc78ELb0ELb0ELb1EPKdS3_dEEviiiT16_PT17_ilS7_ilS5_S7_ilPT18_ili26rocblas_geam_ex_operation_
    .private_segment_fixed_size: 184
    .sgpr_count:     34
    .sgpr_spill_count: 0
    .symbol:         _ZN12_GLOBAL__N_120geam_min_plus_kernelId15HIP_vector_typeIdLj2EEdLi32ELi8ELi128ELi128ELi4ELi4ELi64ELi4ELi64ELc84ELc78ELb0ELb0ELb1EPKdS3_dEEviiiT16_PT17_ilS7_ilS5_S7_ilPT18_ili26rocblas_geam_ex_operation_.kd
    .uniform_work_group_size: 1
    .uses_dynamic_stack: false
    .vgpr_count:     256
    .vgpr_spill_count: 47
    .wavefront_size: 32
    .workgroup_processor_mode: 1
  - .args:
      - .offset:         0
        .size:           4
        .value_kind:     by_value
      - .offset:         4
        .size:           4
        .value_kind:     by_value
      - .offset:         8
        .size:           4
        .value_kind:     by_value
      - .offset:         16
        .size:           8
        .value_kind:     by_value
      - .address_space:  global
        .offset:         24
        .size:           8
        .value_kind:     global_buffer
      - .offset:         32
        .size:           4
        .value_kind:     by_value
      - .offset:         40
        .size:           8
        .value_kind:     by_value
      - .address_space:  global
        .offset:         48
        .size:           8
        .value_kind:     global_buffer
      - .offset:         56
        .size:           4
        .value_kind:     by_value
      - .offset:         64
        .size:           8
        .value_kind:     by_value
      - .offset:         72
        .size:           8
        .value_kind:     by_value
      - .address_space:  global
        .offset:         80
        .size:           8
        .value_kind:     global_buffer
      - .offset:         88
        .size:           4
        .value_kind:     by_value
      - .offset:         96
        .size:           8
        .value_kind:     by_value
      - .address_space:  global
        .offset:         104
        .size:           8
        .value_kind:     global_buffer
      - .offset:         112
        .size:           4
        .value_kind:     by_value
      - .offset:         120
        .size:           8
        .value_kind:     by_value
      - .offset:         128
        .size:           4
        .value_kind:     by_value
      - .offset:         132
        .size:           4
        .value_kind:     by_value
    .group_segment_fixed_size: 16384
    .kernarg_segment_align: 8
    .kernarg_segment_size: 136
    .language:       OpenCL C
    .language_version:
      - 2
      - 0
    .max_flat_workgroup_size: 256
    .name:           _ZN12_GLOBAL__N_120geam_min_plus_kernelId15HIP_vector_typeIdLj2EEdLi32ELi8ELi128ELi128ELi4ELi4ELi64ELi4ELi64ELc84ELc78ELb1ELb0ELb1EdKddEEviiiT16_PT17_ilS6_ilS4_S6_ilPT18_ili26rocblas_geam_ex_operation_
    .private_segment_fixed_size: 0
    .sgpr_count:     25
    .sgpr_spill_count: 0
    .symbol:         _ZN12_GLOBAL__N_120geam_min_plus_kernelId15HIP_vector_typeIdLj2EEdLi32ELi8ELi128ELi128ELi4ELi4ELi64ELi4ELi64ELc84ELc78ELb1ELb0ELb1EdKddEEviiiT16_PT17_ilS6_ilS4_S6_ilPT18_ili26rocblas_geam_ex_operation_.kd
    .uniform_work_group_size: 1
    .uses_dynamic_stack: false
    .vgpr_count:     241
    .vgpr_spill_count: 0
    .wavefront_size: 32
    .workgroup_processor_mode: 1
  - .args:
      - .offset:         0
        .size:           4
        .value_kind:     by_value
      - .offset:         4
        .size:           4
        .value_kind:     by_value
      - .offset:         8
        .size:           4
        .value_kind:     by_value
      - .offset:         16
        .size:           8
        .value_kind:     by_value
      - .address_space:  global
        .offset:         24
        .size:           8
        .value_kind:     global_buffer
      - .offset:         32
        .size:           4
        .value_kind:     by_value
      - .offset:         40
        .size:           8
        .value_kind:     by_value
      - .address_space:  global
        .offset:         48
        .size:           8
        .value_kind:     global_buffer
      - .offset:         56
        .size:           4
        .value_kind:     by_value
      - .offset:         64
        .size:           8
        .value_kind:     by_value
      - .offset:         72
        .size:           8
        .value_kind:     by_value
      - .address_space:  global
        .offset:         80
        .size:           8
        .value_kind:     global_buffer
      - .offset:         88
        .size:           4
        .value_kind:     by_value
      - .offset:         96
        .size:           8
        .value_kind:     by_value
      - .address_space:  global
        .offset:         104
        .size:           8
        .value_kind:     global_buffer
      - .offset:         112
        .size:           4
        .value_kind:     by_value
      - .offset:         120
        .size:           8
        .value_kind:     by_value
      - .offset:         128
        .size:           4
        .value_kind:     by_value
      - .offset:         132
        .size:           4
        .value_kind:     by_value
    .group_segment_fixed_size: 16384
    .kernarg_segment_align: 8
    .kernarg_segment_size: 136
    .language:       OpenCL C
    .language_version:
      - 2
      - 0
    .max_flat_workgroup_size: 256
    .name:           _ZN12_GLOBAL__N_120geam_min_plus_kernelId15HIP_vector_typeIdLj2EEdLi32ELi8ELi128ELi128ELi4ELi4ELi64ELi4ELi64ELc84ELc78ELb0ELb0ELb1EdKddEEviiiT16_PT17_ilS6_ilS4_S6_ilPT18_ili26rocblas_geam_ex_operation_
    .private_segment_fixed_size: 184
    .sgpr_count:     30
    .sgpr_spill_count: 0
    .symbol:         _ZN12_GLOBAL__N_120geam_min_plus_kernelId15HIP_vector_typeIdLj2EEdLi32ELi8ELi128ELi128ELi4ELi4ELi64ELi4ELi64ELc84ELc78ELb0ELb0ELb1EdKddEEviiiT16_PT17_ilS6_ilS4_S6_ilPT18_ili26rocblas_geam_ex_operation_.kd
    .uniform_work_group_size: 1
    .uses_dynamic_stack: false
    .vgpr_count:     256
    .vgpr_spill_count: 47
    .wavefront_size: 32
    .workgroup_processor_mode: 1
  - .args:
      - .offset:         0
        .size:           4
        .value_kind:     by_value
      - .offset:         4
        .size:           4
        .value_kind:     by_value
      - .offset:         8
        .size:           4
        .value_kind:     by_value
      - .address_space:  global
        .offset:         16
        .size:           8
        .value_kind:     global_buffer
      - .address_space:  global
        .offset:         24
        .size:           8
        .value_kind:     global_buffer
      - .offset:         32
        .size:           4
        .value_kind:     by_value
      - .offset:         40
        .size:           8
        .value_kind:     by_value
      - .address_space:  global
        .offset:         48
        .size:           8
        .value_kind:     global_buffer
      - .offset:         56
        .size:           4
        .value_kind:     by_value
      - .offset:         64
        .size:           8
        .value_kind:     by_value
      - .address_space:  global
        .offset:         72
        .size:           8
        .value_kind:     global_buffer
      - .address_space:  global
        .offset:         80
        .size:           8
        .value_kind:     global_buffer
      - .offset:         88
        .size:           4
        .value_kind:     by_value
      - .offset:         96
        .size:           8
        .value_kind:     by_value
      - .address_space:  global
        .offset:         104
        .size:           8
        .value_kind:     global_buffer
      - .offset:         112
        .size:           4
        .value_kind:     by_value
      - .offset:         120
        .size:           8
        .value_kind:     by_value
      - .offset:         128
        .size:           4
        .value_kind:     by_value
      - .offset:         132
        .size:           4
        .value_kind:     by_value
    .group_segment_fixed_size: 16384
    .kernarg_segment_align: 8
    .kernarg_segment_size: 136
    .language:       OpenCL C
    .language_version:
      - 2
      - 0
    .max_flat_workgroup_size: 256
    .name:           _ZN12_GLOBAL__N_120geam_min_plus_kernelId15HIP_vector_typeIdLj2EEdLi32ELi8ELi128ELi128ELi4ELi4ELi64ELi4ELi64ELc84ELc78ELb0ELb1ELb1EPKdS3_dEEviiiT16_PT17_ilS7_ilS5_S7_ilPT18_ili26rocblas_geam_ex_operation_
    .private_segment_fixed_size: 120
    .sgpr_count:     42
    .sgpr_spill_count: 0
    .symbol:         _ZN12_GLOBAL__N_120geam_min_plus_kernelId15HIP_vector_typeIdLj2EEdLi32ELi8ELi128ELi128ELi4ELi4ELi64ELi4ELi64ELc84ELc78ELb0ELb1ELb1EPKdS3_dEEviiiT16_PT17_ilS7_ilS5_S7_ilPT18_ili26rocblas_geam_ex_operation_.kd
    .uniform_work_group_size: 1
    .uses_dynamic_stack: false
    .vgpr_count:     256
    .vgpr_spill_count: 33
    .wavefront_size: 32
    .workgroup_processor_mode: 1
  - .args:
      - .offset:         0
        .size:           4
        .value_kind:     by_value
      - .offset:         4
        .size:           4
        .value_kind:     by_value
      - .offset:         8
        .size:           4
        .value_kind:     by_value
      - .offset:         16
        .size:           8
        .value_kind:     by_value
      - .address_space:  global
        .offset:         24
        .size:           8
        .value_kind:     global_buffer
      - .offset:         32
        .size:           4
        .value_kind:     by_value
      - .offset:         40
        .size:           8
        .value_kind:     by_value
      - .address_space:  global
        .offset:         48
        .size:           8
        .value_kind:     global_buffer
      - .offset:         56
        .size:           4
        .value_kind:     by_value
      - .offset:         64
        .size:           8
        .value_kind:     by_value
      - .offset:         72
        .size:           8
        .value_kind:     by_value
      - .address_space:  global
        .offset:         80
        .size:           8
        .value_kind:     global_buffer
      - .offset:         88
        .size:           4
        .value_kind:     by_value
      - .offset:         96
        .size:           8
        .value_kind:     by_value
      - .address_space:  global
        .offset:         104
        .size:           8
        .value_kind:     global_buffer
      - .offset:         112
        .size:           4
        .value_kind:     by_value
      - .offset:         120
        .size:           8
        .value_kind:     by_value
      - .offset:         128
        .size:           4
        .value_kind:     by_value
      - .offset:         132
        .size:           4
        .value_kind:     by_value
    .group_segment_fixed_size: 16384
    .kernarg_segment_align: 8
    .kernarg_segment_size: 136
    .language:       OpenCL C
    .language_version:
      - 2
      - 0
    .max_flat_workgroup_size: 256
    .name:           _ZN12_GLOBAL__N_120geam_min_plus_kernelId15HIP_vector_typeIdLj2EEdLi32ELi8ELi128ELi128ELi4ELi4ELi64ELi4ELi64ELc84ELc78ELb1ELb1ELb1EdKddEEviiiT16_PT17_ilS6_ilS4_S6_ilPT18_ili26rocblas_geam_ex_operation_
    .private_segment_fixed_size: 196
    .sgpr_count:     34
    .sgpr_spill_count: 0
    .symbol:         _ZN12_GLOBAL__N_120geam_min_plus_kernelId15HIP_vector_typeIdLj2EEdLi32ELi8ELi128ELi128ELi4ELi4ELi64ELi4ELi64ELc84ELc78ELb1ELb1ELb1EdKddEEviiiT16_PT17_ilS6_ilS4_S6_ilPT18_ili26rocblas_geam_ex_operation_.kd
    .uniform_work_group_size: 1
    .uses_dynamic_stack: false
    .vgpr_count:     256
    .vgpr_spill_count: 48
    .wavefront_size: 32
    .workgroup_processor_mode: 1
  - .args:
      - .offset:         0
        .size:           4
        .value_kind:     by_value
      - .offset:         4
        .size:           4
        .value_kind:     by_value
      - .offset:         8
        .size:           4
        .value_kind:     by_value
      - .offset:         16
        .size:           8
        .value_kind:     by_value
      - .address_space:  global
        .offset:         24
        .size:           8
        .value_kind:     global_buffer
      - .offset:         32
        .size:           4
        .value_kind:     by_value
      - .offset:         40
        .size:           8
        .value_kind:     by_value
      - .address_space:  global
        .offset:         48
        .size:           8
        .value_kind:     global_buffer
      - .offset:         56
        .size:           4
        .value_kind:     by_value
      - .offset:         64
        .size:           8
        .value_kind:     by_value
      - .offset:         72
        .size:           8
        .value_kind:     by_value
      - .address_space:  global
        .offset:         80
        .size:           8
        .value_kind:     global_buffer
      - .offset:         88
        .size:           4
        .value_kind:     by_value
      - .offset:         96
        .size:           8
        .value_kind:     by_value
      - .address_space:  global
        .offset:         104
        .size:           8
        .value_kind:     global_buffer
      - .offset:         112
        .size:           4
        .value_kind:     by_value
      - .offset:         120
        .size:           8
        .value_kind:     by_value
      - .offset:         128
        .size:           4
        .value_kind:     by_value
      - .offset:         132
        .size:           4
        .value_kind:     by_value
    .group_segment_fixed_size: 16384
    .kernarg_segment_align: 8
    .kernarg_segment_size: 136
    .language:       OpenCL C
    .language_version:
      - 2
      - 0
    .max_flat_workgroup_size: 256
    .name:           _ZN12_GLOBAL__N_120geam_min_plus_kernelId15HIP_vector_typeIdLj2EEdLi32ELi8ELi128ELi128ELi4ELi4ELi64ELi4ELi64ELc84ELc78ELb0ELb1ELb1EdKddEEviiiT16_PT17_ilS6_ilS4_S6_ilPT18_ili26rocblas_geam_ex_operation_
    .private_segment_fixed_size: 120
    .sgpr_count:     42
    .sgpr_spill_count: 0
    .symbol:         _ZN12_GLOBAL__N_120geam_min_plus_kernelId15HIP_vector_typeIdLj2EEdLi32ELi8ELi128ELi128ELi4ELi4ELi64ELi4ELi64ELc84ELc78ELb0ELb1ELb1EdKddEEviiiT16_PT17_ilS6_ilS4_S6_ilPT18_ili26rocblas_geam_ex_operation_.kd
    .uniform_work_group_size: 1
    .uses_dynamic_stack: false
    .vgpr_count:     256
    .vgpr_spill_count: 33
    .wavefront_size: 32
    .workgroup_processor_mode: 1
  - .args:
      - .offset:         0
        .size:           4
        .value_kind:     by_value
      - .offset:         4
        .size:           4
        .value_kind:     by_value
      - .offset:         8
        .size:           4
        .value_kind:     by_value
      - .address_space:  global
        .offset:         16
        .size:           8
        .value_kind:     global_buffer
      - .address_space:  global
        .offset:         24
        .size:           8
        .value_kind:     global_buffer
      - .offset:         32
        .size:           4
        .value_kind:     by_value
      - .offset:         40
        .size:           8
        .value_kind:     by_value
      - .address_space:  global
        .offset:         48
        .size:           8
        .value_kind:     global_buffer
      - .offset:         56
        .size:           4
        .value_kind:     by_value
      - .offset:         64
        .size:           8
        .value_kind:     by_value
      - .address_space:  global
        .offset:         72
        .size:           8
        .value_kind:     global_buffer
      - .address_space:  global
        .offset:         80
        .size:           8
        .value_kind:     global_buffer
      - .offset:         88
        .size:           4
        .value_kind:     by_value
      - .offset:         96
        .size:           8
        .value_kind:     by_value
      - .address_space:  global
        .offset:         104
        .size:           8
        .value_kind:     global_buffer
      - .offset:         112
        .size:           4
        .value_kind:     by_value
      - .offset:         120
        .size:           8
        .value_kind:     by_value
      - .offset:         128
        .size:           4
        .value_kind:     by_value
      - .offset:         132
        .size:           4
        .value_kind:     by_value
    .group_segment_fixed_size: 20480
    .kernarg_segment_align: 8
    .kernarg_segment_size: 136
    .language:       OpenCL C
    .language_version:
      - 2
      - 0
    .max_flat_workgroup_size: 256
    .name:           _ZN12_GLOBAL__N_120geam_min_plus_kernelId15HIP_vector_typeIdLj2EEdLi8ELi32ELi64ELi256ELi4ELi64ELi4ELi64ELi4ELc78ELc84ELb0ELb0ELb1EPKdS3_dEEviiiT16_PT17_ilS7_ilS5_S7_ilPT18_ili26rocblas_geam_ex_operation_
    .private_segment_fixed_size: 0
    .sgpr_count:     28
    .sgpr_spill_count: 0
    .symbol:         _ZN12_GLOBAL__N_120geam_min_plus_kernelId15HIP_vector_typeIdLj2EEdLi8ELi32ELi64ELi256ELi4ELi64ELi4ELi64ELi4ELc78ELc84ELb0ELb0ELb1EPKdS3_dEEviiiT16_PT17_ilS7_ilS5_S7_ilPT18_ili26rocblas_geam_ex_operation_.kd
    .uniform_work_group_size: 1
    .uses_dynamic_stack: false
    .vgpr_count:     231
    .vgpr_spill_count: 0
    .wavefront_size: 32
    .workgroup_processor_mode: 1
  - .args:
      - .offset:         0
        .size:           4
        .value_kind:     by_value
      - .offset:         4
        .size:           4
        .value_kind:     by_value
      - .offset:         8
        .size:           4
        .value_kind:     by_value
      - .offset:         16
        .size:           8
        .value_kind:     by_value
      - .address_space:  global
        .offset:         24
        .size:           8
        .value_kind:     global_buffer
      - .offset:         32
        .size:           4
        .value_kind:     by_value
      - .offset:         40
        .size:           8
        .value_kind:     by_value
      - .address_space:  global
        .offset:         48
        .size:           8
        .value_kind:     global_buffer
      - .offset:         56
        .size:           4
        .value_kind:     by_value
      - .offset:         64
        .size:           8
        .value_kind:     by_value
      - .offset:         72
        .size:           8
        .value_kind:     by_value
      - .address_space:  global
        .offset:         80
        .size:           8
        .value_kind:     global_buffer
      - .offset:         88
        .size:           4
        .value_kind:     by_value
      - .offset:         96
        .size:           8
        .value_kind:     by_value
      - .address_space:  global
        .offset:         104
        .size:           8
        .value_kind:     global_buffer
      - .offset:         112
        .size:           4
        .value_kind:     by_value
      - .offset:         120
        .size:           8
        .value_kind:     by_value
      - .offset:         128
        .size:           4
        .value_kind:     by_value
      - .offset:         132
        .size:           4
        .value_kind:     by_value
    .group_segment_fixed_size: 20480
    .kernarg_segment_align: 8
    .kernarg_segment_size: 136
    .language:       OpenCL C
    .language_version:
      - 2
      - 0
    .max_flat_workgroup_size: 256
    .name:           _ZN12_GLOBAL__N_120geam_min_plus_kernelId15HIP_vector_typeIdLj2EEdLi8ELi32ELi64ELi256ELi4ELi64ELi4ELi64ELi4ELc78ELc84ELb1ELb0ELb1EdKddEEviiiT16_PT17_ilS6_ilS4_S6_ilPT18_ili26rocblas_geam_ex_operation_
    .private_segment_fixed_size: 0
    .sgpr_count:     25
    .sgpr_spill_count: 0
    .symbol:         _ZN12_GLOBAL__N_120geam_min_plus_kernelId15HIP_vector_typeIdLj2EEdLi8ELi32ELi64ELi256ELi4ELi64ELi4ELi64ELi4ELc78ELc84ELb1ELb0ELb1EdKddEEviiiT16_PT17_ilS6_ilS4_S6_ilPT18_ili26rocblas_geam_ex_operation_.kd
    .uniform_work_group_size: 1
    .uses_dynamic_stack: false
    .vgpr_count:     221
    .vgpr_spill_count: 0
    .wavefront_size: 32
    .workgroup_processor_mode: 1
  - .args:
      - .offset:         0
        .size:           4
        .value_kind:     by_value
      - .offset:         4
        .size:           4
        .value_kind:     by_value
      - .offset:         8
        .size:           4
        .value_kind:     by_value
      - .offset:         16
        .size:           8
        .value_kind:     by_value
      - .address_space:  global
        .offset:         24
        .size:           8
        .value_kind:     global_buffer
      - .offset:         32
        .size:           4
        .value_kind:     by_value
      - .offset:         40
        .size:           8
        .value_kind:     by_value
      - .address_space:  global
        .offset:         48
        .size:           8
        .value_kind:     global_buffer
      - .offset:         56
        .size:           4
        .value_kind:     by_value
      - .offset:         64
        .size:           8
        .value_kind:     by_value
      - .offset:         72
        .size:           8
        .value_kind:     by_value
      - .address_space:  global
        .offset:         80
        .size:           8
        .value_kind:     global_buffer
      - .offset:         88
        .size:           4
        .value_kind:     by_value
      - .offset:         96
        .size:           8
        .value_kind:     by_value
      - .address_space:  global
        .offset:         104
        .size:           8
        .value_kind:     global_buffer
      - .offset:         112
        .size:           4
        .value_kind:     by_value
      - .offset:         120
        .size:           8
        .value_kind:     by_value
      - .offset:         128
        .size:           4
        .value_kind:     by_value
      - .offset:         132
        .size:           4
        .value_kind:     by_value
    .group_segment_fixed_size: 20480
    .kernarg_segment_align: 8
    .kernarg_segment_size: 136
    .language:       OpenCL C
    .language_version:
      - 2
      - 0
    .max_flat_workgroup_size: 256
    .name:           _ZN12_GLOBAL__N_120geam_min_plus_kernelId15HIP_vector_typeIdLj2EEdLi8ELi32ELi64ELi256ELi4ELi64ELi4ELi64ELi4ELc78ELc84ELb0ELb0ELb1EdKddEEviiiT16_PT17_ilS6_ilS4_S6_ilPT18_ili26rocblas_geam_ex_operation_
    .private_segment_fixed_size: 0
    .sgpr_count:     28
    .sgpr_spill_count: 0
    .symbol:         _ZN12_GLOBAL__N_120geam_min_plus_kernelId15HIP_vector_typeIdLj2EEdLi8ELi32ELi64ELi256ELi4ELi64ELi4ELi64ELi4ELc78ELc84ELb0ELb0ELb1EdKddEEviiiT16_PT17_ilS6_ilS4_S6_ilPT18_ili26rocblas_geam_ex_operation_.kd
    .uniform_work_group_size: 1
    .uses_dynamic_stack: false
    .vgpr_count:     231
    .vgpr_spill_count: 0
    .wavefront_size: 32
    .workgroup_processor_mode: 1
  - .args:
      - .offset:         0
        .size:           4
        .value_kind:     by_value
      - .offset:         4
        .size:           4
        .value_kind:     by_value
      - .offset:         8
        .size:           4
        .value_kind:     by_value
      - .address_space:  global
        .offset:         16
        .size:           8
        .value_kind:     global_buffer
      - .address_space:  global
        .offset:         24
        .size:           8
        .value_kind:     global_buffer
      - .offset:         32
        .size:           4
        .value_kind:     by_value
      - .offset:         40
        .size:           8
        .value_kind:     by_value
      - .address_space:  global
        .offset:         48
        .size:           8
        .value_kind:     global_buffer
      - .offset:         56
        .size:           4
        .value_kind:     by_value
      - .offset:         64
        .size:           8
        .value_kind:     by_value
      - .address_space:  global
        .offset:         72
        .size:           8
        .value_kind:     global_buffer
      - .address_space:  global
        .offset:         80
        .size:           8
        .value_kind:     global_buffer
      - .offset:         88
        .size:           4
        .value_kind:     by_value
      - .offset:         96
        .size:           8
        .value_kind:     by_value
      - .address_space:  global
        .offset:         104
        .size:           8
        .value_kind:     global_buffer
      - .offset:         112
        .size:           4
        .value_kind:     by_value
      - .offset:         120
        .size:           8
        .value_kind:     by_value
      - .offset:         128
        .size:           4
        .value_kind:     by_value
      - .offset:         132
        .size:           4
        .value_kind:     by_value
    .group_segment_fixed_size: 20480
    .kernarg_segment_align: 8
    .kernarg_segment_size: 136
    .language:       OpenCL C
    .language_version:
      - 2
      - 0
    .max_flat_workgroup_size: 256
    .name:           _ZN12_GLOBAL__N_120geam_min_plus_kernelId15HIP_vector_typeIdLj2EEdLi8ELi32ELi64ELi256ELi4ELi64ELi4ELi64ELi4ELc78ELc84ELb0ELb1ELb1EPKdS3_dEEviiiT16_PT17_ilS7_ilS5_S7_ilPT18_ili26rocblas_geam_ex_operation_
    .private_segment_fixed_size: 0
    .sgpr_count:     37
    .sgpr_spill_count: 0
    .symbol:         _ZN12_GLOBAL__N_120geam_min_plus_kernelId15HIP_vector_typeIdLj2EEdLi8ELi32ELi64ELi256ELi4ELi64ELi4ELi64ELi4ELc78ELc84ELb0ELb1ELb1EPKdS3_dEEviiiT16_PT17_ilS7_ilS5_S7_ilPT18_ili26rocblas_geam_ex_operation_.kd
    .uniform_work_group_size: 1
    .uses_dynamic_stack: false
    .vgpr_count:     226
    .vgpr_spill_count: 0
    .wavefront_size: 32
    .workgroup_processor_mode: 1
  - .args:
      - .offset:         0
        .size:           4
        .value_kind:     by_value
      - .offset:         4
        .size:           4
        .value_kind:     by_value
      - .offset:         8
        .size:           4
        .value_kind:     by_value
      - .offset:         16
        .size:           8
        .value_kind:     by_value
      - .address_space:  global
        .offset:         24
        .size:           8
        .value_kind:     global_buffer
      - .offset:         32
        .size:           4
        .value_kind:     by_value
      - .offset:         40
        .size:           8
        .value_kind:     by_value
      - .address_space:  global
        .offset:         48
        .size:           8
        .value_kind:     global_buffer
      - .offset:         56
        .size:           4
        .value_kind:     by_value
      - .offset:         64
        .size:           8
        .value_kind:     by_value
      - .offset:         72
        .size:           8
        .value_kind:     by_value
      - .address_space:  global
        .offset:         80
        .size:           8
        .value_kind:     global_buffer
      - .offset:         88
        .size:           4
        .value_kind:     by_value
      - .offset:         96
        .size:           8
        .value_kind:     by_value
      - .address_space:  global
        .offset:         104
        .size:           8
        .value_kind:     global_buffer
      - .offset:         112
        .size:           4
        .value_kind:     by_value
      - .offset:         120
        .size:           8
        .value_kind:     by_value
      - .offset:         128
        .size:           4
        .value_kind:     by_value
      - .offset:         132
        .size:           4
        .value_kind:     by_value
    .group_segment_fixed_size: 20480
    .kernarg_segment_align: 8
    .kernarg_segment_size: 136
    .language:       OpenCL C
    .language_version:
      - 2
      - 0
    .max_flat_workgroup_size: 256
    .name:           _ZN12_GLOBAL__N_120geam_min_plus_kernelId15HIP_vector_typeIdLj2EEdLi8ELi32ELi64ELi256ELi4ELi64ELi4ELi64ELi4ELc78ELc84ELb1ELb1ELb1EdKddEEviiiT16_PT17_ilS6_ilS4_S6_ilPT18_ili26rocblas_geam_ex_operation_
    .private_segment_fixed_size: 0
    .sgpr_count:     32
    .sgpr_spill_count: 0
    .symbol:         _ZN12_GLOBAL__N_120geam_min_plus_kernelId15HIP_vector_typeIdLj2EEdLi8ELi32ELi64ELi256ELi4ELi64ELi4ELi64ELi4ELc78ELc84ELb1ELb1ELb1EdKddEEviiiT16_PT17_ilS6_ilS4_S6_ilPT18_ili26rocblas_geam_ex_operation_.kd
    .uniform_work_group_size: 1
    .uses_dynamic_stack: false
    .vgpr_count:     232
    .vgpr_spill_count: 0
    .wavefront_size: 32
    .workgroup_processor_mode: 1
  - .args:
      - .offset:         0
        .size:           4
        .value_kind:     by_value
      - .offset:         4
        .size:           4
        .value_kind:     by_value
      - .offset:         8
        .size:           4
        .value_kind:     by_value
      - .offset:         16
        .size:           8
        .value_kind:     by_value
      - .address_space:  global
        .offset:         24
        .size:           8
        .value_kind:     global_buffer
      - .offset:         32
        .size:           4
        .value_kind:     by_value
      - .offset:         40
        .size:           8
        .value_kind:     by_value
      - .address_space:  global
        .offset:         48
        .size:           8
        .value_kind:     global_buffer
      - .offset:         56
        .size:           4
        .value_kind:     by_value
      - .offset:         64
        .size:           8
        .value_kind:     by_value
      - .offset:         72
        .size:           8
        .value_kind:     by_value
      - .address_space:  global
        .offset:         80
        .size:           8
        .value_kind:     global_buffer
      - .offset:         88
        .size:           4
        .value_kind:     by_value
      - .offset:         96
        .size:           8
        .value_kind:     by_value
      - .address_space:  global
        .offset:         104
        .size:           8
        .value_kind:     global_buffer
      - .offset:         112
        .size:           4
        .value_kind:     by_value
      - .offset:         120
        .size:           8
        .value_kind:     by_value
      - .offset:         128
        .size:           4
        .value_kind:     by_value
      - .offset:         132
        .size:           4
        .value_kind:     by_value
    .group_segment_fixed_size: 20480
    .kernarg_segment_align: 8
    .kernarg_segment_size: 136
    .language:       OpenCL C
    .language_version:
      - 2
      - 0
    .max_flat_workgroup_size: 256
    .name:           _ZN12_GLOBAL__N_120geam_min_plus_kernelId15HIP_vector_typeIdLj2EEdLi8ELi32ELi64ELi256ELi4ELi64ELi4ELi64ELi4ELc78ELc84ELb0ELb1ELb1EdKddEEviiiT16_PT17_ilS6_ilS4_S6_ilPT18_ili26rocblas_geam_ex_operation_
    .private_segment_fixed_size: 0
    .sgpr_count:     37
    .sgpr_spill_count: 0
    .symbol:         _ZN12_GLOBAL__N_120geam_min_plus_kernelId15HIP_vector_typeIdLj2EEdLi8ELi32ELi64ELi256ELi4ELi64ELi4ELi64ELi4ELc78ELc84ELb0ELb1ELb1EdKddEEviiiT16_PT17_ilS6_ilS4_S6_ilPT18_ili26rocblas_geam_ex_operation_.kd
    .uniform_work_group_size: 1
    .uses_dynamic_stack: false
    .vgpr_count:     226
    .vgpr_spill_count: 0
    .wavefront_size: 32
    .workgroup_processor_mode: 1
  - .args:
      - .offset:         0
        .size:           4
        .value_kind:     by_value
      - .offset:         4
        .size:           4
        .value_kind:     by_value
      - .offset:         8
        .size:           4
        .value_kind:     by_value
      - .address_space:  global
        .offset:         16
        .size:           8
        .value_kind:     global_buffer
      - .address_space:  global
        .offset:         24
        .size:           8
        .value_kind:     global_buffer
      - .offset:         32
        .size:           4
        .value_kind:     by_value
      - .offset:         40
        .size:           8
        .value_kind:     by_value
      - .address_space:  global
        .offset:         48
        .size:           8
        .value_kind:     global_buffer
      - .offset:         56
        .size:           4
        .value_kind:     by_value
      - .offset:         64
        .size:           8
        .value_kind:     by_value
      - .address_space:  global
        .offset:         72
        .size:           8
        .value_kind:     global_buffer
      - .address_space:  global
        .offset:         80
        .size:           8
        .value_kind:     global_buffer
      - .offset:         88
        .size:           4
        .value_kind:     by_value
      - .offset:         96
        .size:           8
        .value_kind:     by_value
      - .address_space:  global
        .offset:         104
        .size:           8
        .value_kind:     global_buffer
      - .offset:         112
        .size:           4
        .value_kind:     by_value
      - .offset:         120
        .size:           8
        .value_kind:     by_value
      - .offset:         128
        .size:           4
        .value_kind:     by_value
      - .offset:         132
        .size:           4
        .value_kind:     by_value
    .group_segment_fixed_size: 20480
    .kernarg_segment_align: 8
    .kernarg_segment_size: 136
    .language:       OpenCL C
    .language_version:
      - 2
      - 0
    .max_flat_workgroup_size: 256
    .name:           _ZN12_GLOBAL__N_120geam_min_plus_kernelId15HIP_vector_typeIdLj2EEdLi8ELi32ELi64ELi256ELi4ELi4ELi64ELi64ELi4ELc84ELc84ELb0ELb0ELb1EPKdS3_dEEviiiT16_PT17_ilS7_ilS5_S7_ilPT18_ili26rocblas_geam_ex_operation_
    .private_segment_fixed_size: 0
    .sgpr_count:     28
    .sgpr_spill_count: 0
    .symbol:         _ZN12_GLOBAL__N_120geam_min_plus_kernelId15HIP_vector_typeIdLj2EEdLi8ELi32ELi64ELi256ELi4ELi4ELi64ELi64ELi4ELc84ELc84ELb0ELb0ELb1EPKdS3_dEEviiiT16_PT17_ilS7_ilS5_S7_ilPT18_ili26rocblas_geam_ex_operation_.kd
    .uniform_work_group_size: 1
    .uses_dynamic_stack: false
    .vgpr_count:     227
    .vgpr_spill_count: 0
    .wavefront_size: 32
    .workgroup_processor_mode: 1
  - .args:
      - .offset:         0
        .size:           4
        .value_kind:     by_value
      - .offset:         4
        .size:           4
        .value_kind:     by_value
      - .offset:         8
        .size:           4
        .value_kind:     by_value
      - .offset:         16
        .size:           8
        .value_kind:     by_value
      - .address_space:  global
        .offset:         24
        .size:           8
        .value_kind:     global_buffer
      - .offset:         32
        .size:           4
        .value_kind:     by_value
      - .offset:         40
        .size:           8
        .value_kind:     by_value
      - .address_space:  global
        .offset:         48
        .size:           8
        .value_kind:     global_buffer
      - .offset:         56
        .size:           4
        .value_kind:     by_value
      - .offset:         64
        .size:           8
        .value_kind:     by_value
      - .offset:         72
        .size:           8
        .value_kind:     by_value
      - .address_space:  global
        .offset:         80
        .size:           8
        .value_kind:     global_buffer
      - .offset:         88
        .size:           4
        .value_kind:     by_value
      - .offset:         96
        .size:           8
        .value_kind:     by_value
      - .address_space:  global
        .offset:         104
        .size:           8
        .value_kind:     global_buffer
      - .offset:         112
        .size:           4
        .value_kind:     by_value
      - .offset:         120
        .size:           8
        .value_kind:     by_value
      - .offset:         128
        .size:           4
        .value_kind:     by_value
      - .offset:         132
        .size:           4
        .value_kind:     by_value
    .group_segment_fixed_size: 20480
    .kernarg_segment_align: 8
    .kernarg_segment_size: 136
    .language:       OpenCL C
    .language_version:
      - 2
      - 0
    .max_flat_workgroup_size: 256
    .name:           _ZN12_GLOBAL__N_120geam_min_plus_kernelId15HIP_vector_typeIdLj2EEdLi8ELi32ELi64ELi256ELi4ELi4ELi64ELi64ELi4ELc84ELc84ELb1ELb0ELb1EdKddEEviiiT16_PT17_ilS6_ilS4_S6_ilPT18_ili26rocblas_geam_ex_operation_
    .private_segment_fixed_size: 0
    .sgpr_count:     25
    .sgpr_spill_count: 0
    .symbol:         _ZN12_GLOBAL__N_120geam_min_plus_kernelId15HIP_vector_typeIdLj2EEdLi8ELi32ELi64ELi256ELi4ELi4ELi64ELi64ELi4ELc84ELc84ELb1ELb0ELb1EdKddEEviiiT16_PT17_ilS6_ilS4_S6_ilPT18_ili26rocblas_geam_ex_operation_.kd
    .uniform_work_group_size: 1
    .uses_dynamic_stack: false
    .vgpr_count:     221
    .vgpr_spill_count: 0
    .wavefront_size: 32
    .workgroup_processor_mode: 1
  - .args:
      - .offset:         0
        .size:           4
        .value_kind:     by_value
      - .offset:         4
        .size:           4
        .value_kind:     by_value
      - .offset:         8
        .size:           4
        .value_kind:     by_value
      - .offset:         16
        .size:           8
        .value_kind:     by_value
      - .address_space:  global
        .offset:         24
        .size:           8
        .value_kind:     global_buffer
      - .offset:         32
        .size:           4
        .value_kind:     by_value
      - .offset:         40
        .size:           8
        .value_kind:     by_value
      - .address_space:  global
        .offset:         48
        .size:           8
        .value_kind:     global_buffer
      - .offset:         56
        .size:           4
        .value_kind:     by_value
      - .offset:         64
        .size:           8
        .value_kind:     by_value
      - .offset:         72
        .size:           8
        .value_kind:     by_value
      - .address_space:  global
        .offset:         80
        .size:           8
        .value_kind:     global_buffer
      - .offset:         88
        .size:           4
        .value_kind:     by_value
      - .offset:         96
        .size:           8
        .value_kind:     by_value
      - .address_space:  global
        .offset:         104
        .size:           8
        .value_kind:     global_buffer
      - .offset:         112
        .size:           4
        .value_kind:     by_value
      - .offset:         120
        .size:           8
        .value_kind:     by_value
      - .offset:         128
        .size:           4
        .value_kind:     by_value
      - .offset:         132
        .size:           4
        .value_kind:     by_value
    .group_segment_fixed_size: 20480
    .kernarg_segment_align: 8
    .kernarg_segment_size: 136
    .language:       OpenCL C
    .language_version:
      - 2
      - 0
    .max_flat_workgroup_size: 256
    .name:           _ZN12_GLOBAL__N_120geam_min_plus_kernelId15HIP_vector_typeIdLj2EEdLi8ELi32ELi64ELi256ELi4ELi4ELi64ELi64ELi4ELc84ELc84ELb0ELb0ELb1EdKddEEviiiT16_PT17_ilS6_ilS4_S6_ilPT18_ili26rocblas_geam_ex_operation_
    .private_segment_fixed_size: 0
    .sgpr_count:     27
    .sgpr_spill_count: 0
    .symbol:         _ZN12_GLOBAL__N_120geam_min_plus_kernelId15HIP_vector_typeIdLj2EEdLi8ELi32ELi64ELi256ELi4ELi4ELi64ELi64ELi4ELc84ELc84ELb0ELb0ELb1EdKddEEviiiT16_PT17_ilS6_ilS4_S6_ilPT18_ili26rocblas_geam_ex_operation_.kd
    .uniform_work_group_size: 1
    .uses_dynamic_stack: false
    .vgpr_count:     227
    .vgpr_spill_count: 0
    .wavefront_size: 32
    .workgroup_processor_mode: 1
  - .args:
      - .offset:         0
        .size:           4
        .value_kind:     by_value
      - .offset:         4
        .size:           4
        .value_kind:     by_value
      - .offset:         8
        .size:           4
        .value_kind:     by_value
      - .address_space:  global
        .offset:         16
        .size:           8
        .value_kind:     global_buffer
      - .address_space:  global
        .offset:         24
        .size:           8
        .value_kind:     global_buffer
      - .offset:         32
        .size:           4
        .value_kind:     by_value
      - .offset:         40
        .size:           8
        .value_kind:     by_value
      - .address_space:  global
        .offset:         48
        .size:           8
        .value_kind:     global_buffer
      - .offset:         56
        .size:           4
        .value_kind:     by_value
      - .offset:         64
        .size:           8
        .value_kind:     by_value
      - .address_space:  global
        .offset:         72
        .size:           8
        .value_kind:     global_buffer
      - .address_space:  global
        .offset:         80
        .size:           8
        .value_kind:     global_buffer
      - .offset:         88
        .size:           4
        .value_kind:     by_value
      - .offset:         96
        .size:           8
        .value_kind:     by_value
      - .address_space:  global
        .offset:         104
        .size:           8
        .value_kind:     global_buffer
      - .offset:         112
        .size:           4
        .value_kind:     by_value
      - .offset:         120
        .size:           8
        .value_kind:     by_value
      - .offset:         128
        .size:           4
        .value_kind:     by_value
      - .offset:         132
        .size:           4
        .value_kind:     by_value
    .group_segment_fixed_size: 20480
    .kernarg_segment_align: 8
    .kernarg_segment_size: 136
    .language:       OpenCL C
    .language_version:
      - 2
      - 0
    .max_flat_workgroup_size: 256
    .name:           _ZN12_GLOBAL__N_120geam_min_plus_kernelId15HIP_vector_typeIdLj2EEdLi8ELi32ELi64ELi256ELi4ELi4ELi64ELi64ELi4ELc84ELc84ELb0ELb1ELb1EPKdS3_dEEviiiT16_PT17_ilS7_ilS5_S7_ilPT18_ili26rocblas_geam_ex_operation_
    .private_segment_fixed_size: 0
    .sgpr_count:     34
    .sgpr_spill_count: 0
    .symbol:         _ZN12_GLOBAL__N_120geam_min_plus_kernelId15HIP_vector_typeIdLj2EEdLi8ELi32ELi64ELi256ELi4ELi4ELi64ELi64ELi4ELc84ELc84ELb0ELb1ELb1EPKdS3_dEEviiiT16_PT17_ilS7_ilS5_S7_ilPT18_ili26rocblas_geam_ex_operation_.kd
    .uniform_work_group_size: 1
    .uses_dynamic_stack: false
    .vgpr_count:     223
    .vgpr_spill_count: 0
    .wavefront_size: 32
    .workgroup_processor_mode: 1
  - .args:
      - .offset:         0
        .size:           4
        .value_kind:     by_value
      - .offset:         4
        .size:           4
        .value_kind:     by_value
      - .offset:         8
        .size:           4
        .value_kind:     by_value
      - .offset:         16
        .size:           8
        .value_kind:     by_value
      - .address_space:  global
        .offset:         24
        .size:           8
        .value_kind:     global_buffer
      - .offset:         32
        .size:           4
        .value_kind:     by_value
      - .offset:         40
        .size:           8
        .value_kind:     by_value
      - .address_space:  global
        .offset:         48
        .size:           8
        .value_kind:     global_buffer
      - .offset:         56
        .size:           4
        .value_kind:     by_value
      - .offset:         64
        .size:           8
        .value_kind:     by_value
      - .offset:         72
        .size:           8
        .value_kind:     by_value
      - .address_space:  global
        .offset:         80
        .size:           8
        .value_kind:     global_buffer
      - .offset:         88
        .size:           4
        .value_kind:     by_value
      - .offset:         96
        .size:           8
        .value_kind:     by_value
      - .address_space:  global
        .offset:         104
        .size:           8
        .value_kind:     global_buffer
      - .offset:         112
        .size:           4
        .value_kind:     by_value
      - .offset:         120
        .size:           8
        .value_kind:     by_value
      - .offset:         128
        .size:           4
        .value_kind:     by_value
      - .offset:         132
        .size:           4
        .value_kind:     by_value
    .group_segment_fixed_size: 20480
    .kernarg_segment_align: 8
    .kernarg_segment_size: 136
    .language:       OpenCL C
    .language_version:
      - 2
      - 0
    .max_flat_workgroup_size: 256
    .name:           _ZN12_GLOBAL__N_120geam_min_plus_kernelId15HIP_vector_typeIdLj2EEdLi8ELi32ELi64ELi256ELi4ELi4ELi64ELi64ELi4ELc84ELc84ELb1ELb1ELb1EdKddEEviiiT16_PT17_ilS6_ilS4_S6_ilPT18_ili26rocblas_geam_ex_operation_
    .private_segment_fixed_size: 0
    .sgpr_count:     33
    .sgpr_spill_count: 0
    .symbol:         _ZN12_GLOBAL__N_120geam_min_plus_kernelId15HIP_vector_typeIdLj2EEdLi8ELi32ELi64ELi256ELi4ELi4ELi64ELi64ELi4ELc84ELc84ELb1ELb1ELb1EdKddEEviiiT16_PT17_ilS6_ilS4_S6_ilPT18_ili26rocblas_geam_ex_operation_.kd
    .uniform_work_group_size: 1
    .uses_dynamic_stack: false
    .vgpr_count:     229
    .vgpr_spill_count: 0
    .wavefront_size: 32
    .workgroup_processor_mode: 1
  - .args:
      - .offset:         0
        .size:           4
        .value_kind:     by_value
      - .offset:         4
        .size:           4
        .value_kind:     by_value
      - .offset:         8
        .size:           4
        .value_kind:     by_value
      - .offset:         16
        .size:           8
        .value_kind:     by_value
      - .address_space:  global
        .offset:         24
        .size:           8
        .value_kind:     global_buffer
      - .offset:         32
        .size:           4
        .value_kind:     by_value
      - .offset:         40
        .size:           8
        .value_kind:     by_value
      - .address_space:  global
        .offset:         48
        .size:           8
        .value_kind:     global_buffer
      - .offset:         56
        .size:           4
        .value_kind:     by_value
      - .offset:         64
        .size:           8
        .value_kind:     by_value
      - .offset:         72
        .size:           8
        .value_kind:     by_value
      - .address_space:  global
        .offset:         80
        .size:           8
        .value_kind:     global_buffer
      - .offset:         88
        .size:           4
        .value_kind:     by_value
      - .offset:         96
        .size:           8
        .value_kind:     by_value
      - .address_space:  global
        .offset:         104
        .size:           8
        .value_kind:     global_buffer
      - .offset:         112
        .size:           4
        .value_kind:     by_value
      - .offset:         120
        .size:           8
        .value_kind:     by_value
      - .offset:         128
        .size:           4
        .value_kind:     by_value
      - .offset:         132
        .size:           4
        .value_kind:     by_value
    .group_segment_fixed_size: 20480
    .kernarg_segment_align: 8
    .kernarg_segment_size: 136
    .language:       OpenCL C
    .language_version:
      - 2
      - 0
    .max_flat_workgroup_size: 256
    .name:           _ZN12_GLOBAL__N_120geam_min_plus_kernelId15HIP_vector_typeIdLj2EEdLi8ELi32ELi64ELi256ELi4ELi4ELi64ELi64ELi4ELc84ELc84ELb0ELb1ELb1EdKddEEviiiT16_PT17_ilS6_ilS4_S6_ilPT18_ili26rocblas_geam_ex_operation_
    .private_segment_fixed_size: 0
    .sgpr_count:     34
    .sgpr_spill_count: 0
    .symbol:         _ZN12_GLOBAL__N_120geam_min_plus_kernelId15HIP_vector_typeIdLj2EEdLi8ELi32ELi64ELi256ELi4ELi4ELi64ELi64ELi4ELc84ELc84ELb0ELb1ELb1EdKddEEviiiT16_PT17_ilS6_ilS4_S6_ilPT18_ili26rocblas_geam_ex_operation_.kd
    .uniform_work_group_size: 1
    .uses_dynamic_stack: false
    .vgpr_count:     223
    .vgpr_spill_count: 0
    .wavefront_size: 32
    .workgroup_processor_mode: 1
  - .args:
      - .offset:         0
        .size:           4
        .value_kind:     by_value
      - .offset:         4
        .size:           4
        .value_kind:     by_value
      - .offset:         8
        .size:           4
        .value_kind:     by_value
      - .address_space:  global
        .offset:         16
        .size:           8
        .value_kind:     global_buffer
      - .address_space:  global
        .offset:         24
        .size:           8
        .value_kind:     global_buffer
      - .offset:         32
        .size:           4
        .value_kind:     by_value
      - .offset:         40
        .size:           8
        .value_kind:     by_value
      - .address_space:  global
        .offset:         48
        .size:           8
        .value_kind:     global_buffer
      - .offset:         56
        .size:           4
        .value_kind:     by_value
      - .offset:         64
        .size:           8
        .value_kind:     by_value
      - .address_space:  global
        .offset:         72
        .size:           8
        .value_kind:     global_buffer
      - .address_space:  global
        .offset:         80
        .size:           8
        .value_kind:     global_buffer
      - .offset:         88
        .size:           4
        .value_kind:     by_value
      - .offset:         96
        .size:           8
        .value_kind:     by_value
      - .address_space:  global
        .offset:         104
        .size:           8
        .value_kind:     global_buffer
      - .offset:         112
        .size:           4
        .value_kind:     by_value
      - .offset:         120
        .size:           8
        .value_kind:     by_value
      - .offset:         128
        .size:           4
        .value_kind:     by_value
      - .offset:         132
        .size:           4
        .value_kind:     by_value
    .group_segment_fixed_size: 16384
    .kernarg_segment_align: 8
    .kernarg_segment_size: 136
    .language:       OpenCL C
    .language_version:
      - 2
      - 0
    .max_flat_workgroup_size: 256
    .name:           _ZN12_GLOBAL__N_120geam_min_plus_kernelIdddLi4ELi64ELi128ELi128ELi4ELi64ELi4ELi4ELi64ELc78ELc78ELb0ELb0ELb0EPKdS1_dEEviiiT16_PT17_ilS5_ilS3_S5_ilPT18_ili26rocblas_geam_ex_operation_
    .private_segment_fixed_size: 528
    .sgpr_count:     32
    .sgpr_spill_count: 0
    .symbol:         _ZN12_GLOBAL__N_120geam_min_plus_kernelIdddLi4ELi64ELi128ELi128ELi4ELi64ELi4ELi4ELi64ELc78ELc78ELb0ELb0ELb0EPKdS1_dEEviiiT16_PT17_ilS5_ilS3_S5_ilPT18_ili26rocblas_geam_ex_operation_.kd
    .uniform_work_group_size: 1
    .uses_dynamic_stack: false
    .vgpr_count:     227
    .vgpr_spill_count: 0
    .wavefront_size: 32
    .workgroup_processor_mode: 1
  - .args:
      - .offset:         0
        .size:           4
        .value_kind:     by_value
      - .offset:         4
        .size:           4
        .value_kind:     by_value
      - .offset:         8
        .size:           4
        .value_kind:     by_value
      - .offset:         16
        .size:           8
        .value_kind:     by_value
      - .address_space:  global
        .offset:         24
        .size:           8
        .value_kind:     global_buffer
      - .offset:         32
        .size:           4
        .value_kind:     by_value
      - .offset:         40
        .size:           8
        .value_kind:     by_value
      - .address_space:  global
        .offset:         48
        .size:           8
        .value_kind:     global_buffer
      - .offset:         56
        .size:           4
        .value_kind:     by_value
      - .offset:         64
        .size:           8
        .value_kind:     by_value
      - .offset:         72
        .size:           8
        .value_kind:     by_value
      - .address_space:  global
        .offset:         80
        .size:           8
        .value_kind:     global_buffer
      - .offset:         88
        .size:           4
        .value_kind:     by_value
      - .offset:         96
        .size:           8
        .value_kind:     by_value
      - .address_space:  global
        .offset:         104
        .size:           8
        .value_kind:     global_buffer
      - .offset:         112
        .size:           4
        .value_kind:     by_value
      - .offset:         120
        .size:           8
        .value_kind:     by_value
      - .offset:         128
        .size:           4
        .value_kind:     by_value
      - .offset:         132
        .size:           4
        .value_kind:     by_value
    .group_segment_fixed_size: 16384
    .kernarg_segment_align: 8
    .kernarg_segment_size: 136
    .language:       OpenCL C
    .language_version:
      - 2
      - 0
    .max_flat_workgroup_size: 256
    .name:           _ZN12_GLOBAL__N_120geam_min_plus_kernelIdddLi4ELi64ELi128ELi128ELi4ELi64ELi4ELi4ELi64ELc78ELc78ELb1ELb0ELb0EdKddEEviiiT16_PT17_ilS4_ilS2_S4_ilPT18_ili26rocblas_geam_ex_operation_
    .private_segment_fixed_size: 528
    .sgpr_count:     29
    .sgpr_spill_count: 0
    .symbol:         _ZN12_GLOBAL__N_120geam_min_plus_kernelIdddLi4ELi64ELi128ELi128ELi4ELi64ELi4ELi4ELi64ELc78ELc78ELb1ELb0ELb0EdKddEEviiiT16_PT17_ilS4_ilS2_S4_ilPT18_ili26rocblas_geam_ex_operation_.kd
    .uniform_work_group_size: 1
    .uses_dynamic_stack: false
    .vgpr_count:     229
    .vgpr_spill_count: 0
    .wavefront_size: 32
    .workgroup_processor_mode: 1
  - .args:
      - .offset:         0
        .size:           4
        .value_kind:     by_value
      - .offset:         4
        .size:           4
        .value_kind:     by_value
      - .offset:         8
        .size:           4
        .value_kind:     by_value
      - .offset:         16
        .size:           8
        .value_kind:     by_value
      - .address_space:  global
        .offset:         24
        .size:           8
        .value_kind:     global_buffer
      - .offset:         32
        .size:           4
        .value_kind:     by_value
      - .offset:         40
        .size:           8
        .value_kind:     by_value
      - .address_space:  global
        .offset:         48
        .size:           8
        .value_kind:     global_buffer
      - .offset:         56
        .size:           4
        .value_kind:     by_value
      - .offset:         64
        .size:           8
        .value_kind:     by_value
      - .offset:         72
        .size:           8
        .value_kind:     by_value
      - .address_space:  global
        .offset:         80
        .size:           8
        .value_kind:     global_buffer
      - .offset:         88
        .size:           4
        .value_kind:     by_value
      - .offset:         96
        .size:           8
        .value_kind:     by_value
      - .address_space:  global
        .offset:         104
        .size:           8
        .value_kind:     global_buffer
      - .offset:         112
        .size:           4
        .value_kind:     by_value
      - .offset:         120
        .size:           8
        .value_kind:     by_value
      - .offset:         128
        .size:           4
        .value_kind:     by_value
      - .offset:         132
        .size:           4
        .value_kind:     by_value
    .group_segment_fixed_size: 16384
    .kernarg_segment_align: 8
    .kernarg_segment_size: 136
    .language:       OpenCL C
    .language_version:
      - 2
      - 0
    .max_flat_workgroup_size: 256
    .name:           _ZN12_GLOBAL__N_120geam_min_plus_kernelIdddLi4ELi64ELi128ELi128ELi4ELi64ELi4ELi4ELi64ELc78ELc78ELb0ELb0ELb0EdKddEEviiiT16_PT17_ilS4_ilS2_S4_ilPT18_ili26rocblas_geam_ex_operation_
    .private_segment_fixed_size: 528
    .sgpr_count:     32
    .sgpr_spill_count: 0
    .symbol:         _ZN12_GLOBAL__N_120geam_min_plus_kernelIdddLi4ELi64ELi128ELi128ELi4ELi64ELi4ELi4ELi64ELc78ELc78ELb0ELb0ELb0EdKddEEviiiT16_PT17_ilS4_ilS2_S4_ilPT18_ili26rocblas_geam_ex_operation_.kd
    .uniform_work_group_size: 1
    .uses_dynamic_stack: false
    .vgpr_count:     227
    .vgpr_spill_count: 0
    .wavefront_size: 32
    .workgroup_processor_mode: 1
  - .args:
      - .offset:         0
        .size:           4
        .value_kind:     by_value
      - .offset:         4
        .size:           4
        .value_kind:     by_value
      - .offset:         8
        .size:           4
        .value_kind:     by_value
      - .address_space:  global
        .offset:         16
        .size:           8
        .value_kind:     global_buffer
      - .address_space:  global
        .offset:         24
        .size:           8
        .value_kind:     global_buffer
      - .offset:         32
        .size:           4
        .value_kind:     by_value
      - .offset:         40
        .size:           8
        .value_kind:     by_value
      - .address_space:  global
        .offset:         48
        .size:           8
        .value_kind:     global_buffer
      - .offset:         56
        .size:           4
        .value_kind:     by_value
      - .offset:         64
        .size:           8
        .value_kind:     by_value
      - .address_space:  global
        .offset:         72
        .size:           8
        .value_kind:     global_buffer
      - .address_space:  global
        .offset:         80
        .size:           8
        .value_kind:     global_buffer
      - .offset:         88
        .size:           4
        .value_kind:     by_value
      - .offset:         96
        .size:           8
        .value_kind:     by_value
      - .address_space:  global
        .offset:         104
        .size:           8
        .value_kind:     global_buffer
      - .offset:         112
        .size:           4
        .value_kind:     by_value
      - .offset:         120
        .size:           8
        .value_kind:     by_value
      - .offset:         128
        .size:           4
        .value_kind:     by_value
      - .offset:         132
        .size:           4
        .value_kind:     by_value
    .group_segment_fixed_size: 16384
    .kernarg_segment_align: 8
    .kernarg_segment_size: 136
    .language:       OpenCL C
    .language_version:
      - 2
      - 0
    .max_flat_workgroup_size: 256
    .name:           _ZN12_GLOBAL__N_120geam_min_plus_kernelIdddLi4ELi64ELi128ELi128ELi4ELi64ELi4ELi4ELi64ELc78ELc78ELb0ELb1ELb0EPKdS1_dEEviiiT16_PT17_ilS5_ilS3_S5_ilPT18_ili26rocblas_geam_ex_operation_
    .private_segment_fixed_size: 528
    .sgpr_count:     52
    .sgpr_spill_count: 0
    .symbol:         _ZN12_GLOBAL__N_120geam_min_plus_kernelIdddLi4ELi64ELi128ELi128ELi4ELi64ELi4ELi4ELi64ELc78ELc78ELb0ELb1ELb0EPKdS1_dEEviiiT16_PT17_ilS5_ilS3_S5_ilPT18_ili26rocblas_geam_ex_operation_.kd
    .uniform_work_group_size: 1
    .uses_dynamic_stack: false
    .vgpr_count:     114
    .vgpr_spill_count: 0
    .wavefront_size: 32
    .workgroup_processor_mode: 1
  - .args:
      - .offset:         0
        .size:           4
        .value_kind:     by_value
      - .offset:         4
        .size:           4
        .value_kind:     by_value
      - .offset:         8
        .size:           4
        .value_kind:     by_value
      - .offset:         16
        .size:           8
        .value_kind:     by_value
      - .address_space:  global
        .offset:         24
        .size:           8
        .value_kind:     global_buffer
      - .offset:         32
        .size:           4
        .value_kind:     by_value
      - .offset:         40
        .size:           8
        .value_kind:     by_value
      - .address_space:  global
        .offset:         48
        .size:           8
        .value_kind:     global_buffer
      - .offset:         56
        .size:           4
        .value_kind:     by_value
      - .offset:         64
        .size:           8
        .value_kind:     by_value
      - .offset:         72
        .size:           8
        .value_kind:     by_value
      - .address_space:  global
        .offset:         80
        .size:           8
        .value_kind:     global_buffer
      - .offset:         88
        .size:           4
        .value_kind:     by_value
      - .offset:         96
        .size:           8
        .value_kind:     by_value
      - .address_space:  global
        .offset:         104
        .size:           8
        .value_kind:     global_buffer
      - .offset:         112
        .size:           4
        .value_kind:     by_value
      - .offset:         120
        .size:           8
        .value_kind:     by_value
      - .offset:         128
        .size:           4
        .value_kind:     by_value
      - .offset:         132
        .size:           4
        .value_kind:     by_value
    .group_segment_fixed_size: 16384
    .kernarg_segment_align: 8
    .kernarg_segment_size: 136
    .language:       OpenCL C
    .language_version:
      - 2
      - 0
    .max_flat_workgroup_size: 256
    .name:           _ZN12_GLOBAL__N_120geam_min_plus_kernelIdddLi4ELi64ELi128ELi128ELi4ELi64ELi4ELi4ELi64ELc78ELc78ELb1ELb1ELb0EdKddEEviiiT16_PT17_ilS4_ilS2_S4_ilPT18_ili26rocblas_geam_ex_operation_
    .private_segment_fixed_size: 528
    .sgpr_count:     52
    .sgpr_spill_count: 0
    .symbol:         _ZN12_GLOBAL__N_120geam_min_plus_kernelIdddLi4ELi64ELi128ELi128ELi4ELi64ELi4ELi4ELi64ELc78ELc78ELb1ELb1ELb0EdKddEEviiiT16_PT17_ilS4_ilS2_S4_ilPT18_ili26rocblas_geam_ex_operation_.kd
    .uniform_work_group_size: 1
    .uses_dynamic_stack: false
    .vgpr_count:     117
    .vgpr_spill_count: 0
    .wavefront_size: 32
    .workgroup_processor_mode: 1
  - .args:
      - .offset:         0
        .size:           4
        .value_kind:     by_value
      - .offset:         4
        .size:           4
        .value_kind:     by_value
      - .offset:         8
        .size:           4
        .value_kind:     by_value
      - .offset:         16
        .size:           8
        .value_kind:     by_value
      - .address_space:  global
        .offset:         24
        .size:           8
        .value_kind:     global_buffer
      - .offset:         32
        .size:           4
        .value_kind:     by_value
      - .offset:         40
        .size:           8
        .value_kind:     by_value
      - .address_space:  global
        .offset:         48
        .size:           8
        .value_kind:     global_buffer
      - .offset:         56
        .size:           4
        .value_kind:     by_value
      - .offset:         64
        .size:           8
        .value_kind:     by_value
      - .offset:         72
        .size:           8
        .value_kind:     by_value
      - .address_space:  global
        .offset:         80
        .size:           8
        .value_kind:     global_buffer
      - .offset:         88
        .size:           4
        .value_kind:     by_value
      - .offset:         96
        .size:           8
        .value_kind:     by_value
      - .address_space:  global
        .offset:         104
        .size:           8
        .value_kind:     global_buffer
      - .offset:         112
        .size:           4
        .value_kind:     by_value
      - .offset:         120
        .size:           8
        .value_kind:     by_value
      - .offset:         128
        .size:           4
        .value_kind:     by_value
      - .offset:         132
        .size:           4
        .value_kind:     by_value
    .group_segment_fixed_size: 16384
    .kernarg_segment_align: 8
    .kernarg_segment_size: 136
    .language:       OpenCL C
    .language_version:
      - 2
      - 0
    .max_flat_workgroup_size: 256
    .name:           _ZN12_GLOBAL__N_120geam_min_plus_kernelIdddLi4ELi64ELi128ELi128ELi4ELi64ELi4ELi4ELi64ELc78ELc78ELb0ELb1ELb0EdKddEEviiiT16_PT17_ilS4_ilS2_S4_ilPT18_ili26rocblas_geam_ex_operation_
    .private_segment_fixed_size: 528
    .sgpr_count:     52
    .sgpr_spill_count: 0
    .symbol:         _ZN12_GLOBAL__N_120geam_min_plus_kernelIdddLi4ELi64ELi128ELi128ELi4ELi64ELi4ELi4ELi64ELc78ELc78ELb0ELb1ELb0EdKddEEviiiT16_PT17_ilS4_ilS2_S4_ilPT18_ili26rocblas_geam_ex_operation_.kd
    .uniform_work_group_size: 1
    .uses_dynamic_stack: false
    .vgpr_count:     114
    .vgpr_spill_count: 0
    .wavefront_size: 32
    .workgroup_processor_mode: 1
  - .args:
      - .offset:         0
        .size:           4
        .value_kind:     by_value
      - .offset:         4
        .size:           4
        .value_kind:     by_value
      - .offset:         8
        .size:           4
        .value_kind:     by_value
      - .address_space:  global
        .offset:         16
        .size:           8
        .value_kind:     global_buffer
      - .address_space:  global
        .offset:         24
        .size:           8
        .value_kind:     global_buffer
      - .offset:         32
        .size:           4
        .value_kind:     by_value
      - .offset:         40
        .size:           8
        .value_kind:     by_value
      - .address_space:  global
        .offset:         48
        .size:           8
        .value_kind:     global_buffer
      - .offset:         56
        .size:           4
        .value_kind:     by_value
      - .offset:         64
        .size:           8
        .value_kind:     by_value
      - .address_space:  global
        .offset:         72
        .size:           8
        .value_kind:     global_buffer
      - .address_space:  global
        .offset:         80
        .size:           8
        .value_kind:     global_buffer
      - .offset:         88
        .size:           4
        .value_kind:     by_value
      - .offset:         96
        .size:           8
        .value_kind:     by_value
      - .address_space:  global
        .offset:         104
        .size:           8
        .value_kind:     global_buffer
      - .offset:         112
        .size:           4
        .value_kind:     by_value
      - .offset:         120
        .size:           8
        .value_kind:     by_value
      - .offset:         128
        .size:           4
        .value_kind:     by_value
      - .offset:         132
        .size:           4
        .value_kind:     by_value
    .group_segment_fixed_size: 16384
    .kernarg_segment_align: 8
    .kernarg_segment_size: 136
    .language:       OpenCL C
    .language_version:
      - 2
      - 0
    .max_flat_workgroup_size: 256
    .name:           _ZN12_GLOBAL__N_120geam_min_plus_kernelIdddLi4ELi64ELi128ELi128ELi4ELi4ELi64ELi4ELi64ELc84ELc78ELb0ELb0ELb0EPKdS1_dEEviiiT16_PT17_ilS5_ilS3_S5_ilPT18_ili26rocblas_geam_ex_operation_
    .private_segment_fixed_size: 528
    .sgpr_count:     32
    .sgpr_spill_count: 0
    .symbol:         _ZN12_GLOBAL__N_120geam_min_plus_kernelIdddLi4ELi64ELi128ELi128ELi4ELi4ELi64ELi4ELi64ELc84ELc78ELb0ELb0ELb0EPKdS1_dEEviiiT16_PT17_ilS5_ilS3_S5_ilPT18_ili26rocblas_geam_ex_operation_.kd
    .uniform_work_group_size: 1
    .uses_dynamic_stack: false
    .vgpr_count:     229
    .vgpr_spill_count: 0
    .wavefront_size: 32
    .workgroup_processor_mode: 1
  - .args:
      - .offset:         0
        .size:           4
        .value_kind:     by_value
      - .offset:         4
        .size:           4
        .value_kind:     by_value
      - .offset:         8
        .size:           4
        .value_kind:     by_value
      - .offset:         16
        .size:           8
        .value_kind:     by_value
      - .address_space:  global
        .offset:         24
        .size:           8
        .value_kind:     global_buffer
      - .offset:         32
        .size:           4
        .value_kind:     by_value
      - .offset:         40
        .size:           8
        .value_kind:     by_value
      - .address_space:  global
        .offset:         48
        .size:           8
        .value_kind:     global_buffer
      - .offset:         56
        .size:           4
        .value_kind:     by_value
      - .offset:         64
        .size:           8
        .value_kind:     by_value
      - .offset:         72
        .size:           8
        .value_kind:     by_value
      - .address_space:  global
        .offset:         80
        .size:           8
        .value_kind:     global_buffer
      - .offset:         88
        .size:           4
        .value_kind:     by_value
      - .offset:         96
        .size:           8
        .value_kind:     by_value
      - .address_space:  global
        .offset:         104
        .size:           8
        .value_kind:     global_buffer
      - .offset:         112
        .size:           4
        .value_kind:     by_value
      - .offset:         120
        .size:           8
        .value_kind:     by_value
      - .offset:         128
        .size:           4
        .value_kind:     by_value
      - .offset:         132
        .size:           4
        .value_kind:     by_value
    .group_segment_fixed_size: 16384
    .kernarg_segment_align: 8
    .kernarg_segment_size: 136
    .language:       OpenCL C
    .language_version:
      - 2
      - 0
    .max_flat_workgroup_size: 256
    .name:           _ZN12_GLOBAL__N_120geam_min_plus_kernelIdddLi4ELi64ELi128ELi128ELi4ELi4ELi64ELi4ELi64ELc84ELc78ELb1ELb0ELb0EdKddEEviiiT16_PT17_ilS4_ilS2_S4_ilPT18_ili26rocblas_geam_ex_operation_
    .private_segment_fixed_size: 528
    .sgpr_count:     29
    .sgpr_spill_count: 0
    .symbol:         _ZN12_GLOBAL__N_120geam_min_plus_kernelIdddLi4ELi64ELi128ELi128ELi4ELi4ELi64ELi4ELi64ELc84ELc78ELb1ELb0ELb0EdKddEEviiiT16_PT17_ilS4_ilS2_S4_ilPT18_ili26rocblas_geam_ex_operation_.kd
    .uniform_work_group_size: 1
    .uses_dynamic_stack: false
    .vgpr_count:     233
    .vgpr_spill_count: 0
    .wavefront_size: 32
    .workgroup_processor_mode: 1
  - .args:
      - .offset:         0
        .size:           4
        .value_kind:     by_value
      - .offset:         4
        .size:           4
        .value_kind:     by_value
      - .offset:         8
        .size:           4
        .value_kind:     by_value
      - .offset:         16
        .size:           8
        .value_kind:     by_value
      - .address_space:  global
        .offset:         24
        .size:           8
        .value_kind:     global_buffer
      - .offset:         32
        .size:           4
        .value_kind:     by_value
      - .offset:         40
        .size:           8
        .value_kind:     by_value
      - .address_space:  global
        .offset:         48
        .size:           8
        .value_kind:     global_buffer
      - .offset:         56
        .size:           4
        .value_kind:     by_value
      - .offset:         64
        .size:           8
        .value_kind:     by_value
      - .offset:         72
        .size:           8
        .value_kind:     by_value
      - .address_space:  global
        .offset:         80
        .size:           8
        .value_kind:     global_buffer
      - .offset:         88
        .size:           4
        .value_kind:     by_value
      - .offset:         96
        .size:           8
        .value_kind:     by_value
      - .address_space:  global
        .offset:         104
        .size:           8
        .value_kind:     global_buffer
      - .offset:         112
        .size:           4
        .value_kind:     by_value
      - .offset:         120
        .size:           8
        .value_kind:     by_value
      - .offset:         128
        .size:           4
        .value_kind:     by_value
      - .offset:         132
        .size:           4
        .value_kind:     by_value
    .group_segment_fixed_size: 16384
    .kernarg_segment_align: 8
    .kernarg_segment_size: 136
    .language:       OpenCL C
    .language_version:
      - 2
      - 0
    .max_flat_workgroup_size: 256
    .name:           _ZN12_GLOBAL__N_120geam_min_plus_kernelIdddLi4ELi64ELi128ELi128ELi4ELi4ELi64ELi4ELi64ELc84ELc78ELb0ELb0ELb0EdKddEEviiiT16_PT17_ilS4_ilS2_S4_ilPT18_ili26rocblas_geam_ex_operation_
    .private_segment_fixed_size: 528
    .sgpr_count:     32
    .sgpr_spill_count: 0
    .symbol:         _ZN12_GLOBAL__N_120geam_min_plus_kernelIdddLi4ELi64ELi128ELi128ELi4ELi4ELi64ELi4ELi64ELc84ELc78ELb0ELb0ELb0EdKddEEviiiT16_PT17_ilS4_ilS2_S4_ilPT18_ili26rocblas_geam_ex_operation_.kd
    .uniform_work_group_size: 1
    .uses_dynamic_stack: false
    .vgpr_count:     229
    .vgpr_spill_count: 0
    .wavefront_size: 32
    .workgroup_processor_mode: 1
  - .args:
      - .offset:         0
        .size:           4
        .value_kind:     by_value
      - .offset:         4
        .size:           4
        .value_kind:     by_value
      - .offset:         8
        .size:           4
        .value_kind:     by_value
      - .address_space:  global
        .offset:         16
        .size:           8
        .value_kind:     global_buffer
      - .address_space:  global
        .offset:         24
        .size:           8
        .value_kind:     global_buffer
      - .offset:         32
        .size:           4
        .value_kind:     by_value
      - .offset:         40
        .size:           8
        .value_kind:     by_value
      - .address_space:  global
        .offset:         48
        .size:           8
        .value_kind:     global_buffer
      - .offset:         56
        .size:           4
        .value_kind:     by_value
      - .offset:         64
        .size:           8
        .value_kind:     by_value
      - .address_space:  global
        .offset:         72
        .size:           8
        .value_kind:     global_buffer
      - .address_space:  global
        .offset:         80
        .size:           8
        .value_kind:     global_buffer
      - .offset:         88
        .size:           4
        .value_kind:     by_value
      - .offset:         96
        .size:           8
        .value_kind:     by_value
      - .address_space:  global
        .offset:         104
        .size:           8
        .value_kind:     global_buffer
      - .offset:         112
        .size:           4
        .value_kind:     by_value
      - .offset:         120
        .size:           8
        .value_kind:     by_value
      - .offset:         128
        .size:           4
        .value_kind:     by_value
      - .offset:         132
        .size:           4
        .value_kind:     by_value
    .group_segment_fixed_size: 16384
    .kernarg_segment_align: 8
    .kernarg_segment_size: 136
    .language:       OpenCL C
    .language_version:
      - 2
      - 0
    .max_flat_workgroup_size: 256
    .name:           _ZN12_GLOBAL__N_120geam_min_plus_kernelIdddLi4ELi64ELi128ELi128ELi4ELi4ELi64ELi4ELi64ELc84ELc78ELb0ELb1ELb0EPKdS1_dEEviiiT16_PT17_ilS5_ilS3_S5_ilPT18_ili26rocblas_geam_ex_operation_
    .private_segment_fixed_size: 528
    .sgpr_count:     52
    .sgpr_spill_count: 0
    .symbol:         _ZN12_GLOBAL__N_120geam_min_plus_kernelIdddLi4ELi64ELi128ELi128ELi4ELi4ELi64ELi4ELi64ELc84ELc78ELb0ELb1ELb0EPKdS1_dEEviiiT16_PT17_ilS5_ilS3_S5_ilPT18_ili26rocblas_geam_ex_operation_.kd
    .uniform_work_group_size: 1
    .uses_dynamic_stack: false
    .vgpr_count:     115
    .vgpr_spill_count: 0
    .wavefront_size: 32
    .workgroup_processor_mode: 1
  - .args:
      - .offset:         0
        .size:           4
        .value_kind:     by_value
      - .offset:         4
        .size:           4
        .value_kind:     by_value
      - .offset:         8
        .size:           4
        .value_kind:     by_value
      - .offset:         16
        .size:           8
        .value_kind:     by_value
      - .address_space:  global
        .offset:         24
        .size:           8
        .value_kind:     global_buffer
      - .offset:         32
        .size:           4
        .value_kind:     by_value
      - .offset:         40
        .size:           8
        .value_kind:     by_value
      - .address_space:  global
        .offset:         48
        .size:           8
        .value_kind:     global_buffer
      - .offset:         56
        .size:           4
        .value_kind:     by_value
      - .offset:         64
        .size:           8
        .value_kind:     by_value
      - .offset:         72
        .size:           8
        .value_kind:     by_value
      - .address_space:  global
        .offset:         80
        .size:           8
        .value_kind:     global_buffer
      - .offset:         88
        .size:           4
        .value_kind:     by_value
      - .offset:         96
        .size:           8
        .value_kind:     by_value
      - .address_space:  global
        .offset:         104
        .size:           8
        .value_kind:     global_buffer
      - .offset:         112
        .size:           4
        .value_kind:     by_value
      - .offset:         120
        .size:           8
        .value_kind:     by_value
      - .offset:         128
        .size:           4
        .value_kind:     by_value
      - .offset:         132
        .size:           4
        .value_kind:     by_value
    .group_segment_fixed_size: 16384
    .kernarg_segment_align: 8
    .kernarg_segment_size: 136
    .language:       OpenCL C
    .language_version:
      - 2
      - 0
    .max_flat_workgroup_size: 256
    .name:           _ZN12_GLOBAL__N_120geam_min_plus_kernelIdddLi4ELi64ELi128ELi128ELi4ELi4ELi64ELi4ELi64ELc84ELc78ELb1ELb1ELb0EdKddEEviiiT16_PT17_ilS4_ilS2_S4_ilPT18_ili26rocblas_geam_ex_operation_
    .private_segment_fixed_size: 528
    .sgpr_count:     52
    .sgpr_spill_count: 0
    .symbol:         _ZN12_GLOBAL__N_120geam_min_plus_kernelIdddLi4ELi64ELi128ELi128ELi4ELi4ELi64ELi4ELi64ELc84ELc78ELb1ELb1ELb0EdKddEEviiiT16_PT17_ilS4_ilS2_S4_ilPT18_ili26rocblas_geam_ex_operation_.kd
    .uniform_work_group_size: 1
    .uses_dynamic_stack: false
    .vgpr_count:     120
    .vgpr_spill_count: 0
    .wavefront_size: 32
    .workgroup_processor_mode: 1
  - .args:
      - .offset:         0
        .size:           4
        .value_kind:     by_value
      - .offset:         4
        .size:           4
        .value_kind:     by_value
      - .offset:         8
        .size:           4
        .value_kind:     by_value
      - .offset:         16
        .size:           8
        .value_kind:     by_value
      - .address_space:  global
        .offset:         24
        .size:           8
        .value_kind:     global_buffer
      - .offset:         32
        .size:           4
        .value_kind:     by_value
      - .offset:         40
        .size:           8
        .value_kind:     by_value
      - .address_space:  global
        .offset:         48
        .size:           8
        .value_kind:     global_buffer
      - .offset:         56
        .size:           4
        .value_kind:     by_value
      - .offset:         64
        .size:           8
        .value_kind:     by_value
      - .offset:         72
        .size:           8
        .value_kind:     by_value
      - .address_space:  global
        .offset:         80
        .size:           8
        .value_kind:     global_buffer
      - .offset:         88
        .size:           4
        .value_kind:     by_value
      - .offset:         96
        .size:           8
        .value_kind:     by_value
      - .address_space:  global
        .offset:         104
        .size:           8
        .value_kind:     global_buffer
      - .offset:         112
        .size:           4
        .value_kind:     by_value
      - .offset:         120
        .size:           8
        .value_kind:     by_value
      - .offset:         128
        .size:           4
        .value_kind:     by_value
      - .offset:         132
        .size:           4
        .value_kind:     by_value
    .group_segment_fixed_size: 16384
    .kernarg_segment_align: 8
    .kernarg_segment_size: 136
    .language:       OpenCL C
    .language_version:
      - 2
      - 0
    .max_flat_workgroup_size: 256
    .name:           _ZN12_GLOBAL__N_120geam_min_plus_kernelIdddLi4ELi64ELi128ELi128ELi4ELi4ELi64ELi4ELi64ELc84ELc78ELb0ELb1ELb0EdKddEEviiiT16_PT17_ilS4_ilS2_S4_ilPT18_ili26rocblas_geam_ex_operation_
    .private_segment_fixed_size: 528
    .sgpr_count:     52
    .sgpr_spill_count: 0
    .symbol:         _ZN12_GLOBAL__N_120geam_min_plus_kernelIdddLi4ELi64ELi128ELi128ELi4ELi4ELi64ELi4ELi64ELc84ELc78ELb0ELb1ELb0EdKddEEviiiT16_PT17_ilS4_ilS2_S4_ilPT18_ili26rocblas_geam_ex_operation_.kd
    .uniform_work_group_size: 1
    .uses_dynamic_stack: false
    .vgpr_count:     115
    .vgpr_spill_count: 0
    .wavefront_size: 32
    .workgroup_processor_mode: 1
  - .args:
      - .offset:         0
        .size:           4
        .value_kind:     by_value
      - .offset:         4
        .size:           4
        .value_kind:     by_value
      - .offset:         8
        .size:           4
        .value_kind:     by_value
      - .address_space:  global
        .offset:         16
        .size:           8
        .value_kind:     global_buffer
      - .address_space:  global
        .offset:         24
        .size:           8
        .value_kind:     global_buffer
      - .offset:         32
        .size:           4
        .value_kind:     by_value
      - .offset:         40
        .size:           8
        .value_kind:     by_value
      - .address_space:  global
        .offset:         48
        .size:           8
        .value_kind:     global_buffer
      - .offset:         56
        .size:           4
        .value_kind:     by_value
      - .offset:         64
        .size:           8
        .value_kind:     by_value
      - .address_space:  global
        .offset:         72
        .size:           8
        .value_kind:     global_buffer
      - .address_space:  global
        .offset:         80
        .size:           8
        .value_kind:     global_buffer
      - .offset:         88
        .size:           4
        .value_kind:     by_value
      - .offset:         96
        .size:           8
        .value_kind:     by_value
      - .address_space:  global
        .offset:         104
        .size:           8
        .value_kind:     global_buffer
      - .offset:         112
        .size:           4
        .value_kind:     by_value
      - .offset:         120
        .size:           8
        .value_kind:     by_value
      - .offset:         128
        .size:           4
        .value_kind:     by_value
      - .offset:         132
        .size:           4
        .value_kind:     by_value
    .group_segment_fixed_size: 16384
    .kernarg_segment_align: 8
    .kernarg_segment_size: 136
    .language:       OpenCL C
    .language_version:
      - 2
      - 0
    .max_flat_workgroup_size: 256
    .name:           _ZN12_GLOBAL__N_120geam_min_plus_kernelIdddLi4ELi64ELi128ELi128ELi4ELi64ELi4ELi64ELi4ELc78ELc84ELb0ELb0ELb0EPKdS1_dEEviiiT16_PT17_ilS5_ilS3_S5_ilPT18_ili26rocblas_geam_ex_operation_
    .private_segment_fixed_size: 528
    .sgpr_count:     33
    .sgpr_spill_count: 0
    .symbol:         _ZN12_GLOBAL__N_120geam_min_plus_kernelIdddLi4ELi64ELi128ELi128ELi4ELi64ELi4ELi64ELi4ELc78ELc84ELb0ELb0ELb0EPKdS1_dEEviiiT16_PT17_ilS5_ilS3_S5_ilPT18_ili26rocblas_geam_ex_operation_.kd
    .uniform_work_group_size: 1
    .uses_dynamic_stack: false
    .vgpr_count:     223
    .vgpr_spill_count: 0
    .wavefront_size: 32
    .workgroup_processor_mode: 1
  - .args:
      - .offset:         0
        .size:           4
        .value_kind:     by_value
      - .offset:         4
        .size:           4
        .value_kind:     by_value
      - .offset:         8
        .size:           4
        .value_kind:     by_value
      - .offset:         16
        .size:           8
        .value_kind:     by_value
      - .address_space:  global
        .offset:         24
        .size:           8
        .value_kind:     global_buffer
      - .offset:         32
        .size:           4
        .value_kind:     by_value
      - .offset:         40
        .size:           8
        .value_kind:     by_value
      - .address_space:  global
        .offset:         48
        .size:           8
        .value_kind:     global_buffer
      - .offset:         56
        .size:           4
        .value_kind:     by_value
      - .offset:         64
        .size:           8
        .value_kind:     by_value
      - .offset:         72
        .size:           8
        .value_kind:     by_value
      - .address_space:  global
        .offset:         80
        .size:           8
        .value_kind:     global_buffer
      - .offset:         88
        .size:           4
        .value_kind:     by_value
      - .offset:         96
        .size:           8
        .value_kind:     by_value
      - .address_space:  global
        .offset:         104
        .size:           8
        .value_kind:     global_buffer
      - .offset:         112
        .size:           4
        .value_kind:     by_value
      - .offset:         120
        .size:           8
        .value_kind:     by_value
      - .offset:         128
        .size:           4
        .value_kind:     by_value
      - .offset:         132
        .size:           4
        .value_kind:     by_value
    .group_segment_fixed_size: 16384
    .kernarg_segment_align: 8
    .kernarg_segment_size: 136
    .language:       OpenCL C
    .language_version:
      - 2
      - 0
    .max_flat_workgroup_size: 256
    .name:           _ZN12_GLOBAL__N_120geam_min_plus_kernelIdddLi4ELi64ELi128ELi128ELi4ELi64ELi4ELi64ELi4ELc78ELc84ELb1ELb0ELb0EdKddEEviiiT16_PT17_ilS4_ilS2_S4_ilPT18_ili26rocblas_geam_ex_operation_
    .private_segment_fixed_size: 528
    .sgpr_count:     30
    .sgpr_spill_count: 0
    .symbol:         _ZN12_GLOBAL__N_120geam_min_plus_kernelIdddLi4ELi64ELi128ELi128ELi4ELi64ELi4ELi64ELi4ELc78ELc84ELb1ELb0ELb0EdKddEEviiiT16_PT17_ilS4_ilS2_S4_ilPT18_ili26rocblas_geam_ex_operation_.kd
    .uniform_work_group_size: 1
    .uses_dynamic_stack: false
    .vgpr_count:     223
    .vgpr_spill_count: 0
    .wavefront_size: 32
    .workgroup_processor_mode: 1
  - .args:
      - .offset:         0
        .size:           4
        .value_kind:     by_value
      - .offset:         4
        .size:           4
        .value_kind:     by_value
      - .offset:         8
        .size:           4
        .value_kind:     by_value
      - .offset:         16
        .size:           8
        .value_kind:     by_value
      - .address_space:  global
        .offset:         24
        .size:           8
        .value_kind:     global_buffer
      - .offset:         32
        .size:           4
        .value_kind:     by_value
      - .offset:         40
        .size:           8
        .value_kind:     by_value
      - .address_space:  global
        .offset:         48
        .size:           8
        .value_kind:     global_buffer
      - .offset:         56
        .size:           4
        .value_kind:     by_value
      - .offset:         64
        .size:           8
        .value_kind:     by_value
      - .offset:         72
        .size:           8
        .value_kind:     by_value
      - .address_space:  global
        .offset:         80
        .size:           8
        .value_kind:     global_buffer
      - .offset:         88
        .size:           4
        .value_kind:     by_value
      - .offset:         96
        .size:           8
        .value_kind:     by_value
      - .address_space:  global
        .offset:         104
        .size:           8
        .value_kind:     global_buffer
      - .offset:         112
        .size:           4
        .value_kind:     by_value
      - .offset:         120
        .size:           8
        .value_kind:     by_value
      - .offset:         128
        .size:           4
        .value_kind:     by_value
      - .offset:         132
        .size:           4
        .value_kind:     by_value
    .group_segment_fixed_size: 16384
    .kernarg_segment_align: 8
    .kernarg_segment_size: 136
    .language:       OpenCL C
    .language_version:
      - 2
      - 0
    .max_flat_workgroup_size: 256
    .name:           _ZN12_GLOBAL__N_120geam_min_plus_kernelIdddLi4ELi64ELi128ELi128ELi4ELi64ELi4ELi64ELi4ELc78ELc84ELb0ELb0ELb0EdKddEEviiiT16_PT17_ilS4_ilS2_S4_ilPT18_ili26rocblas_geam_ex_operation_
    .private_segment_fixed_size: 528
    .sgpr_count:     33
    .sgpr_spill_count: 0
    .symbol:         _ZN12_GLOBAL__N_120geam_min_plus_kernelIdddLi4ELi64ELi128ELi128ELi4ELi64ELi4ELi64ELi4ELc78ELc84ELb0ELb0ELb0EdKddEEviiiT16_PT17_ilS4_ilS2_S4_ilPT18_ili26rocblas_geam_ex_operation_.kd
    .uniform_work_group_size: 1
    .uses_dynamic_stack: false
    .vgpr_count:     223
    .vgpr_spill_count: 0
    .wavefront_size: 32
    .workgroup_processor_mode: 1
  - .args:
      - .offset:         0
        .size:           4
        .value_kind:     by_value
      - .offset:         4
        .size:           4
        .value_kind:     by_value
      - .offset:         8
        .size:           4
        .value_kind:     by_value
      - .address_space:  global
        .offset:         16
        .size:           8
        .value_kind:     global_buffer
      - .address_space:  global
        .offset:         24
        .size:           8
        .value_kind:     global_buffer
      - .offset:         32
        .size:           4
        .value_kind:     by_value
      - .offset:         40
        .size:           8
        .value_kind:     by_value
      - .address_space:  global
        .offset:         48
        .size:           8
        .value_kind:     global_buffer
      - .offset:         56
        .size:           4
        .value_kind:     by_value
      - .offset:         64
        .size:           8
        .value_kind:     by_value
      - .address_space:  global
        .offset:         72
        .size:           8
        .value_kind:     global_buffer
      - .address_space:  global
        .offset:         80
        .size:           8
        .value_kind:     global_buffer
      - .offset:         88
        .size:           4
        .value_kind:     by_value
      - .offset:         96
        .size:           8
        .value_kind:     by_value
      - .address_space:  global
        .offset:         104
        .size:           8
        .value_kind:     global_buffer
      - .offset:         112
        .size:           4
        .value_kind:     by_value
      - .offset:         120
        .size:           8
        .value_kind:     by_value
      - .offset:         128
        .size:           4
        .value_kind:     by_value
      - .offset:         132
        .size:           4
        .value_kind:     by_value
    .group_segment_fixed_size: 16384
    .kernarg_segment_align: 8
    .kernarg_segment_size: 136
    .language:       OpenCL C
    .language_version:
      - 2
      - 0
    .max_flat_workgroup_size: 256
    .name:           _ZN12_GLOBAL__N_120geam_min_plus_kernelIdddLi4ELi64ELi128ELi128ELi4ELi64ELi4ELi64ELi4ELc78ELc84ELb0ELb1ELb0EPKdS1_dEEviiiT16_PT17_ilS5_ilS3_S5_ilPT18_ili26rocblas_geam_ex_operation_
    .private_segment_fixed_size: 528
    .sgpr_count:     52
    .sgpr_spill_count: 0
    .symbol:         _ZN12_GLOBAL__N_120geam_min_plus_kernelIdddLi4ELi64ELi128ELi128ELi4ELi64ELi4ELi64ELi4ELc78ELc84ELb0ELb1ELb0EPKdS1_dEEviiiT16_PT17_ilS5_ilS3_S5_ilPT18_ili26rocblas_geam_ex_operation_.kd
    .uniform_work_group_size: 1
    .uses_dynamic_stack: false
    .vgpr_count:     110
    .vgpr_spill_count: 0
    .wavefront_size: 32
    .workgroup_processor_mode: 1
  - .args:
      - .offset:         0
        .size:           4
        .value_kind:     by_value
      - .offset:         4
        .size:           4
        .value_kind:     by_value
      - .offset:         8
        .size:           4
        .value_kind:     by_value
      - .offset:         16
        .size:           8
        .value_kind:     by_value
      - .address_space:  global
        .offset:         24
        .size:           8
        .value_kind:     global_buffer
      - .offset:         32
        .size:           4
        .value_kind:     by_value
      - .offset:         40
        .size:           8
        .value_kind:     by_value
      - .address_space:  global
        .offset:         48
        .size:           8
        .value_kind:     global_buffer
      - .offset:         56
        .size:           4
        .value_kind:     by_value
      - .offset:         64
        .size:           8
        .value_kind:     by_value
      - .offset:         72
        .size:           8
        .value_kind:     by_value
      - .address_space:  global
        .offset:         80
        .size:           8
        .value_kind:     global_buffer
      - .offset:         88
        .size:           4
        .value_kind:     by_value
      - .offset:         96
        .size:           8
        .value_kind:     by_value
      - .address_space:  global
        .offset:         104
        .size:           8
        .value_kind:     global_buffer
      - .offset:         112
        .size:           4
        .value_kind:     by_value
      - .offset:         120
        .size:           8
        .value_kind:     by_value
      - .offset:         128
        .size:           4
        .value_kind:     by_value
      - .offset:         132
        .size:           4
        .value_kind:     by_value
    .group_segment_fixed_size: 16384
    .kernarg_segment_align: 8
    .kernarg_segment_size: 136
    .language:       OpenCL C
    .language_version:
      - 2
      - 0
    .max_flat_workgroup_size: 256
    .name:           _ZN12_GLOBAL__N_120geam_min_plus_kernelIdddLi4ELi64ELi128ELi128ELi4ELi64ELi4ELi64ELi4ELc78ELc84ELb1ELb1ELb0EdKddEEviiiT16_PT17_ilS4_ilS2_S4_ilPT18_ili26rocblas_geam_ex_operation_
    .private_segment_fixed_size: 528
    .sgpr_count:     52
    .sgpr_spill_count: 0
    .symbol:         _ZN12_GLOBAL__N_120geam_min_plus_kernelIdddLi4ELi64ELi128ELi128ELi4ELi64ELi4ELi64ELi4ELc78ELc84ELb1ELb1ELb0EdKddEEviiiT16_PT17_ilS4_ilS2_S4_ilPT18_ili26rocblas_geam_ex_operation_.kd
    .uniform_work_group_size: 1
    .uses_dynamic_stack: false
    .vgpr_count:     110
    .vgpr_spill_count: 0
    .wavefront_size: 32
    .workgroup_processor_mode: 1
  - .args:
      - .offset:         0
        .size:           4
        .value_kind:     by_value
      - .offset:         4
        .size:           4
        .value_kind:     by_value
      - .offset:         8
        .size:           4
        .value_kind:     by_value
      - .offset:         16
        .size:           8
        .value_kind:     by_value
      - .address_space:  global
        .offset:         24
        .size:           8
        .value_kind:     global_buffer
      - .offset:         32
        .size:           4
        .value_kind:     by_value
      - .offset:         40
        .size:           8
        .value_kind:     by_value
      - .address_space:  global
        .offset:         48
        .size:           8
        .value_kind:     global_buffer
      - .offset:         56
        .size:           4
        .value_kind:     by_value
      - .offset:         64
        .size:           8
        .value_kind:     by_value
      - .offset:         72
        .size:           8
        .value_kind:     by_value
      - .address_space:  global
        .offset:         80
        .size:           8
        .value_kind:     global_buffer
      - .offset:         88
        .size:           4
        .value_kind:     by_value
      - .offset:         96
        .size:           8
        .value_kind:     by_value
      - .address_space:  global
        .offset:         104
        .size:           8
        .value_kind:     global_buffer
      - .offset:         112
        .size:           4
        .value_kind:     by_value
      - .offset:         120
        .size:           8
        .value_kind:     by_value
      - .offset:         128
        .size:           4
        .value_kind:     by_value
      - .offset:         132
        .size:           4
        .value_kind:     by_value
    .group_segment_fixed_size: 16384
    .kernarg_segment_align: 8
    .kernarg_segment_size: 136
    .language:       OpenCL C
    .language_version:
      - 2
      - 0
    .max_flat_workgroup_size: 256
    .name:           _ZN12_GLOBAL__N_120geam_min_plus_kernelIdddLi4ELi64ELi128ELi128ELi4ELi64ELi4ELi64ELi4ELc78ELc84ELb0ELb1ELb0EdKddEEviiiT16_PT17_ilS4_ilS2_S4_ilPT18_ili26rocblas_geam_ex_operation_
    .private_segment_fixed_size: 528
    .sgpr_count:     52
    .sgpr_spill_count: 0
    .symbol:         _ZN12_GLOBAL__N_120geam_min_plus_kernelIdddLi4ELi64ELi128ELi128ELi4ELi64ELi4ELi64ELi4ELc78ELc84ELb0ELb1ELb0EdKddEEviiiT16_PT17_ilS4_ilS2_S4_ilPT18_ili26rocblas_geam_ex_operation_.kd
    .uniform_work_group_size: 1
    .uses_dynamic_stack: false
    .vgpr_count:     110
    .vgpr_spill_count: 0
    .wavefront_size: 32
    .workgroup_processor_mode: 1
  - .args:
      - .offset:         0
        .size:           4
        .value_kind:     by_value
      - .offset:         4
        .size:           4
        .value_kind:     by_value
      - .offset:         8
        .size:           4
        .value_kind:     by_value
      - .address_space:  global
        .offset:         16
        .size:           8
        .value_kind:     global_buffer
      - .address_space:  global
        .offset:         24
        .size:           8
        .value_kind:     global_buffer
      - .offset:         32
        .size:           4
        .value_kind:     by_value
      - .offset:         40
        .size:           8
        .value_kind:     by_value
      - .address_space:  global
        .offset:         48
        .size:           8
        .value_kind:     global_buffer
      - .offset:         56
        .size:           4
        .value_kind:     by_value
      - .offset:         64
        .size:           8
        .value_kind:     by_value
      - .address_space:  global
        .offset:         72
        .size:           8
        .value_kind:     global_buffer
      - .address_space:  global
        .offset:         80
        .size:           8
        .value_kind:     global_buffer
      - .offset:         88
        .size:           4
        .value_kind:     by_value
      - .offset:         96
        .size:           8
        .value_kind:     by_value
      - .address_space:  global
        .offset:         104
        .size:           8
        .value_kind:     global_buffer
      - .offset:         112
        .size:           4
        .value_kind:     by_value
      - .offset:         120
        .size:           8
        .value_kind:     by_value
      - .offset:         128
        .size:           4
        .value_kind:     by_value
      - .offset:         132
        .size:           4
        .value_kind:     by_value
    .group_segment_fixed_size: 16384
    .kernarg_segment_align: 8
    .kernarg_segment_size: 136
    .language:       OpenCL C
    .language_version:
      - 2
      - 0
    .max_flat_workgroup_size: 256
    .name:           _ZN12_GLOBAL__N_120geam_min_plus_kernelIdddLi4ELi64ELi128ELi128ELi4ELi4ELi64ELi64ELi4ELc84ELc84ELb0ELb0ELb0EPKdS1_dEEviiiT16_PT17_ilS5_ilS3_S5_ilPT18_ili26rocblas_geam_ex_operation_
    .private_segment_fixed_size: 528
    .sgpr_count:     32
    .sgpr_spill_count: 0
    .symbol:         _ZN12_GLOBAL__N_120geam_min_plus_kernelIdddLi4ELi64ELi128ELi128ELi4ELi4ELi64ELi64ELi4ELc84ELc84ELb0ELb0ELb0EPKdS1_dEEviiiT16_PT17_ilS5_ilS3_S5_ilPT18_ili26rocblas_geam_ex_operation_.kd
    .uniform_work_group_size: 1
    .uses_dynamic_stack: false
    .vgpr_count:     227
    .vgpr_spill_count: 0
    .wavefront_size: 32
    .workgroup_processor_mode: 1
  - .args:
      - .offset:         0
        .size:           4
        .value_kind:     by_value
      - .offset:         4
        .size:           4
        .value_kind:     by_value
      - .offset:         8
        .size:           4
        .value_kind:     by_value
      - .offset:         16
        .size:           8
        .value_kind:     by_value
      - .address_space:  global
        .offset:         24
        .size:           8
        .value_kind:     global_buffer
      - .offset:         32
        .size:           4
        .value_kind:     by_value
      - .offset:         40
        .size:           8
        .value_kind:     by_value
      - .address_space:  global
        .offset:         48
        .size:           8
        .value_kind:     global_buffer
      - .offset:         56
        .size:           4
        .value_kind:     by_value
      - .offset:         64
        .size:           8
        .value_kind:     by_value
      - .offset:         72
        .size:           8
        .value_kind:     by_value
      - .address_space:  global
        .offset:         80
        .size:           8
        .value_kind:     global_buffer
      - .offset:         88
        .size:           4
        .value_kind:     by_value
      - .offset:         96
        .size:           8
        .value_kind:     by_value
      - .address_space:  global
        .offset:         104
        .size:           8
        .value_kind:     global_buffer
      - .offset:         112
        .size:           4
        .value_kind:     by_value
      - .offset:         120
        .size:           8
        .value_kind:     by_value
      - .offset:         128
        .size:           4
        .value_kind:     by_value
      - .offset:         132
        .size:           4
        .value_kind:     by_value
    .group_segment_fixed_size: 16384
    .kernarg_segment_align: 8
    .kernarg_segment_size: 136
    .language:       OpenCL C
    .language_version:
      - 2
      - 0
    .max_flat_workgroup_size: 256
    .name:           _ZN12_GLOBAL__N_120geam_min_plus_kernelIdddLi4ELi64ELi128ELi128ELi4ELi4ELi64ELi64ELi4ELc84ELc84ELb1ELb0ELb0EdKddEEviiiT16_PT17_ilS4_ilS2_S4_ilPT18_ili26rocblas_geam_ex_operation_
    .private_segment_fixed_size: 528
    .sgpr_count:     29
    .sgpr_spill_count: 0
    .symbol:         _ZN12_GLOBAL__N_120geam_min_plus_kernelIdddLi4ELi64ELi128ELi128ELi4ELi4ELi64ELi64ELi4ELc84ELc84ELb1ELb0ELb0EdKddEEviiiT16_PT17_ilS4_ilS2_S4_ilPT18_ili26rocblas_geam_ex_operation_.kd
    .uniform_work_group_size: 1
    .uses_dynamic_stack: false
    .vgpr_count:     229
    .vgpr_spill_count: 0
    .wavefront_size: 32
    .workgroup_processor_mode: 1
  - .args:
      - .offset:         0
        .size:           4
        .value_kind:     by_value
      - .offset:         4
        .size:           4
        .value_kind:     by_value
      - .offset:         8
        .size:           4
        .value_kind:     by_value
      - .offset:         16
        .size:           8
        .value_kind:     by_value
      - .address_space:  global
        .offset:         24
        .size:           8
        .value_kind:     global_buffer
      - .offset:         32
        .size:           4
        .value_kind:     by_value
      - .offset:         40
        .size:           8
        .value_kind:     by_value
      - .address_space:  global
        .offset:         48
        .size:           8
        .value_kind:     global_buffer
      - .offset:         56
        .size:           4
        .value_kind:     by_value
      - .offset:         64
        .size:           8
        .value_kind:     by_value
      - .offset:         72
        .size:           8
        .value_kind:     by_value
      - .address_space:  global
        .offset:         80
        .size:           8
        .value_kind:     global_buffer
      - .offset:         88
        .size:           4
        .value_kind:     by_value
      - .offset:         96
        .size:           8
        .value_kind:     by_value
      - .address_space:  global
        .offset:         104
        .size:           8
        .value_kind:     global_buffer
      - .offset:         112
        .size:           4
        .value_kind:     by_value
      - .offset:         120
        .size:           8
        .value_kind:     by_value
      - .offset:         128
        .size:           4
        .value_kind:     by_value
      - .offset:         132
        .size:           4
        .value_kind:     by_value
    .group_segment_fixed_size: 16384
    .kernarg_segment_align: 8
    .kernarg_segment_size: 136
    .language:       OpenCL C
    .language_version:
      - 2
      - 0
    .max_flat_workgroup_size: 256
    .name:           _ZN12_GLOBAL__N_120geam_min_plus_kernelIdddLi4ELi64ELi128ELi128ELi4ELi4ELi64ELi64ELi4ELc84ELc84ELb0ELb0ELb0EdKddEEviiiT16_PT17_ilS4_ilS2_S4_ilPT18_ili26rocblas_geam_ex_operation_
    .private_segment_fixed_size: 528
    .sgpr_count:     32
    .sgpr_spill_count: 0
    .symbol:         _ZN12_GLOBAL__N_120geam_min_plus_kernelIdddLi4ELi64ELi128ELi128ELi4ELi4ELi64ELi64ELi4ELc84ELc84ELb0ELb0ELb0EdKddEEviiiT16_PT17_ilS4_ilS2_S4_ilPT18_ili26rocblas_geam_ex_operation_.kd
    .uniform_work_group_size: 1
    .uses_dynamic_stack: false
    .vgpr_count:     227
    .vgpr_spill_count: 0
    .wavefront_size: 32
    .workgroup_processor_mode: 1
  - .args:
      - .offset:         0
        .size:           4
        .value_kind:     by_value
      - .offset:         4
        .size:           4
        .value_kind:     by_value
      - .offset:         8
        .size:           4
        .value_kind:     by_value
      - .address_space:  global
        .offset:         16
        .size:           8
        .value_kind:     global_buffer
      - .address_space:  global
        .offset:         24
        .size:           8
        .value_kind:     global_buffer
      - .offset:         32
        .size:           4
        .value_kind:     by_value
      - .offset:         40
        .size:           8
        .value_kind:     by_value
      - .address_space:  global
        .offset:         48
        .size:           8
        .value_kind:     global_buffer
      - .offset:         56
        .size:           4
        .value_kind:     by_value
      - .offset:         64
        .size:           8
        .value_kind:     by_value
      - .address_space:  global
        .offset:         72
        .size:           8
        .value_kind:     global_buffer
      - .address_space:  global
        .offset:         80
        .size:           8
        .value_kind:     global_buffer
      - .offset:         88
        .size:           4
        .value_kind:     by_value
      - .offset:         96
        .size:           8
        .value_kind:     by_value
      - .address_space:  global
        .offset:         104
        .size:           8
        .value_kind:     global_buffer
      - .offset:         112
        .size:           4
        .value_kind:     by_value
      - .offset:         120
        .size:           8
        .value_kind:     by_value
      - .offset:         128
        .size:           4
        .value_kind:     by_value
      - .offset:         132
        .size:           4
        .value_kind:     by_value
    .group_segment_fixed_size: 16384
    .kernarg_segment_align: 8
    .kernarg_segment_size: 136
    .language:       OpenCL C
    .language_version:
      - 2
      - 0
    .max_flat_workgroup_size: 256
    .name:           _ZN12_GLOBAL__N_120geam_min_plus_kernelIdddLi4ELi64ELi128ELi128ELi4ELi4ELi64ELi64ELi4ELc84ELc84ELb0ELb1ELb0EPKdS1_dEEviiiT16_PT17_ilS5_ilS3_S5_ilPT18_ili26rocblas_geam_ex_operation_
    .private_segment_fixed_size: 528
    .sgpr_count:     52
    .sgpr_spill_count: 0
    .symbol:         _ZN12_GLOBAL__N_120geam_min_plus_kernelIdddLi4ELi64ELi128ELi128ELi4ELi4ELi64ELi64ELi4ELc84ELc84ELb0ELb1ELb0EPKdS1_dEEviiiT16_PT17_ilS5_ilS3_S5_ilPT18_ili26rocblas_geam_ex_operation_.kd
    .uniform_work_group_size: 1
    .uses_dynamic_stack: false
    .vgpr_count:     114
    .vgpr_spill_count: 0
    .wavefront_size: 32
    .workgroup_processor_mode: 1
  - .args:
      - .offset:         0
        .size:           4
        .value_kind:     by_value
      - .offset:         4
        .size:           4
        .value_kind:     by_value
      - .offset:         8
        .size:           4
        .value_kind:     by_value
      - .offset:         16
        .size:           8
        .value_kind:     by_value
      - .address_space:  global
        .offset:         24
        .size:           8
        .value_kind:     global_buffer
      - .offset:         32
        .size:           4
        .value_kind:     by_value
      - .offset:         40
        .size:           8
        .value_kind:     by_value
      - .address_space:  global
        .offset:         48
        .size:           8
        .value_kind:     global_buffer
      - .offset:         56
        .size:           4
        .value_kind:     by_value
      - .offset:         64
        .size:           8
        .value_kind:     by_value
      - .offset:         72
        .size:           8
        .value_kind:     by_value
      - .address_space:  global
        .offset:         80
        .size:           8
        .value_kind:     global_buffer
      - .offset:         88
        .size:           4
        .value_kind:     by_value
      - .offset:         96
        .size:           8
        .value_kind:     by_value
      - .address_space:  global
        .offset:         104
        .size:           8
        .value_kind:     global_buffer
      - .offset:         112
        .size:           4
        .value_kind:     by_value
      - .offset:         120
        .size:           8
        .value_kind:     by_value
      - .offset:         128
        .size:           4
        .value_kind:     by_value
      - .offset:         132
        .size:           4
        .value_kind:     by_value
    .group_segment_fixed_size: 16384
    .kernarg_segment_align: 8
    .kernarg_segment_size: 136
    .language:       OpenCL C
    .language_version:
      - 2
      - 0
    .max_flat_workgroup_size: 256
    .name:           _ZN12_GLOBAL__N_120geam_min_plus_kernelIdddLi4ELi64ELi128ELi128ELi4ELi4ELi64ELi64ELi4ELc84ELc84ELb1ELb1ELb0EdKddEEviiiT16_PT17_ilS4_ilS2_S4_ilPT18_ili26rocblas_geam_ex_operation_
    .private_segment_fixed_size: 528
    .sgpr_count:     52
    .sgpr_spill_count: 0
    .symbol:         _ZN12_GLOBAL__N_120geam_min_plus_kernelIdddLi4ELi64ELi128ELi128ELi4ELi4ELi64ELi64ELi4ELc84ELc84ELb1ELb1ELb0EdKddEEviiiT16_PT17_ilS4_ilS2_S4_ilPT18_ili26rocblas_geam_ex_operation_.kd
    .uniform_work_group_size: 1
    .uses_dynamic_stack: false
    .vgpr_count:     117
    .vgpr_spill_count: 0
    .wavefront_size: 32
    .workgroup_processor_mode: 1
  - .args:
      - .offset:         0
        .size:           4
        .value_kind:     by_value
      - .offset:         4
        .size:           4
        .value_kind:     by_value
      - .offset:         8
        .size:           4
        .value_kind:     by_value
      - .offset:         16
        .size:           8
        .value_kind:     by_value
      - .address_space:  global
        .offset:         24
        .size:           8
        .value_kind:     global_buffer
      - .offset:         32
        .size:           4
        .value_kind:     by_value
      - .offset:         40
        .size:           8
        .value_kind:     by_value
      - .address_space:  global
        .offset:         48
        .size:           8
        .value_kind:     global_buffer
      - .offset:         56
        .size:           4
        .value_kind:     by_value
      - .offset:         64
        .size:           8
        .value_kind:     by_value
      - .offset:         72
        .size:           8
        .value_kind:     by_value
      - .address_space:  global
        .offset:         80
        .size:           8
        .value_kind:     global_buffer
      - .offset:         88
        .size:           4
        .value_kind:     by_value
      - .offset:         96
        .size:           8
        .value_kind:     by_value
      - .address_space:  global
        .offset:         104
        .size:           8
        .value_kind:     global_buffer
      - .offset:         112
        .size:           4
        .value_kind:     by_value
      - .offset:         120
        .size:           8
        .value_kind:     by_value
      - .offset:         128
        .size:           4
        .value_kind:     by_value
      - .offset:         132
        .size:           4
        .value_kind:     by_value
    .group_segment_fixed_size: 16384
    .kernarg_segment_align: 8
    .kernarg_segment_size: 136
    .language:       OpenCL C
    .language_version:
      - 2
      - 0
    .max_flat_workgroup_size: 256
    .name:           _ZN12_GLOBAL__N_120geam_min_plus_kernelIdddLi4ELi64ELi128ELi128ELi4ELi4ELi64ELi64ELi4ELc84ELc84ELb0ELb1ELb0EdKddEEviiiT16_PT17_ilS4_ilS2_S4_ilPT18_ili26rocblas_geam_ex_operation_
    .private_segment_fixed_size: 528
    .sgpr_count:     52
    .sgpr_spill_count: 0
    .symbol:         _ZN12_GLOBAL__N_120geam_min_plus_kernelIdddLi4ELi64ELi128ELi128ELi4ELi4ELi64ELi64ELi4ELc84ELc84ELb0ELb1ELb0EdKddEEviiiT16_PT17_ilS4_ilS2_S4_ilPT18_ili26rocblas_geam_ex_operation_.kd
    .uniform_work_group_size: 1
    .uses_dynamic_stack: false
    .vgpr_count:     114
    .vgpr_spill_count: 0
    .wavefront_size: 32
    .workgroup_processor_mode: 1
  - .args:
      - .offset:         0
        .size:           4
        .value_kind:     by_value
      - .offset:         4
        .size:           4
        .value_kind:     by_value
      - .offset:         8
        .size:           2
        .value_kind:     by_value
      - .address_space:  global
        .offset:         16
        .size:           8
        .value_kind:     global_buffer
      - .offset:         24
        .size:           8
        .value_kind:     by_value
      - .offset:         32
        .size:           4
        .value_kind:     by_value
      - .offset:         40
        .size:           8
        .value_kind:     by_value
      - .address_space:  global
        .offset:         48
        .size:           8
        .value_kind:     global_buffer
      - .offset:         56
        .size:           8
        .value_kind:     by_value
      - .offset:         64
        .size:           4
        .value_kind:     by_value
      - .offset:         72
        .size:           8
        .value_kind:     by_value
    .group_segment_fixed_size: 0
    .kernarg_segment_align: 8
    .kernarg_segment_size: 80
    .language:       OpenCL C
    .language_version:
      - 2
      - 0
    .max_flat_workgroup_size: 1024
    .name:           _ZN12_GLOBAL__N_120geam_ex_scale_kernelILi32ELi32EDF16_DF16_PKPKDF16_PKPDF16_EEviiT2_T3_lilT4_lil
    .private_segment_fixed_size: 0
    .sgpr_count:     18
    .sgpr_spill_count: 0
    .symbol:         _ZN12_GLOBAL__N_120geam_ex_scale_kernelILi32ELi32EDF16_DF16_PKPKDF16_PKPDF16_EEviiT2_T3_lilT4_lil.kd
    .uniform_work_group_size: 1
    .uses_dynamic_stack: false
    .vgpr_count:     8
    .vgpr_spill_count: 0
    .wavefront_size: 32
    .workgroup_processor_mode: 1
  - .args:
      - .offset:         0
        .size:           4
        .value_kind:     by_value
      - .offset:         4
        .size:           4
        .value_kind:     by_value
      - .address_space:  global
        .offset:         8
        .size:           8
        .value_kind:     global_buffer
      - .address_space:  global
        .offset:         16
        .size:           8
        .value_kind:     global_buffer
      - .offset:         24
        .size:           8
        .value_kind:     by_value
      - .offset:         32
        .size:           4
        .value_kind:     by_value
      - .offset:         40
        .size:           8
        .value_kind:     by_value
      - .address_space:  global
        .offset:         48
        .size:           8
        .value_kind:     global_buffer
      - .offset:         56
        .size:           8
        .value_kind:     by_value
      - .offset:         64
        .size:           4
        .value_kind:     by_value
      - .offset:         72
        .size:           8
        .value_kind:     by_value
    .group_segment_fixed_size: 0
    .kernarg_segment_align: 8
    .kernarg_segment_size: 80
    .language:       OpenCL C
    .language_version:
      - 2
      - 0
    .max_flat_workgroup_size: 1024
    .name:           _ZN12_GLOBAL__N_120geam_ex_scale_kernelILi32ELi32EDF16_PKDF16_PKS2_PKPDF16_EEviiT2_T3_lilT4_lil
    .private_segment_fixed_size: 0
    .sgpr_count:     17
    .sgpr_spill_count: 0
    .symbol:         _ZN12_GLOBAL__N_120geam_ex_scale_kernelILi32ELi32EDF16_PKDF16_PKS2_PKPDF16_EEviiT2_T3_lilT4_lil.kd
    .uniform_work_group_size: 1
    .uses_dynamic_stack: false
    .vgpr_count:     9
    .vgpr_spill_count: 0
    .wavefront_size: 32
    .workgroup_processor_mode: 1
  - .args:
      - .offset:         0
        .size:           4
        .value_kind:     by_value
      - .offset:         4
        .size:           4
        .value_kind:     by_value
      - .offset:         8
        .size:           2
        .value_kind:     by_value
      - .address_space:  global
        .offset:         16
        .size:           8
        .value_kind:     global_buffer
      - .offset:         24
        .size:           8
        .value_kind:     by_value
      - .offset:         32
        .size:           4
        .value_kind:     by_value
      - .offset:         40
        .size:           8
        .value_kind:     by_value
      - .address_space:  global
        .offset:         48
        .size:           8
        .value_kind:     global_buffer
      - .offset:         56
        .size:           8
        .value_kind:     by_value
      - .offset:         64
        .size:           4
        .value_kind:     by_value
      - .offset:         72
        .size:           8
        .value_kind:     by_value
    .group_segment_fixed_size: 0
    .kernarg_segment_align: 8
    .kernarg_segment_size: 80
    .language:       OpenCL C
    .language_version:
      - 2
      - 0
    .max_flat_workgroup_size: 1024
    .name:           _ZN12_GLOBAL__N_120geam_ex_round_kernelILi32ELi32EDF16_DF16_PKPKDF16_PKPDF16_EEviiT2_T3_lilT4_lil
    .private_segment_fixed_size: 0
    .sgpr_count:     18
    .sgpr_spill_count: 0
    .symbol:         _ZN12_GLOBAL__N_120geam_ex_round_kernelILi32ELi32EDF16_DF16_PKPKDF16_PKPDF16_EEviiT2_T3_lilT4_lil.kd
    .uniform_work_group_size: 1
    .uses_dynamic_stack: false
    .vgpr_count:     8
    .vgpr_spill_count: 0
    .wavefront_size: 32
    .workgroup_processor_mode: 1
  - .args:
      - .offset:         0
        .size:           4
        .value_kind:     by_value
      - .offset:         4
        .size:           4
        .value_kind:     by_value
      - .offset:         8
        .size:           4
        .value_kind:     by_value
      - .address_space:  global
        .offset:         16
        .size:           8
        .value_kind:     global_buffer
      - .address_space:  global
        .offset:         24
        .size:           8
        .value_kind:     global_buffer
      - .offset:         32
        .size:           4
        .value_kind:     by_value
      - .offset:         40
        .size:           8
        .value_kind:     by_value
      - .address_space:  global
        .offset:         48
        .size:           8
        .value_kind:     global_buffer
      - .offset:         56
        .size:           4
        .value_kind:     by_value
      - .offset:         64
        .size:           8
        .value_kind:     by_value
      - .address_space:  global
        .offset:         72
        .size:           8
        .value_kind:     global_buffer
      - .address_space:  global
        .offset:         80
        .size:           8
        .value_kind:     global_buffer
      - .offset:         88
        .size:           4
        .value_kind:     by_value
      - .offset:         96
        .size:           8
        .value_kind:     by_value
      - .address_space:  global
        .offset:         104
        .size:           8
        .value_kind:     global_buffer
      - .offset:         112
        .size:           4
        .value_kind:     by_value
      - .offset:         120
        .size:           8
        .value_kind:     by_value
      - .offset:         128
        .size:           4
        .value_kind:     by_value
      - .offset:         132
        .size:           4
        .value_kind:     by_value
    .group_segment_fixed_size: 5120
    .kernarg_segment_align: 8
    .kernarg_segment_size: 136
    .language:       OpenCL C
    .language_version:
      - 2
      - 0
    .max_flat_workgroup_size: 256
    .name:           _ZN12_GLOBAL__N_120geam_min_plus_kernelIDF16_Dv2_DF16_S1_Li32ELi8ELi256ELi64ELi4ELi64ELi4ELi4ELi64ELc78ELc78ELb0ELb0ELb1EPKDF16_KS3_KPDF16_EEviiiT16_PT17_ilS9_ilS7_S9_ilPT18_ili26rocblas_geam_ex_operation_
    .private_segment_fixed_size: 0
    .sgpr_count:     26
    .sgpr_spill_count: 0
    .symbol:         _ZN12_GLOBAL__N_120geam_min_plus_kernelIDF16_Dv2_DF16_S1_Li32ELi8ELi256ELi64ELi4ELi64ELi4ELi4ELi64ELc78ELc78ELb0ELb0ELb1EPKDF16_KS3_KPDF16_EEviiiT16_PT17_ilS9_ilS7_S9_ilPT18_ili26rocblas_geam_ex_operation_.kd
    .uniform_work_group_size: 1
    .uses_dynamic_stack: false
    .vgpr_count:     169
    .vgpr_spill_count: 0
    .wavefront_size: 32
    .workgroup_processor_mode: 1
  - .args:
      - .offset:         0
        .size:           4
        .value_kind:     by_value
      - .offset:         4
        .size:           4
        .value_kind:     by_value
      - .offset:         8
        .size:           4
        .value_kind:     by_value
      - .offset:         12
        .size:           2
        .value_kind:     by_value
      - .address_space:  global
        .offset:         16
        .size:           8
        .value_kind:     global_buffer
      - .offset:         24
        .size:           4
        .value_kind:     by_value
      - .offset:         32
        .size:           8
        .value_kind:     by_value
      - .address_space:  global
        .offset:         40
        .size:           8
        .value_kind:     global_buffer
      - .offset:         48
        .size:           4
        .value_kind:     by_value
      - .offset:         56
        .size:           8
        .value_kind:     by_value
      - .offset:         64
        .size:           2
        .value_kind:     by_value
      - .address_space:  global
        .offset:         72
        .size:           8
        .value_kind:     global_buffer
      - .offset:         80
        .size:           4
        .value_kind:     by_value
      - .offset:         88
        .size:           8
        .value_kind:     by_value
      - .address_space:  global
        .offset:         96
        .size:           8
        .value_kind:     global_buffer
      - .offset:         104
        .size:           4
        .value_kind:     by_value
      - .offset:         112
        .size:           8
        .value_kind:     by_value
      - .offset:         120
        .size:           4
        .value_kind:     by_value
      - .offset:         124
        .size:           4
        .value_kind:     by_value
    .group_segment_fixed_size: 5120
    .kernarg_segment_align: 8
    .kernarg_segment_size: 128
    .language:       OpenCL C
    .language_version:
      - 2
      - 0
    .max_flat_workgroup_size: 256
    .name:           _ZN12_GLOBAL__N_120geam_min_plus_kernelIDF16_Dv2_DF16_S1_Li32ELi8ELi256ELi64ELi4ELi64ELi4ELi4ELi64ELc78ELc78ELb1ELb0ELb1EDF16_KPKDF16_KPDF16_EEviiiT16_PT17_ilS9_ilS7_S9_ilPT18_ili26rocblas_geam_ex_operation_
    .private_segment_fixed_size: 172
    .sgpr_count:     30
    .sgpr_spill_count: 0
    .symbol:         _ZN12_GLOBAL__N_120geam_min_plus_kernelIDF16_Dv2_DF16_S1_Li32ELi8ELi256ELi64ELi4ELi64ELi4ELi4ELi64ELc78ELc78ELb1ELb0ELb1EDF16_KPKDF16_KPDF16_EEviiiT16_PT17_ilS9_ilS7_S9_ilPT18_ili26rocblas_geam_ex_operation_.kd
    .uniform_work_group_size: 1
    .uses_dynamic_stack: false
    .vgpr_count:     256
    .vgpr_spill_count: 42
    .wavefront_size: 32
    .workgroup_processor_mode: 1
  - .args:
      - .offset:         0
        .size:           4
        .value_kind:     by_value
      - .offset:         4
        .size:           4
        .value_kind:     by_value
      - .offset:         8
        .size:           4
        .value_kind:     by_value
      - .offset:         12
        .size:           2
        .value_kind:     by_value
      - .address_space:  global
        .offset:         16
        .size:           8
        .value_kind:     global_buffer
      - .offset:         24
        .size:           4
        .value_kind:     by_value
      - .offset:         32
        .size:           8
        .value_kind:     by_value
      - .address_space:  global
        .offset:         40
        .size:           8
        .value_kind:     global_buffer
      - .offset:         48
        .size:           4
        .value_kind:     by_value
      - .offset:         56
        .size:           8
        .value_kind:     by_value
      - .offset:         64
        .size:           2
        .value_kind:     by_value
      - .address_space:  global
        .offset:         72
        .size:           8
        .value_kind:     global_buffer
      - .offset:         80
        .size:           4
        .value_kind:     by_value
      - .offset:         88
        .size:           8
        .value_kind:     by_value
      - .address_space:  global
        .offset:         96
        .size:           8
        .value_kind:     global_buffer
      - .offset:         104
        .size:           4
        .value_kind:     by_value
      - .offset:         112
        .size:           8
        .value_kind:     by_value
      - .offset:         120
        .size:           4
        .value_kind:     by_value
      - .offset:         124
        .size:           4
        .value_kind:     by_value
    .group_segment_fixed_size: 5120
    .kernarg_segment_align: 8
    .kernarg_segment_size: 128
    .language:       OpenCL C
    .language_version:
      - 2
      - 0
    .max_flat_workgroup_size: 256
    .name:           _ZN12_GLOBAL__N_120geam_min_plus_kernelIDF16_Dv2_DF16_S1_Li32ELi8ELi256ELi64ELi4ELi64ELi4ELi4ELi64ELc78ELc78ELb0ELb0ELb1EDF16_KPKDF16_KPDF16_EEviiiT16_PT17_ilS9_ilS7_S9_ilPT18_ili26rocblas_geam_ex_operation_
    .private_segment_fixed_size: 0
    .sgpr_count:     28
    .sgpr_spill_count: 0
    .symbol:         _ZN12_GLOBAL__N_120geam_min_plus_kernelIDF16_Dv2_DF16_S1_Li32ELi8ELi256ELi64ELi4ELi64ELi4ELi4ELi64ELc78ELc78ELb0ELb0ELb1EDF16_KPKDF16_KPDF16_EEviiiT16_PT17_ilS9_ilS7_S9_ilPT18_ili26rocblas_geam_ex_operation_.kd
    .uniform_work_group_size: 1
    .uses_dynamic_stack: false
    .vgpr_count:     168
    .vgpr_spill_count: 0
    .wavefront_size: 32
    .workgroup_processor_mode: 1
  - .args:
      - .offset:         0
        .size:           4
        .value_kind:     by_value
      - .offset:         4
        .size:           4
        .value_kind:     by_value
      - .offset:         8
        .size:           4
        .value_kind:     by_value
      - .address_space:  global
        .offset:         16
        .size:           8
        .value_kind:     global_buffer
      - .address_space:  global
        .offset:         24
        .size:           8
        .value_kind:     global_buffer
      - .offset:         32
        .size:           4
        .value_kind:     by_value
      - .offset:         40
        .size:           8
        .value_kind:     by_value
      - .address_space:  global
        .offset:         48
        .size:           8
        .value_kind:     global_buffer
      - .offset:         56
        .size:           4
        .value_kind:     by_value
      - .offset:         64
        .size:           8
        .value_kind:     by_value
      - .address_space:  global
        .offset:         72
        .size:           8
        .value_kind:     global_buffer
      - .address_space:  global
        .offset:         80
        .size:           8
        .value_kind:     global_buffer
      - .offset:         88
        .size:           4
        .value_kind:     by_value
      - .offset:         96
        .size:           8
        .value_kind:     by_value
      - .address_space:  global
        .offset:         104
        .size:           8
        .value_kind:     global_buffer
      - .offset:         112
        .size:           4
        .value_kind:     by_value
      - .offset:         120
        .size:           8
        .value_kind:     by_value
      - .offset:         128
        .size:           4
        .value_kind:     by_value
      - .offset:         132
        .size:           4
        .value_kind:     by_value
    .group_segment_fixed_size: 5120
    .kernarg_segment_align: 8
    .kernarg_segment_size: 136
    .language:       OpenCL C
    .language_version:
      - 2
      - 0
    .max_flat_workgroup_size: 256
    .name:           _ZN12_GLOBAL__N_120geam_min_plus_kernelIDF16_Dv2_DF16_S1_Li32ELi8ELi256ELi64ELi4ELi64ELi4ELi4ELi64ELc78ELc78ELb0ELb1ELb1EPKDF16_KS3_KPDF16_EEviiiT16_PT17_ilS9_ilS7_S9_ilPT18_ili26rocblas_geam_ex_operation_
    .private_segment_fixed_size: 0
    .sgpr_count:     29
    .sgpr_spill_count: 0
    .symbol:         _ZN12_GLOBAL__N_120geam_min_plus_kernelIDF16_Dv2_DF16_S1_Li32ELi8ELi256ELi64ELi4ELi64ELi4ELi4ELi64ELc78ELc78ELb0ELb1ELb1EPKDF16_KS3_KPDF16_EEviiiT16_PT17_ilS9_ilS7_S9_ilPT18_ili26rocblas_geam_ex_operation_.kd
    .uniform_work_group_size: 1
    .uses_dynamic_stack: false
    .vgpr_count:     174
    .vgpr_spill_count: 0
    .wavefront_size: 32
    .workgroup_processor_mode: 1
  - .args:
      - .offset:         0
        .size:           4
        .value_kind:     by_value
      - .offset:         4
        .size:           4
        .value_kind:     by_value
      - .offset:         8
        .size:           4
        .value_kind:     by_value
      - .offset:         12
        .size:           2
        .value_kind:     by_value
      - .address_space:  global
        .offset:         16
        .size:           8
        .value_kind:     global_buffer
      - .offset:         24
        .size:           4
        .value_kind:     by_value
      - .offset:         32
        .size:           8
        .value_kind:     by_value
      - .address_space:  global
        .offset:         40
        .size:           8
        .value_kind:     global_buffer
      - .offset:         48
        .size:           4
        .value_kind:     by_value
      - .offset:         56
        .size:           8
        .value_kind:     by_value
      - .offset:         64
        .size:           2
        .value_kind:     by_value
      - .address_space:  global
        .offset:         72
        .size:           8
        .value_kind:     global_buffer
      - .offset:         80
        .size:           4
        .value_kind:     by_value
      - .offset:         88
        .size:           8
        .value_kind:     by_value
      - .address_space:  global
        .offset:         96
        .size:           8
        .value_kind:     global_buffer
      - .offset:         104
        .size:           4
        .value_kind:     by_value
      - .offset:         112
        .size:           8
        .value_kind:     by_value
      - .offset:         120
        .size:           4
        .value_kind:     by_value
      - .offset:         124
        .size:           4
        .value_kind:     by_value
    .group_segment_fixed_size: 5120
    .kernarg_segment_align: 8
    .kernarg_segment_size: 128
    .language:       OpenCL C
    .language_version:
      - 2
      - 0
    .max_flat_workgroup_size: 256
    .name:           _ZN12_GLOBAL__N_120geam_min_plus_kernelIDF16_Dv2_DF16_S1_Li32ELi8ELi256ELi64ELi4ELi64ELi4ELi4ELi64ELc78ELc78ELb1ELb1ELb1EDF16_KPKDF16_KPDF16_EEviiiT16_PT17_ilS9_ilS7_S9_ilPT18_ili26rocblas_geam_ex_operation_
    .private_segment_fixed_size: 0
    .sgpr_count:     29
    .sgpr_spill_count: 0
    .symbol:         _ZN12_GLOBAL__N_120geam_min_plus_kernelIDF16_Dv2_DF16_S1_Li32ELi8ELi256ELi64ELi4ELi64ELi4ELi4ELi64ELc78ELc78ELb1ELb1ELb1EDF16_KPKDF16_KPDF16_EEviiiT16_PT17_ilS9_ilS7_S9_ilPT18_ili26rocblas_geam_ex_operation_.kd
    .uniform_work_group_size: 1
    .uses_dynamic_stack: false
    .vgpr_count:     167
    .vgpr_spill_count: 0
    .wavefront_size: 32
    .workgroup_processor_mode: 1
  - .args:
      - .offset:         0
        .size:           4
        .value_kind:     by_value
      - .offset:         4
        .size:           4
        .value_kind:     by_value
      - .offset:         8
        .size:           4
        .value_kind:     by_value
      - .offset:         12
        .size:           2
        .value_kind:     by_value
      - .address_space:  global
        .offset:         16
        .size:           8
        .value_kind:     global_buffer
      - .offset:         24
        .size:           4
        .value_kind:     by_value
      - .offset:         32
        .size:           8
        .value_kind:     by_value
      - .address_space:  global
        .offset:         40
        .size:           8
        .value_kind:     global_buffer
      - .offset:         48
        .size:           4
        .value_kind:     by_value
      - .offset:         56
        .size:           8
        .value_kind:     by_value
      - .offset:         64
        .size:           2
        .value_kind:     by_value
      - .address_space:  global
        .offset:         72
        .size:           8
        .value_kind:     global_buffer
      - .offset:         80
        .size:           4
        .value_kind:     by_value
      - .offset:         88
        .size:           8
        .value_kind:     by_value
      - .address_space:  global
        .offset:         96
        .size:           8
        .value_kind:     global_buffer
      - .offset:         104
        .size:           4
        .value_kind:     by_value
      - .offset:         112
        .size:           8
        .value_kind:     by_value
      - .offset:         120
        .size:           4
        .value_kind:     by_value
      - .offset:         124
        .size:           4
        .value_kind:     by_value
    .group_segment_fixed_size: 5120
    .kernarg_segment_align: 8
    .kernarg_segment_size: 128
    .language:       OpenCL C
    .language_version:
      - 2
      - 0
    .max_flat_workgroup_size: 256
    .name:           _ZN12_GLOBAL__N_120geam_min_plus_kernelIDF16_Dv2_DF16_S1_Li32ELi8ELi256ELi64ELi4ELi64ELi4ELi4ELi64ELc78ELc78ELb0ELb1ELb1EDF16_KPKDF16_KPDF16_EEviiiT16_PT17_ilS9_ilS7_S9_ilPT18_ili26rocblas_geam_ex_operation_
    .private_segment_fixed_size: 0
    .sgpr_count:     31
    .sgpr_spill_count: 0
    .symbol:         _ZN12_GLOBAL__N_120geam_min_plus_kernelIDF16_Dv2_DF16_S1_Li32ELi8ELi256ELi64ELi4ELi64ELi4ELi4ELi64ELc78ELc78ELb0ELb1ELb1EDF16_KPKDF16_KPDF16_EEviiiT16_PT17_ilS9_ilS7_S9_ilPT18_ili26rocblas_geam_ex_operation_.kd
    .uniform_work_group_size: 1
    .uses_dynamic_stack: false
    .vgpr_count:     172
    .vgpr_spill_count: 0
    .wavefront_size: 32
    .workgroup_processor_mode: 1
  - .args:
      - .offset:         0
        .size:           4
        .value_kind:     by_value
      - .offset:         4
        .size:           4
        .value_kind:     by_value
      - .offset:         8
        .size:           4
        .value_kind:     by_value
      - .address_space:  global
        .offset:         16
        .size:           8
        .value_kind:     global_buffer
      - .address_space:  global
        .offset:         24
        .size:           8
        .value_kind:     global_buffer
      - .offset:         32
        .size:           4
        .value_kind:     by_value
      - .offset:         40
        .size:           8
        .value_kind:     by_value
      - .address_space:  global
        .offset:         48
        .size:           8
        .value_kind:     global_buffer
      - .offset:         56
        .size:           4
        .value_kind:     by_value
      - .offset:         64
        .size:           8
        .value_kind:     by_value
      - .address_space:  global
        .offset:         72
        .size:           8
        .value_kind:     global_buffer
      - .address_space:  global
        .offset:         80
        .size:           8
        .value_kind:     global_buffer
      - .offset:         88
        .size:           4
        .value_kind:     by_value
      - .offset:         96
        .size:           8
        .value_kind:     by_value
      - .address_space:  global
        .offset:         104
        .size:           8
        .value_kind:     global_buffer
      - .offset:         112
        .size:           4
        .value_kind:     by_value
      - .offset:         120
        .size:           8
        .value_kind:     by_value
      - .offset:         128
        .size:           4
        .value_kind:     by_value
      - .offset:         132
        .size:           4
        .value_kind:     by_value
    .group_segment_fixed_size: 4096
    .kernarg_segment_align: 8
    .kernarg_segment_size: 136
    .language:       OpenCL C
    .language_version:
      - 2
      - 0
    .max_flat_workgroup_size: 256
    .name:           _ZN12_GLOBAL__N_120geam_min_plus_kernelIDF16_Dv2_DF16_S1_Li32ELi8ELi128ELi128ELi4ELi4ELi64ELi4ELi64ELc84ELc78ELb0ELb0ELb1EPKDF16_KS3_KPDF16_EEviiiT16_PT17_ilS9_ilS7_S9_ilPT18_ili26rocblas_geam_ex_operation_
    .private_segment_fixed_size: 0
    .sgpr_count:     26
    .sgpr_spill_count: 0
    .symbol:         _ZN12_GLOBAL__N_120geam_min_plus_kernelIDF16_Dv2_DF16_S1_Li32ELi8ELi128ELi128ELi4ELi4ELi64ELi4ELi64ELc84ELc78ELb0ELb0ELb1EPKDF16_KS3_KPDF16_EEviiiT16_PT17_ilS9_ilS7_S9_ilPT18_ili26rocblas_geam_ex_operation_.kd
    .uniform_work_group_size: 1
    .uses_dynamic_stack: false
    .vgpr_count:     169
    .vgpr_spill_count: 0
    .wavefront_size: 32
    .workgroup_processor_mode: 1
  - .args:
      - .offset:         0
        .size:           4
        .value_kind:     by_value
      - .offset:         4
        .size:           4
        .value_kind:     by_value
      - .offset:         8
        .size:           4
        .value_kind:     by_value
      - .offset:         12
        .size:           2
        .value_kind:     by_value
      - .address_space:  global
        .offset:         16
        .size:           8
        .value_kind:     global_buffer
      - .offset:         24
        .size:           4
        .value_kind:     by_value
      - .offset:         32
        .size:           8
        .value_kind:     by_value
      - .address_space:  global
        .offset:         40
        .size:           8
        .value_kind:     global_buffer
      - .offset:         48
        .size:           4
        .value_kind:     by_value
      - .offset:         56
        .size:           8
        .value_kind:     by_value
      - .offset:         64
        .size:           2
        .value_kind:     by_value
      - .address_space:  global
        .offset:         72
        .size:           8
        .value_kind:     global_buffer
      - .offset:         80
        .size:           4
        .value_kind:     by_value
      - .offset:         88
        .size:           8
        .value_kind:     by_value
      - .address_space:  global
        .offset:         96
        .size:           8
        .value_kind:     global_buffer
      - .offset:         104
        .size:           4
        .value_kind:     by_value
      - .offset:         112
        .size:           8
        .value_kind:     by_value
      - .offset:         120
        .size:           4
        .value_kind:     by_value
      - .offset:         124
        .size:           4
        .value_kind:     by_value
    .group_segment_fixed_size: 4096
    .kernarg_segment_align: 8
    .kernarg_segment_size: 128
    .language:       OpenCL C
    .language_version:
      - 2
      - 0
    .max_flat_workgroup_size: 256
    .name:           _ZN12_GLOBAL__N_120geam_min_plus_kernelIDF16_Dv2_DF16_S1_Li32ELi8ELi128ELi128ELi4ELi4ELi64ELi4ELi64ELc84ELc78ELb1ELb0ELb1EDF16_KPKDF16_KPDF16_EEviiiT16_PT17_ilS9_ilS7_S9_ilPT18_ili26rocblas_geam_ex_operation_
    .private_segment_fixed_size: 192
    .sgpr_count:     30
    .sgpr_spill_count: 0
    .symbol:         _ZN12_GLOBAL__N_120geam_min_plus_kernelIDF16_Dv2_DF16_S1_Li32ELi8ELi128ELi128ELi4ELi4ELi64ELi4ELi64ELc84ELc78ELb1ELb0ELb1EDF16_KPKDF16_KPDF16_EEviiiT16_PT17_ilS9_ilS7_S9_ilPT18_ili26rocblas_geam_ex_operation_.kd
    .uniform_work_group_size: 1
    .uses_dynamic_stack: false
    .vgpr_count:     256
    .vgpr_spill_count: 47
    .wavefront_size: 32
    .workgroup_processor_mode: 1
  - .args:
      - .offset:         0
        .size:           4
        .value_kind:     by_value
      - .offset:         4
        .size:           4
        .value_kind:     by_value
      - .offset:         8
        .size:           4
        .value_kind:     by_value
      - .offset:         12
        .size:           2
        .value_kind:     by_value
      - .address_space:  global
        .offset:         16
        .size:           8
        .value_kind:     global_buffer
      - .offset:         24
        .size:           4
        .value_kind:     by_value
      - .offset:         32
        .size:           8
        .value_kind:     by_value
      - .address_space:  global
        .offset:         40
        .size:           8
        .value_kind:     global_buffer
      - .offset:         48
        .size:           4
        .value_kind:     by_value
      - .offset:         56
        .size:           8
        .value_kind:     by_value
      - .offset:         64
        .size:           2
        .value_kind:     by_value
      - .address_space:  global
        .offset:         72
        .size:           8
        .value_kind:     global_buffer
      - .offset:         80
        .size:           4
        .value_kind:     by_value
      - .offset:         88
        .size:           8
        .value_kind:     by_value
      - .address_space:  global
        .offset:         96
        .size:           8
        .value_kind:     global_buffer
      - .offset:         104
        .size:           4
        .value_kind:     by_value
      - .offset:         112
        .size:           8
        .value_kind:     by_value
      - .offset:         120
        .size:           4
        .value_kind:     by_value
      - .offset:         124
        .size:           4
        .value_kind:     by_value
    .group_segment_fixed_size: 4096
    .kernarg_segment_align: 8
    .kernarg_segment_size: 128
    .language:       OpenCL C
    .language_version:
      - 2
      - 0
    .max_flat_workgroup_size: 256
    .name:           _ZN12_GLOBAL__N_120geam_min_plus_kernelIDF16_Dv2_DF16_S1_Li32ELi8ELi128ELi128ELi4ELi4ELi64ELi4ELi64ELc84ELc78ELb0ELb0ELb1EDF16_KPKDF16_KPDF16_EEviiiT16_PT17_ilS9_ilS7_S9_ilPT18_ili26rocblas_geam_ex_operation_
    .private_segment_fixed_size: 0
    .sgpr_count:     25
    .sgpr_spill_count: 0
    .symbol:         _ZN12_GLOBAL__N_120geam_min_plus_kernelIDF16_Dv2_DF16_S1_Li32ELi8ELi128ELi128ELi4ELi4ELi64ELi4ELi64ELc84ELc78ELb0ELb0ELb1EDF16_KPKDF16_KPDF16_EEviiiT16_PT17_ilS9_ilS7_S9_ilPT18_ili26rocblas_geam_ex_operation_.kd
    .uniform_work_group_size: 1
    .uses_dynamic_stack: false
    .vgpr_count:     168
    .vgpr_spill_count: 0
    .wavefront_size: 32
    .workgroup_processor_mode: 1
  - .args:
      - .offset:         0
        .size:           4
        .value_kind:     by_value
      - .offset:         4
        .size:           4
        .value_kind:     by_value
      - .offset:         8
        .size:           4
        .value_kind:     by_value
      - .address_space:  global
        .offset:         16
        .size:           8
        .value_kind:     global_buffer
      - .address_space:  global
        .offset:         24
        .size:           8
        .value_kind:     global_buffer
      - .offset:         32
        .size:           4
        .value_kind:     by_value
      - .offset:         40
        .size:           8
        .value_kind:     by_value
      - .address_space:  global
        .offset:         48
        .size:           8
        .value_kind:     global_buffer
      - .offset:         56
        .size:           4
        .value_kind:     by_value
      - .offset:         64
        .size:           8
        .value_kind:     by_value
      - .address_space:  global
        .offset:         72
        .size:           8
        .value_kind:     global_buffer
      - .address_space:  global
        .offset:         80
        .size:           8
        .value_kind:     global_buffer
      - .offset:         88
        .size:           4
        .value_kind:     by_value
      - .offset:         96
        .size:           8
        .value_kind:     by_value
      - .address_space:  global
        .offset:         104
        .size:           8
        .value_kind:     global_buffer
      - .offset:         112
        .size:           4
        .value_kind:     by_value
      - .offset:         120
        .size:           8
        .value_kind:     by_value
      - .offset:         128
        .size:           4
        .value_kind:     by_value
      - .offset:         132
        .size:           4
        .value_kind:     by_value
    .group_segment_fixed_size: 4096
    .kernarg_segment_align: 8
    .kernarg_segment_size: 136
    .language:       OpenCL C
    .language_version:
      - 2
      - 0
    .max_flat_workgroup_size: 256
    .name:           _ZN12_GLOBAL__N_120geam_min_plus_kernelIDF16_Dv2_DF16_S1_Li32ELi8ELi128ELi128ELi4ELi4ELi64ELi4ELi64ELc84ELc78ELb0ELb1ELb1EPKDF16_KS3_KPDF16_EEviiiT16_PT17_ilS9_ilS7_S9_ilPT18_ili26rocblas_geam_ex_operation_
    .private_segment_fixed_size: 0
    .sgpr_count:     28
    .sgpr_spill_count: 0
    .symbol:         _ZN12_GLOBAL__N_120geam_min_plus_kernelIDF16_Dv2_DF16_S1_Li32ELi8ELi128ELi128ELi4ELi4ELi64ELi4ELi64ELc84ELc78ELb0ELb1ELb1EPKDF16_KS3_KPDF16_EEviiiT16_PT17_ilS9_ilS7_S9_ilPT18_ili26rocblas_geam_ex_operation_.kd
    .uniform_work_group_size: 1
    .uses_dynamic_stack: false
    .vgpr_count:     172
    .vgpr_spill_count: 0
    .wavefront_size: 32
    .workgroup_processor_mode: 1
  - .args:
      - .offset:         0
        .size:           4
        .value_kind:     by_value
      - .offset:         4
        .size:           4
        .value_kind:     by_value
      - .offset:         8
        .size:           4
        .value_kind:     by_value
      - .offset:         12
        .size:           2
        .value_kind:     by_value
      - .address_space:  global
        .offset:         16
        .size:           8
        .value_kind:     global_buffer
      - .offset:         24
        .size:           4
        .value_kind:     by_value
      - .offset:         32
        .size:           8
        .value_kind:     by_value
      - .address_space:  global
        .offset:         40
        .size:           8
        .value_kind:     global_buffer
      - .offset:         48
        .size:           4
        .value_kind:     by_value
      - .offset:         56
        .size:           8
        .value_kind:     by_value
      - .offset:         64
        .size:           2
        .value_kind:     by_value
      - .address_space:  global
        .offset:         72
        .size:           8
        .value_kind:     global_buffer
      - .offset:         80
        .size:           4
        .value_kind:     by_value
      - .offset:         88
        .size:           8
        .value_kind:     by_value
      - .address_space:  global
        .offset:         96
        .size:           8
        .value_kind:     global_buffer
      - .offset:         104
        .size:           4
        .value_kind:     by_value
      - .offset:         112
        .size:           8
        .value_kind:     by_value
      - .offset:         120
        .size:           4
        .value_kind:     by_value
      - .offset:         124
        .size:           4
        .value_kind:     by_value
    .group_segment_fixed_size: 4096
    .kernarg_segment_align: 8
    .kernarg_segment_size: 128
    .language:       OpenCL C
    .language_version:
      - 2
      - 0
    .max_flat_workgroup_size: 256
    .name:           _ZN12_GLOBAL__N_120geam_min_plus_kernelIDF16_Dv2_DF16_S1_Li32ELi8ELi128ELi128ELi4ELi4ELi64ELi4ELi64ELc84ELc78ELb1ELb1ELb1EDF16_KPKDF16_KPDF16_EEviiiT16_PT17_ilS9_ilS7_S9_ilPT18_ili26rocblas_geam_ex_operation_
    .private_segment_fixed_size: 0
    .sgpr_count:     27
    .sgpr_spill_count: 0
    .symbol:         _ZN12_GLOBAL__N_120geam_min_plus_kernelIDF16_Dv2_DF16_S1_Li32ELi8ELi128ELi128ELi4ELi4ELi64ELi4ELi64ELc84ELc78ELb1ELb1ELb1EDF16_KPKDF16_KPDF16_EEviiiT16_PT17_ilS9_ilS7_S9_ilPT18_ili26rocblas_geam_ex_operation_.kd
    .uniform_work_group_size: 1
    .uses_dynamic_stack: false
    .vgpr_count:     168
    .vgpr_spill_count: 0
    .wavefront_size: 32
    .workgroup_processor_mode: 1
  - .args:
      - .offset:         0
        .size:           4
        .value_kind:     by_value
      - .offset:         4
        .size:           4
        .value_kind:     by_value
      - .offset:         8
        .size:           4
        .value_kind:     by_value
      - .offset:         12
        .size:           2
        .value_kind:     by_value
      - .address_space:  global
        .offset:         16
        .size:           8
        .value_kind:     global_buffer
      - .offset:         24
        .size:           4
        .value_kind:     by_value
      - .offset:         32
        .size:           8
        .value_kind:     by_value
      - .address_space:  global
        .offset:         40
        .size:           8
        .value_kind:     global_buffer
      - .offset:         48
        .size:           4
        .value_kind:     by_value
      - .offset:         56
        .size:           8
        .value_kind:     by_value
      - .offset:         64
        .size:           2
        .value_kind:     by_value
      - .address_space:  global
        .offset:         72
        .size:           8
        .value_kind:     global_buffer
      - .offset:         80
        .size:           4
        .value_kind:     by_value
      - .offset:         88
        .size:           8
        .value_kind:     by_value
      - .address_space:  global
        .offset:         96
        .size:           8
        .value_kind:     global_buffer
      - .offset:         104
        .size:           4
        .value_kind:     by_value
      - .offset:         112
        .size:           8
        .value_kind:     by_value
      - .offset:         120
        .size:           4
        .value_kind:     by_value
      - .offset:         124
        .size:           4
        .value_kind:     by_value
    .group_segment_fixed_size: 4096
    .kernarg_segment_align: 8
    .kernarg_segment_size: 128
    .language:       OpenCL C
    .language_version:
      - 2
      - 0
    .max_flat_workgroup_size: 256
    .name:           _ZN12_GLOBAL__N_120geam_min_plus_kernelIDF16_Dv2_DF16_S1_Li32ELi8ELi128ELi128ELi4ELi4ELi64ELi4ELi64ELc84ELc78ELb0ELb1ELb1EDF16_KPKDF16_KPDF16_EEviiiT16_PT17_ilS9_ilS7_S9_ilPT18_ili26rocblas_geam_ex_operation_
    .private_segment_fixed_size: 0
    .sgpr_count:     30
    .sgpr_spill_count: 0
    .symbol:         _ZN12_GLOBAL__N_120geam_min_plus_kernelIDF16_Dv2_DF16_S1_Li32ELi8ELi128ELi128ELi4ELi4ELi64ELi4ELi64ELc84ELc78ELb0ELb1ELb1EDF16_KPKDF16_KPDF16_EEviiiT16_PT17_ilS9_ilS7_S9_ilPT18_ili26rocblas_geam_ex_operation_.kd
    .uniform_work_group_size: 1
    .uses_dynamic_stack: false
    .vgpr_count:     170
    .vgpr_spill_count: 0
    .wavefront_size: 32
    .workgroup_processor_mode: 1
  - .args:
      - .offset:         0
        .size:           4
        .value_kind:     by_value
      - .offset:         4
        .size:           4
        .value_kind:     by_value
      - .offset:         8
        .size:           4
        .value_kind:     by_value
      - .address_space:  global
        .offset:         16
        .size:           8
        .value_kind:     global_buffer
      - .address_space:  global
        .offset:         24
        .size:           8
        .value_kind:     global_buffer
      - .offset:         32
        .size:           4
        .value_kind:     by_value
      - .offset:         40
        .size:           8
        .value_kind:     by_value
      - .address_space:  global
        .offset:         48
        .size:           8
        .value_kind:     global_buffer
      - .offset:         56
        .size:           4
        .value_kind:     by_value
      - .offset:         64
        .size:           8
        .value_kind:     by_value
      - .address_space:  global
        .offset:         72
        .size:           8
        .value_kind:     global_buffer
      - .address_space:  global
        .offset:         80
        .size:           8
        .value_kind:     global_buffer
      - .offset:         88
        .size:           4
        .value_kind:     by_value
      - .offset:         96
        .size:           8
        .value_kind:     by_value
      - .address_space:  global
        .offset:         104
        .size:           8
        .value_kind:     global_buffer
      - .offset:         112
        .size:           4
        .value_kind:     by_value
      - .offset:         120
        .size:           8
        .value_kind:     by_value
      - .offset:         128
        .size:           4
        .value_kind:     by_value
      - .offset:         132
        .size:           4
        .value_kind:     by_value
    .group_segment_fixed_size: 5120
    .kernarg_segment_align: 8
    .kernarg_segment_size: 136
    .language:       OpenCL C
    .language_version:
      - 2
      - 0
    .max_flat_workgroup_size: 256
    .name:           _ZN12_GLOBAL__N_120geam_min_plus_kernelIDF16_Dv2_DF16_S1_Li8ELi32ELi64ELi256ELi4ELi64ELi4ELi64ELi4ELc78ELc84ELb0ELb0ELb1EPKDF16_KS3_KPDF16_EEviiiT16_PT17_ilS9_ilS7_S9_ilPT18_ili26rocblas_geam_ex_operation_
    .private_segment_fixed_size: 0
    .sgpr_count:     26
    .sgpr_spill_count: 0
    .symbol:         _ZN12_GLOBAL__N_120geam_min_plus_kernelIDF16_Dv2_DF16_S1_Li8ELi32ELi64ELi256ELi4ELi64ELi4ELi64ELi4ELc78ELc84ELb0ELb0ELb1EPKDF16_KS3_KPDF16_EEviiiT16_PT17_ilS9_ilS7_S9_ilPT18_ili26rocblas_geam_ex_operation_.kd
    .uniform_work_group_size: 1
    .uses_dynamic_stack: false
    .vgpr_count:     169
    .vgpr_spill_count: 0
    .wavefront_size: 32
    .workgroup_processor_mode: 1
  - .args:
      - .offset:         0
        .size:           4
        .value_kind:     by_value
      - .offset:         4
        .size:           4
        .value_kind:     by_value
      - .offset:         8
        .size:           4
        .value_kind:     by_value
      - .offset:         12
        .size:           2
        .value_kind:     by_value
      - .address_space:  global
        .offset:         16
        .size:           8
        .value_kind:     global_buffer
      - .offset:         24
        .size:           4
        .value_kind:     by_value
      - .offset:         32
        .size:           8
        .value_kind:     by_value
      - .address_space:  global
        .offset:         40
        .size:           8
        .value_kind:     global_buffer
      - .offset:         48
        .size:           4
        .value_kind:     by_value
      - .offset:         56
        .size:           8
        .value_kind:     by_value
      - .offset:         64
        .size:           2
        .value_kind:     by_value
      - .address_space:  global
        .offset:         72
        .size:           8
        .value_kind:     global_buffer
      - .offset:         80
        .size:           4
        .value_kind:     by_value
      - .offset:         88
        .size:           8
        .value_kind:     by_value
      - .address_space:  global
        .offset:         96
        .size:           8
        .value_kind:     global_buffer
      - .offset:         104
        .size:           4
        .value_kind:     by_value
      - .offset:         112
        .size:           8
        .value_kind:     by_value
      - .offset:         120
        .size:           4
        .value_kind:     by_value
      - .offset:         124
        .size:           4
        .value_kind:     by_value
    .group_segment_fixed_size: 5120
    .kernarg_segment_align: 8
    .kernarg_segment_size: 128
    .language:       OpenCL C
    .language_version:
      - 2
      - 0
    .max_flat_workgroup_size: 256
    .name:           _ZN12_GLOBAL__N_120geam_min_plus_kernelIDF16_Dv2_DF16_S1_Li8ELi32ELi64ELi256ELi4ELi64ELi4ELi64ELi4ELc78ELc84ELb1ELb0ELb1EDF16_KPKDF16_KPDF16_EEviiiT16_PT17_ilS9_ilS7_S9_ilPT18_ili26rocblas_geam_ex_operation_
    .private_segment_fixed_size: 180
    .sgpr_count:     30
    .sgpr_spill_count: 0
    .symbol:         _ZN12_GLOBAL__N_120geam_min_plus_kernelIDF16_Dv2_DF16_S1_Li8ELi32ELi64ELi256ELi4ELi64ELi4ELi64ELi4ELc78ELc84ELb1ELb0ELb1EDF16_KPKDF16_KPDF16_EEviiiT16_PT17_ilS9_ilS7_S9_ilPT18_ili26rocblas_geam_ex_operation_.kd
    .uniform_work_group_size: 1
    .uses_dynamic_stack: false
    .vgpr_count:     256
    .vgpr_spill_count: 44
    .wavefront_size: 32
    .workgroup_processor_mode: 1
  - .args:
      - .offset:         0
        .size:           4
        .value_kind:     by_value
      - .offset:         4
        .size:           4
        .value_kind:     by_value
      - .offset:         8
        .size:           4
        .value_kind:     by_value
      - .offset:         12
        .size:           2
        .value_kind:     by_value
      - .address_space:  global
        .offset:         16
        .size:           8
        .value_kind:     global_buffer
      - .offset:         24
        .size:           4
        .value_kind:     by_value
      - .offset:         32
        .size:           8
        .value_kind:     by_value
      - .address_space:  global
        .offset:         40
        .size:           8
        .value_kind:     global_buffer
      - .offset:         48
        .size:           4
        .value_kind:     by_value
      - .offset:         56
        .size:           8
        .value_kind:     by_value
      - .offset:         64
        .size:           2
        .value_kind:     by_value
      - .address_space:  global
        .offset:         72
        .size:           8
        .value_kind:     global_buffer
      - .offset:         80
        .size:           4
        .value_kind:     by_value
      - .offset:         88
        .size:           8
        .value_kind:     by_value
      - .address_space:  global
        .offset:         96
        .size:           8
        .value_kind:     global_buffer
      - .offset:         104
        .size:           4
        .value_kind:     by_value
      - .offset:         112
        .size:           8
        .value_kind:     by_value
      - .offset:         120
        .size:           4
        .value_kind:     by_value
      - .offset:         124
        .size:           4
        .value_kind:     by_value
    .group_segment_fixed_size: 5120
    .kernarg_segment_align: 8
    .kernarg_segment_size: 128
    .language:       OpenCL C
    .language_version:
      - 2
      - 0
    .max_flat_workgroup_size: 256
    .name:           _ZN12_GLOBAL__N_120geam_min_plus_kernelIDF16_Dv2_DF16_S1_Li8ELi32ELi64ELi256ELi4ELi64ELi4ELi64ELi4ELc78ELc84ELb0ELb0ELb1EDF16_KPKDF16_KPDF16_EEviiiT16_PT17_ilS9_ilS7_S9_ilPT18_ili26rocblas_geam_ex_operation_
    .private_segment_fixed_size: 0
    .sgpr_count:     27
    .sgpr_spill_count: 0
    .symbol:         _ZN12_GLOBAL__N_120geam_min_plus_kernelIDF16_Dv2_DF16_S1_Li8ELi32ELi64ELi256ELi4ELi64ELi4ELi64ELi4ELc78ELc84ELb0ELb0ELb1EDF16_KPKDF16_KPDF16_EEviiiT16_PT17_ilS9_ilS7_S9_ilPT18_ili26rocblas_geam_ex_operation_.kd
    .uniform_work_group_size: 1
    .uses_dynamic_stack: false
    .vgpr_count:     166
    .vgpr_spill_count: 0
    .wavefront_size: 32
    .workgroup_processor_mode: 1
  - .args:
      - .offset:         0
        .size:           4
        .value_kind:     by_value
      - .offset:         4
        .size:           4
        .value_kind:     by_value
      - .offset:         8
        .size:           4
        .value_kind:     by_value
      - .address_space:  global
        .offset:         16
        .size:           8
        .value_kind:     global_buffer
      - .address_space:  global
        .offset:         24
        .size:           8
        .value_kind:     global_buffer
      - .offset:         32
        .size:           4
        .value_kind:     by_value
      - .offset:         40
        .size:           8
        .value_kind:     by_value
      - .address_space:  global
        .offset:         48
        .size:           8
        .value_kind:     global_buffer
      - .offset:         56
        .size:           4
        .value_kind:     by_value
      - .offset:         64
        .size:           8
        .value_kind:     by_value
      - .address_space:  global
        .offset:         72
        .size:           8
        .value_kind:     global_buffer
      - .address_space:  global
        .offset:         80
        .size:           8
        .value_kind:     global_buffer
      - .offset:         88
        .size:           4
        .value_kind:     by_value
      - .offset:         96
        .size:           8
        .value_kind:     by_value
      - .address_space:  global
        .offset:         104
        .size:           8
        .value_kind:     global_buffer
      - .offset:         112
        .size:           4
        .value_kind:     by_value
      - .offset:         120
        .size:           8
        .value_kind:     by_value
      - .offset:         128
        .size:           4
        .value_kind:     by_value
      - .offset:         132
        .size:           4
        .value_kind:     by_value
    .group_segment_fixed_size: 5120
    .kernarg_segment_align: 8
    .kernarg_segment_size: 136
    .language:       OpenCL C
    .language_version:
      - 2
      - 0
    .max_flat_workgroup_size: 256
    .name:           _ZN12_GLOBAL__N_120geam_min_plus_kernelIDF16_Dv2_DF16_S1_Li8ELi32ELi64ELi256ELi4ELi64ELi4ELi64ELi4ELc78ELc84ELb0ELb1ELb1EPKDF16_KS3_KPDF16_EEviiiT16_PT17_ilS9_ilS7_S9_ilPT18_ili26rocblas_geam_ex_operation_
    .private_segment_fixed_size: 0
    .sgpr_count:     31
    .sgpr_spill_count: 0
    .symbol:         _ZN12_GLOBAL__N_120geam_min_plus_kernelIDF16_Dv2_DF16_S1_Li8ELi32ELi64ELi256ELi4ELi64ELi4ELi64ELi4ELc78ELc84ELb0ELb1ELb1EPKDF16_KS3_KPDF16_EEviiiT16_PT17_ilS9_ilS7_S9_ilPT18_ili26rocblas_geam_ex_operation_.kd
    .uniform_work_group_size: 1
    .uses_dynamic_stack: false
    .vgpr_count:     174
    .vgpr_spill_count: 0
    .wavefront_size: 32
    .workgroup_processor_mode: 1
  - .args:
      - .offset:         0
        .size:           4
        .value_kind:     by_value
      - .offset:         4
        .size:           4
        .value_kind:     by_value
      - .offset:         8
        .size:           4
        .value_kind:     by_value
      - .offset:         12
        .size:           2
        .value_kind:     by_value
      - .address_space:  global
        .offset:         16
        .size:           8
        .value_kind:     global_buffer
      - .offset:         24
        .size:           4
        .value_kind:     by_value
      - .offset:         32
        .size:           8
        .value_kind:     by_value
      - .address_space:  global
        .offset:         40
        .size:           8
        .value_kind:     global_buffer
      - .offset:         48
        .size:           4
        .value_kind:     by_value
      - .offset:         56
        .size:           8
        .value_kind:     by_value
      - .offset:         64
        .size:           2
        .value_kind:     by_value
      - .address_space:  global
        .offset:         72
        .size:           8
        .value_kind:     global_buffer
      - .offset:         80
        .size:           4
        .value_kind:     by_value
      - .offset:         88
        .size:           8
        .value_kind:     by_value
      - .address_space:  global
        .offset:         96
        .size:           8
        .value_kind:     global_buffer
      - .offset:         104
        .size:           4
        .value_kind:     by_value
      - .offset:         112
        .size:           8
        .value_kind:     by_value
      - .offset:         120
        .size:           4
        .value_kind:     by_value
      - .offset:         124
        .size:           4
        .value_kind:     by_value
    .group_segment_fixed_size: 5120
    .kernarg_segment_align: 8
    .kernarg_segment_size: 128
    .language:       OpenCL C
    .language_version:
      - 2
      - 0
    .max_flat_workgroup_size: 256
    .name:           _ZN12_GLOBAL__N_120geam_min_plus_kernelIDF16_Dv2_DF16_S1_Li8ELi32ELi64ELi256ELi4ELi64ELi4ELi64ELi4ELc78ELc84ELb1ELb1ELb1EDF16_KPKDF16_KPDF16_EEviiiT16_PT17_ilS9_ilS7_S9_ilPT18_ili26rocblas_geam_ex_operation_
    .private_segment_fixed_size: 0
    .sgpr_count:     30
    .sgpr_spill_count: 0
    .symbol:         _ZN12_GLOBAL__N_120geam_min_plus_kernelIDF16_Dv2_DF16_S1_Li8ELi32ELi64ELi256ELi4ELi64ELi4ELi64ELi4ELc78ELc84ELb1ELb1ELb1EDF16_KPKDF16_KPDF16_EEviiiT16_PT17_ilS9_ilS7_S9_ilPT18_ili26rocblas_geam_ex_operation_.kd
    .uniform_work_group_size: 1
    .uses_dynamic_stack: false
    .vgpr_count:     167
    .vgpr_spill_count: 0
    .wavefront_size: 32
    .workgroup_processor_mode: 1
  - .args:
      - .offset:         0
        .size:           4
        .value_kind:     by_value
      - .offset:         4
        .size:           4
        .value_kind:     by_value
      - .offset:         8
        .size:           4
        .value_kind:     by_value
      - .offset:         12
        .size:           2
        .value_kind:     by_value
      - .address_space:  global
        .offset:         16
        .size:           8
        .value_kind:     global_buffer
      - .offset:         24
        .size:           4
        .value_kind:     by_value
      - .offset:         32
        .size:           8
        .value_kind:     by_value
      - .address_space:  global
        .offset:         40
        .size:           8
        .value_kind:     global_buffer
      - .offset:         48
        .size:           4
        .value_kind:     by_value
      - .offset:         56
        .size:           8
        .value_kind:     by_value
      - .offset:         64
        .size:           2
        .value_kind:     by_value
      - .address_space:  global
        .offset:         72
        .size:           8
        .value_kind:     global_buffer
      - .offset:         80
        .size:           4
        .value_kind:     by_value
      - .offset:         88
        .size:           8
        .value_kind:     by_value
      - .address_space:  global
        .offset:         96
        .size:           8
        .value_kind:     global_buffer
      - .offset:         104
        .size:           4
        .value_kind:     by_value
      - .offset:         112
        .size:           8
        .value_kind:     by_value
      - .offset:         120
        .size:           4
        .value_kind:     by_value
      - .offset:         124
        .size:           4
        .value_kind:     by_value
    .group_segment_fixed_size: 5120
    .kernarg_segment_align: 8
    .kernarg_segment_size: 128
    .language:       OpenCL C
    .language_version:
      - 2
      - 0
    .max_flat_workgroup_size: 256
    .name:           _ZN12_GLOBAL__N_120geam_min_plus_kernelIDF16_Dv2_DF16_S1_Li8ELi32ELi64ELi256ELi4ELi64ELi4ELi64ELi4ELc78ELc84ELb0ELb1ELb1EDF16_KPKDF16_KPDF16_EEviiiT16_PT17_ilS9_ilS7_S9_ilPT18_ili26rocblas_geam_ex_operation_
    .private_segment_fixed_size: 0
    .sgpr_count:     33
    .sgpr_spill_count: 0
    .symbol:         _ZN12_GLOBAL__N_120geam_min_plus_kernelIDF16_Dv2_DF16_S1_Li8ELi32ELi64ELi256ELi4ELi64ELi4ELi64ELi4ELc78ELc84ELb0ELb1ELb1EDF16_KPKDF16_KPDF16_EEviiiT16_PT17_ilS9_ilS7_S9_ilPT18_ili26rocblas_geam_ex_operation_.kd
    .uniform_work_group_size: 1
    .uses_dynamic_stack: false
    .vgpr_count:     172
    .vgpr_spill_count: 0
    .wavefront_size: 32
    .workgroup_processor_mode: 1
  - .args:
      - .offset:         0
        .size:           4
        .value_kind:     by_value
      - .offset:         4
        .size:           4
        .value_kind:     by_value
      - .offset:         8
        .size:           4
        .value_kind:     by_value
      - .address_space:  global
        .offset:         16
        .size:           8
        .value_kind:     global_buffer
      - .address_space:  global
        .offset:         24
        .size:           8
        .value_kind:     global_buffer
      - .offset:         32
        .size:           4
        .value_kind:     by_value
      - .offset:         40
        .size:           8
        .value_kind:     by_value
      - .address_space:  global
        .offset:         48
        .size:           8
        .value_kind:     global_buffer
      - .offset:         56
        .size:           4
        .value_kind:     by_value
      - .offset:         64
        .size:           8
        .value_kind:     by_value
      - .address_space:  global
        .offset:         72
        .size:           8
        .value_kind:     global_buffer
      - .address_space:  global
        .offset:         80
        .size:           8
        .value_kind:     global_buffer
      - .offset:         88
        .size:           4
        .value_kind:     by_value
      - .offset:         96
        .size:           8
        .value_kind:     by_value
      - .address_space:  global
        .offset:         104
        .size:           8
        .value_kind:     global_buffer
      - .offset:         112
        .size:           4
        .value_kind:     by_value
      - .offset:         120
        .size:           8
        .value_kind:     by_value
      - .offset:         128
        .size:           4
        .value_kind:     by_value
      - .offset:         132
        .size:           4
        .value_kind:     by_value
    .group_segment_fixed_size: 5120
    .kernarg_segment_align: 8
    .kernarg_segment_size: 136
    .language:       OpenCL C
    .language_version:
      - 2
      - 0
    .max_flat_workgroup_size: 256
    .name:           _ZN12_GLOBAL__N_120geam_min_plus_kernelIDF16_Dv2_DF16_S1_Li8ELi32ELi64ELi256ELi4ELi4ELi64ELi64ELi4ELc84ELc84ELb0ELb0ELb1EPKDF16_KS3_KPDF16_EEviiiT16_PT17_ilS9_ilS7_S9_ilPT18_ili26rocblas_geam_ex_operation_
    .private_segment_fixed_size: 0
    .sgpr_count:     26
    .sgpr_spill_count: 0
    .symbol:         _ZN12_GLOBAL__N_120geam_min_plus_kernelIDF16_Dv2_DF16_S1_Li8ELi32ELi64ELi256ELi4ELi4ELi64ELi64ELi4ELc84ELc84ELb0ELb0ELb1EPKDF16_KS3_KPDF16_EEviiiT16_PT17_ilS9_ilS7_S9_ilPT18_ili26rocblas_geam_ex_operation_.kd
    .uniform_work_group_size: 1
    .uses_dynamic_stack: false
    .vgpr_count:     169
    .vgpr_spill_count: 0
    .wavefront_size: 32
    .workgroup_processor_mode: 1
  - .args:
      - .offset:         0
        .size:           4
        .value_kind:     by_value
      - .offset:         4
        .size:           4
        .value_kind:     by_value
      - .offset:         8
        .size:           4
        .value_kind:     by_value
      - .offset:         12
        .size:           2
        .value_kind:     by_value
      - .address_space:  global
        .offset:         16
        .size:           8
        .value_kind:     global_buffer
      - .offset:         24
        .size:           4
        .value_kind:     by_value
      - .offset:         32
        .size:           8
        .value_kind:     by_value
      - .address_space:  global
        .offset:         40
        .size:           8
        .value_kind:     global_buffer
      - .offset:         48
        .size:           4
        .value_kind:     by_value
      - .offset:         56
        .size:           8
        .value_kind:     by_value
      - .offset:         64
        .size:           2
        .value_kind:     by_value
      - .address_space:  global
        .offset:         72
        .size:           8
        .value_kind:     global_buffer
      - .offset:         80
        .size:           4
        .value_kind:     by_value
      - .offset:         88
        .size:           8
        .value_kind:     by_value
      - .address_space:  global
        .offset:         96
        .size:           8
        .value_kind:     global_buffer
      - .offset:         104
        .size:           4
        .value_kind:     by_value
      - .offset:         112
        .size:           8
        .value_kind:     by_value
      - .offset:         120
        .size:           4
        .value_kind:     by_value
      - .offset:         124
        .size:           4
        .value_kind:     by_value
    .group_segment_fixed_size: 5120
    .kernarg_segment_align: 8
    .kernarg_segment_size: 128
    .language:       OpenCL C
    .language_version:
      - 2
      - 0
    .max_flat_workgroup_size: 256
    .name:           _ZN12_GLOBAL__N_120geam_min_plus_kernelIDF16_Dv2_DF16_S1_Li8ELi32ELi64ELi256ELi4ELi4ELi64ELi64ELi4ELc84ELc84ELb1ELb0ELb1EDF16_KPKDF16_KPDF16_EEviiiT16_PT17_ilS9_ilS7_S9_ilPT18_ili26rocblas_geam_ex_operation_
    .private_segment_fixed_size: 176
    .sgpr_count:     30
    .sgpr_spill_count: 0
    .symbol:         _ZN12_GLOBAL__N_120geam_min_plus_kernelIDF16_Dv2_DF16_S1_Li8ELi32ELi64ELi256ELi4ELi4ELi64ELi64ELi4ELc84ELc84ELb1ELb0ELb1EDF16_KPKDF16_KPDF16_EEviiiT16_PT17_ilS9_ilS7_S9_ilPT18_ili26rocblas_geam_ex_operation_.kd
    .uniform_work_group_size: 1
    .uses_dynamic_stack: false
    .vgpr_count:     256
    .vgpr_spill_count: 43
    .wavefront_size: 32
    .workgroup_processor_mode: 1
  - .args:
      - .offset:         0
        .size:           4
        .value_kind:     by_value
      - .offset:         4
        .size:           4
        .value_kind:     by_value
      - .offset:         8
        .size:           4
        .value_kind:     by_value
      - .offset:         12
        .size:           2
        .value_kind:     by_value
      - .address_space:  global
        .offset:         16
        .size:           8
        .value_kind:     global_buffer
      - .offset:         24
        .size:           4
        .value_kind:     by_value
      - .offset:         32
        .size:           8
        .value_kind:     by_value
      - .address_space:  global
        .offset:         40
        .size:           8
        .value_kind:     global_buffer
      - .offset:         48
        .size:           4
        .value_kind:     by_value
      - .offset:         56
        .size:           8
        .value_kind:     by_value
      - .offset:         64
        .size:           2
        .value_kind:     by_value
      - .address_space:  global
        .offset:         72
        .size:           8
        .value_kind:     global_buffer
      - .offset:         80
        .size:           4
        .value_kind:     by_value
      - .offset:         88
        .size:           8
        .value_kind:     by_value
      - .address_space:  global
        .offset:         96
        .size:           8
        .value_kind:     global_buffer
      - .offset:         104
        .size:           4
        .value_kind:     by_value
      - .offset:         112
        .size:           8
        .value_kind:     by_value
      - .offset:         120
        .size:           4
        .value_kind:     by_value
      - .offset:         124
        .size:           4
        .value_kind:     by_value
    .group_segment_fixed_size: 5120
    .kernarg_segment_align: 8
    .kernarg_segment_size: 128
    .language:       OpenCL C
    .language_version:
      - 2
      - 0
    .max_flat_workgroup_size: 256
    .name:           _ZN12_GLOBAL__N_120geam_min_plus_kernelIDF16_Dv2_DF16_S1_Li8ELi32ELi64ELi256ELi4ELi4ELi64ELi64ELi4ELc84ELc84ELb0ELb0ELb1EDF16_KPKDF16_KPDF16_EEviiiT16_PT17_ilS9_ilS7_S9_ilPT18_ili26rocblas_geam_ex_operation_
    .private_segment_fixed_size: 0
    .sgpr_count:     28
    .sgpr_spill_count: 0
    .symbol:         _ZN12_GLOBAL__N_120geam_min_plus_kernelIDF16_Dv2_DF16_S1_Li8ELi32ELi64ELi256ELi4ELi4ELi64ELi64ELi4ELc84ELc84ELb0ELb0ELb1EDF16_KPKDF16_KPDF16_EEviiiT16_PT17_ilS9_ilS7_S9_ilPT18_ili26rocblas_geam_ex_operation_.kd
    .uniform_work_group_size: 1
    .uses_dynamic_stack: false
    .vgpr_count:     168
    .vgpr_spill_count: 0
    .wavefront_size: 32
    .workgroup_processor_mode: 1
  - .args:
      - .offset:         0
        .size:           4
        .value_kind:     by_value
      - .offset:         4
        .size:           4
        .value_kind:     by_value
      - .offset:         8
        .size:           4
        .value_kind:     by_value
      - .address_space:  global
        .offset:         16
        .size:           8
        .value_kind:     global_buffer
      - .address_space:  global
        .offset:         24
        .size:           8
        .value_kind:     global_buffer
      - .offset:         32
        .size:           4
        .value_kind:     by_value
      - .offset:         40
        .size:           8
        .value_kind:     by_value
      - .address_space:  global
        .offset:         48
        .size:           8
        .value_kind:     global_buffer
      - .offset:         56
        .size:           4
        .value_kind:     by_value
      - .offset:         64
        .size:           8
        .value_kind:     by_value
      - .address_space:  global
        .offset:         72
        .size:           8
        .value_kind:     global_buffer
      - .address_space:  global
        .offset:         80
        .size:           8
        .value_kind:     global_buffer
      - .offset:         88
        .size:           4
        .value_kind:     by_value
      - .offset:         96
        .size:           8
        .value_kind:     by_value
      - .address_space:  global
        .offset:         104
        .size:           8
        .value_kind:     global_buffer
      - .offset:         112
        .size:           4
        .value_kind:     by_value
      - .offset:         120
        .size:           8
        .value_kind:     by_value
      - .offset:         128
        .size:           4
        .value_kind:     by_value
      - .offset:         132
        .size:           4
        .value_kind:     by_value
    .group_segment_fixed_size: 5120
    .kernarg_segment_align: 8
    .kernarg_segment_size: 136
    .language:       OpenCL C
    .language_version:
      - 2
      - 0
    .max_flat_workgroup_size: 256
    .name:           _ZN12_GLOBAL__N_120geam_min_plus_kernelIDF16_Dv2_DF16_S1_Li8ELi32ELi64ELi256ELi4ELi4ELi64ELi64ELi4ELc84ELc84ELb0ELb1ELb1EPKDF16_KS3_KPDF16_EEviiiT16_PT17_ilS9_ilS7_S9_ilPT18_ili26rocblas_geam_ex_operation_
    .private_segment_fixed_size: 0
    .sgpr_count:     29
    .sgpr_spill_count: 0
    .symbol:         _ZN12_GLOBAL__N_120geam_min_plus_kernelIDF16_Dv2_DF16_S1_Li8ELi32ELi64ELi256ELi4ELi4ELi64ELi64ELi4ELc84ELc84ELb0ELb1ELb1EPKDF16_KS3_KPDF16_EEviiiT16_PT17_ilS9_ilS7_S9_ilPT18_ili26rocblas_geam_ex_operation_.kd
    .uniform_work_group_size: 1
    .uses_dynamic_stack: false
    .vgpr_count:     174
    .vgpr_spill_count: 0
    .wavefront_size: 32
    .workgroup_processor_mode: 1
  - .args:
      - .offset:         0
        .size:           4
        .value_kind:     by_value
      - .offset:         4
        .size:           4
        .value_kind:     by_value
      - .offset:         8
        .size:           4
        .value_kind:     by_value
      - .offset:         12
        .size:           2
        .value_kind:     by_value
      - .address_space:  global
        .offset:         16
        .size:           8
        .value_kind:     global_buffer
      - .offset:         24
        .size:           4
        .value_kind:     by_value
      - .offset:         32
        .size:           8
        .value_kind:     by_value
      - .address_space:  global
        .offset:         40
        .size:           8
        .value_kind:     global_buffer
      - .offset:         48
        .size:           4
        .value_kind:     by_value
      - .offset:         56
        .size:           8
        .value_kind:     by_value
      - .offset:         64
        .size:           2
        .value_kind:     by_value
      - .address_space:  global
        .offset:         72
        .size:           8
        .value_kind:     global_buffer
      - .offset:         80
        .size:           4
        .value_kind:     by_value
      - .offset:         88
        .size:           8
        .value_kind:     by_value
      - .address_space:  global
        .offset:         96
        .size:           8
        .value_kind:     global_buffer
      - .offset:         104
        .size:           4
        .value_kind:     by_value
      - .offset:         112
        .size:           8
        .value_kind:     by_value
      - .offset:         120
        .size:           4
        .value_kind:     by_value
      - .offset:         124
        .size:           4
        .value_kind:     by_value
    .group_segment_fixed_size: 5120
    .kernarg_segment_align: 8
    .kernarg_segment_size: 128
    .language:       OpenCL C
    .language_version:
      - 2
      - 0
    .max_flat_workgroup_size: 256
    .name:           _ZN12_GLOBAL__N_120geam_min_plus_kernelIDF16_Dv2_DF16_S1_Li8ELi32ELi64ELi256ELi4ELi4ELi64ELi64ELi4ELc84ELc84ELb1ELb1ELb1EDF16_KPKDF16_KPDF16_EEviiiT16_PT17_ilS9_ilS7_S9_ilPT18_ili26rocblas_geam_ex_operation_
    .private_segment_fixed_size: 0
    .sgpr_count:     31
    .sgpr_spill_count: 0
    .symbol:         _ZN12_GLOBAL__N_120geam_min_plus_kernelIDF16_Dv2_DF16_S1_Li8ELi32ELi64ELi256ELi4ELi4ELi64ELi64ELi4ELc84ELc84ELb1ELb1ELb1EDF16_KPKDF16_KPDF16_EEviiiT16_PT17_ilS9_ilS7_S9_ilPT18_ili26rocblas_geam_ex_operation_.kd
    .uniform_work_group_size: 1
    .uses_dynamic_stack: false
    .vgpr_count:     168
    .vgpr_spill_count: 0
    .wavefront_size: 32
    .workgroup_processor_mode: 1
  - .args:
      - .offset:         0
        .size:           4
        .value_kind:     by_value
      - .offset:         4
        .size:           4
        .value_kind:     by_value
      - .offset:         8
        .size:           4
        .value_kind:     by_value
      - .offset:         12
        .size:           2
        .value_kind:     by_value
      - .address_space:  global
        .offset:         16
        .size:           8
        .value_kind:     global_buffer
      - .offset:         24
        .size:           4
        .value_kind:     by_value
      - .offset:         32
        .size:           8
        .value_kind:     by_value
      - .address_space:  global
        .offset:         40
        .size:           8
        .value_kind:     global_buffer
      - .offset:         48
        .size:           4
        .value_kind:     by_value
      - .offset:         56
        .size:           8
        .value_kind:     by_value
      - .offset:         64
        .size:           2
        .value_kind:     by_value
      - .address_space:  global
        .offset:         72
        .size:           8
        .value_kind:     global_buffer
      - .offset:         80
        .size:           4
        .value_kind:     by_value
      - .offset:         88
        .size:           8
        .value_kind:     by_value
      - .address_space:  global
        .offset:         96
        .size:           8
        .value_kind:     global_buffer
      - .offset:         104
        .size:           4
        .value_kind:     by_value
      - .offset:         112
        .size:           8
        .value_kind:     by_value
      - .offset:         120
        .size:           4
        .value_kind:     by_value
      - .offset:         124
        .size:           4
        .value_kind:     by_value
    .group_segment_fixed_size: 5120
    .kernarg_segment_align: 8
    .kernarg_segment_size: 128
    .language:       OpenCL C
    .language_version:
      - 2
      - 0
    .max_flat_workgroup_size: 256
    .name:           _ZN12_GLOBAL__N_120geam_min_plus_kernelIDF16_Dv2_DF16_S1_Li8ELi32ELi64ELi256ELi4ELi4ELi64ELi64ELi4ELc84ELc84ELb0ELb1ELb1EDF16_KPKDF16_KPDF16_EEviiiT16_PT17_ilS9_ilS7_S9_ilPT18_ili26rocblas_geam_ex_operation_
    .private_segment_fixed_size: 0
    .sgpr_count:     31
    .sgpr_spill_count: 0
    .symbol:         _ZN12_GLOBAL__N_120geam_min_plus_kernelIDF16_Dv2_DF16_S1_Li8ELi32ELi64ELi256ELi4ELi4ELi64ELi64ELi4ELc84ELc84ELb0ELb1ELb1EDF16_KPKDF16_KPDF16_EEviiiT16_PT17_ilS9_ilS7_S9_ilPT18_ili26rocblas_geam_ex_operation_.kd
    .uniform_work_group_size: 1
    .uses_dynamic_stack: false
    .vgpr_count:     172
    .vgpr_spill_count: 0
    .wavefront_size: 32
    .workgroup_processor_mode: 1
  - .args:
      - .offset:         0
        .size:           4
        .value_kind:     by_value
      - .offset:         4
        .size:           4
        .value_kind:     by_value
      - .offset:         8
        .size:           4
        .value_kind:     by_value
      - .address_space:  global
        .offset:         16
        .size:           8
        .value_kind:     global_buffer
      - .address_space:  global
        .offset:         24
        .size:           8
        .value_kind:     global_buffer
      - .offset:         32
        .size:           4
        .value_kind:     by_value
      - .offset:         40
        .size:           8
        .value_kind:     by_value
      - .address_space:  global
        .offset:         48
        .size:           8
        .value_kind:     global_buffer
      - .offset:         56
        .size:           4
        .value_kind:     by_value
      - .offset:         64
        .size:           8
        .value_kind:     by_value
      - .address_space:  global
        .offset:         72
        .size:           8
        .value_kind:     global_buffer
      - .address_space:  global
        .offset:         80
        .size:           8
        .value_kind:     global_buffer
      - .offset:         88
        .size:           4
        .value_kind:     by_value
      - .offset:         96
        .size:           8
        .value_kind:     by_value
      - .address_space:  global
        .offset:         104
        .size:           8
        .value_kind:     global_buffer
      - .offset:         112
        .size:           4
        .value_kind:     by_value
      - .offset:         120
        .size:           8
        .value_kind:     by_value
      - .offset:         128
        .size:           4
        .value_kind:     by_value
      - .offset:         132
        .size:           4
        .value_kind:     by_value
    .group_segment_fixed_size: 3072
    .kernarg_segment_align: 8
    .kernarg_segment_size: 136
    .language:       OpenCL C
    .language_version:
      - 2
      - 0
    .max_flat_workgroup_size: 256
    .name:           _ZN12_GLOBAL__N_120geam_min_plus_kernelIDF16_Dv2_DF16_S1_Li8ELi32ELi64ELi128ELi4ELi64ELi4ELi4ELi64ELc78ELc78ELb0ELb0ELb0EPKDF16_KS3_KPDF16_EEviiiT16_PT17_ilS9_ilS7_S9_ilPT18_ili26rocblas_geam_ex_operation_
    .private_segment_fixed_size: 0
    .sgpr_count:     28
    .sgpr_spill_count: 0
    .symbol:         _ZN12_GLOBAL__N_120geam_min_plus_kernelIDF16_Dv2_DF16_S1_Li8ELi32ELi64ELi128ELi4ELi64ELi4ELi4ELi64ELc78ELc78ELb0ELb0ELb0EPKDF16_KS3_KPDF16_EEviiiT16_PT17_ilS9_ilS7_S9_ilPT18_ili26rocblas_geam_ex_operation_.kd
    .uniform_work_group_size: 1
    .uses_dynamic_stack: false
    .vgpr_count:     129
    .vgpr_spill_count: 0
    .wavefront_size: 32
    .workgroup_processor_mode: 1
  - .args:
      - .offset:         0
        .size:           4
        .value_kind:     by_value
      - .offset:         4
        .size:           4
        .value_kind:     by_value
      - .offset:         8
        .size:           4
        .value_kind:     by_value
      - .offset:         12
        .size:           2
        .value_kind:     by_value
      - .address_space:  global
        .offset:         16
        .size:           8
        .value_kind:     global_buffer
      - .offset:         24
        .size:           4
        .value_kind:     by_value
      - .offset:         32
        .size:           8
        .value_kind:     by_value
      - .address_space:  global
        .offset:         40
        .size:           8
        .value_kind:     global_buffer
      - .offset:         48
        .size:           4
        .value_kind:     by_value
      - .offset:         56
        .size:           8
        .value_kind:     by_value
      - .offset:         64
        .size:           2
        .value_kind:     by_value
      - .address_space:  global
        .offset:         72
        .size:           8
        .value_kind:     global_buffer
      - .offset:         80
        .size:           4
        .value_kind:     by_value
      - .offset:         88
        .size:           8
        .value_kind:     by_value
      - .address_space:  global
        .offset:         96
        .size:           8
        .value_kind:     global_buffer
      - .offset:         104
        .size:           4
        .value_kind:     by_value
      - .offset:         112
        .size:           8
        .value_kind:     by_value
      - .offset:         120
        .size:           4
        .value_kind:     by_value
      - .offset:         124
        .size:           4
        .value_kind:     by_value
    .group_segment_fixed_size: 3072
    .kernarg_segment_align: 8
    .kernarg_segment_size: 128
    .language:       OpenCL C
    .language_version:
      - 2
      - 0
    .max_flat_workgroup_size: 256
    .name:           _ZN12_GLOBAL__N_120geam_min_plus_kernelIDF16_Dv2_DF16_S1_Li8ELi32ELi64ELi128ELi4ELi64ELi4ELi4ELi64ELc78ELc78ELb1ELb0ELb0EDF16_KPKDF16_KPDF16_EEviiiT16_PT17_ilS9_ilS7_S9_ilPT18_ili26rocblas_geam_ex_operation_
    .private_segment_fixed_size: 0
    .sgpr_count:     22
    .sgpr_spill_count: 0
    .symbol:         _ZN12_GLOBAL__N_120geam_min_plus_kernelIDF16_Dv2_DF16_S1_Li8ELi32ELi64ELi128ELi4ELi64ELi4ELi4ELi64ELc78ELc78ELb1ELb0ELb0EDF16_KPKDF16_KPDF16_EEviiiT16_PT17_ilS9_ilS7_S9_ilPT18_ili26rocblas_geam_ex_operation_.kd
    .uniform_work_group_size: 1
    .uses_dynamic_stack: false
    .vgpr_count:     122
    .vgpr_spill_count: 0
    .wavefront_size: 32
    .workgroup_processor_mode: 1
  - .args:
      - .offset:         0
        .size:           4
        .value_kind:     by_value
      - .offset:         4
        .size:           4
        .value_kind:     by_value
      - .offset:         8
        .size:           4
        .value_kind:     by_value
      - .offset:         12
        .size:           2
        .value_kind:     by_value
      - .address_space:  global
        .offset:         16
        .size:           8
        .value_kind:     global_buffer
      - .offset:         24
        .size:           4
        .value_kind:     by_value
      - .offset:         32
        .size:           8
        .value_kind:     by_value
      - .address_space:  global
        .offset:         40
        .size:           8
        .value_kind:     global_buffer
      - .offset:         48
        .size:           4
        .value_kind:     by_value
      - .offset:         56
        .size:           8
        .value_kind:     by_value
      - .offset:         64
        .size:           2
        .value_kind:     by_value
      - .address_space:  global
        .offset:         72
        .size:           8
        .value_kind:     global_buffer
      - .offset:         80
        .size:           4
        .value_kind:     by_value
      - .offset:         88
        .size:           8
        .value_kind:     by_value
      - .address_space:  global
        .offset:         96
        .size:           8
        .value_kind:     global_buffer
      - .offset:         104
        .size:           4
        .value_kind:     by_value
      - .offset:         112
        .size:           8
        .value_kind:     by_value
      - .offset:         120
        .size:           4
        .value_kind:     by_value
      - .offset:         124
        .size:           4
        .value_kind:     by_value
    .group_segment_fixed_size: 3072
    .kernarg_segment_align: 8
    .kernarg_segment_size: 128
    .language:       OpenCL C
    .language_version:
      - 2
      - 0
    .max_flat_workgroup_size: 256
    .name:           _ZN12_GLOBAL__N_120geam_min_plus_kernelIDF16_Dv2_DF16_S1_Li8ELi32ELi64ELi128ELi4ELi64ELi4ELi4ELi64ELc78ELc78ELb0ELb0ELb0EDF16_KPKDF16_KPDF16_EEviiiT16_PT17_ilS9_ilS7_S9_ilPT18_ili26rocblas_geam_ex_operation_
    .private_segment_fixed_size: 0
    .sgpr_count:     26
    .sgpr_spill_count: 0
    .symbol:         _ZN12_GLOBAL__N_120geam_min_plus_kernelIDF16_Dv2_DF16_S1_Li8ELi32ELi64ELi128ELi4ELi64ELi4ELi4ELi64ELc78ELc78ELb0ELb0ELb0EDF16_KPKDF16_KPDF16_EEviiiT16_PT17_ilS9_ilS7_S9_ilPT18_ili26rocblas_geam_ex_operation_.kd
    .uniform_work_group_size: 1
    .uses_dynamic_stack: false
    .vgpr_count:     127
    .vgpr_spill_count: 0
    .wavefront_size: 32
    .workgroup_processor_mode: 1
  - .args:
      - .offset:         0
        .size:           4
        .value_kind:     by_value
      - .offset:         4
        .size:           4
        .value_kind:     by_value
      - .offset:         8
        .size:           4
        .value_kind:     by_value
      - .address_space:  global
        .offset:         16
        .size:           8
        .value_kind:     global_buffer
      - .address_space:  global
        .offset:         24
        .size:           8
        .value_kind:     global_buffer
      - .offset:         32
        .size:           4
        .value_kind:     by_value
      - .offset:         40
        .size:           8
        .value_kind:     by_value
      - .address_space:  global
        .offset:         48
        .size:           8
        .value_kind:     global_buffer
      - .offset:         56
        .size:           4
        .value_kind:     by_value
      - .offset:         64
        .size:           8
        .value_kind:     by_value
      - .address_space:  global
        .offset:         72
        .size:           8
        .value_kind:     global_buffer
      - .address_space:  global
        .offset:         80
        .size:           8
        .value_kind:     global_buffer
      - .offset:         88
        .size:           4
        .value_kind:     by_value
      - .offset:         96
        .size:           8
        .value_kind:     by_value
      - .address_space:  global
        .offset:         104
        .size:           8
        .value_kind:     global_buffer
      - .offset:         112
        .size:           4
        .value_kind:     by_value
      - .offset:         120
        .size:           8
        .value_kind:     by_value
      - .offset:         128
        .size:           4
        .value_kind:     by_value
      - .offset:         132
        .size:           4
        .value_kind:     by_value
    .group_segment_fixed_size: 3072
    .kernarg_segment_align: 8
    .kernarg_segment_size: 136
    .language:       OpenCL C
    .language_version:
      - 2
      - 0
    .max_flat_workgroup_size: 256
    .name:           _ZN12_GLOBAL__N_120geam_min_plus_kernelIDF16_Dv2_DF16_S1_Li8ELi32ELi64ELi128ELi4ELi64ELi4ELi4ELi64ELc78ELc78ELb0ELb1ELb0EPKDF16_KS3_KPDF16_EEviiiT16_PT17_ilS9_ilS7_S9_ilPT18_ili26rocblas_geam_ex_operation_
    .private_segment_fixed_size: 0
    .sgpr_count:     29
    .sgpr_spill_count: 0
    .symbol:         _ZN12_GLOBAL__N_120geam_min_plus_kernelIDF16_Dv2_DF16_S1_Li8ELi32ELi64ELi128ELi4ELi64ELi4ELi4ELi64ELc78ELc78ELb0ELb1ELb0EPKDF16_KS3_KPDF16_EEviiiT16_PT17_ilS9_ilS7_S9_ilPT18_ili26rocblas_geam_ex_operation_.kd
    .uniform_work_group_size: 1
    .uses_dynamic_stack: false
    .vgpr_count:     126
    .vgpr_spill_count: 0
    .wavefront_size: 32
    .workgroup_processor_mode: 1
  - .args:
      - .offset:         0
        .size:           4
        .value_kind:     by_value
      - .offset:         4
        .size:           4
        .value_kind:     by_value
      - .offset:         8
        .size:           4
        .value_kind:     by_value
      - .offset:         12
        .size:           2
        .value_kind:     by_value
      - .address_space:  global
        .offset:         16
        .size:           8
        .value_kind:     global_buffer
      - .offset:         24
        .size:           4
        .value_kind:     by_value
      - .offset:         32
        .size:           8
        .value_kind:     by_value
      - .address_space:  global
        .offset:         40
        .size:           8
        .value_kind:     global_buffer
      - .offset:         48
        .size:           4
        .value_kind:     by_value
      - .offset:         56
        .size:           8
        .value_kind:     by_value
      - .offset:         64
        .size:           2
        .value_kind:     by_value
      - .address_space:  global
        .offset:         72
        .size:           8
        .value_kind:     global_buffer
      - .offset:         80
        .size:           4
        .value_kind:     by_value
      - .offset:         88
        .size:           8
        .value_kind:     by_value
      - .address_space:  global
        .offset:         96
        .size:           8
        .value_kind:     global_buffer
      - .offset:         104
        .size:           4
        .value_kind:     by_value
      - .offset:         112
        .size:           8
        .value_kind:     by_value
      - .offset:         120
        .size:           4
        .value_kind:     by_value
      - .offset:         124
        .size:           4
        .value_kind:     by_value
    .group_segment_fixed_size: 3072
    .kernarg_segment_align: 8
    .kernarg_segment_size: 128
    .language:       OpenCL C
    .language_version:
      - 2
      - 0
    .max_flat_workgroup_size: 256
    .name:           _ZN12_GLOBAL__N_120geam_min_plus_kernelIDF16_Dv2_DF16_S1_Li8ELi32ELi64ELi128ELi4ELi64ELi4ELi4ELi64ELc78ELc78ELb1ELb1ELb0EDF16_KPKDF16_KPDF16_EEviiiT16_PT17_ilS9_ilS7_S9_ilPT18_ili26rocblas_geam_ex_operation_
    .private_segment_fixed_size: 0
    .sgpr_count:     28
    .sgpr_spill_count: 0
    .symbol:         _ZN12_GLOBAL__N_120geam_min_plus_kernelIDF16_Dv2_DF16_S1_Li8ELi32ELi64ELi128ELi4ELi64ELi4ELi4ELi64ELc78ELc78ELb1ELb1ELb0EDF16_KPKDF16_KPDF16_EEviiiT16_PT17_ilS9_ilS7_S9_ilPT18_ili26rocblas_geam_ex_operation_.kd
    .uniform_work_group_size: 1
    .uses_dynamic_stack: false
    .vgpr_count:     125
    .vgpr_spill_count: 0
    .wavefront_size: 32
    .workgroup_processor_mode: 1
  - .args:
      - .offset:         0
        .size:           4
        .value_kind:     by_value
      - .offset:         4
        .size:           4
        .value_kind:     by_value
      - .offset:         8
        .size:           4
        .value_kind:     by_value
      - .offset:         12
        .size:           2
        .value_kind:     by_value
      - .address_space:  global
        .offset:         16
        .size:           8
        .value_kind:     global_buffer
      - .offset:         24
        .size:           4
        .value_kind:     by_value
      - .offset:         32
        .size:           8
        .value_kind:     by_value
      - .address_space:  global
        .offset:         40
        .size:           8
        .value_kind:     global_buffer
      - .offset:         48
        .size:           4
        .value_kind:     by_value
      - .offset:         56
        .size:           8
        .value_kind:     by_value
      - .offset:         64
        .size:           2
        .value_kind:     by_value
      - .address_space:  global
        .offset:         72
        .size:           8
        .value_kind:     global_buffer
      - .offset:         80
        .size:           4
        .value_kind:     by_value
      - .offset:         88
        .size:           8
        .value_kind:     by_value
      - .address_space:  global
        .offset:         96
        .size:           8
        .value_kind:     global_buffer
      - .offset:         104
        .size:           4
        .value_kind:     by_value
      - .offset:         112
        .size:           8
        .value_kind:     by_value
      - .offset:         120
        .size:           4
        .value_kind:     by_value
      - .offset:         124
        .size:           4
        .value_kind:     by_value
    .group_segment_fixed_size: 3072
    .kernarg_segment_align: 8
    .kernarg_segment_size: 128
    .language:       OpenCL C
    .language_version:
      - 2
      - 0
    .max_flat_workgroup_size: 256
    .name:           _ZN12_GLOBAL__N_120geam_min_plus_kernelIDF16_Dv2_DF16_S1_Li8ELi32ELi64ELi128ELi4ELi64ELi4ELi4ELi64ELc78ELc78ELb0ELb1ELb0EDF16_KPKDF16_KPDF16_EEviiiT16_PT17_ilS9_ilS7_S9_ilPT18_ili26rocblas_geam_ex_operation_
    .private_segment_fixed_size: 0
    .sgpr_count:     32
    .sgpr_spill_count: 0
    .symbol:         _ZN12_GLOBAL__N_120geam_min_plus_kernelIDF16_Dv2_DF16_S1_Li8ELi32ELi64ELi128ELi4ELi64ELi4ELi4ELi64ELc78ELc78ELb0ELb1ELb0EDF16_KPKDF16_KPDF16_EEviiiT16_PT17_ilS9_ilS7_S9_ilPT18_ili26rocblas_geam_ex_operation_.kd
    .uniform_work_group_size: 1
    .uses_dynamic_stack: false
    .vgpr_count:     124
    .vgpr_spill_count: 0
    .wavefront_size: 32
    .workgroup_processor_mode: 1
  - .args:
      - .offset:         0
        .size:           4
        .value_kind:     by_value
      - .offset:         4
        .size:           4
        .value_kind:     by_value
      - .offset:         8
        .size:           4
        .value_kind:     by_value
      - .address_space:  global
        .offset:         16
        .size:           8
        .value_kind:     global_buffer
      - .address_space:  global
        .offset:         24
        .size:           8
        .value_kind:     global_buffer
      - .offset:         32
        .size:           4
        .value_kind:     by_value
      - .offset:         40
        .size:           8
        .value_kind:     by_value
      - .address_space:  global
        .offset:         48
        .size:           8
        .value_kind:     global_buffer
      - .offset:         56
        .size:           4
        .value_kind:     by_value
      - .offset:         64
        .size:           8
        .value_kind:     by_value
      - .address_space:  global
        .offset:         72
        .size:           8
        .value_kind:     global_buffer
      - .address_space:  global
        .offset:         80
        .size:           8
        .value_kind:     global_buffer
      - .offset:         88
        .size:           4
        .value_kind:     by_value
      - .offset:         96
        .size:           8
        .value_kind:     by_value
      - .address_space:  global
        .offset:         104
        .size:           8
        .value_kind:     global_buffer
      - .offset:         112
        .size:           4
        .value_kind:     by_value
      - .offset:         120
        .size:           8
        .value_kind:     by_value
      - .offset:         128
        .size:           4
        .value_kind:     by_value
      - .offset:         132
        .size:           4
        .value_kind:     by_value
    .group_segment_fixed_size: 3072
    .kernarg_segment_align: 8
    .kernarg_segment_size: 136
    .language:       OpenCL C
    .language_version:
      - 2
      - 0
    .max_flat_workgroup_size: 256
    .name:           _ZN12_GLOBAL__N_120geam_min_plus_kernelIDF16_Dv2_DF16_S1_Li8ELi32ELi64ELi128ELi4ELi4ELi64ELi4ELi64ELc84ELc78ELb0ELb0ELb0EPKDF16_KS3_KPDF16_EEviiiT16_PT17_ilS9_ilS7_S9_ilPT18_ili26rocblas_geam_ex_operation_
    .private_segment_fixed_size: 0
    .sgpr_count:     28
    .sgpr_spill_count: 0
    .symbol:         _ZN12_GLOBAL__N_120geam_min_plus_kernelIDF16_Dv2_DF16_S1_Li8ELi32ELi64ELi128ELi4ELi4ELi64ELi4ELi64ELc84ELc78ELb0ELb0ELb0EPKDF16_KS3_KPDF16_EEviiiT16_PT17_ilS9_ilS7_S9_ilPT18_ili26rocblas_geam_ex_operation_.kd
    .uniform_work_group_size: 1
    .uses_dynamic_stack: false
    .vgpr_count:     124
    .vgpr_spill_count: 0
    .wavefront_size: 32
    .workgroup_processor_mode: 1
  - .args:
      - .offset:         0
        .size:           4
        .value_kind:     by_value
      - .offset:         4
        .size:           4
        .value_kind:     by_value
      - .offset:         8
        .size:           4
        .value_kind:     by_value
      - .offset:         12
        .size:           2
        .value_kind:     by_value
      - .address_space:  global
        .offset:         16
        .size:           8
        .value_kind:     global_buffer
      - .offset:         24
        .size:           4
        .value_kind:     by_value
      - .offset:         32
        .size:           8
        .value_kind:     by_value
      - .address_space:  global
        .offset:         40
        .size:           8
        .value_kind:     global_buffer
      - .offset:         48
        .size:           4
        .value_kind:     by_value
      - .offset:         56
        .size:           8
        .value_kind:     by_value
      - .offset:         64
        .size:           2
        .value_kind:     by_value
      - .address_space:  global
        .offset:         72
        .size:           8
        .value_kind:     global_buffer
      - .offset:         80
        .size:           4
        .value_kind:     by_value
      - .offset:         88
        .size:           8
        .value_kind:     by_value
      - .address_space:  global
        .offset:         96
        .size:           8
        .value_kind:     global_buffer
      - .offset:         104
        .size:           4
        .value_kind:     by_value
      - .offset:         112
        .size:           8
        .value_kind:     by_value
      - .offset:         120
        .size:           4
        .value_kind:     by_value
      - .offset:         124
        .size:           4
        .value_kind:     by_value
    .group_segment_fixed_size: 3072
    .kernarg_segment_align: 8
    .kernarg_segment_size: 128
    .language:       OpenCL C
    .language_version:
      - 2
      - 0
    .max_flat_workgroup_size: 256
    .name:           _ZN12_GLOBAL__N_120geam_min_plus_kernelIDF16_Dv2_DF16_S1_Li8ELi32ELi64ELi128ELi4ELi4ELi64ELi4ELi64ELc84ELc78ELb1ELb0ELb0EDF16_KPKDF16_KPDF16_EEviiiT16_PT17_ilS9_ilS7_S9_ilPT18_ili26rocblas_geam_ex_operation_
    .private_segment_fixed_size: 0
    .sgpr_count:     22
    .sgpr_spill_count: 0
    .symbol:         _ZN12_GLOBAL__N_120geam_min_plus_kernelIDF16_Dv2_DF16_S1_Li8ELi32ELi64ELi128ELi4ELi4ELi64ELi4ELi64ELc84ELc78ELb1ELb0ELb0EDF16_KPKDF16_KPDF16_EEviiiT16_PT17_ilS9_ilS7_S9_ilPT18_ili26rocblas_geam_ex_operation_.kd
    .uniform_work_group_size: 1
    .uses_dynamic_stack: false
    .vgpr_count:     121
    .vgpr_spill_count: 0
    .wavefront_size: 32
    .workgroup_processor_mode: 1
  - .args:
      - .offset:         0
        .size:           4
        .value_kind:     by_value
      - .offset:         4
        .size:           4
        .value_kind:     by_value
      - .offset:         8
        .size:           4
        .value_kind:     by_value
      - .offset:         12
        .size:           2
        .value_kind:     by_value
      - .address_space:  global
        .offset:         16
        .size:           8
        .value_kind:     global_buffer
      - .offset:         24
        .size:           4
        .value_kind:     by_value
      - .offset:         32
        .size:           8
        .value_kind:     by_value
      - .address_space:  global
        .offset:         40
        .size:           8
        .value_kind:     global_buffer
      - .offset:         48
        .size:           4
        .value_kind:     by_value
      - .offset:         56
        .size:           8
        .value_kind:     by_value
      - .offset:         64
        .size:           2
        .value_kind:     by_value
      - .address_space:  global
        .offset:         72
        .size:           8
        .value_kind:     global_buffer
      - .offset:         80
        .size:           4
        .value_kind:     by_value
      - .offset:         88
        .size:           8
        .value_kind:     by_value
      - .address_space:  global
        .offset:         96
        .size:           8
        .value_kind:     global_buffer
      - .offset:         104
        .size:           4
        .value_kind:     by_value
      - .offset:         112
        .size:           8
        .value_kind:     by_value
      - .offset:         120
        .size:           4
        .value_kind:     by_value
      - .offset:         124
        .size:           4
        .value_kind:     by_value
    .group_segment_fixed_size: 3072
    .kernarg_segment_align: 8
    .kernarg_segment_size: 128
    .language:       OpenCL C
    .language_version:
      - 2
      - 0
    .max_flat_workgroup_size: 256
    .name:           _ZN12_GLOBAL__N_120geam_min_plus_kernelIDF16_Dv2_DF16_S1_Li8ELi32ELi64ELi128ELi4ELi4ELi64ELi4ELi64ELc84ELc78ELb0ELb0ELb0EDF16_KPKDF16_KPDF16_EEviiiT16_PT17_ilS9_ilS7_S9_ilPT18_ili26rocblas_geam_ex_operation_
    .private_segment_fixed_size: 0
    .sgpr_count:     26
    .sgpr_spill_count: 0
    .symbol:         _ZN12_GLOBAL__N_120geam_min_plus_kernelIDF16_Dv2_DF16_S1_Li8ELi32ELi64ELi128ELi4ELi4ELi64ELi4ELi64ELc84ELc78ELb0ELb0ELb0EDF16_KPKDF16_KPDF16_EEviiiT16_PT17_ilS9_ilS7_S9_ilPT18_ili26rocblas_geam_ex_operation_.kd
    .uniform_work_group_size: 1
    .uses_dynamic_stack: false
    .vgpr_count:     122
    .vgpr_spill_count: 0
    .wavefront_size: 32
    .workgroup_processor_mode: 1
  - .args:
      - .offset:         0
        .size:           4
        .value_kind:     by_value
      - .offset:         4
        .size:           4
        .value_kind:     by_value
      - .offset:         8
        .size:           4
        .value_kind:     by_value
      - .address_space:  global
        .offset:         16
        .size:           8
        .value_kind:     global_buffer
      - .address_space:  global
        .offset:         24
        .size:           8
        .value_kind:     global_buffer
      - .offset:         32
        .size:           4
        .value_kind:     by_value
      - .offset:         40
        .size:           8
        .value_kind:     by_value
      - .address_space:  global
        .offset:         48
        .size:           8
        .value_kind:     global_buffer
      - .offset:         56
        .size:           4
        .value_kind:     by_value
      - .offset:         64
        .size:           8
        .value_kind:     by_value
      - .address_space:  global
        .offset:         72
        .size:           8
        .value_kind:     global_buffer
      - .address_space:  global
        .offset:         80
        .size:           8
        .value_kind:     global_buffer
      - .offset:         88
        .size:           4
        .value_kind:     by_value
      - .offset:         96
        .size:           8
        .value_kind:     by_value
      - .address_space:  global
        .offset:         104
        .size:           8
        .value_kind:     global_buffer
      - .offset:         112
        .size:           4
        .value_kind:     by_value
      - .offset:         120
        .size:           8
        .value_kind:     by_value
      - .offset:         128
        .size:           4
        .value_kind:     by_value
      - .offset:         132
        .size:           4
        .value_kind:     by_value
    .group_segment_fixed_size: 3072
    .kernarg_segment_align: 8
    .kernarg_segment_size: 136
    .language:       OpenCL C
    .language_version:
      - 2
      - 0
    .max_flat_workgroup_size: 256
    .name:           _ZN12_GLOBAL__N_120geam_min_plus_kernelIDF16_Dv2_DF16_S1_Li8ELi32ELi64ELi128ELi4ELi4ELi64ELi4ELi64ELc84ELc78ELb0ELb1ELb0EPKDF16_KS3_KPDF16_EEviiiT16_PT17_ilS9_ilS7_S9_ilPT18_ili26rocblas_geam_ex_operation_
    .private_segment_fixed_size: 0
    .sgpr_count:     30
    .sgpr_spill_count: 0
    .symbol:         _ZN12_GLOBAL__N_120geam_min_plus_kernelIDF16_Dv2_DF16_S1_Li8ELi32ELi64ELi128ELi4ELi4ELi64ELi4ELi64ELc84ELc78ELb0ELb1ELb0EPKDF16_KS3_KPDF16_EEviiiT16_PT17_ilS9_ilS7_S9_ilPT18_ili26rocblas_geam_ex_operation_.kd
    .uniform_work_group_size: 1
    .uses_dynamic_stack: false
    .vgpr_count:     121
    .vgpr_spill_count: 0
    .wavefront_size: 32
    .workgroup_processor_mode: 1
  - .args:
      - .offset:         0
        .size:           4
        .value_kind:     by_value
      - .offset:         4
        .size:           4
        .value_kind:     by_value
      - .offset:         8
        .size:           4
        .value_kind:     by_value
      - .offset:         12
        .size:           2
        .value_kind:     by_value
      - .address_space:  global
        .offset:         16
        .size:           8
        .value_kind:     global_buffer
      - .offset:         24
        .size:           4
        .value_kind:     by_value
      - .offset:         32
        .size:           8
        .value_kind:     by_value
      - .address_space:  global
        .offset:         40
        .size:           8
        .value_kind:     global_buffer
      - .offset:         48
        .size:           4
        .value_kind:     by_value
      - .offset:         56
        .size:           8
        .value_kind:     by_value
      - .offset:         64
        .size:           2
        .value_kind:     by_value
      - .address_space:  global
        .offset:         72
        .size:           8
        .value_kind:     global_buffer
      - .offset:         80
        .size:           4
        .value_kind:     by_value
      - .offset:         88
        .size:           8
        .value_kind:     by_value
      - .address_space:  global
        .offset:         96
        .size:           8
        .value_kind:     global_buffer
      - .offset:         104
        .size:           4
        .value_kind:     by_value
      - .offset:         112
        .size:           8
        .value_kind:     by_value
      - .offset:         120
        .size:           4
        .value_kind:     by_value
      - .offset:         124
        .size:           4
        .value_kind:     by_value
    .group_segment_fixed_size: 3072
    .kernarg_segment_align: 8
    .kernarg_segment_size: 128
    .language:       OpenCL C
    .language_version:
      - 2
      - 0
    .max_flat_workgroup_size: 256
    .name:           _ZN12_GLOBAL__N_120geam_min_plus_kernelIDF16_Dv2_DF16_S1_Li8ELi32ELi64ELi128ELi4ELi4ELi64ELi4ELi64ELc84ELc78ELb1ELb1ELb0EDF16_KPKDF16_KPDF16_EEviiiT16_PT17_ilS9_ilS7_S9_ilPT18_ili26rocblas_geam_ex_operation_
    .private_segment_fixed_size: 0
    .sgpr_count:     28
    .sgpr_spill_count: 0
    .symbol:         _ZN12_GLOBAL__N_120geam_min_plus_kernelIDF16_Dv2_DF16_S1_Li8ELi32ELi64ELi128ELi4ELi4ELi64ELi4ELi64ELc84ELc78ELb1ELb1ELb0EDF16_KPKDF16_KPDF16_EEviiiT16_PT17_ilS9_ilS7_S9_ilPT18_ili26rocblas_geam_ex_operation_.kd
    .uniform_work_group_size: 1
    .uses_dynamic_stack: false
    .vgpr_count:     121
    .vgpr_spill_count: 0
    .wavefront_size: 32
    .workgroup_processor_mode: 1
  - .args:
      - .offset:         0
        .size:           4
        .value_kind:     by_value
      - .offset:         4
        .size:           4
        .value_kind:     by_value
      - .offset:         8
        .size:           4
        .value_kind:     by_value
      - .offset:         12
        .size:           2
        .value_kind:     by_value
      - .address_space:  global
        .offset:         16
        .size:           8
        .value_kind:     global_buffer
      - .offset:         24
        .size:           4
        .value_kind:     by_value
      - .offset:         32
        .size:           8
        .value_kind:     by_value
      - .address_space:  global
        .offset:         40
        .size:           8
        .value_kind:     global_buffer
      - .offset:         48
        .size:           4
        .value_kind:     by_value
      - .offset:         56
        .size:           8
        .value_kind:     by_value
      - .offset:         64
        .size:           2
        .value_kind:     by_value
      - .address_space:  global
        .offset:         72
        .size:           8
        .value_kind:     global_buffer
      - .offset:         80
        .size:           4
        .value_kind:     by_value
      - .offset:         88
        .size:           8
        .value_kind:     by_value
      - .address_space:  global
        .offset:         96
        .size:           8
        .value_kind:     global_buffer
      - .offset:         104
        .size:           4
        .value_kind:     by_value
      - .offset:         112
        .size:           8
        .value_kind:     by_value
      - .offset:         120
        .size:           4
        .value_kind:     by_value
      - .offset:         124
        .size:           4
        .value_kind:     by_value
    .group_segment_fixed_size: 3072
    .kernarg_segment_align: 8
    .kernarg_segment_size: 128
    .language:       OpenCL C
    .language_version:
      - 2
      - 0
    .max_flat_workgroup_size: 256
    .name:           _ZN12_GLOBAL__N_120geam_min_plus_kernelIDF16_Dv2_DF16_S1_Li8ELi32ELi64ELi128ELi4ELi4ELi64ELi4ELi64ELc84ELc78ELb0ELb1ELb0EDF16_KPKDF16_KPDF16_EEviiiT16_PT17_ilS9_ilS7_S9_ilPT18_ili26rocblas_geam_ex_operation_
    .private_segment_fixed_size: 0
    .sgpr_count:     32
    .sgpr_spill_count: 0
    .symbol:         _ZN12_GLOBAL__N_120geam_min_plus_kernelIDF16_Dv2_DF16_S1_Li8ELi32ELi64ELi128ELi4ELi4ELi64ELi4ELi64ELc84ELc78ELb0ELb1ELb0EDF16_KPKDF16_KPDF16_EEviiiT16_PT17_ilS9_ilS7_S9_ilPT18_ili26rocblas_geam_ex_operation_.kd
    .uniform_work_group_size: 1
    .uses_dynamic_stack: false
    .vgpr_count:     119
    .vgpr_spill_count: 0
    .wavefront_size: 32
    .workgroup_processor_mode: 1
  - .args:
      - .offset:         0
        .size:           4
        .value_kind:     by_value
      - .offset:         4
        .size:           4
        .value_kind:     by_value
      - .offset:         8
        .size:           4
        .value_kind:     by_value
      - .address_space:  global
        .offset:         16
        .size:           8
        .value_kind:     global_buffer
      - .address_space:  global
        .offset:         24
        .size:           8
        .value_kind:     global_buffer
      - .offset:         32
        .size:           4
        .value_kind:     by_value
      - .offset:         40
        .size:           8
        .value_kind:     by_value
      - .address_space:  global
        .offset:         48
        .size:           8
        .value_kind:     global_buffer
      - .offset:         56
        .size:           4
        .value_kind:     by_value
      - .offset:         64
        .size:           8
        .value_kind:     by_value
      - .address_space:  global
        .offset:         72
        .size:           8
        .value_kind:     global_buffer
      - .address_space:  global
        .offset:         80
        .size:           8
        .value_kind:     global_buffer
      - .offset:         88
        .size:           4
        .value_kind:     by_value
      - .offset:         96
        .size:           8
        .value_kind:     by_value
      - .address_space:  global
        .offset:         104
        .size:           8
        .value_kind:     global_buffer
      - .offset:         112
        .size:           4
        .value_kind:     by_value
      - .offset:         120
        .size:           8
        .value_kind:     by_value
      - .offset:         128
        .size:           4
        .value_kind:     by_value
      - .offset:         132
        .size:           4
        .value_kind:     by_value
    .group_segment_fixed_size: 3072
    .kernarg_segment_align: 8
    .kernarg_segment_size: 136
    .language:       OpenCL C
    .language_version:
      - 2
      - 0
    .max_flat_workgroup_size: 256
    .name:           _ZN12_GLOBAL__N_120geam_min_plus_kernelIDF16_Dv2_DF16_S1_Li8ELi32ELi64ELi128ELi4ELi64ELi4ELi64ELi4ELc78ELc84ELb0ELb0ELb0EPKDF16_KS3_KPDF16_EEviiiT16_PT17_ilS9_ilS7_S9_ilPT18_ili26rocblas_geam_ex_operation_
    .private_segment_fixed_size: 0
    .sgpr_count:     28
    .sgpr_spill_count: 0
    .symbol:         _ZN12_GLOBAL__N_120geam_min_plus_kernelIDF16_Dv2_DF16_S1_Li8ELi32ELi64ELi128ELi4ELi64ELi4ELi64ELi4ELc78ELc84ELb0ELb0ELb0EPKDF16_KS3_KPDF16_EEviiiT16_PT17_ilS9_ilS7_S9_ilPT18_ili26rocblas_geam_ex_operation_.kd
    .uniform_work_group_size: 1
    .uses_dynamic_stack: false
    .vgpr_count:     128
    .vgpr_spill_count: 0
    .wavefront_size: 32
    .workgroup_processor_mode: 1
  - .args:
      - .offset:         0
        .size:           4
        .value_kind:     by_value
      - .offset:         4
        .size:           4
        .value_kind:     by_value
      - .offset:         8
        .size:           4
        .value_kind:     by_value
      - .offset:         12
        .size:           2
        .value_kind:     by_value
      - .address_space:  global
        .offset:         16
        .size:           8
        .value_kind:     global_buffer
      - .offset:         24
        .size:           4
        .value_kind:     by_value
      - .offset:         32
        .size:           8
        .value_kind:     by_value
      - .address_space:  global
        .offset:         40
        .size:           8
        .value_kind:     global_buffer
      - .offset:         48
        .size:           4
        .value_kind:     by_value
      - .offset:         56
        .size:           8
        .value_kind:     by_value
      - .offset:         64
        .size:           2
        .value_kind:     by_value
      - .address_space:  global
        .offset:         72
        .size:           8
        .value_kind:     global_buffer
      - .offset:         80
        .size:           4
        .value_kind:     by_value
      - .offset:         88
        .size:           8
        .value_kind:     by_value
      - .address_space:  global
        .offset:         96
        .size:           8
        .value_kind:     global_buffer
      - .offset:         104
        .size:           4
        .value_kind:     by_value
      - .offset:         112
        .size:           8
        .value_kind:     by_value
      - .offset:         120
        .size:           4
        .value_kind:     by_value
      - .offset:         124
        .size:           4
        .value_kind:     by_value
    .group_segment_fixed_size: 3072
    .kernarg_segment_align: 8
    .kernarg_segment_size: 128
    .language:       OpenCL C
    .language_version:
      - 2
      - 0
    .max_flat_workgroup_size: 256
    .name:           _ZN12_GLOBAL__N_120geam_min_plus_kernelIDF16_Dv2_DF16_S1_Li8ELi32ELi64ELi128ELi4ELi64ELi4ELi64ELi4ELc78ELc84ELb1ELb0ELb0EDF16_KPKDF16_KPDF16_EEviiiT16_PT17_ilS9_ilS7_S9_ilPT18_ili26rocblas_geam_ex_operation_
    .private_segment_fixed_size: 0
    .sgpr_count:     24
    .sgpr_spill_count: 0
    .symbol:         _ZN12_GLOBAL__N_120geam_min_plus_kernelIDF16_Dv2_DF16_S1_Li8ELi32ELi64ELi128ELi4ELi64ELi4ELi64ELi4ELc78ELc84ELb1ELb0ELb0EDF16_KPKDF16_KPDF16_EEviiiT16_PT17_ilS9_ilS7_S9_ilPT18_ili26rocblas_geam_ex_operation_.kd
    .uniform_work_group_size: 1
    .uses_dynamic_stack: false
    .vgpr_count:     124
    .vgpr_spill_count: 0
    .wavefront_size: 32
    .workgroup_processor_mode: 1
  - .args:
      - .offset:         0
        .size:           4
        .value_kind:     by_value
      - .offset:         4
        .size:           4
        .value_kind:     by_value
      - .offset:         8
        .size:           4
        .value_kind:     by_value
      - .offset:         12
        .size:           2
        .value_kind:     by_value
      - .address_space:  global
        .offset:         16
        .size:           8
        .value_kind:     global_buffer
      - .offset:         24
        .size:           4
        .value_kind:     by_value
      - .offset:         32
        .size:           8
        .value_kind:     by_value
      - .address_space:  global
        .offset:         40
        .size:           8
        .value_kind:     global_buffer
      - .offset:         48
        .size:           4
        .value_kind:     by_value
      - .offset:         56
        .size:           8
        .value_kind:     by_value
      - .offset:         64
        .size:           2
        .value_kind:     by_value
      - .address_space:  global
        .offset:         72
        .size:           8
        .value_kind:     global_buffer
      - .offset:         80
        .size:           4
        .value_kind:     by_value
      - .offset:         88
        .size:           8
        .value_kind:     by_value
      - .address_space:  global
        .offset:         96
        .size:           8
        .value_kind:     global_buffer
      - .offset:         104
        .size:           4
        .value_kind:     by_value
      - .offset:         112
        .size:           8
        .value_kind:     by_value
      - .offset:         120
        .size:           4
        .value_kind:     by_value
      - .offset:         124
        .size:           4
        .value_kind:     by_value
    .group_segment_fixed_size: 3072
    .kernarg_segment_align: 8
    .kernarg_segment_size: 128
    .language:       OpenCL C
    .language_version:
      - 2
      - 0
    .max_flat_workgroup_size: 256
    .name:           _ZN12_GLOBAL__N_120geam_min_plus_kernelIDF16_Dv2_DF16_S1_Li8ELi32ELi64ELi128ELi4ELi64ELi4ELi64ELi4ELc78ELc84ELb0ELb0ELb0EDF16_KPKDF16_KPDF16_EEviiiT16_PT17_ilS9_ilS7_S9_ilPT18_ili26rocblas_geam_ex_operation_
    .private_segment_fixed_size: 0
    .sgpr_count:     28
    .sgpr_spill_count: 0
    .symbol:         _ZN12_GLOBAL__N_120geam_min_plus_kernelIDF16_Dv2_DF16_S1_Li8ELi32ELi64ELi128ELi4ELi64ELi4ELi64ELi4ELc78ELc84ELb0ELb0ELb0EDF16_KPKDF16_KPDF16_EEviiiT16_PT17_ilS9_ilS7_S9_ilPT18_ili26rocblas_geam_ex_operation_.kd
    .uniform_work_group_size: 1
    .uses_dynamic_stack: false
    .vgpr_count:     126
    .vgpr_spill_count: 0
    .wavefront_size: 32
    .workgroup_processor_mode: 1
  - .args:
      - .offset:         0
        .size:           4
        .value_kind:     by_value
      - .offset:         4
        .size:           4
        .value_kind:     by_value
      - .offset:         8
        .size:           4
        .value_kind:     by_value
      - .address_space:  global
        .offset:         16
        .size:           8
        .value_kind:     global_buffer
      - .address_space:  global
        .offset:         24
        .size:           8
        .value_kind:     global_buffer
      - .offset:         32
        .size:           4
        .value_kind:     by_value
      - .offset:         40
        .size:           8
        .value_kind:     by_value
      - .address_space:  global
        .offset:         48
        .size:           8
        .value_kind:     global_buffer
      - .offset:         56
        .size:           4
        .value_kind:     by_value
      - .offset:         64
        .size:           8
        .value_kind:     by_value
      - .address_space:  global
        .offset:         72
        .size:           8
        .value_kind:     global_buffer
      - .address_space:  global
        .offset:         80
        .size:           8
        .value_kind:     global_buffer
      - .offset:         88
        .size:           4
        .value_kind:     by_value
      - .offset:         96
        .size:           8
        .value_kind:     by_value
      - .address_space:  global
        .offset:         104
        .size:           8
        .value_kind:     global_buffer
      - .offset:         112
        .size:           4
        .value_kind:     by_value
      - .offset:         120
        .size:           8
        .value_kind:     by_value
      - .offset:         128
        .size:           4
        .value_kind:     by_value
      - .offset:         132
        .size:           4
        .value_kind:     by_value
    .group_segment_fixed_size: 3072
    .kernarg_segment_align: 8
    .kernarg_segment_size: 136
    .language:       OpenCL C
    .language_version:
      - 2
      - 0
    .max_flat_workgroup_size: 256
    .name:           _ZN12_GLOBAL__N_120geam_min_plus_kernelIDF16_Dv2_DF16_S1_Li8ELi32ELi64ELi128ELi4ELi64ELi4ELi64ELi4ELc78ELc84ELb0ELb1ELb0EPKDF16_KS3_KPDF16_EEviiiT16_PT17_ilS9_ilS7_S9_ilPT18_ili26rocblas_geam_ex_operation_
    .private_segment_fixed_size: 0
    .sgpr_count:     29
    .sgpr_spill_count: 0
    .symbol:         _ZN12_GLOBAL__N_120geam_min_plus_kernelIDF16_Dv2_DF16_S1_Li8ELi32ELi64ELi128ELi4ELi64ELi4ELi64ELi4ELc78ELc84ELb0ELb1ELb0EPKDF16_KS3_KPDF16_EEviiiT16_PT17_ilS9_ilS7_S9_ilPT18_ili26rocblas_geam_ex_operation_.kd
    .uniform_work_group_size: 1
    .uses_dynamic_stack: false
    .vgpr_count:     123
    .vgpr_spill_count: 0
    .wavefront_size: 32
    .workgroup_processor_mode: 1
  - .args:
      - .offset:         0
        .size:           4
        .value_kind:     by_value
      - .offset:         4
        .size:           4
        .value_kind:     by_value
      - .offset:         8
        .size:           4
        .value_kind:     by_value
      - .offset:         12
        .size:           2
        .value_kind:     by_value
      - .address_space:  global
        .offset:         16
        .size:           8
        .value_kind:     global_buffer
      - .offset:         24
        .size:           4
        .value_kind:     by_value
      - .offset:         32
        .size:           8
        .value_kind:     by_value
      - .address_space:  global
        .offset:         40
        .size:           8
        .value_kind:     global_buffer
      - .offset:         48
        .size:           4
        .value_kind:     by_value
      - .offset:         56
        .size:           8
        .value_kind:     by_value
      - .offset:         64
        .size:           2
        .value_kind:     by_value
      - .address_space:  global
        .offset:         72
        .size:           8
        .value_kind:     global_buffer
      - .offset:         80
        .size:           4
        .value_kind:     by_value
      - .offset:         88
        .size:           8
        .value_kind:     by_value
      - .address_space:  global
        .offset:         96
        .size:           8
        .value_kind:     global_buffer
      - .offset:         104
        .size:           4
        .value_kind:     by_value
      - .offset:         112
        .size:           8
        .value_kind:     by_value
      - .offset:         120
        .size:           4
        .value_kind:     by_value
      - .offset:         124
        .size:           4
        .value_kind:     by_value
    .group_segment_fixed_size: 3072
    .kernarg_segment_align: 8
    .kernarg_segment_size: 128
    .language:       OpenCL C
    .language_version:
      - 2
      - 0
    .max_flat_workgroup_size: 256
    .name:           _ZN12_GLOBAL__N_120geam_min_plus_kernelIDF16_Dv2_DF16_S1_Li8ELi32ELi64ELi128ELi4ELi64ELi4ELi64ELi4ELc78ELc84ELb1ELb1ELb0EDF16_KPKDF16_KPDF16_EEviiiT16_PT17_ilS9_ilS7_S9_ilPT18_ili26rocblas_geam_ex_operation_
    .private_segment_fixed_size: 0
    .sgpr_count:     29
    .sgpr_spill_count: 0
    .symbol:         _ZN12_GLOBAL__N_120geam_min_plus_kernelIDF16_Dv2_DF16_S1_Li8ELi32ELi64ELi128ELi4ELi64ELi4ELi64ELi4ELc78ELc84ELb1ELb1ELb0EDF16_KPKDF16_KPDF16_EEviiiT16_PT17_ilS9_ilS7_S9_ilPT18_ili26rocblas_geam_ex_operation_.kd
    .uniform_work_group_size: 1
    .uses_dynamic_stack: false
    .vgpr_count:     127
    .vgpr_spill_count: 0
    .wavefront_size: 32
    .workgroup_processor_mode: 1
  - .args:
      - .offset:         0
        .size:           4
        .value_kind:     by_value
      - .offset:         4
        .size:           4
        .value_kind:     by_value
      - .offset:         8
        .size:           4
        .value_kind:     by_value
      - .offset:         12
        .size:           2
        .value_kind:     by_value
      - .address_space:  global
        .offset:         16
        .size:           8
        .value_kind:     global_buffer
      - .offset:         24
        .size:           4
        .value_kind:     by_value
      - .offset:         32
        .size:           8
        .value_kind:     by_value
      - .address_space:  global
        .offset:         40
        .size:           8
        .value_kind:     global_buffer
      - .offset:         48
        .size:           4
        .value_kind:     by_value
      - .offset:         56
        .size:           8
        .value_kind:     by_value
      - .offset:         64
        .size:           2
        .value_kind:     by_value
      - .address_space:  global
        .offset:         72
        .size:           8
        .value_kind:     global_buffer
      - .offset:         80
        .size:           4
        .value_kind:     by_value
      - .offset:         88
        .size:           8
        .value_kind:     by_value
      - .address_space:  global
        .offset:         96
        .size:           8
        .value_kind:     global_buffer
      - .offset:         104
        .size:           4
        .value_kind:     by_value
      - .offset:         112
        .size:           8
        .value_kind:     by_value
      - .offset:         120
        .size:           4
        .value_kind:     by_value
      - .offset:         124
        .size:           4
        .value_kind:     by_value
    .group_segment_fixed_size: 3072
    .kernarg_segment_align: 8
    .kernarg_segment_size: 128
    .language:       OpenCL C
    .language_version:
      - 2
      - 0
    .max_flat_workgroup_size: 256
    .name:           _ZN12_GLOBAL__N_120geam_min_plus_kernelIDF16_Dv2_DF16_S1_Li8ELi32ELi64ELi128ELi4ELi64ELi4ELi64ELi4ELc78ELc84ELb0ELb1ELb0EDF16_KPKDF16_KPDF16_EEviiiT16_PT17_ilS9_ilS7_S9_ilPT18_ili26rocblas_geam_ex_operation_
    .private_segment_fixed_size: 0
    .sgpr_count:     32
    .sgpr_spill_count: 0
    .symbol:         _ZN12_GLOBAL__N_120geam_min_plus_kernelIDF16_Dv2_DF16_S1_Li8ELi32ELi64ELi128ELi4ELi64ELi4ELi64ELi4ELc78ELc84ELb0ELb1ELb0EDF16_KPKDF16_KPDF16_EEviiiT16_PT17_ilS9_ilS7_S9_ilPT18_ili26rocblas_geam_ex_operation_.kd
    .uniform_work_group_size: 1
    .uses_dynamic_stack: false
    .vgpr_count:     121
    .vgpr_spill_count: 0
    .wavefront_size: 32
    .workgroup_processor_mode: 1
  - .args:
      - .offset:         0
        .size:           4
        .value_kind:     by_value
      - .offset:         4
        .size:           4
        .value_kind:     by_value
      - .offset:         8
        .size:           4
        .value_kind:     by_value
      - .address_space:  global
        .offset:         16
        .size:           8
        .value_kind:     global_buffer
      - .address_space:  global
        .offset:         24
        .size:           8
        .value_kind:     global_buffer
      - .offset:         32
        .size:           4
        .value_kind:     by_value
      - .offset:         40
        .size:           8
        .value_kind:     by_value
      - .address_space:  global
        .offset:         48
        .size:           8
        .value_kind:     global_buffer
      - .offset:         56
        .size:           4
        .value_kind:     by_value
      - .offset:         64
        .size:           8
        .value_kind:     by_value
      - .address_space:  global
        .offset:         72
        .size:           8
        .value_kind:     global_buffer
      - .address_space:  global
        .offset:         80
        .size:           8
        .value_kind:     global_buffer
      - .offset:         88
        .size:           4
        .value_kind:     by_value
      - .offset:         96
        .size:           8
        .value_kind:     by_value
      - .address_space:  global
        .offset:         104
        .size:           8
        .value_kind:     global_buffer
      - .offset:         112
        .size:           4
        .value_kind:     by_value
      - .offset:         120
        .size:           8
        .value_kind:     by_value
      - .offset:         128
        .size:           4
        .value_kind:     by_value
      - .offset:         132
        .size:           4
        .value_kind:     by_value
    .group_segment_fixed_size: 3072
    .kernarg_segment_align: 8
    .kernarg_segment_size: 136
    .language:       OpenCL C
    .language_version:
      - 2
      - 0
    .max_flat_workgroup_size: 256
    .name:           _ZN12_GLOBAL__N_120geam_min_plus_kernelIDF16_Dv2_DF16_S1_Li8ELi32ELi64ELi128ELi4ELi4ELi64ELi64ELi4ELc84ELc84ELb0ELb0ELb0EPKDF16_KS3_KPDF16_EEviiiT16_PT17_ilS9_ilS7_S9_ilPT18_ili26rocblas_geam_ex_operation_
    .private_segment_fixed_size: 0
    .sgpr_count:     28
    .sgpr_spill_count: 0
    .symbol:         _ZN12_GLOBAL__N_120geam_min_plus_kernelIDF16_Dv2_DF16_S1_Li8ELi32ELi64ELi128ELi4ELi4ELi64ELi64ELi4ELc84ELc84ELb0ELb0ELb0EPKDF16_KS3_KPDF16_EEviiiT16_PT17_ilS9_ilS7_S9_ilPT18_ili26rocblas_geam_ex_operation_.kd
    .uniform_work_group_size: 1
    .uses_dynamic_stack: false
    .vgpr_count:     124
    .vgpr_spill_count: 0
    .wavefront_size: 32
    .workgroup_processor_mode: 1
  - .args:
      - .offset:         0
        .size:           4
        .value_kind:     by_value
      - .offset:         4
        .size:           4
        .value_kind:     by_value
      - .offset:         8
        .size:           4
        .value_kind:     by_value
      - .offset:         12
        .size:           2
        .value_kind:     by_value
      - .address_space:  global
        .offset:         16
        .size:           8
        .value_kind:     global_buffer
      - .offset:         24
        .size:           4
        .value_kind:     by_value
      - .offset:         32
        .size:           8
        .value_kind:     by_value
      - .address_space:  global
        .offset:         40
        .size:           8
        .value_kind:     global_buffer
      - .offset:         48
        .size:           4
        .value_kind:     by_value
      - .offset:         56
        .size:           8
        .value_kind:     by_value
      - .offset:         64
        .size:           2
        .value_kind:     by_value
      - .address_space:  global
        .offset:         72
        .size:           8
        .value_kind:     global_buffer
      - .offset:         80
        .size:           4
        .value_kind:     by_value
      - .offset:         88
        .size:           8
        .value_kind:     by_value
      - .address_space:  global
        .offset:         96
        .size:           8
        .value_kind:     global_buffer
      - .offset:         104
        .size:           4
        .value_kind:     by_value
      - .offset:         112
        .size:           8
        .value_kind:     by_value
      - .offset:         120
        .size:           4
        .value_kind:     by_value
      - .offset:         124
        .size:           4
        .value_kind:     by_value
    .group_segment_fixed_size: 3072
    .kernarg_segment_align: 8
    .kernarg_segment_size: 128
    .language:       OpenCL C
    .language_version:
      - 2
      - 0
    .max_flat_workgroup_size: 256
    .name:           _ZN12_GLOBAL__N_120geam_min_plus_kernelIDF16_Dv2_DF16_S1_Li8ELi32ELi64ELi128ELi4ELi4ELi64ELi64ELi4ELc84ELc84ELb1ELb0ELb0EDF16_KPKDF16_KPDF16_EEviiiT16_PT17_ilS9_ilS7_S9_ilPT18_ili26rocblas_geam_ex_operation_
    .private_segment_fixed_size: 0
    .sgpr_count:     22
    .sgpr_spill_count: 0
    .symbol:         _ZN12_GLOBAL__N_120geam_min_plus_kernelIDF16_Dv2_DF16_S1_Li8ELi32ELi64ELi128ELi4ELi4ELi64ELi64ELi4ELc84ELc84ELb1ELb0ELb0EDF16_KPKDF16_KPDF16_EEviiiT16_PT17_ilS9_ilS7_S9_ilPT18_ili26rocblas_geam_ex_operation_.kd
    .uniform_work_group_size: 1
    .uses_dynamic_stack: false
    .vgpr_count:     120
    .vgpr_spill_count: 0
    .wavefront_size: 32
    .workgroup_processor_mode: 1
  - .args:
      - .offset:         0
        .size:           4
        .value_kind:     by_value
      - .offset:         4
        .size:           4
        .value_kind:     by_value
      - .offset:         8
        .size:           4
        .value_kind:     by_value
      - .offset:         12
        .size:           2
        .value_kind:     by_value
      - .address_space:  global
        .offset:         16
        .size:           8
        .value_kind:     global_buffer
      - .offset:         24
        .size:           4
        .value_kind:     by_value
      - .offset:         32
        .size:           8
        .value_kind:     by_value
      - .address_space:  global
        .offset:         40
        .size:           8
        .value_kind:     global_buffer
      - .offset:         48
        .size:           4
        .value_kind:     by_value
      - .offset:         56
        .size:           8
        .value_kind:     by_value
      - .offset:         64
        .size:           2
        .value_kind:     by_value
      - .address_space:  global
        .offset:         72
        .size:           8
        .value_kind:     global_buffer
      - .offset:         80
        .size:           4
        .value_kind:     by_value
      - .offset:         88
        .size:           8
        .value_kind:     by_value
      - .address_space:  global
        .offset:         96
        .size:           8
        .value_kind:     global_buffer
      - .offset:         104
        .size:           4
        .value_kind:     by_value
      - .offset:         112
        .size:           8
        .value_kind:     by_value
      - .offset:         120
        .size:           4
        .value_kind:     by_value
      - .offset:         124
        .size:           4
        .value_kind:     by_value
    .group_segment_fixed_size: 3072
    .kernarg_segment_align: 8
    .kernarg_segment_size: 128
    .language:       OpenCL C
    .language_version:
      - 2
      - 0
    .max_flat_workgroup_size: 256
    .name:           _ZN12_GLOBAL__N_120geam_min_plus_kernelIDF16_Dv2_DF16_S1_Li8ELi32ELi64ELi128ELi4ELi4ELi64ELi64ELi4ELc84ELc84ELb0ELb0ELb0EDF16_KPKDF16_KPDF16_EEviiiT16_PT17_ilS9_ilS7_S9_ilPT18_ili26rocblas_geam_ex_operation_
    .private_segment_fixed_size: 0
    .sgpr_count:     26
    .sgpr_spill_count: 0
    .symbol:         _ZN12_GLOBAL__N_120geam_min_plus_kernelIDF16_Dv2_DF16_S1_Li8ELi32ELi64ELi128ELi4ELi4ELi64ELi64ELi4ELc84ELc84ELb0ELb0ELb0EDF16_KPKDF16_KPDF16_EEviiiT16_PT17_ilS9_ilS7_S9_ilPT18_ili26rocblas_geam_ex_operation_.kd
    .uniform_work_group_size: 1
    .uses_dynamic_stack: false
    .vgpr_count:     122
    .vgpr_spill_count: 0
    .wavefront_size: 32
    .workgroup_processor_mode: 1
  - .args:
      - .offset:         0
        .size:           4
        .value_kind:     by_value
      - .offset:         4
        .size:           4
        .value_kind:     by_value
      - .offset:         8
        .size:           4
        .value_kind:     by_value
      - .address_space:  global
        .offset:         16
        .size:           8
        .value_kind:     global_buffer
      - .address_space:  global
        .offset:         24
        .size:           8
        .value_kind:     global_buffer
      - .offset:         32
        .size:           4
        .value_kind:     by_value
      - .offset:         40
        .size:           8
        .value_kind:     by_value
      - .address_space:  global
        .offset:         48
        .size:           8
        .value_kind:     global_buffer
      - .offset:         56
        .size:           4
        .value_kind:     by_value
      - .offset:         64
        .size:           8
        .value_kind:     by_value
      - .address_space:  global
        .offset:         72
        .size:           8
        .value_kind:     global_buffer
      - .address_space:  global
        .offset:         80
        .size:           8
        .value_kind:     global_buffer
      - .offset:         88
        .size:           4
        .value_kind:     by_value
      - .offset:         96
        .size:           8
        .value_kind:     by_value
      - .address_space:  global
        .offset:         104
        .size:           8
        .value_kind:     global_buffer
      - .offset:         112
        .size:           4
        .value_kind:     by_value
      - .offset:         120
        .size:           8
        .value_kind:     by_value
      - .offset:         128
        .size:           4
        .value_kind:     by_value
      - .offset:         132
        .size:           4
        .value_kind:     by_value
    .group_segment_fixed_size: 3072
    .kernarg_segment_align: 8
    .kernarg_segment_size: 136
    .language:       OpenCL C
    .language_version:
      - 2
      - 0
    .max_flat_workgroup_size: 256
    .name:           _ZN12_GLOBAL__N_120geam_min_plus_kernelIDF16_Dv2_DF16_S1_Li8ELi32ELi64ELi128ELi4ELi4ELi64ELi64ELi4ELc84ELc84ELb0ELb1ELb0EPKDF16_KS3_KPDF16_EEviiiT16_PT17_ilS9_ilS7_S9_ilPT18_ili26rocblas_geam_ex_operation_
    .private_segment_fixed_size: 0
    .sgpr_count:     29
    .sgpr_spill_count: 0
    .symbol:         _ZN12_GLOBAL__N_120geam_min_plus_kernelIDF16_Dv2_DF16_S1_Li8ELi32ELi64ELi128ELi4ELi4ELi64ELi64ELi4ELc84ELc84ELb0ELb1ELb0EPKDF16_KS3_KPDF16_EEviiiT16_PT17_ilS9_ilS7_S9_ilPT18_ili26rocblas_geam_ex_operation_.kd
    .uniform_work_group_size: 1
    .uses_dynamic_stack: false
    .vgpr_count:     120
    .vgpr_spill_count: 0
    .wavefront_size: 32
    .workgroup_processor_mode: 1
  - .args:
      - .offset:         0
        .size:           4
        .value_kind:     by_value
      - .offset:         4
        .size:           4
        .value_kind:     by_value
      - .offset:         8
        .size:           4
        .value_kind:     by_value
      - .offset:         12
        .size:           2
        .value_kind:     by_value
      - .address_space:  global
        .offset:         16
        .size:           8
        .value_kind:     global_buffer
      - .offset:         24
        .size:           4
        .value_kind:     by_value
      - .offset:         32
        .size:           8
        .value_kind:     by_value
      - .address_space:  global
        .offset:         40
        .size:           8
        .value_kind:     global_buffer
      - .offset:         48
        .size:           4
        .value_kind:     by_value
      - .offset:         56
        .size:           8
        .value_kind:     by_value
      - .offset:         64
        .size:           2
        .value_kind:     by_value
      - .address_space:  global
        .offset:         72
        .size:           8
        .value_kind:     global_buffer
      - .offset:         80
        .size:           4
        .value_kind:     by_value
      - .offset:         88
        .size:           8
        .value_kind:     by_value
      - .address_space:  global
        .offset:         96
        .size:           8
        .value_kind:     global_buffer
      - .offset:         104
        .size:           4
        .value_kind:     by_value
      - .offset:         112
        .size:           8
        .value_kind:     by_value
      - .offset:         120
        .size:           4
        .value_kind:     by_value
      - .offset:         124
        .size:           4
        .value_kind:     by_value
    .group_segment_fixed_size: 3072
    .kernarg_segment_align: 8
    .kernarg_segment_size: 128
    .language:       OpenCL C
    .language_version:
      - 2
      - 0
    .max_flat_workgroup_size: 256
    .name:           _ZN12_GLOBAL__N_120geam_min_plus_kernelIDF16_Dv2_DF16_S1_Li8ELi32ELi64ELi128ELi4ELi4ELi64ELi64ELi4ELc84ELc84ELb1ELb1ELb0EDF16_KPKDF16_KPDF16_EEviiiT16_PT17_ilS9_ilS7_S9_ilPT18_ili26rocblas_geam_ex_operation_
    .private_segment_fixed_size: 0
    .sgpr_count:     28
    .sgpr_spill_count: 0
    .symbol:         _ZN12_GLOBAL__N_120geam_min_plus_kernelIDF16_Dv2_DF16_S1_Li8ELi32ELi64ELi128ELi4ELi4ELi64ELi64ELi4ELc84ELc84ELb1ELb1ELb0EDF16_KPKDF16_KPDF16_EEviiiT16_PT17_ilS9_ilS7_S9_ilPT18_ili26rocblas_geam_ex_operation_.kd
    .uniform_work_group_size: 1
    .uses_dynamic_stack: false
    .vgpr_count:     124
    .vgpr_spill_count: 0
    .wavefront_size: 32
    .workgroup_processor_mode: 1
  - .args:
      - .offset:         0
        .size:           4
        .value_kind:     by_value
      - .offset:         4
        .size:           4
        .value_kind:     by_value
      - .offset:         8
        .size:           4
        .value_kind:     by_value
      - .offset:         12
        .size:           2
        .value_kind:     by_value
      - .address_space:  global
        .offset:         16
        .size:           8
        .value_kind:     global_buffer
      - .offset:         24
        .size:           4
        .value_kind:     by_value
      - .offset:         32
        .size:           8
        .value_kind:     by_value
      - .address_space:  global
        .offset:         40
        .size:           8
        .value_kind:     global_buffer
      - .offset:         48
        .size:           4
        .value_kind:     by_value
      - .offset:         56
        .size:           8
        .value_kind:     by_value
      - .offset:         64
        .size:           2
        .value_kind:     by_value
      - .address_space:  global
        .offset:         72
        .size:           8
        .value_kind:     global_buffer
      - .offset:         80
        .size:           4
        .value_kind:     by_value
      - .offset:         88
        .size:           8
        .value_kind:     by_value
      - .address_space:  global
        .offset:         96
        .size:           8
        .value_kind:     global_buffer
      - .offset:         104
        .size:           4
        .value_kind:     by_value
      - .offset:         112
        .size:           8
        .value_kind:     by_value
      - .offset:         120
        .size:           4
        .value_kind:     by_value
      - .offset:         124
        .size:           4
        .value_kind:     by_value
    .group_segment_fixed_size: 3072
    .kernarg_segment_align: 8
    .kernarg_segment_size: 128
    .language:       OpenCL C
    .language_version:
      - 2
      - 0
    .max_flat_workgroup_size: 256
    .name:           _ZN12_GLOBAL__N_120geam_min_plus_kernelIDF16_Dv2_DF16_S1_Li8ELi32ELi64ELi128ELi4ELi4ELi64ELi64ELi4ELc84ELc84ELb0ELb1ELb0EDF16_KPKDF16_KPDF16_EEviiiT16_PT17_ilS9_ilS7_S9_ilPT18_ili26rocblas_geam_ex_operation_
    .private_segment_fixed_size: 0
    .sgpr_count:     31
    .sgpr_spill_count: 0
    .symbol:         _ZN12_GLOBAL__N_120geam_min_plus_kernelIDF16_Dv2_DF16_S1_Li8ELi32ELi64ELi128ELi4ELi4ELi64ELi64ELi4ELc84ELc84ELb0ELb1ELb0EDF16_KPKDF16_KPDF16_EEviiiT16_PT17_ilS9_ilS7_S9_ilPT18_ili26rocblas_geam_ex_operation_.kd
    .uniform_work_group_size: 1
    .uses_dynamic_stack: false
    .vgpr_count:     118
    .vgpr_spill_count: 0
    .wavefront_size: 32
    .workgroup_processor_mode: 1
  - .args:
      - .offset:         0
        .size:           4
        .value_kind:     by_value
      - .offset:         4
        .size:           4
        .value_kind:     by_value
      - .offset:         8
        .size:           2
        .value_kind:     by_value
      - .address_space:  global
        .offset:         16
        .size:           8
        .value_kind:     global_buffer
      - .offset:         24
        .size:           8
        .value_kind:     by_value
      - .offset:         32
        .size:           4
        .value_kind:     by_value
      - .offset:         40
        .size:           8
        .value_kind:     by_value
      - .address_space:  global
        .offset:         48
        .size:           8
        .value_kind:     global_buffer
      - .offset:         56
        .size:           8
        .value_kind:     by_value
      - .offset:         64
        .size:           4
        .value_kind:     by_value
      - .offset:         72
        .size:           8
        .value_kind:     by_value
    .group_segment_fixed_size: 0
    .kernarg_segment_align: 8
    .kernarg_segment_size: 80
    .language:       OpenCL C
    .language_version:
      - 2
      - 0
    .max_flat_workgroup_size: 1024
    .name:           _ZN12_GLOBAL__N_120geam_ex_scale_kernelILi32ELi32EDF16_DF16_PKDF16_PDF16_EEviiT2_T3_lilT4_lil
    .private_segment_fixed_size: 0
    .sgpr_count:     22
    .sgpr_spill_count: 0
    .symbol:         _ZN12_GLOBAL__N_120geam_ex_scale_kernelILi32ELi32EDF16_DF16_PKDF16_PDF16_EEviiT2_T3_lilT4_lil.kd
    .uniform_work_group_size: 1
    .uses_dynamic_stack: false
    .vgpr_count:     8
    .vgpr_spill_count: 0
    .wavefront_size: 32
    .workgroup_processor_mode: 1
  - .args:
      - .offset:         0
        .size:           4
        .value_kind:     by_value
      - .offset:         4
        .size:           4
        .value_kind:     by_value
      - .address_space:  global
        .offset:         8
        .size:           8
        .value_kind:     global_buffer
      - .address_space:  global
        .offset:         16
        .size:           8
        .value_kind:     global_buffer
      - .offset:         24
        .size:           8
        .value_kind:     by_value
      - .offset:         32
        .size:           4
        .value_kind:     by_value
      - .offset:         40
        .size:           8
        .value_kind:     by_value
      - .address_space:  global
        .offset:         48
        .size:           8
        .value_kind:     global_buffer
      - .offset:         56
        .size:           8
        .value_kind:     by_value
      - .offset:         64
        .size:           4
        .value_kind:     by_value
      - .offset:         72
        .size:           8
        .value_kind:     by_value
    .group_segment_fixed_size: 0
    .kernarg_segment_align: 8
    .kernarg_segment_size: 80
    .language:       OpenCL C
    .language_version:
      - 2
      - 0
    .max_flat_workgroup_size: 1024
    .name:           _ZN12_GLOBAL__N_120geam_ex_scale_kernelILi32ELi32EDF16_PKDF16_S2_PDF16_EEviiT2_T3_lilT4_lil
    .private_segment_fixed_size: 0
    .sgpr_count:     20
    .sgpr_spill_count: 0
    .symbol:         _ZN12_GLOBAL__N_120geam_ex_scale_kernelILi32ELi32EDF16_PKDF16_S2_PDF16_EEviiT2_T3_lilT4_lil.kd
    .uniform_work_group_size: 1
    .uses_dynamic_stack: false
    .vgpr_count:     9
    .vgpr_spill_count: 0
    .wavefront_size: 32
    .workgroup_processor_mode: 1
  - .args:
      - .offset:         0
        .size:           4
        .value_kind:     by_value
      - .offset:         4
        .size:           4
        .value_kind:     by_value
      - .offset:         8
        .size:           2
        .value_kind:     by_value
      - .address_space:  global
        .offset:         16
        .size:           8
        .value_kind:     global_buffer
      - .offset:         24
        .size:           8
        .value_kind:     by_value
      - .offset:         32
        .size:           4
        .value_kind:     by_value
      - .offset:         40
        .size:           8
        .value_kind:     by_value
      - .address_space:  global
        .offset:         48
        .size:           8
        .value_kind:     global_buffer
      - .offset:         56
        .size:           8
        .value_kind:     by_value
      - .offset:         64
        .size:           4
        .value_kind:     by_value
      - .offset:         72
        .size:           8
        .value_kind:     by_value
    .group_segment_fixed_size: 0
    .kernarg_segment_align: 8
    .kernarg_segment_size: 80
    .language:       OpenCL C
    .language_version:
      - 2
      - 0
    .max_flat_workgroup_size: 1024
    .name:           _ZN12_GLOBAL__N_120geam_ex_round_kernelILi32ELi32EDF16_DF16_PKDF16_PDF16_EEviiT2_T3_lilT4_lil
    .private_segment_fixed_size: 0
    .sgpr_count:     22
    .sgpr_spill_count: 0
    .symbol:         _ZN12_GLOBAL__N_120geam_ex_round_kernelILi32ELi32EDF16_DF16_PKDF16_PDF16_EEviiT2_T3_lilT4_lil.kd
    .uniform_work_group_size: 1
    .uses_dynamic_stack: false
    .vgpr_count:     8
    .vgpr_spill_count: 0
    .wavefront_size: 32
    .workgroup_processor_mode: 1
  - .args:
      - .offset:         0
        .size:           4
        .value_kind:     by_value
      - .offset:         4
        .size:           4
        .value_kind:     by_value
      - .offset:         8
        .size:           4
        .value_kind:     by_value
      - .address_space:  global
        .offset:         16
        .size:           8
        .value_kind:     global_buffer
      - .address_space:  global
        .offset:         24
        .size:           8
        .value_kind:     global_buffer
      - .offset:         32
        .size:           4
        .value_kind:     by_value
      - .offset:         40
        .size:           8
        .value_kind:     by_value
      - .address_space:  global
        .offset:         48
        .size:           8
        .value_kind:     global_buffer
      - .offset:         56
        .size:           4
        .value_kind:     by_value
      - .offset:         64
        .size:           8
        .value_kind:     by_value
      - .address_space:  global
        .offset:         72
        .size:           8
        .value_kind:     global_buffer
      - .address_space:  global
        .offset:         80
        .size:           8
        .value_kind:     global_buffer
      - .offset:         88
        .size:           4
        .value_kind:     by_value
      - .offset:         96
        .size:           8
        .value_kind:     by_value
      - .address_space:  global
        .offset:         104
        .size:           8
        .value_kind:     global_buffer
      - .offset:         112
        .size:           4
        .value_kind:     by_value
      - .offset:         120
        .size:           8
        .value_kind:     by_value
      - .offset:         128
        .size:           4
        .value_kind:     by_value
      - .offset:         132
        .size:           4
        .value_kind:     by_value
    .group_segment_fixed_size: 5120
    .kernarg_segment_align: 8
    .kernarg_segment_size: 136
    .language:       OpenCL C
    .language_version:
      - 2
      - 0
    .max_flat_workgroup_size: 256
    .name:           _ZN12_GLOBAL__N_120geam_min_plus_kernelIDF16_Dv2_DF16_S1_Li32ELi8ELi256ELi64ELi4ELi64ELi4ELi4ELi64ELc78ELc78ELb0ELb0ELb1EPKDF16_S2_DF16_EEviiiT16_PT17_ilS6_ilS4_S6_ilPT18_ili26rocblas_geam_ex_operation_
    .private_segment_fixed_size: 0
    .sgpr_count:     26
    .sgpr_spill_count: 0
    .symbol:         _ZN12_GLOBAL__N_120geam_min_plus_kernelIDF16_Dv2_DF16_S1_Li32ELi8ELi256ELi64ELi4ELi64ELi4ELi4ELi64ELc78ELc78ELb0ELb0ELb1EPKDF16_S2_DF16_EEviiiT16_PT17_ilS6_ilS4_S6_ilPT18_ili26rocblas_geam_ex_operation_.kd
    .uniform_work_group_size: 1
    .uses_dynamic_stack: false
    .vgpr_count:     169
    .vgpr_spill_count: 0
    .wavefront_size: 32
    .workgroup_processor_mode: 1
  - .args:
      - .offset:         0
        .size:           4
        .value_kind:     by_value
      - .offset:         4
        .size:           4
        .value_kind:     by_value
      - .offset:         8
        .size:           4
        .value_kind:     by_value
      - .offset:         12
        .size:           2
        .value_kind:     by_value
      - .address_space:  global
        .offset:         16
        .size:           8
        .value_kind:     global_buffer
      - .offset:         24
        .size:           4
        .value_kind:     by_value
      - .offset:         32
        .size:           8
        .value_kind:     by_value
      - .address_space:  global
        .offset:         40
        .size:           8
        .value_kind:     global_buffer
      - .offset:         48
        .size:           4
        .value_kind:     by_value
      - .offset:         56
        .size:           8
        .value_kind:     by_value
      - .offset:         64
        .size:           2
        .value_kind:     by_value
      - .address_space:  global
        .offset:         72
        .size:           8
        .value_kind:     global_buffer
      - .offset:         80
        .size:           4
        .value_kind:     by_value
      - .offset:         88
        .size:           8
        .value_kind:     by_value
      - .address_space:  global
        .offset:         96
        .size:           8
        .value_kind:     global_buffer
      - .offset:         104
        .size:           4
        .value_kind:     by_value
      - .offset:         112
        .size:           8
        .value_kind:     by_value
      - .offset:         120
        .size:           4
        .value_kind:     by_value
      - .offset:         124
        .size:           4
        .value_kind:     by_value
    .group_segment_fixed_size: 5120
    .kernarg_segment_align: 8
    .kernarg_segment_size: 128
    .language:       OpenCL C
    .language_version:
      - 2
      - 0
    .max_flat_workgroup_size: 256
    .name:           _ZN12_GLOBAL__N_120geam_min_plus_kernelIDF16_Dv2_DF16_S1_Li32ELi8ELi256ELi64ELi4ELi64ELi4ELi4ELi64ELc78ELc78ELb1ELb0ELb1EDF16_KDF16_DF16_EEviiiT16_PT17_ilS5_ilS3_S5_ilPT18_ili26rocblas_geam_ex_operation_
    .private_segment_fixed_size: 176
    .sgpr_count:     30
    .sgpr_spill_count: 0
    .symbol:         _ZN12_GLOBAL__N_120geam_min_plus_kernelIDF16_Dv2_DF16_S1_Li32ELi8ELi256ELi64ELi4ELi64ELi4ELi4ELi64ELc78ELc78ELb1ELb0ELb1EDF16_KDF16_DF16_EEviiiT16_PT17_ilS5_ilS3_S5_ilPT18_ili26rocblas_geam_ex_operation_.kd
    .uniform_work_group_size: 1
    .uses_dynamic_stack: false
    .vgpr_count:     256
    .vgpr_spill_count: 43
    .wavefront_size: 32
    .workgroup_processor_mode: 1
  - .args:
      - .offset:         0
        .size:           4
        .value_kind:     by_value
      - .offset:         4
        .size:           4
        .value_kind:     by_value
      - .offset:         8
        .size:           4
        .value_kind:     by_value
      - .offset:         12
        .size:           2
        .value_kind:     by_value
      - .address_space:  global
        .offset:         16
        .size:           8
        .value_kind:     global_buffer
      - .offset:         24
        .size:           4
        .value_kind:     by_value
      - .offset:         32
        .size:           8
        .value_kind:     by_value
      - .address_space:  global
        .offset:         40
        .size:           8
        .value_kind:     global_buffer
      - .offset:         48
        .size:           4
        .value_kind:     by_value
      - .offset:         56
        .size:           8
        .value_kind:     by_value
      - .offset:         64
        .size:           2
        .value_kind:     by_value
      - .address_space:  global
        .offset:         72
        .size:           8
        .value_kind:     global_buffer
      - .offset:         80
        .size:           4
        .value_kind:     by_value
      - .offset:         88
        .size:           8
        .value_kind:     by_value
      - .address_space:  global
        .offset:         96
        .size:           8
        .value_kind:     global_buffer
      - .offset:         104
        .size:           4
        .value_kind:     by_value
      - .offset:         112
        .size:           8
        .value_kind:     by_value
      - .offset:         120
        .size:           4
        .value_kind:     by_value
      - .offset:         124
        .size:           4
        .value_kind:     by_value
    .group_segment_fixed_size: 5120
    .kernarg_segment_align: 8
    .kernarg_segment_size: 128
    .language:       OpenCL C
    .language_version:
      - 2
      - 0
    .max_flat_workgroup_size: 256
    .name:           _ZN12_GLOBAL__N_120geam_min_plus_kernelIDF16_Dv2_DF16_S1_Li32ELi8ELi256ELi64ELi4ELi64ELi4ELi4ELi64ELc78ELc78ELb0ELb0ELb1EDF16_KDF16_DF16_EEviiiT16_PT17_ilS5_ilS3_S5_ilPT18_ili26rocblas_geam_ex_operation_
    .private_segment_fixed_size: 0
    .sgpr_count:     26
    .sgpr_spill_count: 0
    .symbol:         _ZN12_GLOBAL__N_120geam_min_plus_kernelIDF16_Dv2_DF16_S1_Li32ELi8ELi256ELi64ELi4ELi64ELi4ELi4ELi64ELc78ELc78ELb0ELb0ELb1EDF16_KDF16_DF16_EEviiiT16_PT17_ilS5_ilS3_S5_ilPT18_ili26rocblas_geam_ex_operation_.kd
    .uniform_work_group_size: 1
    .uses_dynamic_stack: false
    .vgpr_count:     167
    .vgpr_spill_count: 0
    .wavefront_size: 32
    .workgroup_processor_mode: 1
  - .args:
      - .offset:         0
        .size:           4
        .value_kind:     by_value
      - .offset:         4
        .size:           4
        .value_kind:     by_value
      - .offset:         8
        .size:           4
        .value_kind:     by_value
      - .address_space:  global
        .offset:         16
        .size:           8
        .value_kind:     global_buffer
      - .address_space:  global
        .offset:         24
        .size:           8
        .value_kind:     global_buffer
      - .offset:         32
        .size:           4
        .value_kind:     by_value
      - .offset:         40
        .size:           8
        .value_kind:     by_value
      - .address_space:  global
        .offset:         48
        .size:           8
        .value_kind:     global_buffer
      - .offset:         56
        .size:           4
        .value_kind:     by_value
      - .offset:         64
        .size:           8
        .value_kind:     by_value
      - .address_space:  global
        .offset:         72
        .size:           8
        .value_kind:     global_buffer
      - .address_space:  global
        .offset:         80
        .size:           8
        .value_kind:     global_buffer
      - .offset:         88
        .size:           4
        .value_kind:     by_value
      - .offset:         96
        .size:           8
        .value_kind:     by_value
      - .address_space:  global
        .offset:         104
        .size:           8
        .value_kind:     global_buffer
      - .offset:         112
        .size:           4
        .value_kind:     by_value
      - .offset:         120
        .size:           8
        .value_kind:     by_value
      - .offset:         128
        .size:           4
        .value_kind:     by_value
      - .offset:         132
        .size:           4
        .value_kind:     by_value
    .group_segment_fixed_size: 5120
    .kernarg_segment_align: 8
    .kernarg_segment_size: 136
    .language:       OpenCL C
    .language_version:
      - 2
      - 0
    .max_flat_workgroup_size: 256
    .name:           _ZN12_GLOBAL__N_120geam_min_plus_kernelIDF16_Dv2_DF16_S1_Li32ELi8ELi256ELi64ELi4ELi64ELi4ELi4ELi64ELc78ELc78ELb0ELb1ELb1EPKDF16_S2_DF16_EEviiiT16_PT17_ilS6_ilS4_S6_ilPT18_ili26rocblas_geam_ex_operation_
    .private_segment_fixed_size: 0
    .sgpr_count:     30
    .sgpr_spill_count: 0
    .symbol:         _ZN12_GLOBAL__N_120geam_min_plus_kernelIDF16_Dv2_DF16_S1_Li32ELi8ELi256ELi64ELi4ELi64ELi4ELi4ELi64ELc78ELc78ELb0ELb1ELb1EPKDF16_S2_DF16_EEviiiT16_PT17_ilS6_ilS4_S6_ilPT18_ili26rocblas_geam_ex_operation_.kd
    .uniform_work_group_size: 1
    .uses_dynamic_stack: false
    .vgpr_count:     167
    .vgpr_spill_count: 0
    .wavefront_size: 32
    .workgroup_processor_mode: 1
  - .args:
      - .offset:         0
        .size:           4
        .value_kind:     by_value
      - .offset:         4
        .size:           4
        .value_kind:     by_value
      - .offset:         8
        .size:           4
        .value_kind:     by_value
      - .offset:         12
        .size:           2
        .value_kind:     by_value
      - .address_space:  global
        .offset:         16
        .size:           8
        .value_kind:     global_buffer
      - .offset:         24
        .size:           4
        .value_kind:     by_value
      - .offset:         32
        .size:           8
        .value_kind:     by_value
      - .address_space:  global
        .offset:         40
        .size:           8
        .value_kind:     global_buffer
      - .offset:         48
        .size:           4
        .value_kind:     by_value
      - .offset:         56
        .size:           8
        .value_kind:     by_value
      - .offset:         64
        .size:           2
        .value_kind:     by_value
      - .address_space:  global
        .offset:         72
        .size:           8
        .value_kind:     global_buffer
      - .offset:         80
        .size:           4
        .value_kind:     by_value
      - .offset:         88
        .size:           8
        .value_kind:     by_value
      - .address_space:  global
        .offset:         96
        .size:           8
        .value_kind:     global_buffer
      - .offset:         104
        .size:           4
        .value_kind:     by_value
      - .offset:         112
        .size:           8
        .value_kind:     by_value
      - .offset:         120
        .size:           4
        .value_kind:     by_value
      - .offset:         124
        .size:           4
        .value_kind:     by_value
    .group_segment_fixed_size: 5120
    .kernarg_segment_align: 8
    .kernarg_segment_size: 128
    .language:       OpenCL C
    .language_version:
      - 2
      - 0
    .max_flat_workgroup_size: 256
    .name:           _ZN12_GLOBAL__N_120geam_min_plus_kernelIDF16_Dv2_DF16_S1_Li32ELi8ELi256ELi64ELi4ELi64ELi4ELi4ELi64ELc78ELc78ELb1ELb1ELb1EDF16_KDF16_DF16_EEviiiT16_PT17_ilS5_ilS3_S5_ilPT18_ili26rocblas_geam_ex_operation_
    .private_segment_fixed_size: 0
    .sgpr_count:     30
    .sgpr_spill_count: 0
    .symbol:         _ZN12_GLOBAL__N_120geam_min_plus_kernelIDF16_Dv2_DF16_S1_Li32ELi8ELi256ELi64ELi4ELi64ELi4ELi4ELi64ELc78ELc78ELb1ELb1ELb1EDF16_KDF16_DF16_EEviiiT16_PT17_ilS5_ilS3_S5_ilPT18_ili26rocblas_geam_ex_operation_.kd
    .uniform_work_group_size: 1
    .uses_dynamic_stack: false
    .vgpr_count:     156
    .vgpr_spill_count: 0
    .wavefront_size: 32
    .workgroup_processor_mode: 1
  - .args:
      - .offset:         0
        .size:           4
        .value_kind:     by_value
      - .offset:         4
        .size:           4
        .value_kind:     by_value
      - .offset:         8
        .size:           4
        .value_kind:     by_value
      - .offset:         12
        .size:           2
        .value_kind:     by_value
      - .address_space:  global
        .offset:         16
        .size:           8
        .value_kind:     global_buffer
      - .offset:         24
        .size:           4
        .value_kind:     by_value
      - .offset:         32
        .size:           8
        .value_kind:     by_value
      - .address_space:  global
        .offset:         40
        .size:           8
        .value_kind:     global_buffer
      - .offset:         48
        .size:           4
        .value_kind:     by_value
      - .offset:         56
        .size:           8
        .value_kind:     by_value
      - .offset:         64
        .size:           2
        .value_kind:     by_value
      - .address_space:  global
        .offset:         72
        .size:           8
        .value_kind:     global_buffer
      - .offset:         80
        .size:           4
        .value_kind:     by_value
      - .offset:         88
        .size:           8
        .value_kind:     by_value
      - .address_space:  global
        .offset:         96
        .size:           8
        .value_kind:     global_buffer
      - .offset:         104
        .size:           4
        .value_kind:     by_value
      - .offset:         112
        .size:           8
        .value_kind:     by_value
      - .offset:         120
        .size:           4
        .value_kind:     by_value
      - .offset:         124
        .size:           4
        .value_kind:     by_value
    .group_segment_fixed_size: 5120
    .kernarg_segment_align: 8
    .kernarg_segment_size: 128
    .language:       OpenCL C
    .language_version:
      - 2
      - 0
    .max_flat_workgroup_size: 256
    .name:           _ZN12_GLOBAL__N_120geam_min_plus_kernelIDF16_Dv2_DF16_S1_Li32ELi8ELi256ELi64ELi4ELi64ELi4ELi4ELi64ELc78ELc78ELb0ELb1ELb1EDF16_KDF16_DF16_EEviiiT16_PT17_ilS5_ilS3_S5_ilPT18_ili26rocblas_geam_ex_operation_
    .private_segment_fixed_size: 0
    .sgpr_count:     32
    .sgpr_spill_count: 0
    .symbol:         _ZN12_GLOBAL__N_120geam_min_plus_kernelIDF16_Dv2_DF16_S1_Li32ELi8ELi256ELi64ELi4ELi64ELi4ELi4ELi64ELc78ELc78ELb0ELb1ELb1EDF16_KDF16_DF16_EEviiiT16_PT17_ilS5_ilS3_S5_ilPT18_ili26rocblas_geam_ex_operation_.kd
    .uniform_work_group_size: 1
    .uses_dynamic_stack: false
    .vgpr_count:     154
    .vgpr_spill_count: 0
    .wavefront_size: 32
    .workgroup_processor_mode: 1
  - .args:
      - .offset:         0
        .size:           4
        .value_kind:     by_value
      - .offset:         4
        .size:           4
        .value_kind:     by_value
      - .offset:         8
        .size:           4
        .value_kind:     by_value
      - .address_space:  global
        .offset:         16
        .size:           8
        .value_kind:     global_buffer
      - .address_space:  global
        .offset:         24
        .size:           8
        .value_kind:     global_buffer
      - .offset:         32
        .size:           4
        .value_kind:     by_value
      - .offset:         40
        .size:           8
        .value_kind:     by_value
      - .address_space:  global
        .offset:         48
        .size:           8
        .value_kind:     global_buffer
      - .offset:         56
        .size:           4
        .value_kind:     by_value
      - .offset:         64
        .size:           8
        .value_kind:     by_value
      - .address_space:  global
        .offset:         72
        .size:           8
        .value_kind:     global_buffer
      - .address_space:  global
        .offset:         80
        .size:           8
        .value_kind:     global_buffer
      - .offset:         88
        .size:           4
        .value_kind:     by_value
      - .offset:         96
        .size:           8
        .value_kind:     by_value
      - .address_space:  global
        .offset:         104
        .size:           8
        .value_kind:     global_buffer
      - .offset:         112
        .size:           4
        .value_kind:     by_value
      - .offset:         120
        .size:           8
        .value_kind:     by_value
      - .offset:         128
        .size:           4
        .value_kind:     by_value
      - .offset:         132
        .size:           4
        .value_kind:     by_value
    .group_segment_fixed_size: 4096
    .kernarg_segment_align: 8
    .kernarg_segment_size: 136
    .language:       OpenCL C
    .language_version:
      - 2
      - 0
    .max_flat_workgroup_size: 256
    .name:           _ZN12_GLOBAL__N_120geam_min_plus_kernelIDF16_Dv2_DF16_S1_Li32ELi8ELi128ELi128ELi4ELi4ELi64ELi4ELi64ELc84ELc78ELb0ELb0ELb1EPKDF16_S2_DF16_EEviiiT16_PT17_ilS6_ilS4_S6_ilPT18_ili26rocblas_geam_ex_operation_
    .private_segment_fixed_size: 0
    .sgpr_count:     26
    .sgpr_spill_count: 0
    .symbol:         _ZN12_GLOBAL__N_120geam_min_plus_kernelIDF16_Dv2_DF16_S1_Li32ELi8ELi128ELi128ELi4ELi4ELi64ELi4ELi64ELc84ELc78ELb0ELb0ELb1EPKDF16_S2_DF16_EEviiiT16_PT17_ilS6_ilS4_S6_ilPT18_ili26rocblas_geam_ex_operation_.kd
    .uniform_work_group_size: 1
    .uses_dynamic_stack: false
    .vgpr_count:     151
    .vgpr_spill_count: 0
    .wavefront_size: 32
    .workgroup_processor_mode: 1
  - .args:
      - .offset:         0
        .size:           4
        .value_kind:     by_value
      - .offset:         4
        .size:           4
        .value_kind:     by_value
      - .offset:         8
        .size:           4
        .value_kind:     by_value
      - .offset:         12
        .size:           2
        .value_kind:     by_value
      - .address_space:  global
        .offset:         16
        .size:           8
        .value_kind:     global_buffer
      - .offset:         24
        .size:           4
        .value_kind:     by_value
      - .offset:         32
        .size:           8
        .value_kind:     by_value
      - .address_space:  global
        .offset:         40
        .size:           8
        .value_kind:     global_buffer
      - .offset:         48
        .size:           4
        .value_kind:     by_value
      - .offset:         56
        .size:           8
        .value_kind:     by_value
      - .offset:         64
        .size:           2
        .value_kind:     by_value
      - .address_space:  global
        .offset:         72
        .size:           8
        .value_kind:     global_buffer
      - .offset:         80
        .size:           4
        .value_kind:     by_value
      - .offset:         88
        .size:           8
        .value_kind:     by_value
      - .address_space:  global
        .offset:         96
        .size:           8
        .value_kind:     global_buffer
      - .offset:         104
        .size:           4
        .value_kind:     by_value
      - .offset:         112
        .size:           8
        .value_kind:     by_value
      - .offset:         120
        .size:           4
        .value_kind:     by_value
      - .offset:         124
        .size:           4
        .value_kind:     by_value
    .group_segment_fixed_size: 4096
    .kernarg_segment_align: 8
    .kernarg_segment_size: 128
    .language:       OpenCL C
    .language_version:
      - 2
      - 0
    .max_flat_workgroup_size: 256
    .name:           _ZN12_GLOBAL__N_120geam_min_plus_kernelIDF16_Dv2_DF16_S1_Li32ELi8ELi128ELi128ELi4ELi4ELi64ELi4ELi64ELc84ELc78ELb1ELb0ELb1EDF16_KDF16_DF16_EEviiiT16_PT17_ilS5_ilS3_S5_ilPT18_ili26rocblas_geam_ex_operation_
    .private_segment_fixed_size: 192
    .sgpr_count:     30
    .sgpr_spill_count: 0
    .symbol:         _ZN12_GLOBAL__N_120geam_min_plus_kernelIDF16_Dv2_DF16_S1_Li32ELi8ELi128ELi128ELi4ELi4ELi64ELi4ELi64ELc84ELc78ELb1ELb0ELb1EDF16_KDF16_DF16_EEviiiT16_PT17_ilS5_ilS3_S5_ilPT18_ili26rocblas_geam_ex_operation_.kd
    .uniform_work_group_size: 1
    .uses_dynamic_stack: false
    .vgpr_count:     256
    .vgpr_spill_count: 47
    .wavefront_size: 32
    .workgroup_processor_mode: 1
  - .args:
      - .offset:         0
        .size:           4
        .value_kind:     by_value
      - .offset:         4
        .size:           4
        .value_kind:     by_value
      - .offset:         8
        .size:           4
        .value_kind:     by_value
      - .offset:         12
        .size:           2
        .value_kind:     by_value
      - .address_space:  global
        .offset:         16
        .size:           8
        .value_kind:     global_buffer
      - .offset:         24
        .size:           4
        .value_kind:     by_value
      - .offset:         32
        .size:           8
        .value_kind:     by_value
      - .address_space:  global
        .offset:         40
        .size:           8
        .value_kind:     global_buffer
      - .offset:         48
        .size:           4
        .value_kind:     by_value
      - .offset:         56
        .size:           8
        .value_kind:     by_value
      - .offset:         64
        .size:           2
        .value_kind:     by_value
      - .address_space:  global
        .offset:         72
        .size:           8
        .value_kind:     global_buffer
      - .offset:         80
        .size:           4
        .value_kind:     by_value
      - .offset:         88
        .size:           8
        .value_kind:     by_value
      - .address_space:  global
        .offset:         96
        .size:           8
        .value_kind:     global_buffer
      - .offset:         104
        .size:           4
        .value_kind:     by_value
      - .offset:         112
        .size:           8
        .value_kind:     by_value
      - .offset:         120
        .size:           4
        .value_kind:     by_value
      - .offset:         124
        .size:           4
        .value_kind:     by_value
    .group_segment_fixed_size: 4096
    .kernarg_segment_align: 8
    .kernarg_segment_size: 128
    .language:       OpenCL C
    .language_version:
      - 2
      - 0
    .max_flat_workgroup_size: 256
    .name:           _ZN12_GLOBAL__N_120geam_min_plus_kernelIDF16_Dv2_DF16_S1_Li32ELi8ELi128ELi128ELi4ELi4ELi64ELi4ELi64ELc84ELc78ELb0ELb0ELb1EDF16_KDF16_DF16_EEviiiT16_PT17_ilS5_ilS3_S5_ilPT18_ili26rocblas_geam_ex_operation_
    .private_segment_fixed_size: 0
    .sgpr_count:     25
    .sgpr_spill_count: 0
    .symbol:         _ZN12_GLOBAL__N_120geam_min_plus_kernelIDF16_Dv2_DF16_S1_Li32ELi8ELi128ELi128ELi4ELi4ELi64ELi4ELi64ELc84ELc78ELb0ELb0ELb1EDF16_KDF16_DF16_EEviiiT16_PT17_ilS5_ilS3_S5_ilPT18_ili26rocblas_geam_ex_operation_.kd
    .uniform_work_group_size: 1
    .uses_dynamic_stack: false
    .vgpr_count:     149
    .vgpr_spill_count: 0
    .wavefront_size: 32
    .workgroup_processor_mode: 1
  - .args:
      - .offset:         0
        .size:           4
        .value_kind:     by_value
      - .offset:         4
        .size:           4
        .value_kind:     by_value
      - .offset:         8
        .size:           4
        .value_kind:     by_value
      - .address_space:  global
        .offset:         16
        .size:           8
        .value_kind:     global_buffer
      - .address_space:  global
        .offset:         24
        .size:           8
        .value_kind:     global_buffer
      - .offset:         32
        .size:           4
        .value_kind:     by_value
      - .offset:         40
        .size:           8
        .value_kind:     by_value
      - .address_space:  global
        .offset:         48
        .size:           8
        .value_kind:     global_buffer
      - .offset:         56
        .size:           4
        .value_kind:     by_value
      - .offset:         64
        .size:           8
        .value_kind:     by_value
      - .address_space:  global
        .offset:         72
        .size:           8
        .value_kind:     global_buffer
      - .address_space:  global
        .offset:         80
        .size:           8
        .value_kind:     global_buffer
      - .offset:         88
        .size:           4
        .value_kind:     by_value
      - .offset:         96
        .size:           8
        .value_kind:     by_value
      - .address_space:  global
        .offset:         104
        .size:           8
        .value_kind:     global_buffer
      - .offset:         112
        .size:           4
        .value_kind:     by_value
      - .offset:         120
        .size:           8
        .value_kind:     by_value
      - .offset:         128
        .size:           4
        .value_kind:     by_value
      - .offset:         132
        .size:           4
        .value_kind:     by_value
    .group_segment_fixed_size: 4096
    .kernarg_segment_align: 8
    .kernarg_segment_size: 136
    .language:       OpenCL C
    .language_version:
      - 2
      - 0
    .max_flat_workgroup_size: 256
    .name:           _ZN12_GLOBAL__N_120geam_min_plus_kernelIDF16_Dv2_DF16_S1_Li32ELi8ELi128ELi128ELi4ELi4ELi64ELi4ELi64ELc84ELc78ELb0ELb1ELb1EPKDF16_S2_DF16_EEviiiT16_PT17_ilS6_ilS4_S6_ilPT18_ili26rocblas_geam_ex_operation_
    .private_segment_fixed_size: 0
    .sgpr_count:     29
    .sgpr_spill_count: 0
    .symbol:         _ZN12_GLOBAL__N_120geam_min_plus_kernelIDF16_Dv2_DF16_S1_Li32ELi8ELi128ELi128ELi4ELi4ELi64ELi4ELi64ELc84ELc78ELb0ELb1ELb1EPKDF16_S2_DF16_EEviiiT16_PT17_ilS6_ilS4_S6_ilPT18_ili26rocblas_geam_ex_operation_.kd
    .uniform_work_group_size: 1
    .uses_dynamic_stack: false
    .vgpr_count:     163
    .vgpr_spill_count: 0
    .wavefront_size: 32
    .workgroup_processor_mode: 1
  - .args:
      - .offset:         0
        .size:           4
        .value_kind:     by_value
      - .offset:         4
        .size:           4
        .value_kind:     by_value
      - .offset:         8
        .size:           4
        .value_kind:     by_value
      - .offset:         12
        .size:           2
        .value_kind:     by_value
      - .address_space:  global
        .offset:         16
        .size:           8
        .value_kind:     global_buffer
      - .offset:         24
        .size:           4
        .value_kind:     by_value
      - .offset:         32
        .size:           8
        .value_kind:     by_value
      - .address_space:  global
        .offset:         40
        .size:           8
        .value_kind:     global_buffer
      - .offset:         48
        .size:           4
        .value_kind:     by_value
      - .offset:         56
        .size:           8
        .value_kind:     by_value
      - .offset:         64
        .size:           2
        .value_kind:     by_value
      - .address_space:  global
        .offset:         72
        .size:           8
        .value_kind:     global_buffer
      - .offset:         80
        .size:           4
        .value_kind:     by_value
      - .offset:         88
        .size:           8
        .value_kind:     by_value
      - .address_space:  global
        .offset:         96
        .size:           8
        .value_kind:     global_buffer
      - .offset:         104
        .size:           4
        .value_kind:     by_value
      - .offset:         112
        .size:           8
        .value_kind:     by_value
      - .offset:         120
        .size:           4
        .value_kind:     by_value
      - .offset:         124
        .size:           4
        .value_kind:     by_value
    .group_segment_fixed_size: 4096
    .kernarg_segment_align: 8
    .kernarg_segment_size: 128
    .language:       OpenCL C
    .language_version:
      - 2
      - 0
    .max_flat_workgroup_size: 256
    .name:           _ZN12_GLOBAL__N_120geam_min_plus_kernelIDF16_Dv2_DF16_S1_Li32ELi8ELi128ELi128ELi4ELi4ELi64ELi4ELi64ELc84ELc78ELb1ELb1ELb1EDF16_KDF16_DF16_EEviiiT16_PT17_ilS5_ilS3_S5_ilPT18_ili26rocblas_geam_ex_operation_
    .private_segment_fixed_size: 0
    .sgpr_count:     28
    .sgpr_spill_count: 0
    .symbol:         _ZN12_GLOBAL__N_120geam_min_plus_kernelIDF16_Dv2_DF16_S1_Li32ELi8ELi128ELi128ELi4ELi4ELi64ELi4ELi64ELc84ELc78ELb1ELb1ELb1EDF16_KDF16_DF16_EEviiiT16_PT17_ilS5_ilS3_S5_ilPT18_ili26rocblas_geam_ex_operation_.kd
    .uniform_work_group_size: 1
    .uses_dynamic_stack: false
    .vgpr_count:     150
    .vgpr_spill_count: 0
    .wavefront_size: 32
    .workgroup_processor_mode: 1
  - .args:
      - .offset:         0
        .size:           4
        .value_kind:     by_value
      - .offset:         4
        .size:           4
        .value_kind:     by_value
      - .offset:         8
        .size:           4
        .value_kind:     by_value
      - .offset:         12
        .size:           2
        .value_kind:     by_value
      - .address_space:  global
        .offset:         16
        .size:           8
        .value_kind:     global_buffer
      - .offset:         24
        .size:           4
        .value_kind:     by_value
      - .offset:         32
        .size:           8
        .value_kind:     by_value
      - .address_space:  global
        .offset:         40
        .size:           8
        .value_kind:     global_buffer
      - .offset:         48
        .size:           4
        .value_kind:     by_value
      - .offset:         56
        .size:           8
        .value_kind:     by_value
      - .offset:         64
        .size:           2
        .value_kind:     by_value
      - .address_space:  global
        .offset:         72
        .size:           8
        .value_kind:     global_buffer
      - .offset:         80
        .size:           4
        .value_kind:     by_value
      - .offset:         88
        .size:           8
        .value_kind:     by_value
      - .address_space:  global
        .offset:         96
        .size:           8
        .value_kind:     global_buffer
      - .offset:         104
        .size:           4
        .value_kind:     by_value
      - .offset:         112
        .size:           8
        .value_kind:     by_value
      - .offset:         120
        .size:           4
        .value_kind:     by_value
      - .offset:         124
        .size:           4
        .value_kind:     by_value
    .group_segment_fixed_size: 4096
    .kernarg_segment_align: 8
    .kernarg_segment_size: 128
    .language:       OpenCL C
    .language_version:
      - 2
      - 0
    .max_flat_workgroup_size: 256
    .name:           _ZN12_GLOBAL__N_120geam_min_plus_kernelIDF16_Dv2_DF16_S1_Li32ELi8ELi128ELi128ELi4ELi4ELi64ELi4ELi64ELc84ELc78ELb0ELb1ELb1EDF16_KDF16_DF16_EEviiiT16_PT17_ilS5_ilS3_S5_ilPT18_ili26rocblas_geam_ex_operation_
    .private_segment_fixed_size: 0
    .sgpr_count:     31
    .sgpr_spill_count: 0
    .symbol:         _ZN12_GLOBAL__N_120geam_min_plus_kernelIDF16_Dv2_DF16_S1_Li32ELi8ELi128ELi128ELi4ELi4ELi64ELi4ELi64ELc84ELc78ELb0ELb1ELb1EDF16_KDF16_DF16_EEviiiT16_PT17_ilS5_ilS3_S5_ilPT18_ili26rocblas_geam_ex_operation_.kd
    .uniform_work_group_size: 1
    .uses_dynamic_stack: false
    .vgpr_count:     161
    .vgpr_spill_count: 0
    .wavefront_size: 32
    .workgroup_processor_mode: 1
  - .args:
      - .offset:         0
        .size:           4
        .value_kind:     by_value
      - .offset:         4
        .size:           4
        .value_kind:     by_value
      - .offset:         8
        .size:           4
        .value_kind:     by_value
      - .address_space:  global
        .offset:         16
        .size:           8
        .value_kind:     global_buffer
      - .address_space:  global
        .offset:         24
        .size:           8
        .value_kind:     global_buffer
      - .offset:         32
        .size:           4
        .value_kind:     by_value
      - .offset:         40
        .size:           8
        .value_kind:     by_value
      - .address_space:  global
        .offset:         48
        .size:           8
        .value_kind:     global_buffer
      - .offset:         56
        .size:           4
        .value_kind:     by_value
      - .offset:         64
        .size:           8
        .value_kind:     by_value
      - .address_space:  global
        .offset:         72
        .size:           8
        .value_kind:     global_buffer
      - .address_space:  global
        .offset:         80
        .size:           8
        .value_kind:     global_buffer
      - .offset:         88
        .size:           4
        .value_kind:     by_value
      - .offset:         96
        .size:           8
        .value_kind:     by_value
      - .address_space:  global
        .offset:         104
        .size:           8
        .value_kind:     global_buffer
      - .offset:         112
        .size:           4
        .value_kind:     by_value
      - .offset:         120
        .size:           8
        .value_kind:     by_value
      - .offset:         128
        .size:           4
        .value_kind:     by_value
      - .offset:         132
        .size:           4
        .value_kind:     by_value
    .group_segment_fixed_size: 5120
    .kernarg_segment_align: 8
    .kernarg_segment_size: 136
    .language:       OpenCL C
    .language_version:
      - 2
      - 0
    .max_flat_workgroup_size: 256
    .name:           _ZN12_GLOBAL__N_120geam_min_plus_kernelIDF16_Dv2_DF16_S1_Li8ELi32ELi64ELi256ELi4ELi64ELi4ELi64ELi4ELc78ELc84ELb0ELb0ELb1EPKDF16_S2_DF16_EEviiiT16_PT17_ilS6_ilS4_S6_ilPT18_ili26rocblas_geam_ex_operation_
    .private_segment_fixed_size: 0
    .sgpr_count:     26
    .sgpr_spill_count: 0
    .symbol:         _ZN12_GLOBAL__N_120geam_min_plus_kernelIDF16_Dv2_DF16_S1_Li8ELi32ELi64ELi256ELi4ELi64ELi4ELi64ELi4ELc78ELc84ELb0ELb0ELb1EPKDF16_S2_DF16_EEviiiT16_PT17_ilS6_ilS4_S6_ilPT18_ili26rocblas_geam_ex_operation_.kd
    .uniform_work_group_size: 1
    .uses_dynamic_stack: false
    .vgpr_count:     168
    .vgpr_spill_count: 0
    .wavefront_size: 32
    .workgroup_processor_mode: 1
  - .args:
      - .offset:         0
        .size:           4
        .value_kind:     by_value
      - .offset:         4
        .size:           4
        .value_kind:     by_value
      - .offset:         8
        .size:           4
        .value_kind:     by_value
      - .offset:         12
        .size:           2
        .value_kind:     by_value
      - .address_space:  global
        .offset:         16
        .size:           8
        .value_kind:     global_buffer
      - .offset:         24
        .size:           4
        .value_kind:     by_value
      - .offset:         32
        .size:           8
        .value_kind:     by_value
      - .address_space:  global
        .offset:         40
        .size:           8
        .value_kind:     global_buffer
      - .offset:         48
        .size:           4
        .value_kind:     by_value
      - .offset:         56
        .size:           8
        .value_kind:     by_value
      - .offset:         64
        .size:           2
        .value_kind:     by_value
      - .address_space:  global
        .offset:         72
        .size:           8
        .value_kind:     global_buffer
      - .offset:         80
        .size:           4
        .value_kind:     by_value
      - .offset:         88
        .size:           8
        .value_kind:     by_value
      - .address_space:  global
        .offset:         96
        .size:           8
        .value_kind:     global_buffer
      - .offset:         104
        .size:           4
        .value_kind:     by_value
      - .offset:         112
        .size:           8
        .value_kind:     by_value
      - .offset:         120
        .size:           4
        .value_kind:     by_value
      - .offset:         124
        .size:           4
        .value_kind:     by_value
    .group_segment_fixed_size: 5120
    .kernarg_segment_align: 8
    .kernarg_segment_size: 128
    .language:       OpenCL C
    .language_version:
      - 2
      - 0
    .max_flat_workgroup_size: 256
    .name:           _ZN12_GLOBAL__N_120geam_min_plus_kernelIDF16_Dv2_DF16_S1_Li8ELi32ELi64ELi256ELi4ELi64ELi4ELi64ELi4ELc78ELc84ELb1ELb0ELb1EDF16_KDF16_DF16_EEviiiT16_PT17_ilS5_ilS3_S5_ilPT18_ili26rocblas_geam_ex_operation_
    .private_segment_fixed_size: 180
    .sgpr_count:     30
    .sgpr_spill_count: 0
    .symbol:         _ZN12_GLOBAL__N_120geam_min_plus_kernelIDF16_Dv2_DF16_S1_Li8ELi32ELi64ELi256ELi4ELi64ELi4ELi64ELi4ELc78ELc84ELb1ELb0ELb1EDF16_KDF16_DF16_EEviiiT16_PT17_ilS5_ilS3_S5_ilPT18_ili26rocblas_geam_ex_operation_.kd
    .uniform_work_group_size: 1
    .uses_dynamic_stack: false
    .vgpr_count:     256
    .vgpr_spill_count: 44
    .wavefront_size: 32
    .workgroup_processor_mode: 1
  - .args:
      - .offset:         0
        .size:           4
        .value_kind:     by_value
      - .offset:         4
        .size:           4
        .value_kind:     by_value
      - .offset:         8
        .size:           4
        .value_kind:     by_value
      - .offset:         12
        .size:           2
        .value_kind:     by_value
      - .address_space:  global
        .offset:         16
        .size:           8
        .value_kind:     global_buffer
      - .offset:         24
        .size:           4
        .value_kind:     by_value
      - .offset:         32
        .size:           8
        .value_kind:     by_value
      - .address_space:  global
        .offset:         40
        .size:           8
        .value_kind:     global_buffer
      - .offset:         48
        .size:           4
        .value_kind:     by_value
      - .offset:         56
        .size:           8
        .value_kind:     by_value
      - .offset:         64
        .size:           2
        .value_kind:     by_value
      - .address_space:  global
        .offset:         72
        .size:           8
        .value_kind:     global_buffer
      - .offset:         80
        .size:           4
        .value_kind:     by_value
      - .offset:         88
        .size:           8
        .value_kind:     by_value
      - .address_space:  global
        .offset:         96
        .size:           8
        .value_kind:     global_buffer
      - .offset:         104
        .size:           4
        .value_kind:     by_value
      - .offset:         112
        .size:           8
        .value_kind:     by_value
      - .offset:         120
        .size:           4
        .value_kind:     by_value
      - .offset:         124
        .size:           4
        .value_kind:     by_value
    .group_segment_fixed_size: 5120
    .kernarg_segment_align: 8
    .kernarg_segment_size: 128
    .language:       OpenCL C
    .language_version:
      - 2
      - 0
    .max_flat_workgroup_size: 256
    .name:           _ZN12_GLOBAL__N_120geam_min_plus_kernelIDF16_Dv2_DF16_S1_Li8ELi32ELi64ELi256ELi4ELi64ELi4ELi64ELi4ELc78ELc84ELb0ELb0ELb1EDF16_KDF16_DF16_EEviiiT16_PT17_ilS5_ilS3_S5_ilPT18_ili26rocblas_geam_ex_operation_
    .private_segment_fixed_size: 0
    .sgpr_count:     27
    .sgpr_spill_count: 0
    .symbol:         _ZN12_GLOBAL__N_120geam_min_plus_kernelIDF16_Dv2_DF16_S1_Li8ELi32ELi64ELi256ELi4ELi64ELi4ELi64ELi4ELc78ELc84ELb0ELb0ELb1EDF16_KDF16_DF16_EEviiiT16_PT17_ilS5_ilS3_S5_ilPT18_ili26rocblas_geam_ex_operation_.kd
    .uniform_work_group_size: 1
    .uses_dynamic_stack: false
    .vgpr_count:     170
    .vgpr_spill_count: 0
    .wavefront_size: 32
    .workgroup_processor_mode: 1
  - .args:
      - .offset:         0
        .size:           4
        .value_kind:     by_value
      - .offset:         4
        .size:           4
        .value_kind:     by_value
      - .offset:         8
        .size:           4
        .value_kind:     by_value
      - .address_space:  global
        .offset:         16
        .size:           8
        .value_kind:     global_buffer
      - .address_space:  global
        .offset:         24
        .size:           8
        .value_kind:     global_buffer
      - .offset:         32
        .size:           4
        .value_kind:     by_value
      - .offset:         40
        .size:           8
        .value_kind:     by_value
      - .address_space:  global
        .offset:         48
        .size:           8
        .value_kind:     global_buffer
      - .offset:         56
        .size:           4
        .value_kind:     by_value
      - .offset:         64
        .size:           8
        .value_kind:     by_value
      - .address_space:  global
        .offset:         72
        .size:           8
        .value_kind:     global_buffer
      - .address_space:  global
        .offset:         80
        .size:           8
        .value_kind:     global_buffer
      - .offset:         88
        .size:           4
        .value_kind:     by_value
      - .offset:         96
        .size:           8
        .value_kind:     by_value
      - .address_space:  global
        .offset:         104
        .size:           8
        .value_kind:     global_buffer
      - .offset:         112
        .size:           4
        .value_kind:     by_value
      - .offset:         120
        .size:           8
        .value_kind:     by_value
      - .offset:         128
        .size:           4
        .value_kind:     by_value
      - .offset:         132
        .size:           4
        .value_kind:     by_value
    .group_segment_fixed_size: 5120
    .kernarg_segment_align: 8
    .kernarg_segment_size: 136
    .language:       OpenCL C
    .language_version:
      - 2
      - 0
    .max_flat_workgroup_size: 256
    .name:           _ZN12_GLOBAL__N_120geam_min_plus_kernelIDF16_Dv2_DF16_S1_Li8ELi32ELi64ELi256ELi4ELi64ELi4ELi64ELi4ELc78ELc84ELb0ELb1ELb1EPKDF16_S2_DF16_EEviiiT16_PT17_ilS6_ilS4_S6_ilPT18_ili26rocblas_geam_ex_operation_
    .private_segment_fixed_size: 0
    .sgpr_count:     32
    .sgpr_spill_count: 0
    .symbol:         _ZN12_GLOBAL__N_120geam_min_plus_kernelIDF16_Dv2_DF16_S1_Li8ELi32ELi64ELi256ELi4ELi64ELi4ELi64ELi4ELc78ELc84ELb0ELb1ELb1EPKDF16_S2_DF16_EEviiiT16_PT17_ilS6_ilS4_S6_ilPT18_ili26rocblas_geam_ex_operation_.kd
    .uniform_work_group_size: 1
    .uses_dynamic_stack: false
    .vgpr_count:     165
    .vgpr_spill_count: 0
    .wavefront_size: 32
    .workgroup_processor_mode: 1
  - .args:
      - .offset:         0
        .size:           4
        .value_kind:     by_value
      - .offset:         4
        .size:           4
        .value_kind:     by_value
      - .offset:         8
        .size:           4
        .value_kind:     by_value
      - .offset:         12
        .size:           2
        .value_kind:     by_value
      - .address_space:  global
        .offset:         16
        .size:           8
        .value_kind:     global_buffer
      - .offset:         24
        .size:           4
        .value_kind:     by_value
      - .offset:         32
        .size:           8
        .value_kind:     by_value
      - .address_space:  global
        .offset:         40
        .size:           8
        .value_kind:     global_buffer
      - .offset:         48
        .size:           4
        .value_kind:     by_value
      - .offset:         56
        .size:           8
        .value_kind:     by_value
      - .offset:         64
        .size:           2
        .value_kind:     by_value
      - .address_space:  global
        .offset:         72
        .size:           8
        .value_kind:     global_buffer
      - .offset:         80
        .size:           4
        .value_kind:     by_value
      - .offset:         88
        .size:           8
        .value_kind:     by_value
      - .address_space:  global
        .offset:         96
        .size:           8
        .value_kind:     global_buffer
      - .offset:         104
        .size:           4
        .value_kind:     by_value
      - .offset:         112
        .size:           8
        .value_kind:     by_value
      - .offset:         120
        .size:           4
        .value_kind:     by_value
      - .offset:         124
        .size:           4
        .value_kind:     by_value
    .group_segment_fixed_size: 5120
    .kernarg_segment_align: 8
    .kernarg_segment_size: 128
    .language:       OpenCL C
    .language_version:
      - 2
      - 0
    .max_flat_workgroup_size: 256
    .name:           _ZN12_GLOBAL__N_120geam_min_plus_kernelIDF16_Dv2_DF16_S1_Li8ELi32ELi64ELi256ELi4ELi64ELi4ELi64ELi4ELc78ELc84ELb1ELb1ELb1EDF16_KDF16_DF16_EEviiiT16_PT17_ilS5_ilS3_S5_ilPT18_ili26rocblas_geam_ex_operation_
    .private_segment_fixed_size: 0
    .sgpr_count:     31
    .sgpr_spill_count: 0
    .symbol:         _ZN12_GLOBAL__N_120geam_min_plus_kernelIDF16_Dv2_DF16_S1_Li8ELi32ELi64ELi256ELi4ELi64ELi4ELi64ELi4ELc78ELc84ELb1ELb1ELb1EDF16_KDF16_DF16_EEviiiT16_PT17_ilS5_ilS3_S5_ilPT18_ili26rocblas_geam_ex_operation_.kd
    .uniform_work_group_size: 1
    .uses_dynamic_stack: false
    .vgpr_count:     160
    .vgpr_spill_count: 0
    .wavefront_size: 32
    .workgroup_processor_mode: 1
  - .args:
      - .offset:         0
        .size:           4
        .value_kind:     by_value
      - .offset:         4
        .size:           4
        .value_kind:     by_value
      - .offset:         8
        .size:           4
        .value_kind:     by_value
      - .offset:         12
        .size:           2
        .value_kind:     by_value
      - .address_space:  global
        .offset:         16
        .size:           8
        .value_kind:     global_buffer
      - .offset:         24
        .size:           4
        .value_kind:     by_value
      - .offset:         32
        .size:           8
        .value_kind:     by_value
      - .address_space:  global
        .offset:         40
        .size:           8
        .value_kind:     global_buffer
      - .offset:         48
        .size:           4
        .value_kind:     by_value
      - .offset:         56
        .size:           8
        .value_kind:     by_value
      - .offset:         64
        .size:           2
        .value_kind:     by_value
      - .address_space:  global
        .offset:         72
        .size:           8
        .value_kind:     global_buffer
      - .offset:         80
        .size:           4
        .value_kind:     by_value
      - .offset:         88
        .size:           8
        .value_kind:     by_value
      - .address_space:  global
        .offset:         96
        .size:           8
        .value_kind:     global_buffer
      - .offset:         104
        .size:           4
        .value_kind:     by_value
      - .offset:         112
        .size:           8
        .value_kind:     by_value
      - .offset:         120
        .size:           4
        .value_kind:     by_value
      - .offset:         124
        .size:           4
        .value_kind:     by_value
    .group_segment_fixed_size: 5120
    .kernarg_segment_align: 8
    .kernarg_segment_size: 128
    .language:       OpenCL C
    .language_version:
      - 2
      - 0
    .max_flat_workgroup_size: 256
    .name:           _ZN12_GLOBAL__N_120geam_min_plus_kernelIDF16_Dv2_DF16_S1_Li8ELi32ELi64ELi256ELi4ELi64ELi4ELi64ELi4ELc78ELc84ELb0ELb1ELb1EDF16_KDF16_DF16_EEviiiT16_PT17_ilS5_ilS3_S5_ilPT18_ili26rocblas_geam_ex_operation_
    .private_segment_fixed_size: 0
    .sgpr_count:     34
    .sgpr_spill_count: 0
    .symbol:         _ZN12_GLOBAL__N_120geam_min_plus_kernelIDF16_Dv2_DF16_S1_Li8ELi32ELi64ELi256ELi4ELi64ELi4ELi64ELi4ELc78ELc84ELb0ELb1ELb1EDF16_KDF16_DF16_EEviiiT16_PT17_ilS5_ilS3_S5_ilPT18_ili26rocblas_geam_ex_operation_.kd
    .uniform_work_group_size: 1
    .uses_dynamic_stack: false
    .vgpr_count:     162
    .vgpr_spill_count: 0
    .wavefront_size: 32
    .workgroup_processor_mode: 1
  - .args:
      - .offset:         0
        .size:           4
        .value_kind:     by_value
      - .offset:         4
        .size:           4
        .value_kind:     by_value
      - .offset:         8
        .size:           4
        .value_kind:     by_value
      - .address_space:  global
        .offset:         16
        .size:           8
        .value_kind:     global_buffer
      - .address_space:  global
        .offset:         24
        .size:           8
        .value_kind:     global_buffer
      - .offset:         32
        .size:           4
        .value_kind:     by_value
      - .offset:         40
        .size:           8
        .value_kind:     by_value
      - .address_space:  global
        .offset:         48
        .size:           8
        .value_kind:     global_buffer
      - .offset:         56
        .size:           4
        .value_kind:     by_value
      - .offset:         64
        .size:           8
        .value_kind:     by_value
      - .address_space:  global
        .offset:         72
        .size:           8
        .value_kind:     global_buffer
      - .address_space:  global
        .offset:         80
        .size:           8
        .value_kind:     global_buffer
      - .offset:         88
        .size:           4
        .value_kind:     by_value
      - .offset:         96
        .size:           8
        .value_kind:     by_value
      - .address_space:  global
        .offset:         104
        .size:           8
        .value_kind:     global_buffer
      - .offset:         112
        .size:           4
        .value_kind:     by_value
      - .offset:         120
        .size:           8
        .value_kind:     by_value
      - .offset:         128
        .size:           4
        .value_kind:     by_value
      - .offset:         132
        .size:           4
        .value_kind:     by_value
    .group_segment_fixed_size: 5120
    .kernarg_segment_align: 8
    .kernarg_segment_size: 136
    .language:       OpenCL C
    .language_version:
      - 2
      - 0
    .max_flat_workgroup_size: 256
    .name:           _ZN12_GLOBAL__N_120geam_min_plus_kernelIDF16_Dv2_DF16_S1_Li8ELi32ELi64ELi256ELi4ELi4ELi64ELi64ELi4ELc84ELc84ELb0ELb0ELb1EPKDF16_S2_DF16_EEviiiT16_PT17_ilS6_ilS4_S6_ilPT18_ili26rocblas_geam_ex_operation_
    .private_segment_fixed_size: 0
    .sgpr_count:     26
    .sgpr_spill_count: 0
    .symbol:         _ZN12_GLOBAL__N_120geam_min_plus_kernelIDF16_Dv2_DF16_S1_Li8ELi32ELi64ELi256ELi4ELi4ELi64ELi64ELi4ELc84ELc84ELb0ELb0ELb1EPKDF16_S2_DF16_EEviiiT16_PT17_ilS6_ilS4_S6_ilPT18_ili26rocblas_geam_ex_operation_.kd
    .uniform_work_group_size: 1
    .uses_dynamic_stack: false
    .vgpr_count:     169
    .vgpr_spill_count: 0
    .wavefront_size: 32
    .workgroup_processor_mode: 1
  - .args:
      - .offset:         0
        .size:           4
        .value_kind:     by_value
      - .offset:         4
        .size:           4
        .value_kind:     by_value
      - .offset:         8
        .size:           4
        .value_kind:     by_value
      - .offset:         12
        .size:           2
        .value_kind:     by_value
      - .address_space:  global
        .offset:         16
        .size:           8
        .value_kind:     global_buffer
      - .offset:         24
        .size:           4
        .value_kind:     by_value
      - .offset:         32
        .size:           8
        .value_kind:     by_value
      - .address_space:  global
        .offset:         40
        .size:           8
        .value_kind:     global_buffer
      - .offset:         48
        .size:           4
        .value_kind:     by_value
      - .offset:         56
        .size:           8
        .value_kind:     by_value
      - .offset:         64
        .size:           2
        .value_kind:     by_value
      - .address_space:  global
        .offset:         72
        .size:           8
        .value_kind:     global_buffer
      - .offset:         80
        .size:           4
        .value_kind:     by_value
      - .offset:         88
        .size:           8
        .value_kind:     by_value
      - .address_space:  global
        .offset:         96
        .size:           8
        .value_kind:     global_buffer
      - .offset:         104
        .size:           4
        .value_kind:     by_value
      - .offset:         112
        .size:           8
        .value_kind:     by_value
      - .offset:         120
        .size:           4
        .value_kind:     by_value
      - .offset:         124
        .size:           4
        .value_kind:     by_value
    .group_segment_fixed_size: 5120
    .kernarg_segment_align: 8
    .kernarg_segment_size: 128
    .language:       OpenCL C
    .language_version:
      - 2
      - 0
    .max_flat_workgroup_size: 256
    .name:           _ZN12_GLOBAL__N_120geam_min_plus_kernelIDF16_Dv2_DF16_S1_Li8ELi32ELi64ELi256ELi4ELi4ELi64ELi64ELi4ELc84ELc84ELb1ELb0ELb1EDF16_KDF16_DF16_EEviiiT16_PT17_ilS5_ilS3_S5_ilPT18_ili26rocblas_geam_ex_operation_
    .private_segment_fixed_size: 176
    .sgpr_count:     30
    .sgpr_spill_count: 0
    .symbol:         _ZN12_GLOBAL__N_120geam_min_plus_kernelIDF16_Dv2_DF16_S1_Li8ELi32ELi64ELi256ELi4ELi4ELi64ELi64ELi4ELc84ELc84ELb1ELb0ELb1EDF16_KDF16_DF16_EEviiiT16_PT17_ilS5_ilS3_S5_ilPT18_ili26rocblas_geam_ex_operation_.kd
    .uniform_work_group_size: 1
    .uses_dynamic_stack: false
    .vgpr_count:     256
    .vgpr_spill_count: 43
    .wavefront_size: 32
    .workgroup_processor_mode: 1
  - .args:
      - .offset:         0
        .size:           4
        .value_kind:     by_value
      - .offset:         4
        .size:           4
        .value_kind:     by_value
      - .offset:         8
        .size:           4
        .value_kind:     by_value
      - .offset:         12
        .size:           2
        .value_kind:     by_value
      - .address_space:  global
        .offset:         16
        .size:           8
        .value_kind:     global_buffer
      - .offset:         24
        .size:           4
        .value_kind:     by_value
      - .offset:         32
        .size:           8
        .value_kind:     by_value
      - .address_space:  global
        .offset:         40
        .size:           8
        .value_kind:     global_buffer
      - .offset:         48
        .size:           4
        .value_kind:     by_value
      - .offset:         56
        .size:           8
        .value_kind:     by_value
      - .offset:         64
        .size:           2
        .value_kind:     by_value
      - .address_space:  global
        .offset:         72
        .size:           8
        .value_kind:     global_buffer
      - .offset:         80
        .size:           4
        .value_kind:     by_value
      - .offset:         88
        .size:           8
        .value_kind:     by_value
      - .address_space:  global
        .offset:         96
        .size:           8
        .value_kind:     global_buffer
      - .offset:         104
        .size:           4
        .value_kind:     by_value
      - .offset:         112
        .size:           8
        .value_kind:     by_value
      - .offset:         120
        .size:           4
        .value_kind:     by_value
      - .offset:         124
        .size:           4
        .value_kind:     by_value
    .group_segment_fixed_size: 5120
    .kernarg_segment_align: 8
    .kernarg_segment_size: 128
    .language:       OpenCL C
    .language_version:
      - 2
      - 0
    .max_flat_workgroup_size: 256
    .name:           _ZN12_GLOBAL__N_120geam_min_plus_kernelIDF16_Dv2_DF16_S1_Li8ELi32ELi64ELi256ELi4ELi4ELi64ELi64ELi4ELc84ELc84ELb0ELb0ELb1EDF16_KDF16_DF16_EEviiiT16_PT17_ilS5_ilS3_S5_ilPT18_ili26rocblas_geam_ex_operation_
    .private_segment_fixed_size: 0
    .sgpr_count:     26
    .sgpr_spill_count: 0
    .symbol:         _ZN12_GLOBAL__N_120geam_min_plus_kernelIDF16_Dv2_DF16_S1_Li8ELi32ELi64ELi256ELi4ELi4ELi64ELi64ELi4ELc84ELc84ELb0ELb0ELb1EDF16_KDF16_DF16_EEviiiT16_PT17_ilS5_ilS3_S5_ilPT18_ili26rocblas_geam_ex_operation_.kd
    .uniform_work_group_size: 1
    .uses_dynamic_stack: false
    .vgpr_count:     168
    .vgpr_spill_count: 0
    .wavefront_size: 32
    .workgroup_processor_mode: 1
  - .args:
      - .offset:         0
        .size:           4
        .value_kind:     by_value
      - .offset:         4
        .size:           4
        .value_kind:     by_value
      - .offset:         8
        .size:           4
        .value_kind:     by_value
      - .address_space:  global
        .offset:         16
        .size:           8
        .value_kind:     global_buffer
      - .address_space:  global
        .offset:         24
        .size:           8
        .value_kind:     global_buffer
      - .offset:         32
        .size:           4
        .value_kind:     by_value
      - .offset:         40
        .size:           8
        .value_kind:     by_value
      - .address_space:  global
        .offset:         48
        .size:           8
        .value_kind:     global_buffer
      - .offset:         56
        .size:           4
        .value_kind:     by_value
      - .offset:         64
        .size:           8
        .value_kind:     by_value
      - .address_space:  global
        .offset:         72
        .size:           8
        .value_kind:     global_buffer
      - .address_space:  global
        .offset:         80
        .size:           8
        .value_kind:     global_buffer
      - .offset:         88
        .size:           4
        .value_kind:     by_value
      - .offset:         96
        .size:           8
        .value_kind:     by_value
      - .address_space:  global
        .offset:         104
        .size:           8
        .value_kind:     global_buffer
      - .offset:         112
        .size:           4
        .value_kind:     by_value
      - .offset:         120
        .size:           8
        .value_kind:     by_value
      - .offset:         128
        .size:           4
        .value_kind:     by_value
      - .offset:         132
        .size:           4
        .value_kind:     by_value
    .group_segment_fixed_size: 5120
    .kernarg_segment_align: 8
    .kernarg_segment_size: 136
    .language:       OpenCL C
    .language_version:
      - 2
      - 0
    .max_flat_workgroup_size: 256
    .name:           _ZN12_GLOBAL__N_120geam_min_plus_kernelIDF16_Dv2_DF16_S1_Li8ELi32ELi64ELi256ELi4ELi4ELi64ELi64ELi4ELc84ELc84ELb0ELb1ELb1EPKDF16_S2_DF16_EEviiiT16_PT17_ilS6_ilS4_S6_ilPT18_ili26rocblas_geam_ex_operation_
    .private_segment_fixed_size: 0
    .sgpr_count:     30
    .sgpr_spill_count: 0
    .symbol:         _ZN12_GLOBAL__N_120geam_min_plus_kernelIDF16_Dv2_DF16_S1_Li8ELi32ELi64ELi256ELi4ELi4ELi64ELi64ELi4ELc84ELc84ELb0ELb1ELb1EPKDF16_S2_DF16_EEviiiT16_PT17_ilS6_ilS4_S6_ilPT18_ili26rocblas_geam_ex_operation_.kd
    .uniform_work_group_size: 1
    .uses_dynamic_stack: false
    .vgpr_count:     167
    .vgpr_spill_count: 0
    .wavefront_size: 32
    .workgroup_processor_mode: 1
  - .args:
      - .offset:         0
        .size:           4
        .value_kind:     by_value
      - .offset:         4
        .size:           4
        .value_kind:     by_value
      - .offset:         8
        .size:           4
        .value_kind:     by_value
      - .offset:         12
        .size:           2
        .value_kind:     by_value
      - .address_space:  global
        .offset:         16
        .size:           8
        .value_kind:     global_buffer
      - .offset:         24
        .size:           4
        .value_kind:     by_value
      - .offset:         32
        .size:           8
        .value_kind:     by_value
      - .address_space:  global
        .offset:         40
        .size:           8
        .value_kind:     global_buffer
      - .offset:         48
        .size:           4
        .value_kind:     by_value
      - .offset:         56
        .size:           8
        .value_kind:     by_value
      - .offset:         64
        .size:           2
        .value_kind:     by_value
      - .address_space:  global
        .offset:         72
        .size:           8
        .value_kind:     global_buffer
      - .offset:         80
        .size:           4
        .value_kind:     by_value
      - .offset:         88
        .size:           8
        .value_kind:     by_value
      - .address_space:  global
        .offset:         96
        .size:           8
        .value_kind:     global_buffer
      - .offset:         104
        .size:           4
        .value_kind:     by_value
      - .offset:         112
        .size:           8
        .value_kind:     by_value
      - .offset:         120
        .size:           4
        .value_kind:     by_value
      - .offset:         124
        .size:           4
        .value_kind:     by_value
    .group_segment_fixed_size: 5120
    .kernarg_segment_align: 8
    .kernarg_segment_size: 128
    .language:       OpenCL C
    .language_version:
      - 2
      - 0
    .max_flat_workgroup_size: 256
    .name:           _ZN12_GLOBAL__N_120geam_min_plus_kernelIDF16_Dv2_DF16_S1_Li8ELi32ELi64ELi256ELi4ELi4ELi64ELi64ELi4ELc84ELc84ELb1ELb1ELb1EDF16_KDF16_DF16_EEviiiT16_PT17_ilS5_ilS3_S5_ilPT18_ili26rocblas_geam_ex_operation_
    .private_segment_fixed_size: 0
    .sgpr_count:     32
    .sgpr_spill_count: 0
    .symbol:         _ZN12_GLOBAL__N_120geam_min_plus_kernelIDF16_Dv2_DF16_S1_Li8ELi32ELi64ELi256ELi4ELi4ELi64ELi64ELi4ELc84ELc84ELb1ELb1ELb1EDF16_KDF16_DF16_EEviiiT16_PT17_ilS5_ilS3_S5_ilPT18_ili26rocblas_geam_ex_operation_.kd
    .uniform_work_group_size: 1
    .uses_dynamic_stack: false
    .vgpr_count:     156
    .vgpr_spill_count: 0
    .wavefront_size: 32
    .workgroup_processor_mode: 1
  - .args:
      - .offset:         0
        .size:           4
        .value_kind:     by_value
      - .offset:         4
        .size:           4
        .value_kind:     by_value
      - .offset:         8
        .size:           4
        .value_kind:     by_value
      - .offset:         12
        .size:           2
        .value_kind:     by_value
      - .address_space:  global
        .offset:         16
        .size:           8
        .value_kind:     global_buffer
      - .offset:         24
        .size:           4
        .value_kind:     by_value
      - .offset:         32
        .size:           8
        .value_kind:     by_value
      - .address_space:  global
        .offset:         40
        .size:           8
        .value_kind:     global_buffer
      - .offset:         48
        .size:           4
        .value_kind:     by_value
      - .offset:         56
        .size:           8
        .value_kind:     by_value
      - .offset:         64
        .size:           2
        .value_kind:     by_value
      - .address_space:  global
        .offset:         72
        .size:           8
        .value_kind:     global_buffer
      - .offset:         80
        .size:           4
        .value_kind:     by_value
      - .offset:         88
        .size:           8
        .value_kind:     by_value
      - .address_space:  global
        .offset:         96
        .size:           8
        .value_kind:     global_buffer
      - .offset:         104
        .size:           4
        .value_kind:     by_value
      - .offset:         112
        .size:           8
        .value_kind:     by_value
      - .offset:         120
        .size:           4
        .value_kind:     by_value
      - .offset:         124
        .size:           4
        .value_kind:     by_value
    .group_segment_fixed_size: 5120
    .kernarg_segment_align: 8
    .kernarg_segment_size: 128
    .language:       OpenCL C
    .language_version:
      - 2
      - 0
    .max_flat_workgroup_size: 256
    .name:           _ZN12_GLOBAL__N_120geam_min_plus_kernelIDF16_Dv2_DF16_S1_Li8ELi32ELi64ELi256ELi4ELi4ELi64ELi64ELi4ELc84ELc84ELb0ELb1ELb1EDF16_KDF16_DF16_EEviiiT16_PT17_ilS5_ilS3_S5_ilPT18_ili26rocblas_geam_ex_operation_
    .private_segment_fixed_size: 0
    .sgpr_count:     32
    .sgpr_spill_count: 0
    .symbol:         _ZN12_GLOBAL__N_120geam_min_plus_kernelIDF16_Dv2_DF16_S1_Li8ELi32ELi64ELi256ELi4ELi4ELi64ELi64ELi4ELc84ELc84ELb0ELb1ELb1EDF16_KDF16_DF16_EEviiiT16_PT17_ilS5_ilS3_S5_ilPT18_ili26rocblas_geam_ex_operation_.kd
    .uniform_work_group_size: 1
    .uses_dynamic_stack: false
    .vgpr_count:     154
    .vgpr_spill_count: 0
    .wavefront_size: 32
    .workgroup_processor_mode: 1
  - .args:
      - .offset:         0
        .size:           4
        .value_kind:     by_value
      - .offset:         4
        .size:           4
        .value_kind:     by_value
      - .offset:         8
        .size:           4
        .value_kind:     by_value
      - .address_space:  global
        .offset:         16
        .size:           8
        .value_kind:     global_buffer
      - .address_space:  global
        .offset:         24
        .size:           8
        .value_kind:     global_buffer
      - .offset:         32
        .size:           4
        .value_kind:     by_value
      - .offset:         40
        .size:           8
        .value_kind:     by_value
      - .address_space:  global
        .offset:         48
        .size:           8
        .value_kind:     global_buffer
      - .offset:         56
        .size:           4
        .value_kind:     by_value
      - .offset:         64
        .size:           8
        .value_kind:     by_value
      - .address_space:  global
        .offset:         72
        .size:           8
        .value_kind:     global_buffer
      - .address_space:  global
        .offset:         80
        .size:           8
        .value_kind:     global_buffer
      - .offset:         88
        .size:           4
        .value_kind:     by_value
      - .offset:         96
        .size:           8
        .value_kind:     by_value
      - .address_space:  global
        .offset:         104
        .size:           8
        .value_kind:     global_buffer
      - .offset:         112
        .size:           4
        .value_kind:     by_value
      - .offset:         120
        .size:           8
        .value_kind:     by_value
      - .offset:         128
        .size:           4
        .value_kind:     by_value
      - .offset:         132
        .size:           4
        .value_kind:     by_value
    .group_segment_fixed_size: 3072
    .kernarg_segment_align: 8
    .kernarg_segment_size: 136
    .language:       OpenCL C
    .language_version:
      - 2
      - 0
    .max_flat_workgroup_size: 256
    .name:           _ZN12_GLOBAL__N_120geam_min_plus_kernelIDF16_Dv2_DF16_S1_Li8ELi32ELi64ELi128ELi4ELi64ELi4ELi4ELi64ELc78ELc78ELb0ELb0ELb0EPKDF16_S2_DF16_EEviiiT16_PT17_ilS6_ilS4_S6_ilPT18_ili26rocblas_geam_ex_operation_
    .private_segment_fixed_size: 0
    .sgpr_count:     28
    .sgpr_spill_count: 0
    .symbol:         _ZN12_GLOBAL__N_120geam_min_plus_kernelIDF16_Dv2_DF16_S1_Li8ELi32ELi64ELi128ELi4ELi64ELi4ELi4ELi64ELc78ELc78ELb0ELb0ELb0EPKDF16_S2_DF16_EEviiiT16_PT17_ilS6_ilS4_S6_ilPT18_ili26rocblas_geam_ex_operation_.kd
    .uniform_work_group_size: 1
    .uses_dynamic_stack: false
    .vgpr_count:     129
    .vgpr_spill_count: 0
    .wavefront_size: 32
    .workgroup_processor_mode: 1
  - .args:
      - .offset:         0
        .size:           4
        .value_kind:     by_value
      - .offset:         4
        .size:           4
        .value_kind:     by_value
      - .offset:         8
        .size:           4
        .value_kind:     by_value
      - .offset:         12
        .size:           2
        .value_kind:     by_value
      - .address_space:  global
        .offset:         16
        .size:           8
        .value_kind:     global_buffer
      - .offset:         24
        .size:           4
        .value_kind:     by_value
      - .offset:         32
        .size:           8
        .value_kind:     by_value
      - .address_space:  global
        .offset:         40
        .size:           8
        .value_kind:     global_buffer
      - .offset:         48
        .size:           4
        .value_kind:     by_value
      - .offset:         56
        .size:           8
        .value_kind:     by_value
      - .offset:         64
        .size:           2
        .value_kind:     by_value
      - .address_space:  global
        .offset:         72
        .size:           8
        .value_kind:     global_buffer
      - .offset:         80
        .size:           4
        .value_kind:     by_value
      - .offset:         88
        .size:           8
        .value_kind:     by_value
      - .address_space:  global
        .offset:         96
        .size:           8
        .value_kind:     global_buffer
      - .offset:         104
        .size:           4
        .value_kind:     by_value
      - .offset:         112
        .size:           8
        .value_kind:     by_value
      - .offset:         120
        .size:           4
        .value_kind:     by_value
      - .offset:         124
        .size:           4
        .value_kind:     by_value
    .group_segment_fixed_size: 3072
    .kernarg_segment_align: 8
    .kernarg_segment_size: 128
    .language:       OpenCL C
    .language_version:
      - 2
      - 0
    .max_flat_workgroup_size: 256
    .name:           _ZN12_GLOBAL__N_120geam_min_plus_kernelIDF16_Dv2_DF16_S1_Li8ELi32ELi64ELi128ELi4ELi64ELi4ELi4ELi64ELc78ELc78ELb1ELb0ELb0EDF16_KDF16_DF16_EEviiiT16_PT17_ilS5_ilS3_S5_ilPT18_ili26rocblas_geam_ex_operation_
    .private_segment_fixed_size: 0
    .sgpr_count:     23
    .sgpr_spill_count: 0
    .symbol:         _ZN12_GLOBAL__N_120geam_min_plus_kernelIDF16_Dv2_DF16_S1_Li8ELi32ELi64ELi128ELi4ELi64ELi4ELi4ELi64ELc78ELc78ELb1ELb0ELb0EDF16_KDF16_DF16_EEviiiT16_PT17_ilS5_ilS3_S5_ilPT18_ili26rocblas_geam_ex_operation_.kd
    .uniform_work_group_size: 1
    .uses_dynamic_stack: false
    .vgpr_count:     90
    .vgpr_spill_count: 0
    .wavefront_size: 32
    .workgroup_processor_mode: 1
  - .args:
      - .offset:         0
        .size:           4
        .value_kind:     by_value
      - .offset:         4
        .size:           4
        .value_kind:     by_value
      - .offset:         8
        .size:           4
        .value_kind:     by_value
      - .offset:         12
        .size:           2
        .value_kind:     by_value
      - .address_space:  global
        .offset:         16
        .size:           8
        .value_kind:     global_buffer
      - .offset:         24
        .size:           4
        .value_kind:     by_value
      - .offset:         32
        .size:           8
        .value_kind:     by_value
      - .address_space:  global
        .offset:         40
        .size:           8
        .value_kind:     global_buffer
      - .offset:         48
        .size:           4
        .value_kind:     by_value
      - .offset:         56
        .size:           8
        .value_kind:     by_value
      - .offset:         64
        .size:           2
        .value_kind:     by_value
      - .address_space:  global
        .offset:         72
        .size:           8
        .value_kind:     global_buffer
      - .offset:         80
        .size:           4
        .value_kind:     by_value
      - .offset:         88
        .size:           8
        .value_kind:     by_value
      - .address_space:  global
        .offset:         96
        .size:           8
        .value_kind:     global_buffer
      - .offset:         104
        .size:           4
        .value_kind:     by_value
      - .offset:         112
        .size:           8
        .value_kind:     by_value
      - .offset:         120
        .size:           4
        .value_kind:     by_value
      - .offset:         124
        .size:           4
        .value_kind:     by_value
    .group_segment_fixed_size: 3072
    .kernarg_segment_align: 8
    .kernarg_segment_size: 128
    .language:       OpenCL C
    .language_version:
      - 2
      - 0
    .max_flat_workgroup_size: 256
    .name:           _ZN12_GLOBAL__N_120geam_min_plus_kernelIDF16_Dv2_DF16_S1_Li8ELi32ELi64ELi128ELi4ELi64ELi4ELi4ELi64ELc78ELc78ELb0ELb0ELb0EDF16_KDF16_DF16_EEviiiT16_PT17_ilS5_ilS3_S5_ilPT18_ili26rocblas_geam_ex_operation_
    .private_segment_fixed_size: 0
    .sgpr_count:     27
    .sgpr_spill_count: 0
    .symbol:         _ZN12_GLOBAL__N_120geam_min_plus_kernelIDF16_Dv2_DF16_S1_Li8ELi32ELi64ELi128ELi4ELi64ELi4ELi4ELi64ELc78ELc78ELb0ELb0ELb0EDF16_KDF16_DF16_EEviiiT16_PT17_ilS5_ilS3_S5_ilPT18_ili26rocblas_geam_ex_operation_.kd
    .uniform_work_group_size: 1
    .uses_dynamic_stack: false
    .vgpr_count:     127
    .vgpr_spill_count: 0
    .wavefront_size: 32
    .workgroup_processor_mode: 1
  - .args:
      - .offset:         0
        .size:           4
        .value_kind:     by_value
      - .offset:         4
        .size:           4
        .value_kind:     by_value
      - .offset:         8
        .size:           4
        .value_kind:     by_value
      - .address_space:  global
        .offset:         16
        .size:           8
        .value_kind:     global_buffer
      - .address_space:  global
        .offset:         24
        .size:           8
        .value_kind:     global_buffer
      - .offset:         32
        .size:           4
        .value_kind:     by_value
      - .offset:         40
        .size:           8
        .value_kind:     by_value
      - .address_space:  global
        .offset:         48
        .size:           8
        .value_kind:     global_buffer
      - .offset:         56
        .size:           4
        .value_kind:     by_value
      - .offset:         64
        .size:           8
        .value_kind:     by_value
      - .address_space:  global
        .offset:         72
        .size:           8
        .value_kind:     global_buffer
      - .address_space:  global
        .offset:         80
        .size:           8
        .value_kind:     global_buffer
      - .offset:         88
        .size:           4
        .value_kind:     by_value
      - .offset:         96
        .size:           8
        .value_kind:     by_value
      - .address_space:  global
        .offset:         104
        .size:           8
        .value_kind:     global_buffer
      - .offset:         112
        .size:           4
        .value_kind:     by_value
      - .offset:         120
        .size:           8
        .value_kind:     by_value
      - .offset:         128
        .size:           4
        .value_kind:     by_value
      - .offset:         132
        .size:           4
        .value_kind:     by_value
    .group_segment_fixed_size: 3072
    .kernarg_segment_align: 8
    .kernarg_segment_size: 136
    .language:       OpenCL C
    .language_version:
      - 2
      - 0
    .max_flat_workgroup_size: 256
    .name:           _ZN12_GLOBAL__N_120geam_min_plus_kernelIDF16_Dv2_DF16_S1_Li8ELi32ELi64ELi128ELi4ELi64ELi4ELi4ELi64ELc78ELc78ELb0ELb1ELb0EPKDF16_S2_DF16_EEviiiT16_PT17_ilS6_ilS4_S6_ilPT18_ili26rocblas_geam_ex_operation_
    .private_segment_fixed_size: 0
    .sgpr_count:     30
    .sgpr_spill_count: 0
    .symbol:         _ZN12_GLOBAL__N_120geam_min_plus_kernelIDF16_Dv2_DF16_S1_Li8ELi32ELi64ELi128ELi4ELi64ELi4ELi4ELi64ELc78ELc78ELb0ELb1ELb0EPKDF16_S2_DF16_EEviiiT16_PT17_ilS6_ilS4_S6_ilPT18_ili26rocblas_geam_ex_operation_.kd
    .uniform_work_group_size: 1
    .uses_dynamic_stack: false
    .vgpr_count:     126
    .vgpr_spill_count: 0
    .wavefront_size: 32
    .workgroup_processor_mode: 1
  - .args:
      - .offset:         0
        .size:           4
        .value_kind:     by_value
      - .offset:         4
        .size:           4
        .value_kind:     by_value
      - .offset:         8
        .size:           4
        .value_kind:     by_value
      - .offset:         12
        .size:           2
        .value_kind:     by_value
      - .address_space:  global
        .offset:         16
        .size:           8
        .value_kind:     global_buffer
      - .offset:         24
        .size:           4
        .value_kind:     by_value
      - .offset:         32
        .size:           8
        .value_kind:     by_value
      - .address_space:  global
        .offset:         40
        .size:           8
        .value_kind:     global_buffer
      - .offset:         48
        .size:           4
        .value_kind:     by_value
      - .offset:         56
        .size:           8
        .value_kind:     by_value
      - .offset:         64
        .size:           2
        .value_kind:     by_value
      - .address_space:  global
        .offset:         72
        .size:           8
        .value_kind:     global_buffer
      - .offset:         80
        .size:           4
        .value_kind:     by_value
      - .offset:         88
        .size:           8
        .value_kind:     by_value
      - .address_space:  global
        .offset:         96
        .size:           8
        .value_kind:     global_buffer
      - .offset:         104
        .size:           4
        .value_kind:     by_value
      - .offset:         112
        .size:           8
        .value_kind:     by_value
      - .offset:         120
        .size:           4
        .value_kind:     by_value
      - .offset:         124
        .size:           4
        .value_kind:     by_value
    .group_segment_fixed_size: 3072
    .kernarg_segment_align: 8
    .kernarg_segment_size: 128
    .language:       OpenCL C
    .language_version:
      - 2
      - 0
    .max_flat_workgroup_size: 256
    .name:           _ZN12_GLOBAL__N_120geam_min_plus_kernelIDF16_Dv2_DF16_S1_Li8ELi32ELi64ELi128ELi4ELi64ELi4ELi4ELi64ELc78ELc78ELb1ELb1ELb0EDF16_KDF16_DF16_EEviiiT16_PT17_ilS5_ilS3_S5_ilPT18_ili26rocblas_geam_ex_operation_
    .private_segment_fixed_size: 0
    .sgpr_count:     28
    .sgpr_spill_count: 0
    .symbol:         _ZN12_GLOBAL__N_120geam_min_plus_kernelIDF16_Dv2_DF16_S1_Li8ELi32ELi64ELi128ELi4ELi64ELi4ELi4ELi64ELc78ELc78ELb1ELb1ELb0EDF16_KDF16_DF16_EEviiiT16_PT17_ilS5_ilS3_S5_ilPT18_ili26rocblas_geam_ex_operation_.kd
    .uniform_work_group_size: 1
    .uses_dynamic_stack: false
    .vgpr_count:     125
    .vgpr_spill_count: 0
    .wavefront_size: 32
    .workgroup_processor_mode: 1
  - .args:
      - .offset:         0
        .size:           4
        .value_kind:     by_value
      - .offset:         4
        .size:           4
        .value_kind:     by_value
      - .offset:         8
        .size:           4
        .value_kind:     by_value
      - .offset:         12
        .size:           2
        .value_kind:     by_value
      - .address_space:  global
        .offset:         16
        .size:           8
        .value_kind:     global_buffer
      - .offset:         24
        .size:           4
        .value_kind:     by_value
      - .offset:         32
        .size:           8
        .value_kind:     by_value
      - .address_space:  global
        .offset:         40
        .size:           8
        .value_kind:     global_buffer
      - .offset:         48
        .size:           4
        .value_kind:     by_value
      - .offset:         56
        .size:           8
        .value_kind:     by_value
      - .offset:         64
        .size:           2
        .value_kind:     by_value
      - .address_space:  global
        .offset:         72
        .size:           8
        .value_kind:     global_buffer
      - .offset:         80
        .size:           4
        .value_kind:     by_value
      - .offset:         88
        .size:           8
        .value_kind:     by_value
      - .address_space:  global
        .offset:         96
        .size:           8
        .value_kind:     global_buffer
      - .offset:         104
        .size:           4
        .value_kind:     by_value
      - .offset:         112
        .size:           8
        .value_kind:     by_value
      - .offset:         120
        .size:           4
        .value_kind:     by_value
      - .offset:         124
        .size:           4
        .value_kind:     by_value
    .group_segment_fixed_size: 3072
    .kernarg_segment_align: 8
    .kernarg_segment_size: 128
    .language:       OpenCL C
    .language_version:
      - 2
      - 0
    .max_flat_workgroup_size: 256
    .name:           _ZN12_GLOBAL__N_120geam_min_plus_kernelIDF16_Dv2_DF16_S1_Li8ELi32ELi64ELi128ELi4ELi64ELi4ELi4ELi64ELc78ELc78ELb0ELb1ELb0EDF16_KDF16_DF16_EEviiiT16_PT17_ilS5_ilS3_S5_ilPT18_ili26rocblas_geam_ex_operation_
    .private_segment_fixed_size: 0
    .sgpr_count:     32
    .sgpr_spill_count: 0
    .symbol:         _ZN12_GLOBAL__N_120geam_min_plus_kernelIDF16_Dv2_DF16_S1_Li8ELi32ELi64ELi128ELi4ELi64ELi4ELi4ELi64ELc78ELc78ELb0ELb1ELb0EDF16_KDF16_DF16_EEviiiT16_PT17_ilS5_ilS3_S5_ilPT18_ili26rocblas_geam_ex_operation_.kd
    .uniform_work_group_size: 1
    .uses_dynamic_stack: false
    .vgpr_count:     124
    .vgpr_spill_count: 0
    .wavefront_size: 32
    .workgroup_processor_mode: 1
  - .args:
      - .offset:         0
        .size:           4
        .value_kind:     by_value
      - .offset:         4
        .size:           4
        .value_kind:     by_value
      - .offset:         8
        .size:           4
        .value_kind:     by_value
      - .address_space:  global
        .offset:         16
        .size:           8
        .value_kind:     global_buffer
      - .address_space:  global
        .offset:         24
        .size:           8
        .value_kind:     global_buffer
      - .offset:         32
        .size:           4
        .value_kind:     by_value
      - .offset:         40
        .size:           8
        .value_kind:     by_value
      - .address_space:  global
        .offset:         48
        .size:           8
        .value_kind:     global_buffer
      - .offset:         56
        .size:           4
        .value_kind:     by_value
      - .offset:         64
        .size:           8
        .value_kind:     by_value
      - .address_space:  global
        .offset:         72
        .size:           8
        .value_kind:     global_buffer
      - .address_space:  global
        .offset:         80
        .size:           8
        .value_kind:     global_buffer
      - .offset:         88
        .size:           4
        .value_kind:     by_value
      - .offset:         96
        .size:           8
        .value_kind:     by_value
      - .address_space:  global
        .offset:         104
        .size:           8
        .value_kind:     global_buffer
      - .offset:         112
        .size:           4
        .value_kind:     by_value
      - .offset:         120
        .size:           8
        .value_kind:     by_value
      - .offset:         128
        .size:           4
        .value_kind:     by_value
      - .offset:         132
        .size:           4
        .value_kind:     by_value
    .group_segment_fixed_size: 3072
    .kernarg_segment_align: 8
    .kernarg_segment_size: 136
    .language:       OpenCL C
    .language_version:
      - 2
      - 0
    .max_flat_workgroup_size: 256
    .name:           _ZN12_GLOBAL__N_120geam_min_plus_kernelIDF16_Dv2_DF16_S1_Li8ELi32ELi64ELi128ELi4ELi4ELi64ELi4ELi64ELc84ELc78ELb0ELb0ELb0EPKDF16_S2_DF16_EEviiiT16_PT17_ilS6_ilS4_S6_ilPT18_ili26rocblas_geam_ex_operation_
    .private_segment_fixed_size: 0
    .sgpr_count:     28
    .sgpr_spill_count: 0
    .symbol:         _ZN12_GLOBAL__N_120geam_min_plus_kernelIDF16_Dv2_DF16_S1_Li8ELi32ELi64ELi128ELi4ELi4ELi64ELi4ELi64ELc84ELc78ELb0ELb0ELb0EPKDF16_S2_DF16_EEviiiT16_PT17_ilS6_ilS4_S6_ilPT18_ili26rocblas_geam_ex_operation_.kd
    .uniform_work_group_size: 1
    .uses_dynamic_stack: false
    .vgpr_count:     124
    .vgpr_spill_count: 0
    .wavefront_size: 32
    .workgroup_processor_mode: 1
  - .args:
      - .offset:         0
        .size:           4
        .value_kind:     by_value
      - .offset:         4
        .size:           4
        .value_kind:     by_value
      - .offset:         8
        .size:           4
        .value_kind:     by_value
      - .offset:         12
        .size:           2
        .value_kind:     by_value
      - .address_space:  global
        .offset:         16
        .size:           8
        .value_kind:     global_buffer
      - .offset:         24
        .size:           4
        .value_kind:     by_value
      - .offset:         32
        .size:           8
        .value_kind:     by_value
      - .address_space:  global
        .offset:         40
        .size:           8
        .value_kind:     global_buffer
      - .offset:         48
        .size:           4
        .value_kind:     by_value
      - .offset:         56
        .size:           8
        .value_kind:     by_value
      - .offset:         64
        .size:           2
        .value_kind:     by_value
      - .address_space:  global
        .offset:         72
        .size:           8
        .value_kind:     global_buffer
      - .offset:         80
        .size:           4
        .value_kind:     by_value
      - .offset:         88
        .size:           8
        .value_kind:     by_value
      - .address_space:  global
        .offset:         96
        .size:           8
        .value_kind:     global_buffer
      - .offset:         104
        .size:           4
        .value_kind:     by_value
      - .offset:         112
        .size:           8
        .value_kind:     by_value
      - .offset:         120
        .size:           4
        .value_kind:     by_value
      - .offset:         124
        .size:           4
        .value_kind:     by_value
    .group_segment_fixed_size: 3072
    .kernarg_segment_align: 8
    .kernarg_segment_size: 128
    .language:       OpenCL C
    .language_version:
      - 2
      - 0
    .max_flat_workgroup_size: 256
    .name:           _ZN12_GLOBAL__N_120geam_min_plus_kernelIDF16_Dv2_DF16_S1_Li8ELi32ELi64ELi128ELi4ELi4ELi64ELi4ELi64ELc84ELc78ELb1ELb0ELb0EDF16_KDF16_DF16_EEviiiT16_PT17_ilS5_ilS3_S5_ilPT18_ili26rocblas_geam_ex_operation_
    .private_segment_fixed_size: 0
    .sgpr_count:     23
    .sgpr_spill_count: 0
    .symbol:         _ZN12_GLOBAL__N_120geam_min_plus_kernelIDF16_Dv2_DF16_S1_Li8ELi32ELi64ELi128ELi4ELi4ELi64ELi4ELi64ELc84ELc78ELb1ELb0ELb0EDF16_KDF16_DF16_EEviiiT16_PT17_ilS5_ilS3_S5_ilPT18_ili26rocblas_geam_ex_operation_.kd
    .uniform_work_group_size: 1
    .uses_dynamic_stack: false
    .vgpr_count:     90
    .vgpr_spill_count: 0
    .wavefront_size: 32
    .workgroup_processor_mode: 1
  - .args:
      - .offset:         0
        .size:           4
        .value_kind:     by_value
      - .offset:         4
        .size:           4
        .value_kind:     by_value
      - .offset:         8
        .size:           4
        .value_kind:     by_value
      - .offset:         12
        .size:           2
        .value_kind:     by_value
      - .address_space:  global
        .offset:         16
        .size:           8
        .value_kind:     global_buffer
      - .offset:         24
        .size:           4
        .value_kind:     by_value
      - .offset:         32
        .size:           8
        .value_kind:     by_value
      - .address_space:  global
        .offset:         40
        .size:           8
        .value_kind:     global_buffer
      - .offset:         48
        .size:           4
        .value_kind:     by_value
      - .offset:         56
        .size:           8
        .value_kind:     by_value
      - .offset:         64
        .size:           2
        .value_kind:     by_value
      - .address_space:  global
        .offset:         72
        .size:           8
        .value_kind:     global_buffer
      - .offset:         80
        .size:           4
        .value_kind:     by_value
      - .offset:         88
        .size:           8
        .value_kind:     by_value
      - .address_space:  global
        .offset:         96
        .size:           8
        .value_kind:     global_buffer
      - .offset:         104
        .size:           4
        .value_kind:     by_value
      - .offset:         112
        .size:           8
        .value_kind:     by_value
      - .offset:         120
        .size:           4
        .value_kind:     by_value
      - .offset:         124
        .size:           4
        .value_kind:     by_value
    .group_segment_fixed_size: 3072
    .kernarg_segment_align: 8
    .kernarg_segment_size: 128
    .language:       OpenCL C
    .language_version:
      - 2
      - 0
    .max_flat_workgroup_size: 256
    .name:           _ZN12_GLOBAL__N_120geam_min_plus_kernelIDF16_Dv2_DF16_S1_Li8ELi32ELi64ELi128ELi4ELi4ELi64ELi4ELi64ELc84ELc78ELb0ELb0ELb0EDF16_KDF16_DF16_EEviiiT16_PT17_ilS5_ilS3_S5_ilPT18_ili26rocblas_geam_ex_operation_
    .private_segment_fixed_size: 0
    .sgpr_count:     26
    .sgpr_spill_count: 0
    .symbol:         _ZN12_GLOBAL__N_120geam_min_plus_kernelIDF16_Dv2_DF16_S1_Li8ELi32ELi64ELi128ELi4ELi4ELi64ELi4ELi64ELc84ELc78ELb0ELb0ELb0EDF16_KDF16_DF16_EEviiiT16_PT17_ilS5_ilS3_S5_ilPT18_ili26rocblas_geam_ex_operation_.kd
    .uniform_work_group_size: 1
    .uses_dynamic_stack: false
    .vgpr_count:     122
    .vgpr_spill_count: 0
    .wavefront_size: 32
    .workgroup_processor_mode: 1
  - .args:
      - .offset:         0
        .size:           4
        .value_kind:     by_value
      - .offset:         4
        .size:           4
        .value_kind:     by_value
      - .offset:         8
        .size:           4
        .value_kind:     by_value
      - .address_space:  global
        .offset:         16
        .size:           8
        .value_kind:     global_buffer
      - .address_space:  global
        .offset:         24
        .size:           8
        .value_kind:     global_buffer
      - .offset:         32
        .size:           4
        .value_kind:     by_value
      - .offset:         40
        .size:           8
        .value_kind:     by_value
      - .address_space:  global
        .offset:         48
        .size:           8
        .value_kind:     global_buffer
      - .offset:         56
        .size:           4
        .value_kind:     by_value
      - .offset:         64
        .size:           8
        .value_kind:     by_value
      - .address_space:  global
        .offset:         72
        .size:           8
        .value_kind:     global_buffer
      - .address_space:  global
        .offset:         80
        .size:           8
        .value_kind:     global_buffer
      - .offset:         88
        .size:           4
        .value_kind:     by_value
      - .offset:         96
        .size:           8
        .value_kind:     by_value
      - .address_space:  global
        .offset:         104
        .size:           8
        .value_kind:     global_buffer
      - .offset:         112
        .size:           4
        .value_kind:     by_value
      - .offset:         120
        .size:           8
        .value_kind:     by_value
      - .offset:         128
        .size:           4
        .value_kind:     by_value
      - .offset:         132
        .size:           4
        .value_kind:     by_value
    .group_segment_fixed_size: 3072
    .kernarg_segment_align: 8
    .kernarg_segment_size: 136
    .language:       OpenCL C
    .language_version:
      - 2
      - 0
    .max_flat_workgroup_size: 256
    .name:           _ZN12_GLOBAL__N_120geam_min_plus_kernelIDF16_Dv2_DF16_S1_Li8ELi32ELi64ELi128ELi4ELi4ELi64ELi4ELi64ELc84ELc78ELb0ELb1ELb0EPKDF16_S2_DF16_EEviiiT16_PT17_ilS6_ilS4_S6_ilPT18_ili26rocblas_geam_ex_operation_
    .private_segment_fixed_size: 0
    .sgpr_count:     30
    .sgpr_spill_count: 0
    .symbol:         _ZN12_GLOBAL__N_120geam_min_plus_kernelIDF16_Dv2_DF16_S1_Li8ELi32ELi64ELi128ELi4ELi4ELi64ELi4ELi64ELc84ELc78ELb0ELb1ELb0EPKDF16_S2_DF16_EEviiiT16_PT17_ilS6_ilS4_S6_ilPT18_ili26rocblas_geam_ex_operation_.kd
    .uniform_work_group_size: 1
    .uses_dynamic_stack: false
    .vgpr_count:     121
    .vgpr_spill_count: 0
    .wavefront_size: 32
    .workgroup_processor_mode: 1
  - .args:
      - .offset:         0
        .size:           4
        .value_kind:     by_value
      - .offset:         4
        .size:           4
        .value_kind:     by_value
      - .offset:         8
        .size:           4
        .value_kind:     by_value
      - .offset:         12
        .size:           2
        .value_kind:     by_value
      - .address_space:  global
        .offset:         16
        .size:           8
        .value_kind:     global_buffer
      - .offset:         24
        .size:           4
        .value_kind:     by_value
      - .offset:         32
        .size:           8
        .value_kind:     by_value
      - .address_space:  global
        .offset:         40
        .size:           8
        .value_kind:     global_buffer
      - .offset:         48
        .size:           4
        .value_kind:     by_value
      - .offset:         56
        .size:           8
        .value_kind:     by_value
      - .offset:         64
        .size:           2
        .value_kind:     by_value
      - .address_space:  global
        .offset:         72
        .size:           8
        .value_kind:     global_buffer
      - .offset:         80
        .size:           4
        .value_kind:     by_value
      - .offset:         88
        .size:           8
        .value_kind:     by_value
      - .address_space:  global
        .offset:         96
        .size:           8
        .value_kind:     global_buffer
      - .offset:         104
        .size:           4
        .value_kind:     by_value
      - .offset:         112
        .size:           8
        .value_kind:     by_value
      - .offset:         120
        .size:           4
        .value_kind:     by_value
      - .offset:         124
        .size:           4
        .value_kind:     by_value
    .group_segment_fixed_size: 3072
    .kernarg_segment_align: 8
    .kernarg_segment_size: 128
    .language:       OpenCL C
    .language_version:
      - 2
      - 0
    .max_flat_workgroup_size: 256
    .name:           _ZN12_GLOBAL__N_120geam_min_plus_kernelIDF16_Dv2_DF16_S1_Li8ELi32ELi64ELi128ELi4ELi4ELi64ELi4ELi64ELc84ELc78ELb1ELb1ELb0EDF16_KDF16_DF16_EEviiiT16_PT17_ilS5_ilS3_S5_ilPT18_ili26rocblas_geam_ex_operation_
    .private_segment_fixed_size: 0
    .sgpr_count:     29
    .sgpr_spill_count: 0
    .symbol:         _ZN12_GLOBAL__N_120geam_min_plus_kernelIDF16_Dv2_DF16_S1_Li8ELi32ELi64ELi128ELi4ELi4ELi64ELi4ELi64ELc84ELc78ELb1ELb1ELb0EDF16_KDF16_DF16_EEviiiT16_PT17_ilS5_ilS3_S5_ilPT18_ili26rocblas_geam_ex_operation_.kd
    .uniform_work_group_size: 1
    .uses_dynamic_stack: false
    .vgpr_count:     121
    .vgpr_spill_count: 0
    .wavefront_size: 32
    .workgroup_processor_mode: 1
  - .args:
      - .offset:         0
        .size:           4
        .value_kind:     by_value
      - .offset:         4
        .size:           4
        .value_kind:     by_value
      - .offset:         8
        .size:           4
        .value_kind:     by_value
      - .offset:         12
        .size:           2
        .value_kind:     by_value
      - .address_space:  global
        .offset:         16
        .size:           8
        .value_kind:     global_buffer
      - .offset:         24
        .size:           4
        .value_kind:     by_value
      - .offset:         32
        .size:           8
        .value_kind:     by_value
      - .address_space:  global
        .offset:         40
        .size:           8
        .value_kind:     global_buffer
      - .offset:         48
        .size:           4
        .value_kind:     by_value
      - .offset:         56
        .size:           8
        .value_kind:     by_value
      - .offset:         64
        .size:           2
        .value_kind:     by_value
      - .address_space:  global
        .offset:         72
        .size:           8
        .value_kind:     global_buffer
      - .offset:         80
        .size:           4
        .value_kind:     by_value
      - .offset:         88
        .size:           8
        .value_kind:     by_value
      - .address_space:  global
        .offset:         96
        .size:           8
        .value_kind:     global_buffer
      - .offset:         104
        .size:           4
        .value_kind:     by_value
      - .offset:         112
        .size:           8
        .value_kind:     by_value
      - .offset:         120
        .size:           4
        .value_kind:     by_value
      - .offset:         124
        .size:           4
        .value_kind:     by_value
    .group_segment_fixed_size: 3072
    .kernarg_segment_align: 8
    .kernarg_segment_size: 128
    .language:       OpenCL C
    .language_version:
      - 2
      - 0
    .max_flat_workgroup_size: 256
    .name:           _ZN12_GLOBAL__N_120geam_min_plus_kernelIDF16_Dv2_DF16_S1_Li8ELi32ELi64ELi128ELi4ELi4ELi64ELi4ELi64ELc84ELc78ELb0ELb1ELb0EDF16_KDF16_DF16_EEviiiT16_PT17_ilS5_ilS3_S5_ilPT18_ili26rocblas_geam_ex_operation_
    .private_segment_fixed_size: 0
    .sgpr_count:     32
    .sgpr_spill_count: 0
    .symbol:         _ZN12_GLOBAL__N_120geam_min_plus_kernelIDF16_Dv2_DF16_S1_Li8ELi32ELi64ELi128ELi4ELi4ELi64ELi4ELi64ELc84ELc78ELb0ELb1ELb0EDF16_KDF16_DF16_EEviiiT16_PT17_ilS5_ilS3_S5_ilPT18_ili26rocblas_geam_ex_operation_.kd
    .uniform_work_group_size: 1
    .uses_dynamic_stack: false
    .vgpr_count:     119
    .vgpr_spill_count: 0
    .wavefront_size: 32
    .workgroup_processor_mode: 1
  - .args:
      - .offset:         0
        .size:           4
        .value_kind:     by_value
      - .offset:         4
        .size:           4
        .value_kind:     by_value
      - .offset:         8
        .size:           4
        .value_kind:     by_value
      - .address_space:  global
        .offset:         16
        .size:           8
        .value_kind:     global_buffer
      - .address_space:  global
        .offset:         24
        .size:           8
        .value_kind:     global_buffer
      - .offset:         32
        .size:           4
        .value_kind:     by_value
      - .offset:         40
        .size:           8
        .value_kind:     by_value
      - .address_space:  global
        .offset:         48
        .size:           8
        .value_kind:     global_buffer
      - .offset:         56
        .size:           4
        .value_kind:     by_value
      - .offset:         64
        .size:           8
        .value_kind:     by_value
      - .address_space:  global
        .offset:         72
        .size:           8
        .value_kind:     global_buffer
      - .address_space:  global
        .offset:         80
        .size:           8
        .value_kind:     global_buffer
      - .offset:         88
        .size:           4
        .value_kind:     by_value
      - .offset:         96
        .size:           8
        .value_kind:     by_value
      - .address_space:  global
        .offset:         104
        .size:           8
        .value_kind:     global_buffer
      - .offset:         112
        .size:           4
        .value_kind:     by_value
      - .offset:         120
        .size:           8
        .value_kind:     by_value
      - .offset:         128
        .size:           4
        .value_kind:     by_value
      - .offset:         132
        .size:           4
        .value_kind:     by_value
    .group_segment_fixed_size: 3072
    .kernarg_segment_align: 8
    .kernarg_segment_size: 136
    .language:       OpenCL C
    .language_version:
      - 2
      - 0
    .max_flat_workgroup_size: 256
    .name:           _ZN12_GLOBAL__N_120geam_min_plus_kernelIDF16_Dv2_DF16_S1_Li8ELi32ELi64ELi128ELi4ELi64ELi4ELi64ELi4ELc78ELc84ELb0ELb0ELb0EPKDF16_S2_DF16_EEviiiT16_PT17_ilS6_ilS4_S6_ilPT18_ili26rocblas_geam_ex_operation_
    .private_segment_fixed_size: 0
    .sgpr_count:     28
    .sgpr_spill_count: 0
    .symbol:         _ZN12_GLOBAL__N_120geam_min_plus_kernelIDF16_Dv2_DF16_S1_Li8ELi32ELi64ELi128ELi4ELi64ELi4ELi64ELi4ELc78ELc84ELb0ELb0ELb0EPKDF16_S2_DF16_EEviiiT16_PT17_ilS6_ilS4_S6_ilPT18_ili26rocblas_geam_ex_operation_.kd
    .uniform_work_group_size: 1
    .uses_dynamic_stack: false
    .vgpr_count:     128
    .vgpr_spill_count: 0
    .wavefront_size: 32
    .workgroup_processor_mode: 1
  - .args:
      - .offset:         0
        .size:           4
        .value_kind:     by_value
      - .offset:         4
        .size:           4
        .value_kind:     by_value
      - .offset:         8
        .size:           4
        .value_kind:     by_value
      - .offset:         12
        .size:           2
        .value_kind:     by_value
      - .address_space:  global
        .offset:         16
        .size:           8
        .value_kind:     global_buffer
      - .offset:         24
        .size:           4
        .value_kind:     by_value
      - .offset:         32
        .size:           8
        .value_kind:     by_value
      - .address_space:  global
        .offset:         40
        .size:           8
        .value_kind:     global_buffer
      - .offset:         48
        .size:           4
        .value_kind:     by_value
      - .offset:         56
        .size:           8
        .value_kind:     by_value
      - .offset:         64
        .size:           2
        .value_kind:     by_value
      - .address_space:  global
        .offset:         72
        .size:           8
        .value_kind:     global_buffer
      - .offset:         80
        .size:           4
        .value_kind:     by_value
      - .offset:         88
        .size:           8
        .value_kind:     by_value
      - .address_space:  global
        .offset:         96
        .size:           8
        .value_kind:     global_buffer
      - .offset:         104
        .size:           4
        .value_kind:     by_value
      - .offset:         112
        .size:           8
        .value_kind:     by_value
      - .offset:         120
        .size:           4
        .value_kind:     by_value
      - .offset:         124
        .size:           4
        .value_kind:     by_value
    .group_segment_fixed_size: 3072
    .kernarg_segment_align: 8
    .kernarg_segment_size: 128
    .language:       OpenCL C
    .language_version:
      - 2
      - 0
    .max_flat_workgroup_size: 256
    .name:           _ZN12_GLOBAL__N_120geam_min_plus_kernelIDF16_Dv2_DF16_S1_Li8ELi32ELi64ELi128ELi4ELi64ELi4ELi64ELi4ELc78ELc84ELb1ELb0ELb0EDF16_KDF16_DF16_EEviiiT16_PT17_ilS5_ilS3_S5_ilPT18_ili26rocblas_geam_ex_operation_
    .private_segment_fixed_size: 0
    .sgpr_count:     23
    .sgpr_spill_count: 0
    .symbol:         _ZN12_GLOBAL__N_120geam_min_plus_kernelIDF16_Dv2_DF16_S1_Li8ELi32ELi64ELi128ELi4ELi64ELi4ELi64ELi4ELc78ELc84ELb1ELb0ELb0EDF16_KDF16_DF16_EEviiiT16_PT17_ilS5_ilS3_S5_ilPT18_ili26rocblas_geam_ex_operation_.kd
    .uniform_work_group_size: 1
    .uses_dynamic_stack: false
    .vgpr_count:     124
    .vgpr_spill_count: 0
    .wavefront_size: 32
    .workgroup_processor_mode: 1
  - .args:
      - .offset:         0
        .size:           4
        .value_kind:     by_value
      - .offset:         4
        .size:           4
        .value_kind:     by_value
      - .offset:         8
        .size:           4
        .value_kind:     by_value
      - .offset:         12
        .size:           2
        .value_kind:     by_value
      - .address_space:  global
        .offset:         16
        .size:           8
        .value_kind:     global_buffer
      - .offset:         24
        .size:           4
        .value_kind:     by_value
      - .offset:         32
        .size:           8
        .value_kind:     by_value
      - .address_space:  global
        .offset:         40
        .size:           8
        .value_kind:     global_buffer
      - .offset:         48
        .size:           4
        .value_kind:     by_value
      - .offset:         56
        .size:           8
        .value_kind:     by_value
      - .offset:         64
        .size:           2
        .value_kind:     by_value
      - .address_space:  global
        .offset:         72
        .size:           8
        .value_kind:     global_buffer
      - .offset:         80
        .size:           4
        .value_kind:     by_value
      - .offset:         88
        .size:           8
        .value_kind:     by_value
      - .address_space:  global
        .offset:         96
        .size:           8
        .value_kind:     global_buffer
      - .offset:         104
        .size:           4
        .value_kind:     by_value
      - .offset:         112
        .size:           8
        .value_kind:     by_value
      - .offset:         120
        .size:           4
        .value_kind:     by_value
      - .offset:         124
        .size:           4
        .value_kind:     by_value
    .group_segment_fixed_size: 3072
    .kernarg_segment_align: 8
    .kernarg_segment_size: 128
    .language:       OpenCL C
    .language_version:
      - 2
      - 0
    .max_flat_workgroup_size: 256
    .name:           _ZN12_GLOBAL__N_120geam_min_plus_kernelIDF16_Dv2_DF16_S1_Li8ELi32ELi64ELi128ELi4ELi64ELi4ELi64ELi4ELc78ELc84ELb0ELb0ELb0EDF16_KDF16_DF16_EEviiiT16_PT17_ilS5_ilS3_S5_ilPT18_ili26rocblas_geam_ex_operation_
    .private_segment_fixed_size: 0
    .sgpr_count:     28
    .sgpr_spill_count: 0
    .symbol:         _ZN12_GLOBAL__N_120geam_min_plus_kernelIDF16_Dv2_DF16_S1_Li8ELi32ELi64ELi128ELi4ELi64ELi4ELi64ELi4ELc78ELc84ELb0ELb0ELb0EDF16_KDF16_DF16_EEviiiT16_PT17_ilS5_ilS3_S5_ilPT18_ili26rocblas_geam_ex_operation_.kd
    .uniform_work_group_size: 1
    .uses_dynamic_stack: false
    .vgpr_count:     126
    .vgpr_spill_count: 0
    .wavefront_size: 32
    .workgroup_processor_mode: 1
  - .args:
      - .offset:         0
        .size:           4
        .value_kind:     by_value
      - .offset:         4
        .size:           4
        .value_kind:     by_value
      - .offset:         8
        .size:           4
        .value_kind:     by_value
      - .address_space:  global
        .offset:         16
        .size:           8
        .value_kind:     global_buffer
      - .address_space:  global
        .offset:         24
        .size:           8
        .value_kind:     global_buffer
      - .offset:         32
        .size:           4
        .value_kind:     by_value
      - .offset:         40
        .size:           8
        .value_kind:     by_value
      - .address_space:  global
        .offset:         48
        .size:           8
        .value_kind:     global_buffer
      - .offset:         56
        .size:           4
        .value_kind:     by_value
      - .offset:         64
        .size:           8
        .value_kind:     by_value
      - .address_space:  global
        .offset:         72
        .size:           8
        .value_kind:     global_buffer
      - .address_space:  global
        .offset:         80
        .size:           8
        .value_kind:     global_buffer
      - .offset:         88
        .size:           4
        .value_kind:     by_value
      - .offset:         96
        .size:           8
        .value_kind:     by_value
      - .address_space:  global
        .offset:         104
        .size:           8
        .value_kind:     global_buffer
      - .offset:         112
        .size:           4
        .value_kind:     by_value
      - .offset:         120
        .size:           8
        .value_kind:     by_value
      - .offset:         128
        .size:           4
        .value_kind:     by_value
      - .offset:         132
        .size:           4
        .value_kind:     by_value
    .group_segment_fixed_size: 3072
    .kernarg_segment_align: 8
    .kernarg_segment_size: 136
    .language:       OpenCL C
    .language_version:
      - 2
      - 0
    .max_flat_workgroup_size: 256
    .name:           _ZN12_GLOBAL__N_120geam_min_plus_kernelIDF16_Dv2_DF16_S1_Li8ELi32ELi64ELi128ELi4ELi64ELi4ELi64ELi4ELc78ELc84ELb0ELb1ELb0EPKDF16_S2_DF16_EEviiiT16_PT17_ilS6_ilS4_S6_ilPT18_ili26rocblas_geam_ex_operation_
    .private_segment_fixed_size: 0
    .sgpr_count:     30
    .sgpr_spill_count: 0
    .symbol:         _ZN12_GLOBAL__N_120geam_min_plus_kernelIDF16_Dv2_DF16_S1_Li8ELi32ELi64ELi128ELi4ELi64ELi4ELi64ELi4ELc78ELc84ELb0ELb1ELb0EPKDF16_S2_DF16_EEviiiT16_PT17_ilS6_ilS4_S6_ilPT18_ili26rocblas_geam_ex_operation_.kd
    .uniform_work_group_size: 1
    .uses_dynamic_stack: false
    .vgpr_count:     123
    .vgpr_spill_count: 0
    .wavefront_size: 32
    .workgroup_processor_mode: 1
  - .args:
      - .offset:         0
        .size:           4
        .value_kind:     by_value
      - .offset:         4
        .size:           4
        .value_kind:     by_value
      - .offset:         8
        .size:           4
        .value_kind:     by_value
      - .offset:         12
        .size:           2
        .value_kind:     by_value
      - .address_space:  global
        .offset:         16
        .size:           8
        .value_kind:     global_buffer
      - .offset:         24
        .size:           4
        .value_kind:     by_value
      - .offset:         32
        .size:           8
        .value_kind:     by_value
      - .address_space:  global
        .offset:         40
        .size:           8
        .value_kind:     global_buffer
      - .offset:         48
        .size:           4
        .value_kind:     by_value
      - .offset:         56
        .size:           8
        .value_kind:     by_value
      - .offset:         64
        .size:           2
        .value_kind:     by_value
      - .address_space:  global
        .offset:         72
        .size:           8
        .value_kind:     global_buffer
      - .offset:         80
        .size:           4
        .value_kind:     by_value
      - .offset:         88
        .size:           8
        .value_kind:     by_value
      - .address_space:  global
        .offset:         96
        .size:           8
        .value_kind:     global_buffer
      - .offset:         104
        .size:           4
        .value_kind:     by_value
      - .offset:         112
        .size:           8
        .value_kind:     by_value
      - .offset:         120
        .size:           4
        .value_kind:     by_value
      - .offset:         124
        .size:           4
        .value_kind:     by_value
    .group_segment_fixed_size: 3072
    .kernarg_segment_align: 8
    .kernarg_segment_size: 128
    .language:       OpenCL C
    .language_version:
      - 2
      - 0
    .max_flat_workgroup_size: 256
    .name:           _ZN12_GLOBAL__N_120geam_min_plus_kernelIDF16_Dv2_DF16_S1_Li8ELi32ELi64ELi128ELi4ELi64ELi4ELi64ELi4ELc78ELc84ELb1ELb1ELb0EDF16_KDF16_DF16_EEviiiT16_PT17_ilS5_ilS3_S5_ilPT18_ili26rocblas_geam_ex_operation_
    .private_segment_fixed_size: 0
    .sgpr_count:     29
    .sgpr_spill_count: 0
    .symbol:         _ZN12_GLOBAL__N_120geam_min_plus_kernelIDF16_Dv2_DF16_S1_Li8ELi32ELi64ELi128ELi4ELi64ELi4ELi64ELi4ELc78ELc84ELb1ELb1ELb0EDF16_KDF16_DF16_EEviiiT16_PT17_ilS5_ilS3_S5_ilPT18_ili26rocblas_geam_ex_operation_.kd
    .uniform_work_group_size: 1
    .uses_dynamic_stack: false
    .vgpr_count:     127
    .vgpr_spill_count: 0
    .wavefront_size: 32
    .workgroup_processor_mode: 1
  - .args:
      - .offset:         0
        .size:           4
        .value_kind:     by_value
      - .offset:         4
        .size:           4
        .value_kind:     by_value
      - .offset:         8
        .size:           4
        .value_kind:     by_value
      - .offset:         12
        .size:           2
        .value_kind:     by_value
      - .address_space:  global
        .offset:         16
        .size:           8
        .value_kind:     global_buffer
      - .offset:         24
        .size:           4
        .value_kind:     by_value
      - .offset:         32
        .size:           8
        .value_kind:     by_value
      - .address_space:  global
        .offset:         40
        .size:           8
        .value_kind:     global_buffer
      - .offset:         48
        .size:           4
        .value_kind:     by_value
      - .offset:         56
        .size:           8
        .value_kind:     by_value
      - .offset:         64
        .size:           2
        .value_kind:     by_value
      - .address_space:  global
        .offset:         72
        .size:           8
        .value_kind:     global_buffer
      - .offset:         80
        .size:           4
        .value_kind:     by_value
      - .offset:         88
        .size:           8
        .value_kind:     by_value
      - .address_space:  global
        .offset:         96
        .size:           8
        .value_kind:     global_buffer
      - .offset:         104
        .size:           4
        .value_kind:     by_value
      - .offset:         112
        .size:           8
        .value_kind:     by_value
      - .offset:         120
        .size:           4
        .value_kind:     by_value
      - .offset:         124
        .size:           4
        .value_kind:     by_value
    .group_segment_fixed_size: 3072
    .kernarg_segment_align: 8
    .kernarg_segment_size: 128
    .language:       OpenCL C
    .language_version:
      - 2
      - 0
    .max_flat_workgroup_size: 256
    .name:           _ZN12_GLOBAL__N_120geam_min_plus_kernelIDF16_Dv2_DF16_S1_Li8ELi32ELi64ELi128ELi4ELi64ELi4ELi64ELi4ELc78ELc84ELb0ELb1ELb0EDF16_KDF16_DF16_EEviiiT16_PT17_ilS5_ilS3_S5_ilPT18_ili26rocblas_geam_ex_operation_
    .private_segment_fixed_size: 0
    .sgpr_count:     32
    .sgpr_spill_count: 0
    .symbol:         _ZN12_GLOBAL__N_120geam_min_plus_kernelIDF16_Dv2_DF16_S1_Li8ELi32ELi64ELi128ELi4ELi64ELi4ELi64ELi4ELc78ELc84ELb0ELb1ELb0EDF16_KDF16_DF16_EEviiiT16_PT17_ilS5_ilS3_S5_ilPT18_ili26rocblas_geam_ex_operation_.kd
    .uniform_work_group_size: 1
    .uses_dynamic_stack: false
    .vgpr_count:     121
    .vgpr_spill_count: 0
    .wavefront_size: 32
    .workgroup_processor_mode: 1
  - .args:
      - .offset:         0
        .size:           4
        .value_kind:     by_value
      - .offset:         4
        .size:           4
        .value_kind:     by_value
      - .offset:         8
        .size:           4
        .value_kind:     by_value
      - .address_space:  global
        .offset:         16
        .size:           8
        .value_kind:     global_buffer
      - .address_space:  global
        .offset:         24
        .size:           8
        .value_kind:     global_buffer
      - .offset:         32
        .size:           4
        .value_kind:     by_value
      - .offset:         40
        .size:           8
        .value_kind:     by_value
      - .address_space:  global
        .offset:         48
        .size:           8
        .value_kind:     global_buffer
      - .offset:         56
        .size:           4
        .value_kind:     by_value
      - .offset:         64
        .size:           8
        .value_kind:     by_value
      - .address_space:  global
        .offset:         72
        .size:           8
        .value_kind:     global_buffer
      - .address_space:  global
        .offset:         80
        .size:           8
        .value_kind:     global_buffer
      - .offset:         88
        .size:           4
        .value_kind:     by_value
      - .offset:         96
        .size:           8
        .value_kind:     by_value
      - .address_space:  global
        .offset:         104
        .size:           8
        .value_kind:     global_buffer
      - .offset:         112
        .size:           4
        .value_kind:     by_value
      - .offset:         120
        .size:           8
        .value_kind:     by_value
      - .offset:         128
        .size:           4
        .value_kind:     by_value
      - .offset:         132
        .size:           4
        .value_kind:     by_value
    .group_segment_fixed_size: 3072
    .kernarg_segment_align: 8
    .kernarg_segment_size: 136
    .language:       OpenCL C
    .language_version:
      - 2
      - 0
    .max_flat_workgroup_size: 256
    .name:           _ZN12_GLOBAL__N_120geam_min_plus_kernelIDF16_Dv2_DF16_S1_Li8ELi32ELi64ELi128ELi4ELi4ELi64ELi64ELi4ELc84ELc84ELb0ELb0ELb0EPKDF16_S2_DF16_EEviiiT16_PT17_ilS6_ilS4_S6_ilPT18_ili26rocblas_geam_ex_operation_
    .private_segment_fixed_size: 0
    .sgpr_count:     28
    .sgpr_spill_count: 0
    .symbol:         _ZN12_GLOBAL__N_120geam_min_plus_kernelIDF16_Dv2_DF16_S1_Li8ELi32ELi64ELi128ELi4ELi4ELi64ELi64ELi4ELc84ELc84ELb0ELb0ELb0EPKDF16_S2_DF16_EEviiiT16_PT17_ilS6_ilS4_S6_ilPT18_ili26rocblas_geam_ex_operation_.kd
    .uniform_work_group_size: 1
    .uses_dynamic_stack: false
    .vgpr_count:     124
    .vgpr_spill_count: 0
    .wavefront_size: 32
    .workgroup_processor_mode: 1
  - .args:
      - .offset:         0
        .size:           4
        .value_kind:     by_value
      - .offset:         4
        .size:           4
        .value_kind:     by_value
      - .offset:         8
        .size:           4
        .value_kind:     by_value
      - .offset:         12
        .size:           2
        .value_kind:     by_value
      - .address_space:  global
        .offset:         16
        .size:           8
        .value_kind:     global_buffer
      - .offset:         24
        .size:           4
        .value_kind:     by_value
      - .offset:         32
        .size:           8
        .value_kind:     by_value
      - .address_space:  global
        .offset:         40
        .size:           8
        .value_kind:     global_buffer
      - .offset:         48
        .size:           4
        .value_kind:     by_value
      - .offset:         56
        .size:           8
        .value_kind:     by_value
      - .offset:         64
        .size:           2
        .value_kind:     by_value
      - .address_space:  global
        .offset:         72
        .size:           8
        .value_kind:     global_buffer
      - .offset:         80
        .size:           4
        .value_kind:     by_value
      - .offset:         88
        .size:           8
        .value_kind:     by_value
      - .address_space:  global
        .offset:         96
        .size:           8
        .value_kind:     global_buffer
      - .offset:         104
        .size:           4
        .value_kind:     by_value
      - .offset:         112
        .size:           8
        .value_kind:     by_value
      - .offset:         120
        .size:           4
        .value_kind:     by_value
      - .offset:         124
        .size:           4
        .value_kind:     by_value
    .group_segment_fixed_size: 3072
    .kernarg_segment_align: 8
    .kernarg_segment_size: 128
    .language:       OpenCL C
    .language_version:
      - 2
      - 0
    .max_flat_workgroup_size: 256
    .name:           _ZN12_GLOBAL__N_120geam_min_plus_kernelIDF16_Dv2_DF16_S1_Li8ELi32ELi64ELi128ELi4ELi4ELi64ELi64ELi4ELc84ELc84ELb1ELb0ELb0EDF16_KDF16_DF16_EEviiiT16_PT17_ilS5_ilS3_S5_ilPT18_ili26rocblas_geam_ex_operation_
    .private_segment_fixed_size: 0
    .sgpr_count:     23
    .sgpr_spill_count: 0
    .symbol:         _ZN12_GLOBAL__N_120geam_min_plus_kernelIDF16_Dv2_DF16_S1_Li8ELi32ELi64ELi128ELi4ELi4ELi64ELi64ELi4ELc84ELc84ELb1ELb0ELb0EDF16_KDF16_DF16_EEviiiT16_PT17_ilS5_ilS3_S5_ilPT18_ili26rocblas_geam_ex_operation_.kd
    .uniform_work_group_size: 1
    .uses_dynamic_stack: false
    .vgpr_count:     120
    .vgpr_spill_count: 0
    .wavefront_size: 32
    .workgroup_processor_mode: 1
  - .args:
      - .offset:         0
        .size:           4
        .value_kind:     by_value
      - .offset:         4
        .size:           4
        .value_kind:     by_value
      - .offset:         8
        .size:           4
        .value_kind:     by_value
      - .offset:         12
        .size:           2
        .value_kind:     by_value
      - .address_space:  global
        .offset:         16
        .size:           8
        .value_kind:     global_buffer
      - .offset:         24
        .size:           4
        .value_kind:     by_value
      - .offset:         32
        .size:           8
        .value_kind:     by_value
      - .address_space:  global
        .offset:         40
        .size:           8
        .value_kind:     global_buffer
      - .offset:         48
        .size:           4
        .value_kind:     by_value
      - .offset:         56
        .size:           8
        .value_kind:     by_value
      - .offset:         64
        .size:           2
        .value_kind:     by_value
      - .address_space:  global
        .offset:         72
        .size:           8
        .value_kind:     global_buffer
      - .offset:         80
        .size:           4
        .value_kind:     by_value
      - .offset:         88
        .size:           8
        .value_kind:     by_value
      - .address_space:  global
        .offset:         96
        .size:           8
        .value_kind:     global_buffer
      - .offset:         104
        .size:           4
        .value_kind:     by_value
      - .offset:         112
        .size:           8
        .value_kind:     by_value
      - .offset:         120
        .size:           4
        .value_kind:     by_value
      - .offset:         124
        .size:           4
        .value_kind:     by_value
    .group_segment_fixed_size: 3072
    .kernarg_segment_align: 8
    .kernarg_segment_size: 128
    .language:       OpenCL C
    .language_version:
      - 2
      - 0
    .max_flat_workgroup_size: 256
    .name:           _ZN12_GLOBAL__N_120geam_min_plus_kernelIDF16_Dv2_DF16_S1_Li8ELi32ELi64ELi128ELi4ELi4ELi64ELi64ELi4ELc84ELc84ELb0ELb0ELb0EDF16_KDF16_DF16_EEviiiT16_PT17_ilS5_ilS3_S5_ilPT18_ili26rocblas_geam_ex_operation_
    .private_segment_fixed_size: 0
    .sgpr_count:     27
    .sgpr_spill_count: 0
    .symbol:         _ZN12_GLOBAL__N_120geam_min_plus_kernelIDF16_Dv2_DF16_S1_Li8ELi32ELi64ELi128ELi4ELi4ELi64ELi64ELi4ELc84ELc84ELb0ELb0ELb0EDF16_KDF16_DF16_EEviiiT16_PT17_ilS5_ilS3_S5_ilPT18_ili26rocblas_geam_ex_operation_.kd
    .uniform_work_group_size: 1
    .uses_dynamic_stack: false
    .vgpr_count:     122
    .vgpr_spill_count: 0
    .wavefront_size: 32
    .workgroup_processor_mode: 1
  - .args:
      - .offset:         0
        .size:           4
        .value_kind:     by_value
      - .offset:         4
        .size:           4
        .value_kind:     by_value
      - .offset:         8
        .size:           4
        .value_kind:     by_value
      - .address_space:  global
        .offset:         16
        .size:           8
        .value_kind:     global_buffer
      - .address_space:  global
        .offset:         24
        .size:           8
        .value_kind:     global_buffer
      - .offset:         32
        .size:           4
        .value_kind:     by_value
      - .offset:         40
        .size:           8
        .value_kind:     by_value
      - .address_space:  global
        .offset:         48
        .size:           8
        .value_kind:     global_buffer
      - .offset:         56
        .size:           4
        .value_kind:     by_value
      - .offset:         64
        .size:           8
        .value_kind:     by_value
      - .address_space:  global
        .offset:         72
        .size:           8
        .value_kind:     global_buffer
      - .address_space:  global
        .offset:         80
        .size:           8
        .value_kind:     global_buffer
      - .offset:         88
        .size:           4
        .value_kind:     by_value
      - .offset:         96
        .size:           8
        .value_kind:     by_value
      - .address_space:  global
        .offset:         104
        .size:           8
        .value_kind:     global_buffer
      - .offset:         112
        .size:           4
        .value_kind:     by_value
      - .offset:         120
        .size:           8
        .value_kind:     by_value
      - .offset:         128
        .size:           4
        .value_kind:     by_value
      - .offset:         132
        .size:           4
        .value_kind:     by_value
    .group_segment_fixed_size: 3072
    .kernarg_segment_align: 8
    .kernarg_segment_size: 136
    .language:       OpenCL C
    .language_version:
      - 2
      - 0
    .max_flat_workgroup_size: 256
    .name:           _ZN12_GLOBAL__N_120geam_min_plus_kernelIDF16_Dv2_DF16_S1_Li8ELi32ELi64ELi128ELi4ELi4ELi64ELi64ELi4ELc84ELc84ELb0ELb1ELb0EPKDF16_S2_DF16_EEviiiT16_PT17_ilS6_ilS4_S6_ilPT18_ili26rocblas_geam_ex_operation_
    .private_segment_fixed_size: 0
    .sgpr_count:     29
    .sgpr_spill_count: 0
    .symbol:         _ZN12_GLOBAL__N_120geam_min_plus_kernelIDF16_Dv2_DF16_S1_Li8ELi32ELi64ELi128ELi4ELi4ELi64ELi64ELi4ELc84ELc84ELb0ELb1ELb0EPKDF16_S2_DF16_EEviiiT16_PT17_ilS6_ilS4_S6_ilPT18_ili26rocblas_geam_ex_operation_.kd
    .uniform_work_group_size: 1
    .uses_dynamic_stack: false
    .vgpr_count:     120
    .vgpr_spill_count: 0
    .wavefront_size: 32
    .workgroup_processor_mode: 1
  - .args:
      - .offset:         0
        .size:           4
        .value_kind:     by_value
      - .offset:         4
        .size:           4
        .value_kind:     by_value
      - .offset:         8
        .size:           4
        .value_kind:     by_value
      - .offset:         12
        .size:           2
        .value_kind:     by_value
      - .address_space:  global
        .offset:         16
        .size:           8
        .value_kind:     global_buffer
      - .offset:         24
        .size:           4
        .value_kind:     by_value
      - .offset:         32
        .size:           8
        .value_kind:     by_value
      - .address_space:  global
        .offset:         40
        .size:           8
        .value_kind:     global_buffer
      - .offset:         48
        .size:           4
        .value_kind:     by_value
      - .offset:         56
        .size:           8
        .value_kind:     by_value
      - .offset:         64
        .size:           2
        .value_kind:     by_value
      - .address_space:  global
        .offset:         72
        .size:           8
        .value_kind:     global_buffer
      - .offset:         80
        .size:           4
        .value_kind:     by_value
      - .offset:         88
        .size:           8
        .value_kind:     by_value
      - .address_space:  global
        .offset:         96
        .size:           8
        .value_kind:     global_buffer
      - .offset:         104
        .size:           4
        .value_kind:     by_value
      - .offset:         112
        .size:           8
        .value_kind:     by_value
      - .offset:         120
        .size:           4
        .value_kind:     by_value
      - .offset:         124
        .size:           4
        .value_kind:     by_value
    .group_segment_fixed_size: 3072
    .kernarg_segment_align: 8
    .kernarg_segment_size: 128
    .language:       OpenCL C
    .language_version:
      - 2
      - 0
    .max_flat_workgroup_size: 256
    .name:           _ZN12_GLOBAL__N_120geam_min_plus_kernelIDF16_Dv2_DF16_S1_Li8ELi32ELi64ELi128ELi4ELi4ELi64ELi64ELi4ELc84ELc84ELb1ELb1ELb0EDF16_KDF16_DF16_EEviiiT16_PT17_ilS5_ilS3_S5_ilPT18_ili26rocblas_geam_ex_operation_
    .private_segment_fixed_size: 0
    .sgpr_count:     28
    .sgpr_spill_count: 0
    .symbol:         _ZN12_GLOBAL__N_120geam_min_plus_kernelIDF16_Dv2_DF16_S1_Li8ELi32ELi64ELi128ELi4ELi4ELi64ELi64ELi4ELc84ELc84ELb1ELb1ELb0EDF16_KDF16_DF16_EEviiiT16_PT17_ilS5_ilS3_S5_ilPT18_ili26rocblas_geam_ex_operation_.kd
    .uniform_work_group_size: 1
    .uses_dynamic_stack: false
    .vgpr_count:     124
    .vgpr_spill_count: 0
    .wavefront_size: 32
    .workgroup_processor_mode: 1
  - .args:
      - .offset:         0
        .size:           4
        .value_kind:     by_value
      - .offset:         4
        .size:           4
        .value_kind:     by_value
      - .offset:         8
        .size:           4
        .value_kind:     by_value
      - .offset:         12
        .size:           2
        .value_kind:     by_value
      - .address_space:  global
        .offset:         16
        .size:           8
        .value_kind:     global_buffer
      - .offset:         24
        .size:           4
        .value_kind:     by_value
      - .offset:         32
        .size:           8
        .value_kind:     by_value
      - .address_space:  global
        .offset:         40
        .size:           8
        .value_kind:     global_buffer
      - .offset:         48
        .size:           4
        .value_kind:     by_value
      - .offset:         56
        .size:           8
        .value_kind:     by_value
      - .offset:         64
        .size:           2
        .value_kind:     by_value
      - .address_space:  global
        .offset:         72
        .size:           8
        .value_kind:     global_buffer
      - .offset:         80
        .size:           4
        .value_kind:     by_value
      - .offset:         88
        .size:           8
        .value_kind:     by_value
      - .address_space:  global
        .offset:         96
        .size:           8
        .value_kind:     global_buffer
      - .offset:         104
        .size:           4
        .value_kind:     by_value
      - .offset:         112
        .size:           8
        .value_kind:     by_value
      - .offset:         120
        .size:           4
        .value_kind:     by_value
      - .offset:         124
        .size:           4
        .value_kind:     by_value
    .group_segment_fixed_size: 3072
    .kernarg_segment_align: 8
    .kernarg_segment_size: 128
    .language:       OpenCL C
    .language_version:
      - 2
      - 0
    .max_flat_workgroup_size: 256
    .name:           _ZN12_GLOBAL__N_120geam_min_plus_kernelIDF16_Dv2_DF16_S1_Li8ELi32ELi64ELi128ELi4ELi4ELi64ELi64ELi4ELc84ELc84ELb0ELb1ELb0EDF16_KDF16_DF16_EEviiiT16_PT17_ilS5_ilS3_S5_ilPT18_ili26rocblas_geam_ex_operation_
    .private_segment_fixed_size: 0
    .sgpr_count:     31
    .sgpr_spill_count: 0
    .symbol:         _ZN12_GLOBAL__N_120geam_min_plus_kernelIDF16_Dv2_DF16_S1_Li8ELi32ELi64ELi128ELi4ELi4ELi64ELi64ELi4ELc84ELc84ELb0ELb1ELb0EDF16_KDF16_DF16_EEviiiT16_PT17_ilS5_ilS3_S5_ilPT18_ili26rocblas_geam_ex_operation_.kd
    .uniform_work_group_size: 1
    .uses_dynamic_stack: false
    .vgpr_count:     118
    .vgpr_spill_count: 0
    .wavefront_size: 32
    .workgroup_processor_mode: 1
amdhsa.target:   amdgcn-amd-amdhsa--gfx1030
amdhsa.version:
  - 1
  - 2
...

	.end_amdgpu_metadata
